;; amdgpu-corpus repo=ROCm/rocSOLVER kind=compiled arch=gfx1250 opt=O3
	.amdgcn_target "amdgcn-amd-amdhsa--gfx1250"
	.amdhsa_code_object_version 6
	.section	.text._ZN9rocsolver6v33100L18trti2_kernel_smallILi1E19rocblas_complex_numIfEPS3_EEv13rocblas_fill_17rocblas_diagonal_T1_iil,"axG",@progbits,_ZN9rocsolver6v33100L18trti2_kernel_smallILi1E19rocblas_complex_numIfEPS3_EEv13rocblas_fill_17rocblas_diagonal_T1_iil,comdat
	.globl	_ZN9rocsolver6v33100L18trti2_kernel_smallILi1E19rocblas_complex_numIfEPS3_EEv13rocblas_fill_17rocblas_diagonal_T1_iil ; -- Begin function _ZN9rocsolver6v33100L18trti2_kernel_smallILi1E19rocblas_complex_numIfEPS3_EEv13rocblas_fill_17rocblas_diagonal_T1_iil
	.p2align	8
	.type	_ZN9rocsolver6v33100L18trti2_kernel_smallILi1E19rocblas_complex_numIfEPS3_EEv13rocblas_fill_17rocblas_diagonal_T1_iil,@function
_ZN9rocsolver6v33100L18trti2_kernel_smallILi1E19rocblas_complex_numIfEPS3_EEv13rocblas_fill_17rocblas_diagonal_T1_iil: ; @_ZN9rocsolver6v33100L18trti2_kernel_smallILi1E19rocblas_complex_numIfEPS3_EEv13rocblas_fill_17rocblas_diagonal_T1_iil
; %bb.0:
	s_mov_b32 s2, exec_lo
	v_cmpx_eq_u32_e32 0, v0
	s_cbranch_execz .LBB0_7
; %bb.1:
	s_clause 0x1
	s_load_b96 s[4:6], s[0:1], 0x8
	s_load_b64 s[2:3], s[0:1], 0x18
	s_bfe_u32 s7, ttmp6, 0x4000c
	s_and_b32 s8, ttmp6, 15
	s_add_co_i32 s7, s7, 1
	s_getreg_b32 s9, hwreg(HW_REG_IB_STS2, 6, 4)
	s_mul_i32 s7, ttmp9, s7
	s_delay_alu instid0(SALU_CYCLE_1) | instskip(SKIP_4) | instid1(SALU_CYCLE_1)
	s_add_co_i32 s8, s8, s7
	s_wait_kmcnt 0x0
	s_ashr_i32 s7, s6, 31
	s_cmp_eq_u32 s9, 0
	s_cselect_b32 s8, ttmp9, s8
	s_ashr_i32 s9, s8, 31
	s_delay_alu instid0(SALU_CYCLE_1) | instskip(NEXT) | instid1(SALU_CYCLE_1)
	s_mul_u64 s[2:3], s[2:3], s[8:9]
	s_lshl_b64 s[2:3], s[2:3], 3
	s_delay_alu instid0(SALU_CYCLE_1) | instskip(SKIP_1) | instid1(SALU_CYCLE_1)
	s_add_nc_u64 s[2:3], s[4:5], s[2:3]
	s_lshl_b64 s[4:5], s[6:7], 3
	s_add_nc_u64 s[2:3], s[2:3], s[4:5]
	s_load_b64 s[4:5], s[2:3], 0x0
	s_load_b32 s6, s[0:1], 0x4
	s_wait_kmcnt 0x0
	v_mov_b64_e32 v[0:1], s[4:5]
	s_cmp_eq_u32 s6, 0x84
	s_cbranch_scc1 .LBB0_6
; %bb.2:
	s_and_b32 s0, s4, 0x7fffffff
	s_and_b32 s1, s5, 0x7fffffff
	s_delay_alu instid0(SALU_CYCLE_1)
	s_cmp_ngt_f32 s0, s1
	s_cbranch_scc0 .LBB0_4
; %bb.3:
	v_div_scale_f32 v0, null, s5, s5, s4
	v_div_scale_f32 v3, vcc_lo, s4, s5, s4
	s_delay_alu instid0(VALU_DEP_2)
	v_rcp_f32_e32 v1, v0
	v_nop
	v_xor_b32_e32 v0, 0x80000000, v0
	s_delay_alu instid0(TRANS32_DEP_1) | instid1(VALU_DEP_1)
	v_fma_f32 v2, v0, v1, 1.0
	s_delay_alu instid0(VALU_DEP_1) | instskip(NEXT) | instid1(VALU_DEP_1)
	v_fmac_f32_e32 v1, v2, v1
	v_mul_f32_e32 v2, v3, v1
	s_delay_alu instid0(VALU_DEP_1) | instskip(NEXT) | instid1(VALU_DEP_1)
	v_fma_f32 v4, v0, v2, v3
	v_fmac_f32_e32 v2, v4, v1
	s_delay_alu instid0(VALU_DEP_1) | instskip(NEXT) | instid1(VALU_DEP_1)
	v_fmac_f32_e32 v3, v0, v2
	v_div_fmas_f32 v0, v3, v1, v2
	s_delay_alu instid0(VALU_DEP_1) | instskip(NEXT) | instid1(VALU_DEP_1)
	v_div_fixup_f32 v0, v0, s5, s4
	v_fma_f32 v1, v0, s4, s5
	s_delay_alu instid0(VALU_DEP_1) | instskip(SKIP_1) | instid1(VALU_DEP_2)
	v_div_scale_f32 v2, null, v1, v1, 1.0
	v_div_scale_f32 v5, vcc_lo, 1.0, v1, 1.0
	v_rcp_f32_e32 v3, v2
	v_nop
	v_xor_b32_e32 v2, 0x80000000, v2
	s_delay_alu instid0(TRANS32_DEP_1) | instid1(VALU_DEP_1)
	v_fma_f32 v4, v2, v3, 1.0
	s_delay_alu instid0(VALU_DEP_1) | instskip(NEXT) | instid1(VALU_DEP_1)
	v_fmac_f32_e32 v3, v4, v3
	v_mul_f32_e32 v4, v5, v3
	s_delay_alu instid0(VALU_DEP_1) | instskip(NEXT) | instid1(VALU_DEP_1)
	v_fma_f32 v6, v2, v4, v5
	v_fmac_f32_e32 v4, v6, v3
	s_delay_alu instid0(VALU_DEP_1) | instskip(NEXT) | instid1(VALU_DEP_1)
	v_fmac_f32_e32 v5, v2, v4
	v_div_fmas_f32 v2, v5, v3, v4
	s_delay_alu instid0(VALU_DEP_1) | instskip(NEXT) | instid1(VALU_DEP_1)
	v_div_fixup_f32 v1, v2, v1, 1.0
	v_mul_f32_e32 v0, v0, v1
	v_xor_b32_e32 v1, 0x80000000, v1
	s_cbranch_execz .LBB0_5
	s_branch .LBB0_6
.LBB0_4:
                                        ; implicit-def: $vgpr0_vgpr1
.LBB0_5:
	v_div_scale_f32 v0, null, s4, s4, s5
	v_div_scale_f32 v3, vcc_lo, s5, s4, s5
	s_delay_alu instid0(VALU_DEP_2)
	v_rcp_f32_e32 v1, v0
	v_nop
	v_xor_b32_e32 v0, 0x80000000, v0
	s_delay_alu instid0(TRANS32_DEP_1) | instid1(VALU_DEP_1)
	v_fma_f32 v2, v0, v1, 1.0
	s_delay_alu instid0(VALU_DEP_1) | instskip(NEXT) | instid1(VALU_DEP_1)
	v_fmac_f32_e32 v1, v2, v1
	v_mul_f32_e32 v2, v3, v1
	s_delay_alu instid0(VALU_DEP_1) | instskip(NEXT) | instid1(VALU_DEP_1)
	v_fma_f32 v4, v0, v2, v3
	v_fmac_f32_e32 v2, v4, v1
	s_delay_alu instid0(VALU_DEP_1) | instskip(NEXT) | instid1(VALU_DEP_1)
	v_fmac_f32_e32 v3, v0, v2
	v_div_fmas_f32 v0, v3, v1, v2
	s_delay_alu instid0(VALU_DEP_1) | instskip(NEXT) | instid1(VALU_DEP_1)
	v_div_fixup_f32 v1, v0, s4, s5
	v_fma_f32 v0, v1, s5, s4
	s_delay_alu instid0(VALU_DEP_1) | instskip(NEXT) | instid1(VALU_DEP_1)
	v_div_scale_f32 v2, null, v0, v0, 1.0
	v_rcp_f32_e32 v3, v2
	v_nop
	v_xor_b32_e32 v2, 0x80000000, v2
	s_delay_alu instid0(TRANS32_DEP_1) | instid1(VALU_DEP_1)
	v_fma_f32 v4, v2, v3, 1.0
	s_delay_alu instid0(VALU_DEP_1) | instskip(SKIP_1) | instid1(VALU_DEP_1)
	v_fmac_f32_e32 v3, v4, v3
	v_div_scale_f32 v4, vcc_lo, 1.0, v0, 1.0
	v_mul_f32_e32 v5, v4, v3
	s_delay_alu instid0(VALU_DEP_1) | instskip(NEXT) | instid1(VALU_DEP_1)
	v_fma_f32 v6, v2, v5, v4
	v_fmac_f32_e32 v5, v6, v3
	s_delay_alu instid0(VALU_DEP_1) | instskip(NEXT) | instid1(VALU_DEP_1)
	v_fmac_f32_e32 v4, v2, v5
	v_div_fmas_f32 v2, v4, v3, v5
	s_delay_alu instid0(VALU_DEP_1) | instskip(NEXT) | instid1(VALU_DEP_1)
	v_div_fixup_f32 v0, v2, v0, 1.0
	v_xor_b32_e32 v2, 0x80000000, v0
	s_delay_alu instid0(VALU_DEP_1)
	v_mul_f32_e32 v1, v1, v2
.LBB0_6:
	v_mov_b32_e32 v2, 0
	global_store_b64 v2, v[0:1], s[2:3]
.LBB0_7:
	s_endpgm
	.section	.rodata,"a",@progbits
	.p2align	6, 0x0
	.amdhsa_kernel _ZN9rocsolver6v33100L18trti2_kernel_smallILi1E19rocblas_complex_numIfEPS3_EEv13rocblas_fill_17rocblas_diagonal_T1_iil
		.amdhsa_group_segment_fixed_size 0
		.amdhsa_private_segment_fixed_size 0
		.amdhsa_kernarg_size 32
		.amdhsa_user_sgpr_count 2
		.amdhsa_user_sgpr_dispatch_ptr 0
		.amdhsa_user_sgpr_queue_ptr 0
		.amdhsa_user_sgpr_kernarg_segment_ptr 1
		.amdhsa_user_sgpr_dispatch_id 0
		.amdhsa_user_sgpr_kernarg_preload_length 0
		.amdhsa_user_sgpr_kernarg_preload_offset 0
		.amdhsa_user_sgpr_private_segment_size 0
		.amdhsa_wavefront_size32 1
		.amdhsa_uses_dynamic_stack 0
		.amdhsa_enable_private_segment 0
		.amdhsa_system_sgpr_workgroup_id_x 1
		.amdhsa_system_sgpr_workgroup_id_y 0
		.amdhsa_system_sgpr_workgroup_id_z 0
		.amdhsa_system_sgpr_workgroup_info 0
		.amdhsa_system_vgpr_workitem_id 0
		.amdhsa_next_free_vgpr 7
		.amdhsa_next_free_sgpr 10
		.amdhsa_named_barrier_count 0
		.amdhsa_reserve_vcc 1
		.amdhsa_float_round_mode_32 0
		.amdhsa_float_round_mode_16_64 0
		.amdhsa_float_denorm_mode_32 3
		.amdhsa_float_denorm_mode_16_64 3
		.amdhsa_fp16_overflow 0
		.amdhsa_memory_ordered 1
		.amdhsa_forward_progress 1
		.amdhsa_inst_pref_size 6
		.amdhsa_round_robin_scheduling 0
		.amdhsa_exception_fp_ieee_invalid_op 0
		.amdhsa_exception_fp_denorm_src 0
		.amdhsa_exception_fp_ieee_div_zero 0
		.amdhsa_exception_fp_ieee_overflow 0
		.amdhsa_exception_fp_ieee_underflow 0
		.amdhsa_exception_fp_ieee_inexact 0
		.amdhsa_exception_int_div_zero 0
	.end_amdhsa_kernel
	.section	.text._ZN9rocsolver6v33100L18trti2_kernel_smallILi1E19rocblas_complex_numIfEPS3_EEv13rocblas_fill_17rocblas_diagonal_T1_iil,"axG",@progbits,_ZN9rocsolver6v33100L18trti2_kernel_smallILi1E19rocblas_complex_numIfEPS3_EEv13rocblas_fill_17rocblas_diagonal_T1_iil,comdat
.Lfunc_end0:
	.size	_ZN9rocsolver6v33100L18trti2_kernel_smallILi1E19rocblas_complex_numIfEPS3_EEv13rocblas_fill_17rocblas_diagonal_T1_iil, .Lfunc_end0-_ZN9rocsolver6v33100L18trti2_kernel_smallILi1E19rocblas_complex_numIfEPS3_EEv13rocblas_fill_17rocblas_diagonal_T1_iil
                                        ; -- End function
	.set _ZN9rocsolver6v33100L18trti2_kernel_smallILi1E19rocblas_complex_numIfEPS3_EEv13rocblas_fill_17rocblas_diagonal_T1_iil.num_vgpr, 7
	.set _ZN9rocsolver6v33100L18trti2_kernel_smallILi1E19rocblas_complex_numIfEPS3_EEv13rocblas_fill_17rocblas_diagonal_T1_iil.num_agpr, 0
	.set _ZN9rocsolver6v33100L18trti2_kernel_smallILi1E19rocblas_complex_numIfEPS3_EEv13rocblas_fill_17rocblas_diagonal_T1_iil.numbered_sgpr, 10
	.set _ZN9rocsolver6v33100L18trti2_kernel_smallILi1E19rocblas_complex_numIfEPS3_EEv13rocblas_fill_17rocblas_diagonal_T1_iil.num_named_barrier, 0
	.set _ZN9rocsolver6v33100L18trti2_kernel_smallILi1E19rocblas_complex_numIfEPS3_EEv13rocblas_fill_17rocblas_diagonal_T1_iil.private_seg_size, 0
	.set _ZN9rocsolver6v33100L18trti2_kernel_smallILi1E19rocblas_complex_numIfEPS3_EEv13rocblas_fill_17rocblas_diagonal_T1_iil.uses_vcc, 1
	.set _ZN9rocsolver6v33100L18trti2_kernel_smallILi1E19rocblas_complex_numIfEPS3_EEv13rocblas_fill_17rocblas_diagonal_T1_iil.uses_flat_scratch, 0
	.set _ZN9rocsolver6v33100L18trti2_kernel_smallILi1E19rocblas_complex_numIfEPS3_EEv13rocblas_fill_17rocblas_diagonal_T1_iil.has_dyn_sized_stack, 0
	.set _ZN9rocsolver6v33100L18trti2_kernel_smallILi1E19rocblas_complex_numIfEPS3_EEv13rocblas_fill_17rocblas_diagonal_T1_iil.has_recursion, 0
	.set _ZN9rocsolver6v33100L18trti2_kernel_smallILi1E19rocblas_complex_numIfEPS3_EEv13rocblas_fill_17rocblas_diagonal_T1_iil.has_indirect_call, 0
	.section	.AMDGPU.csdata,"",@progbits
; Kernel info:
; codeLenInByte = 664
; TotalNumSgprs: 12
; NumVgprs: 7
; ScratchSize: 0
; MemoryBound: 0
; FloatMode: 240
; IeeeMode: 1
; LDSByteSize: 0 bytes/workgroup (compile time only)
; SGPRBlocks: 0
; VGPRBlocks: 0
; NumSGPRsForWavesPerEU: 12
; NumVGPRsForWavesPerEU: 7
; NamedBarCnt: 0
; Occupancy: 16
; WaveLimiterHint : 0
; COMPUTE_PGM_RSRC2:SCRATCH_EN: 0
; COMPUTE_PGM_RSRC2:USER_SGPR: 2
; COMPUTE_PGM_RSRC2:TRAP_HANDLER: 0
; COMPUTE_PGM_RSRC2:TGID_X_EN: 1
; COMPUTE_PGM_RSRC2:TGID_Y_EN: 0
; COMPUTE_PGM_RSRC2:TGID_Z_EN: 0
; COMPUTE_PGM_RSRC2:TIDIG_COMP_CNT: 0
	.section	.text._ZN9rocsolver6v33100L18trti2_kernel_smallILi2E19rocblas_complex_numIfEPS3_EEv13rocblas_fill_17rocblas_diagonal_T1_iil,"axG",@progbits,_ZN9rocsolver6v33100L18trti2_kernel_smallILi2E19rocblas_complex_numIfEPS3_EEv13rocblas_fill_17rocblas_diagonal_T1_iil,comdat
	.globl	_ZN9rocsolver6v33100L18trti2_kernel_smallILi2E19rocblas_complex_numIfEPS3_EEv13rocblas_fill_17rocblas_diagonal_T1_iil ; -- Begin function _ZN9rocsolver6v33100L18trti2_kernel_smallILi2E19rocblas_complex_numIfEPS3_EEv13rocblas_fill_17rocblas_diagonal_T1_iil
	.p2align	8
	.type	_ZN9rocsolver6v33100L18trti2_kernel_smallILi2E19rocblas_complex_numIfEPS3_EEv13rocblas_fill_17rocblas_diagonal_T1_iil,@function
_ZN9rocsolver6v33100L18trti2_kernel_smallILi2E19rocblas_complex_numIfEPS3_EEv13rocblas_fill_17rocblas_diagonal_T1_iil: ; @_ZN9rocsolver6v33100L18trti2_kernel_smallILi2E19rocblas_complex_numIfEPS3_EEv13rocblas_fill_17rocblas_diagonal_T1_iil
; %bb.0:
	v_and_b32_e32 v12, 0x3ff, v0
	s_mov_b32 s4, exec_lo
	s_delay_alu instid0(VALU_DEP_1)
	v_cmpx_gt_u32_e32 2, v12
	s_cbranch_execz .LBB1_26
; %bb.1:
	s_load_b64 s[12:13], s[0:1], 0x4
	s_load_b256 s[4:11], s[2:3], 0x0
	s_wait_xcnt 0x0
	s_bfe_u32 s0, ttmp6, 0x4000c
	s_and_b32 s1, ttmp6, 15
	s_add_co_i32 s0, s0, 1
	s_getreg_b32 s2, hwreg(HW_REG_IB_STS2, 6, 4)
	s_mul_i32 s0, ttmp9, s0
	v_dual_mov_b32 v7, 0 :: v_dual_lshlrev_b32 v6, 3, v12
	s_add_co_i32 s0, s1, s0
	v_bfe_u32 v1, v0, 10, 10
	v_bfe_u32 v0, v0, 20, 10
	s_wait_kmcnt 0x0
	s_lshr_b32 s12, s12, 16
	s_ashr_i32 s1, s8, 31
	s_cmp_eq_u32 s2, 0
	v_mul_u32_u24_e32 v1, s13, v1
	s_cselect_b32 s2, ttmp9, s0
	s_mov_b32 s0, s8
	s_ashr_i32 s3, s2, 31
	s_lshl_b64 s[0:1], s[0:1], 3
	s_mul_u64 s[2:3], s[10:11], s[2:3]
	s_mul_i32 s12, s12, s13
	s_lshl_b64 s[2:3], s[2:3], 3
	v_mad_u32_u24 v1, s12, v12, v1
	s_add_nc_u64 s[2:3], s[6:7], s[2:3]
	s_delay_alu instid0(SALU_CYCLE_1)
	s_add_nc_u64 s[0:1], s[2:3], s[0:1]
	s_mov_b32 s2, s9
	v_add_nc_u64_e32 v[2:3], s[0:1], v[6:7]
	s_ashr_i32 s3, s9, 31
	v_add_lshl_u32 v0, v1, v0, 4
	s_cmp_lg_u32 s5, 0x84
	s_delay_alu instid0(VALU_DEP_1) | instskip(NEXT) | instid1(VALU_DEP_3)
	v_add_nc_u32_e32 v7, 32, v0
	v_lshl_add_u64 v[4:5], s[2:3], 3, v[2:3]
	s_clause 0x1
	global_load_b64 v[8:9], v12, s[0:1] scale_offset
	global_load_b64 v[10:11], v[4:5], off
	s_wait_xcnt 0x1
	s_cselect_b32 s0, -1, 0
	s_mov_b32 s1, -1
	s_and_b32 vcc_lo, exec_lo, s0
	s_wait_loadcnt 0x0
	ds_store_b128 v0, v[8:11] offset:32
	s_cbranch_vccz .LBB1_7
; %bb.2:
	v_lshl_add_u32 v13, v12, 3, v7
                                        ; implicit-def: $vgpr11
                                        ; implicit-def: $vgpr8
	ds_load_b64 v[0:1], v13
	s_wait_dscnt 0x0
	v_cmp_ngt_f32_e64 s1, |v0|, |v1|
	s_and_saveexec_b32 s2, s1
	s_delay_alu instid0(SALU_CYCLE_1)
	s_xor_b32 s1, exec_lo, s2
	s_cbranch_execz .LBB1_4
; %bb.3:
	v_div_scale_f32 v8, null, v1, v1, v0
	v_div_scale_f32 v11, vcc_lo, v0, v1, v0
	s_delay_alu instid0(VALU_DEP_2) | instskip(SKIP_1) | instid1(TRANS32_DEP_1)
	v_rcp_f32_e32 v9, v8
	v_nop
	v_fma_f32 v10, -v8, v9, 1.0
	s_delay_alu instid0(VALU_DEP_1) | instskip(NEXT) | instid1(VALU_DEP_1)
	v_fmac_f32_e32 v9, v10, v9
	v_mul_f32_e32 v10, v11, v9
	s_delay_alu instid0(VALU_DEP_1) | instskip(NEXT) | instid1(VALU_DEP_1)
	v_fma_f32 v14, -v8, v10, v11
	v_fmac_f32_e32 v10, v14, v9
	s_delay_alu instid0(VALU_DEP_1) | instskip(NEXT) | instid1(VALU_DEP_1)
	v_fma_f32 v8, -v8, v10, v11
	v_div_fmas_f32 v8, v8, v9, v10
	s_delay_alu instid0(VALU_DEP_1) | instskip(NEXT) | instid1(VALU_DEP_1)
	v_div_fixup_f32 v8, v8, v1, v0
	v_fmac_f32_e32 v1, v0, v8
	s_delay_alu instid0(VALU_DEP_1) | instskip(NEXT) | instid1(VALU_DEP_1)
	v_div_scale_f32 v0, null, v1, v1, -1.0
	v_rcp_f32_e32 v9, v0
	v_nop
	s_delay_alu instid0(TRANS32_DEP_1) | instskip(NEXT) | instid1(VALU_DEP_1)
	v_fma_f32 v10, -v0, v9, 1.0
	v_fmac_f32_e32 v9, v10, v9
	v_div_scale_f32 v10, vcc_lo, -1.0, v1, -1.0
	s_delay_alu instid0(VALU_DEP_1) | instskip(NEXT) | instid1(VALU_DEP_1)
	v_mul_f32_e32 v11, v10, v9
	v_fma_f32 v14, -v0, v11, v10
	s_delay_alu instid0(VALU_DEP_1) | instskip(NEXT) | instid1(VALU_DEP_1)
	v_fmac_f32_e32 v11, v14, v9
	v_fma_f32 v0, -v0, v11, v10
	s_delay_alu instid0(VALU_DEP_1) | instskip(NEXT) | instid1(VALU_DEP_1)
	v_div_fmas_f32 v0, v0, v9, v11
	v_div_fixup_f32 v11, v0, v1, -1.0
                                        ; implicit-def: $vgpr0_vgpr1
	s_delay_alu instid0(VALU_DEP_1) | instskip(NEXT) | instid1(VALU_DEP_1)
	v_mul_f32_e32 v8, v8, v11
	v_xor_b32_e32 v10, 0x80000000, v8
.LBB1_4:
	s_and_not1_saveexec_b32 s1, s1
	s_cbranch_execz .LBB1_6
; %bb.5:
	v_div_scale_f32 v8, null, v0, v0, v1
	v_div_scale_f32 v11, vcc_lo, v1, v0, v1
	s_delay_alu instid0(VALU_DEP_2) | instskip(SKIP_1) | instid1(TRANS32_DEP_1)
	v_rcp_f32_e32 v9, v8
	v_nop
	v_fma_f32 v10, -v8, v9, 1.0
	s_delay_alu instid0(VALU_DEP_1) | instskip(NEXT) | instid1(VALU_DEP_1)
	v_fmac_f32_e32 v9, v10, v9
	v_mul_f32_e32 v10, v11, v9
	s_delay_alu instid0(VALU_DEP_1) | instskip(NEXT) | instid1(VALU_DEP_1)
	v_fma_f32 v14, -v8, v10, v11
	v_fmac_f32_e32 v10, v14, v9
	s_delay_alu instid0(VALU_DEP_1) | instskip(NEXT) | instid1(VALU_DEP_1)
	v_fma_f32 v8, -v8, v10, v11
	v_div_fmas_f32 v8, v8, v9, v10
	s_delay_alu instid0(VALU_DEP_1) | instskip(NEXT) | instid1(VALU_DEP_1)
	v_div_fixup_f32 v9, v8, v0, v1
	v_fmac_f32_e32 v0, v1, v9
	s_delay_alu instid0(VALU_DEP_1) | instskip(SKIP_1) | instid1(VALU_DEP_2)
	v_div_scale_f32 v1, null, v0, v0, 1.0
	v_div_scale_f32 v11, vcc_lo, 1.0, v0, 1.0
	v_rcp_f32_e32 v8, v1
	v_nop
	s_delay_alu instid0(TRANS32_DEP_1) | instskip(NEXT) | instid1(VALU_DEP_1)
	v_fma_f32 v10, -v1, v8, 1.0
	v_fmac_f32_e32 v8, v10, v8
	s_delay_alu instid0(VALU_DEP_1) | instskip(NEXT) | instid1(VALU_DEP_1)
	v_mul_f32_e32 v10, v11, v8
	v_fma_f32 v14, -v1, v10, v11
	s_delay_alu instid0(VALU_DEP_1) | instskip(NEXT) | instid1(VALU_DEP_1)
	v_fmac_f32_e32 v10, v14, v8
	v_fma_f32 v1, -v1, v10, v11
	s_delay_alu instid0(VALU_DEP_1) | instskip(NEXT) | instid1(VALU_DEP_1)
	v_div_fmas_f32 v1, v1, v8, v10
	v_div_fixup_f32 v10, v1, v0, 1.0
	s_delay_alu instid0(VALU_DEP_1)
	v_xor_b32_e32 v8, 0x80000000, v10
	v_mul_f32_e64 v11, v9, -v10
.LBB1_6:
	s_or_b32 exec_lo, exec_lo, s1
	s_delay_alu instid0(VALU_DEP_1)
	v_xor_b32_e32 v9, 0x80000000, v11
	s_mov_b32 s1, 0
	ds_store_b64 v13, v[10:11]
	ds_store_b64 v6, v[8:9]
.LBB1_7:
	s_and_b32 vcc_lo, exec_lo, s1
	s_cbranch_vccz .LBB1_9
; %bb.8:
	s_mov_b64 s[2:3], 0xbf800000
	s_delay_alu instid0(SALU_CYCLE_1)
	v_mov_b64_e32 v[0:1], s[2:3]
	ds_store_b64 v6, v[0:1]
.LBB1_9:
	v_dual_add_nc_u32 v8, 16, v6 :: v_dual_add_nc_u32 v6, v7, v6
	s_cmp_eq_u32 s4, 0x79
	s_mov_b32 s1, -1
	s_cbranch_scc1 .LBB1_17
; %bb.10:
	ds_load_b64 v[0:1], v7
	s_mov_b32 s1, exec_lo
	s_wait_dscnt 0x0
	ds_store_b64 v8, v[0:1]
	s_wait_dscnt 0x0
	s_barrier_signal -1
	s_barrier_wait -1
	v_cmpx_eq_u32_e32 1, v12
	s_cbranch_execz .LBB1_16
; %bb.11:
	s_and_b32 vcc_lo, exec_lo, s0
	s_cbranch_vccz .LBB1_13
; %bb.12:
	ds_load_b64 v[0:1], v6
	ds_load_b64 v[10:11], v8
	s_wait_dscnt 0x0
	v_pk_mul_f32 v[14:15], v[10:11], v[0:1] op_sel:[1,1] op_sel_hi:[0,1]
	v_pk_mul_f32 v[16:17], v[10:11], v[0:1] op_sel_hi:[1,0]
	s_delay_alu instid0(VALU_DEP_2) | instskip(NEXT) | instid1(VALU_DEP_2)
	v_pk_fma_f32 v[0:1], v[10:11], v[0:1], v[14:15] op_sel_hi:[1,0,1]
	v_sub_f32_e32 v0, v16, v14
	s_cbranch_execz .LBB1_14
	s_branch .LBB1_15
.LBB1_13:
                                        ; implicit-def: $vgpr1
.LBB1_14:
	ds_load_b64 v[0:1], v8
.LBB1_15:
	s_wait_dscnt 0x0
	v_dual_mov_b32 v9, 0 :: v_dual_mov_b32 v14, v1
	v_mov_b32_e32 v15, v0
	ds_load_b64 v[10:11], v9
	s_wait_dscnt 0x0
	v_pk_mul_f32 v[14:15], v[14:15], v[10:11] op_sel:[0,1]
	s_delay_alu instid0(VALU_DEP_1) | instskip(SKIP_1) | instid1(VALU_DEP_2)
	v_pk_fma_f32 v[16:17], v[0:1], v[10:11], v[14:15] op_sel_hi:[1,0,1]
	v_pk_fma_f32 v[0:1], v[0:1], v[10:11], v[14:15] neg_lo:[0,0,1] neg_hi:[0,0,1]
	v_mov_b32_e32 v1, v17
	ds_store_b64 v7, v[0:1]
.LBB1_16:
	s_or_b32 exec_lo, exec_lo, s1
	s_mov_b32 s1, 0
.LBB1_17:
	s_delay_alu instid0(SALU_CYCLE_1)
	s_and_not1_b32 vcc_lo, exec_lo, s1
	s_cbranch_vccnz .LBB1_25
; %bb.18:
	ds_load_b64 v[0:1], v7 offset:8
	s_mov_b32 s1, exec_lo
	s_wait_dscnt 0x0
	ds_store_b64 v8, v[0:1]
	s_wait_dscnt 0x0
	s_barrier_signal -1
	s_barrier_wait -1
	v_cmpx_eq_u32_e32 0, v12
	s_cbranch_execz .LBB1_24
; %bb.19:
	s_and_b32 vcc_lo, exec_lo, s0
	s_cbranch_vccz .LBB1_21
; %bb.20:
	ds_load_b64 v[0:1], v6
	ds_load_b64 v[10:11], v8
	s_wait_dscnt 0x0
	v_pk_mul_f32 v[12:13], v[10:11], v[0:1] op_sel:[1,1] op_sel_hi:[0,1]
	v_pk_mul_f32 v[14:15], v[10:11], v[0:1] op_sel_hi:[1,0]
	s_delay_alu instid0(VALU_DEP_2) | instskip(NEXT) | instid1(VALU_DEP_2)
	v_pk_fma_f32 v[0:1], v[10:11], v[0:1], v[12:13] op_sel_hi:[1,0,1]
	v_sub_f32_e32 v0, v14, v12
	s_cbranch_execz .LBB1_22
	s_branch .LBB1_23
.LBB1_21:
                                        ; implicit-def: $vgpr1
.LBB1_22:
	ds_load_b64 v[0:1], v8
.LBB1_23:
	s_wait_dscnt 0x0
	v_dual_mov_b32 v6, 0 :: v_dual_mov_b32 v10, v1
	v_mov_b32_e32 v11, v0
	ds_load_b64 v[8:9], v6 offset:8
	s_wait_dscnt 0x0
	v_pk_mul_f32 v[10:11], v[10:11], v[8:9] op_sel:[0,1]
	s_delay_alu instid0(VALU_DEP_1) | instskip(SKIP_1) | instid1(VALU_DEP_2)
	v_pk_fma_f32 v[12:13], v[0:1], v[8:9], v[10:11] op_sel_hi:[1,0,1]
	v_pk_fma_f32 v[0:1], v[0:1], v[8:9], v[10:11] neg_lo:[0,0,1] neg_hi:[0,0,1]
	v_mov_b32_e32 v1, v13
	ds_store_b64 v7, v[0:1] offset:8
.LBB1_24:
	s_or_b32 exec_lo, exec_lo, s1
.LBB1_25:
	ds_load_b128 v[6:9], v7
	s_wait_dscnt 0x0
	s_clause 0x1
	global_store_b64 v[2:3], v[6:7], off
	global_store_b64 v[4:5], v[8:9], off
.LBB1_26:
	s_endpgm
	.section	.rodata,"a",@progbits
	.p2align	6, 0x0
	.amdhsa_kernel _ZN9rocsolver6v33100L18trti2_kernel_smallILi2E19rocblas_complex_numIfEPS3_EEv13rocblas_fill_17rocblas_diagonal_T1_iil
		.amdhsa_group_segment_fixed_size 1056
		.amdhsa_private_segment_fixed_size 0
		.amdhsa_kernarg_size 32
		.amdhsa_user_sgpr_count 4
		.amdhsa_user_sgpr_dispatch_ptr 1
		.amdhsa_user_sgpr_queue_ptr 0
		.amdhsa_user_sgpr_kernarg_segment_ptr 1
		.amdhsa_user_sgpr_dispatch_id 0
		.amdhsa_user_sgpr_kernarg_preload_length 0
		.amdhsa_user_sgpr_kernarg_preload_offset 0
		.amdhsa_user_sgpr_private_segment_size 0
		.amdhsa_wavefront_size32 1
		.amdhsa_uses_dynamic_stack 0
		.amdhsa_enable_private_segment 0
		.amdhsa_system_sgpr_workgroup_id_x 1
		.amdhsa_system_sgpr_workgroup_id_y 0
		.amdhsa_system_sgpr_workgroup_id_z 0
		.amdhsa_system_sgpr_workgroup_info 0
		.amdhsa_system_vgpr_workitem_id 2
		.amdhsa_next_free_vgpr 18
		.amdhsa_next_free_sgpr 14
		.amdhsa_named_barrier_count 0
		.amdhsa_reserve_vcc 1
		.amdhsa_float_round_mode_32 0
		.amdhsa_float_round_mode_16_64 0
		.amdhsa_float_denorm_mode_32 3
		.amdhsa_float_denorm_mode_16_64 3
		.amdhsa_fp16_overflow 0
		.amdhsa_memory_ordered 1
		.amdhsa_forward_progress 1
		.amdhsa_inst_pref_size 11
		.amdhsa_round_robin_scheduling 0
		.amdhsa_exception_fp_ieee_invalid_op 0
		.amdhsa_exception_fp_denorm_src 0
		.amdhsa_exception_fp_ieee_div_zero 0
		.amdhsa_exception_fp_ieee_overflow 0
		.amdhsa_exception_fp_ieee_underflow 0
		.amdhsa_exception_fp_ieee_inexact 0
		.amdhsa_exception_int_div_zero 0
	.end_amdhsa_kernel
	.section	.text._ZN9rocsolver6v33100L18trti2_kernel_smallILi2E19rocblas_complex_numIfEPS3_EEv13rocblas_fill_17rocblas_diagonal_T1_iil,"axG",@progbits,_ZN9rocsolver6v33100L18trti2_kernel_smallILi2E19rocblas_complex_numIfEPS3_EEv13rocblas_fill_17rocblas_diagonal_T1_iil,comdat
.Lfunc_end1:
	.size	_ZN9rocsolver6v33100L18trti2_kernel_smallILi2E19rocblas_complex_numIfEPS3_EEv13rocblas_fill_17rocblas_diagonal_T1_iil, .Lfunc_end1-_ZN9rocsolver6v33100L18trti2_kernel_smallILi2E19rocblas_complex_numIfEPS3_EEv13rocblas_fill_17rocblas_diagonal_T1_iil
                                        ; -- End function
	.set _ZN9rocsolver6v33100L18trti2_kernel_smallILi2E19rocblas_complex_numIfEPS3_EEv13rocblas_fill_17rocblas_diagonal_T1_iil.num_vgpr, 18
	.set _ZN9rocsolver6v33100L18trti2_kernel_smallILi2E19rocblas_complex_numIfEPS3_EEv13rocblas_fill_17rocblas_diagonal_T1_iil.num_agpr, 0
	.set _ZN9rocsolver6v33100L18trti2_kernel_smallILi2E19rocblas_complex_numIfEPS3_EEv13rocblas_fill_17rocblas_diagonal_T1_iil.numbered_sgpr, 14
	.set _ZN9rocsolver6v33100L18trti2_kernel_smallILi2E19rocblas_complex_numIfEPS3_EEv13rocblas_fill_17rocblas_diagonal_T1_iil.num_named_barrier, 0
	.set _ZN9rocsolver6v33100L18trti2_kernel_smallILi2E19rocblas_complex_numIfEPS3_EEv13rocblas_fill_17rocblas_diagonal_T1_iil.private_seg_size, 0
	.set _ZN9rocsolver6v33100L18trti2_kernel_smallILi2E19rocblas_complex_numIfEPS3_EEv13rocblas_fill_17rocblas_diagonal_T1_iil.uses_vcc, 1
	.set _ZN9rocsolver6v33100L18trti2_kernel_smallILi2E19rocblas_complex_numIfEPS3_EEv13rocblas_fill_17rocblas_diagonal_T1_iil.uses_flat_scratch, 0
	.set _ZN9rocsolver6v33100L18trti2_kernel_smallILi2E19rocblas_complex_numIfEPS3_EEv13rocblas_fill_17rocblas_diagonal_T1_iil.has_dyn_sized_stack, 0
	.set _ZN9rocsolver6v33100L18trti2_kernel_smallILi2E19rocblas_complex_numIfEPS3_EEv13rocblas_fill_17rocblas_diagonal_T1_iil.has_recursion, 0
	.set _ZN9rocsolver6v33100L18trti2_kernel_smallILi2E19rocblas_complex_numIfEPS3_EEv13rocblas_fill_17rocblas_diagonal_T1_iil.has_indirect_call, 0
	.section	.AMDGPU.csdata,"",@progbits
; Kernel info:
; codeLenInByte = 1292
; TotalNumSgprs: 16
; NumVgprs: 18
; ScratchSize: 0
; MemoryBound: 0
; FloatMode: 240
; IeeeMode: 1
; LDSByteSize: 1056 bytes/workgroup (compile time only)
; SGPRBlocks: 0
; VGPRBlocks: 1
; NumSGPRsForWavesPerEU: 16
; NumVGPRsForWavesPerEU: 18
; NamedBarCnt: 0
; Occupancy: 16
; WaveLimiterHint : 0
; COMPUTE_PGM_RSRC2:SCRATCH_EN: 0
; COMPUTE_PGM_RSRC2:USER_SGPR: 4
; COMPUTE_PGM_RSRC2:TRAP_HANDLER: 0
; COMPUTE_PGM_RSRC2:TGID_X_EN: 1
; COMPUTE_PGM_RSRC2:TGID_Y_EN: 0
; COMPUTE_PGM_RSRC2:TGID_Z_EN: 0
; COMPUTE_PGM_RSRC2:TIDIG_COMP_CNT: 2
	.section	.text._ZN9rocsolver6v33100L18trti2_kernel_smallILi3E19rocblas_complex_numIfEPS3_EEv13rocblas_fill_17rocblas_diagonal_T1_iil,"axG",@progbits,_ZN9rocsolver6v33100L18trti2_kernel_smallILi3E19rocblas_complex_numIfEPS3_EEv13rocblas_fill_17rocblas_diagonal_T1_iil,comdat
	.globl	_ZN9rocsolver6v33100L18trti2_kernel_smallILi3E19rocblas_complex_numIfEPS3_EEv13rocblas_fill_17rocblas_diagonal_T1_iil ; -- Begin function _ZN9rocsolver6v33100L18trti2_kernel_smallILi3E19rocblas_complex_numIfEPS3_EEv13rocblas_fill_17rocblas_diagonal_T1_iil
	.p2align	8
	.type	_ZN9rocsolver6v33100L18trti2_kernel_smallILi3E19rocblas_complex_numIfEPS3_EEv13rocblas_fill_17rocblas_diagonal_T1_iil,@function
_ZN9rocsolver6v33100L18trti2_kernel_smallILi3E19rocblas_complex_numIfEPS3_EEv13rocblas_fill_17rocblas_diagonal_T1_iil: ; @_ZN9rocsolver6v33100L18trti2_kernel_smallILi3E19rocblas_complex_numIfEPS3_EEv13rocblas_fill_17rocblas_diagonal_T1_iil
; %bb.0:
	v_and_b32_e32 v16, 0x3ff, v0
	s_mov_b32 s4, exec_lo
	s_delay_alu instid0(VALU_DEP_1)
	v_cmpx_gt_u32_e32 3, v16
	s_cbranch_execz .LBB2_44
; %bb.1:
	s_load_b64 s[12:13], s[0:1], 0x4
	s_load_b256 s[4:11], s[2:3], 0x0
	s_wait_xcnt 0x0
	s_bfe_u32 s0, ttmp6, 0x4000c
	s_and_b32 s1, ttmp6, 15
	s_add_co_i32 s0, s0, 1
	s_getreg_b32 s2, hwreg(HW_REG_IB_STS2, 6, 4)
	s_mul_i32 s0, ttmp9, s0
	v_dual_mov_b32 v13, 0 :: v_dual_lshlrev_b32 v12, 3, v16
	s_add_co_i32 s0, s1, s0
	v_bfe_u32 v1, v0, 10, 10
	v_bfe_u32 v0, v0, 20, 10
	s_wait_kmcnt 0x0
	s_lshr_b32 s12, s12, 16
	s_ashr_i32 s1, s8, 31
	s_cmp_eq_u32 s2, 0
	v_add3_u32 v10, s9, s9, v16
	s_cselect_b32 s2, ttmp9, s0
	s_mov_b32 s0, s8
	s_ashr_i32 s3, s2, 31
	s_lshl_b64 s[0:1], s[0:1], 3
	s_mul_u64 s[2:3], s[10:11], s[2:3]
	s_mul_i32 s12, s12, s13
	s_lshl_b64 s[2:3], s[2:3], 3
	v_mul_u32_u24_e32 v1, s13, v1
	s_add_nc_u64 s[2:3], s[6:7], s[2:3]
	v_mul_u32_u24_e32 v11, s12, v16
	s_add_nc_u64 s[2:3], s[2:3], s[0:1]
	s_mov_b32 s0, s9
	v_add_nc_u64_e32 v[6:7], s[2:3], v[12:13]
	s_ashr_i32 s1, s9, 31
	v_add3_u32 v0, v11, v1, v0
	s_cmp_lg_u32 s5, 0x84
	s_delay_alu instid0(VALU_DEP_1) | instskip(NEXT) | instid1(VALU_DEP_3)
	v_mul_lo_u32 v0, v0, 24
	v_lshl_add_u64 v[8:9], s[0:1], 3, v[6:7]
	s_cselect_b32 s1, -1, 0
	s_clause 0x2
	global_load_b64 v[2:3], v16, s[2:3] scale_offset
	global_load_b64 v[4:5], v[8:9], off
	global_load_b64 v[14:15], v10, s[2:3] scale_offset
	s_and_b32 vcc_lo, exec_lo, s1
	s_wait_loadcnt 0x1
	ds_store_b128 v0, v[2:5] offset:64
	s_wait_loadcnt 0x0
	ds_store_b64 v0, v[14:15] offset:80
	v_add_nc_u32_e32 v13, 64, v0
	s_cbranch_vccz .LBB2_7
; %bb.2:
	s_delay_alu instid0(VALU_DEP_1) | instskip(SKIP_4) | instid1(SALU_CYCLE_1)
	v_lshl_add_u32 v11, v16, 3, v13
                                        ; implicit-def: $vgpr3
                                        ; implicit-def: $vgpr14
	ds_load_b64 v[0:1], v11
	s_wait_dscnt 0x0
	v_cmp_ngt_f32_e64 s0, |v0|, |v1|
	s_and_saveexec_b32 s5, s0
	s_xor_b32 s0, exec_lo, s5
	s_cbranch_execz .LBB2_4
; %bb.3:
	v_div_scale_f32 v2, null, v1, v1, v0
	v_div_scale_f32 v15, vcc_lo, v0, v1, v0
	s_delay_alu instid0(VALU_DEP_2) | instskip(SKIP_1) | instid1(TRANS32_DEP_1)
	v_rcp_f32_e32 v3, v2
	v_nop
	v_fma_f32 v14, -v2, v3, 1.0
	s_delay_alu instid0(VALU_DEP_1) | instskip(NEXT) | instid1(VALU_DEP_1)
	v_fmac_f32_e32 v3, v14, v3
	v_mul_f32_e32 v14, v15, v3
	s_delay_alu instid0(VALU_DEP_1) | instskip(NEXT) | instid1(VALU_DEP_1)
	v_fma_f32 v17, -v2, v14, v15
	v_fmac_f32_e32 v14, v17, v3
	s_delay_alu instid0(VALU_DEP_1) | instskip(NEXT) | instid1(VALU_DEP_1)
	v_fma_f32 v2, -v2, v14, v15
	v_div_fmas_f32 v2, v2, v3, v14
	s_delay_alu instid0(VALU_DEP_1) | instskip(NEXT) | instid1(VALU_DEP_1)
	v_div_fixup_f32 v2, v2, v1, v0
	v_fmac_f32_e32 v1, v0, v2
	s_delay_alu instid0(VALU_DEP_1) | instskip(NEXT) | instid1(VALU_DEP_1)
	v_div_scale_f32 v0, null, v1, v1, -1.0
	v_rcp_f32_e32 v3, v0
	v_nop
	s_delay_alu instid0(TRANS32_DEP_1) | instskip(NEXT) | instid1(VALU_DEP_1)
	v_fma_f32 v14, -v0, v3, 1.0
	v_fmac_f32_e32 v3, v14, v3
	v_div_scale_f32 v14, vcc_lo, -1.0, v1, -1.0
	s_delay_alu instid0(VALU_DEP_1) | instskip(NEXT) | instid1(VALU_DEP_1)
	v_mul_f32_e32 v15, v14, v3
	v_fma_f32 v17, -v0, v15, v14
	s_delay_alu instid0(VALU_DEP_1) | instskip(NEXT) | instid1(VALU_DEP_1)
	v_fmac_f32_e32 v15, v17, v3
	v_fma_f32 v0, -v0, v15, v14
	s_delay_alu instid0(VALU_DEP_1) | instskip(NEXT) | instid1(VALU_DEP_1)
	v_div_fmas_f32 v0, v0, v3, v15
	v_div_fixup_f32 v3, v0, v1, -1.0
                                        ; implicit-def: $vgpr0_vgpr1
	s_delay_alu instid0(VALU_DEP_1) | instskip(NEXT) | instid1(VALU_DEP_1)
	v_mul_f32_e32 v14, v2, v3
	v_xor_b32_e32 v2, 0x80000000, v14
.LBB2_4:
	s_and_not1_saveexec_b32 s0, s0
	s_cbranch_execz .LBB2_6
; %bb.5:
	v_div_scale_f32 v2, null, v0, v0, v1
	v_div_scale_f32 v15, vcc_lo, v1, v0, v1
	s_delay_alu instid0(VALU_DEP_2) | instskip(SKIP_1) | instid1(TRANS32_DEP_1)
	v_rcp_f32_e32 v3, v2
	v_nop
	v_fma_f32 v14, -v2, v3, 1.0
	s_delay_alu instid0(VALU_DEP_1) | instskip(NEXT) | instid1(VALU_DEP_1)
	v_fmac_f32_e32 v3, v14, v3
	v_mul_f32_e32 v14, v15, v3
	s_delay_alu instid0(VALU_DEP_1) | instskip(NEXT) | instid1(VALU_DEP_1)
	v_fma_f32 v17, -v2, v14, v15
	v_fmac_f32_e32 v14, v17, v3
	s_delay_alu instid0(VALU_DEP_1) | instskip(NEXT) | instid1(VALU_DEP_1)
	v_fma_f32 v2, -v2, v14, v15
	v_div_fmas_f32 v2, v2, v3, v14
	s_delay_alu instid0(VALU_DEP_1) | instskip(NEXT) | instid1(VALU_DEP_1)
	v_div_fixup_f32 v3, v2, v0, v1
	v_fmac_f32_e32 v0, v1, v3
	s_delay_alu instid0(VALU_DEP_1) | instskip(SKIP_1) | instid1(VALU_DEP_2)
	v_div_scale_f32 v1, null, v0, v0, 1.0
	v_div_scale_f32 v15, vcc_lo, 1.0, v0, 1.0
	v_rcp_f32_e32 v2, v1
	v_nop
	s_delay_alu instid0(TRANS32_DEP_1) | instskip(NEXT) | instid1(VALU_DEP_1)
	v_fma_f32 v14, -v1, v2, 1.0
	v_fmac_f32_e32 v2, v14, v2
	s_delay_alu instid0(VALU_DEP_1) | instskip(NEXT) | instid1(VALU_DEP_1)
	v_mul_f32_e32 v14, v15, v2
	v_fma_f32 v17, -v1, v14, v15
	s_delay_alu instid0(VALU_DEP_1) | instskip(NEXT) | instid1(VALU_DEP_1)
	v_fmac_f32_e32 v14, v17, v2
	v_fma_f32 v1, -v1, v14, v15
	s_delay_alu instid0(VALU_DEP_1) | instskip(NEXT) | instid1(VALU_DEP_1)
	v_div_fmas_f32 v1, v1, v2, v14
	v_div_fixup_f32 v2, v1, v0, 1.0
	s_delay_alu instid0(VALU_DEP_1)
	v_xor_b32_e32 v14, 0x80000000, v2
	v_mul_f32_e64 v3, v3, -v2
.LBB2_6:
	s_or_b32 exec_lo, exec_lo, s0
	ds_store_b64 v11, v[2:3]
	ds_load_b64 v[0:1], v13 offset:8
	v_xor_b32_e32 v15, 0x80000000, v3
	ds_store_b64 v12, v[14:15]
	s_branch .LBB2_9
.LBB2_7:
                                        ; implicit-def: $vgpr0_vgpr1
	s_cbranch_execz .LBB2_9
; %bb.8:
	s_mov_b64 s[6:7], 0xbf800000
	s_wait_dscnt 0x1
	v_mov_b64_e32 v[0:1], v[4:5]
	v_mov_b64_e32 v[2:3], s[6:7]
	ds_store_b64 v12, v[2:3]
.LBB2_9:
	v_dual_ashrrev_i32 v11, 31, v10 :: v_dual_add_nc_u32 v2, 32, v12
	s_delay_alu instid0(VALU_DEP_2)
	v_add_nc_u32_e32 v3, v13, v12
	s_cmp_eq_u32 s4, 0x79
	s_wait_dscnt 0x1
	ds_store_b64 v12, v[0:1] offset:32
	s_wait_dscnt 0x0
	s_cbranch_scc1 .LBB2_13
; %bb.10:
	v_cmp_eq_u32_e64 s0, 2, v16
	s_barrier_signal -1
	s_barrier_wait -1
	s_and_saveexec_b32 s4, s0
	s_cbranch_execz .LBB2_17
; %bb.11:
	s_and_b32 vcc_lo, exec_lo, s1
	s_cbranch_vccz .LBB2_14
; %bb.12:
	ds_load_b64 v[0:1], v3
	ds_load_b64 v[4:5], v2
	s_wait_dscnt 0x0
	v_pk_mul_f32 v[14:15], v[4:5], v[0:1] op_sel:[1,1] op_sel_hi:[0,1]
	v_pk_mul_f32 v[18:19], v[4:5], v[0:1] op_sel_hi:[1,0]
	s_delay_alu instid0(VALU_DEP_2) | instskip(NEXT) | instid1(VALU_DEP_2)
	v_pk_fma_f32 v[0:1], v[4:5], v[0:1], v[14:15] op_sel_hi:[1,0,1]
	v_sub_f32_e32 v0, v18, v14
	s_cbranch_execz .LBB2_15
	s_branch .LBB2_16
.LBB2_13:
	s_mov_b32 s4, 0
                                        ; implicit-def: $vgpr4
                                        ; implicit-def: $vgpr5
	s_cbranch_execnz .LBB2_26
	s_branch .LBB2_41
.LBB2_14:
                                        ; implicit-def: $vgpr1
.LBB2_15:
	ds_load_b64 v[0:1], v2
.LBB2_16:
	s_wait_dscnt 0x0
	v_dual_mov_b32 v4, 0 :: v_dual_mov_b32 v14, v1
	v_mov_b32_e32 v15, v0
	ds_load_b64 v[4:5], v4 offset:8
	s_wait_dscnt 0x0
	v_pk_mul_f32 v[14:15], v[14:15], v[4:5] op_sel:[0,1]
	s_delay_alu instid0(VALU_DEP_1) | instskip(SKIP_1) | instid1(VALU_DEP_2)
	v_pk_fma_f32 v[18:19], v[0:1], v[4:5], v[14:15] op_sel_hi:[1,0,1]
	v_pk_fma_f32 v[0:1], v[0:1], v[4:5], v[14:15] neg_lo:[0,0,1] neg_hi:[0,0,1]
	v_mov_b32_e32 v1, v19
	ds_store_b64 v13, v[0:1] offset:8
.LBB2_17:
	s_or_b32 exec_lo, exec_lo, s4
	ds_load_b64 v[0:1], v13
	s_mov_b32 s5, 0
	s_mov_b32 s4, 0
	s_mov_b32 s6, exec_lo
                                        ; implicit-def: $vgpr4
                                        ; implicit-def: $vgpr5
	s_wait_dscnt 0x0
	ds_store_b64 v2, v[0:1]
	s_wait_dscnt 0x0
	s_barrier_signal -1
	s_barrier_wait -1
	v_cmpx_ne_u32_e32 0, v16
	s_cbranch_execz .LBB2_25
; %bb.18:
	s_and_not1_b32 vcc_lo, exec_lo, s1
	s_cbranch_vccnz .LBB2_20
; %bb.19:
	ds_load_b64 v[4:5], v3
	ds_load_b64 v[14:15], v2
	s_wait_dscnt 0x0
	v_dual_mul_f32 v0, v15, v5 :: v_dual_mul_f32 v1, v14, v5
	s_delay_alu instid0(VALU_DEP_1)
	v_dual_fma_f32 v0, v14, v4, -v0 :: v_dual_fmac_f32 v1, v15, v4
	s_and_not1_b32 vcc_lo, exec_lo, s4
	s_cbranch_vccz .LBB2_21
	s_branch .LBB2_22
.LBB2_20:
                                        ; implicit-def: $vgpr0
.LBB2_21:
	ds_load_b64 v[0:1], v2
.LBB2_22:
	s_and_saveexec_b32 s4, s0
	s_cbranch_execz .LBB2_24
; %bb.23:
	v_mov_b32_e32 v12, 0
	ds_load_b64 v[4:5], v13 offset:8
	ds_load_b64 v[14:15], v12 offset:40
	s_wait_dscnt 0x0
	v_dual_mul_f32 v12, v15, v5 :: v_dual_mul_f32 v5, v14, v5
	s_delay_alu instid0(VALU_DEP_1) | instskip(NEXT) | instid1(VALU_DEP_1)
	v_dual_fmac_f32 v5, v15, v4 :: v_dual_fma_f32 v12, v14, v4, -v12
	v_dual_add_f32 v1, v1, v5 :: v_dual_add_f32 v0, v0, v12
.LBB2_24:
	s_or_b32 exec_lo, exec_lo, s4
	v_mov_b32_e32 v4, 0
	s_mov_b32 s4, exec_lo
	v_add_nc_u32_e32 v5, 4, v13
	ds_load_b64 v[14:15], v4
	s_wait_dscnt 0x0
	v_dual_mul_f32 v12, v1, v15 :: v_dual_mul_f32 v4, v0, v15
	s_delay_alu instid0(VALU_DEP_1) | instskip(NEXT) | instid1(VALU_DEP_2)
	v_fma_f32 v0, v0, v14, -v12
	v_fmac_f32_e32 v4, v1, v14
	ds_store_b32 v13, v0
.LBB2_25:
	s_or_b32 exec_lo, exec_lo, s6
	s_delay_alu instid0(SALU_CYCLE_1)
	s_and_b32 vcc_lo, exec_lo, s5
	s_cbranch_vccz .LBB2_41
.LBB2_26:
	v_cmp_eq_u32_e64 s0, 0, v16
	s_barrier_signal -1
	s_barrier_wait -1
	s_wait_dscnt 0x0
	s_and_saveexec_b32 s5, s0
	s_cbranch_execz .LBB2_32
; %bb.27:
	s_and_b32 vcc_lo, exec_lo, s1
	s_cbranch_vccz .LBB2_29
; %bb.28:
	ds_load_b64 v[0:1], v3
	ds_load_b64 v[4:5], v2
	s_wait_dscnt 0x0
	v_pk_mul_f32 v[14:15], v[4:5], v[0:1] op_sel:[1,1] op_sel_hi:[0,1]
	v_pk_mul_f32 v[18:19], v[4:5], v[0:1] op_sel_hi:[1,0]
	s_delay_alu instid0(VALU_DEP_2) | instskip(NEXT) | instid1(VALU_DEP_2)
	v_pk_fma_f32 v[0:1], v[4:5], v[0:1], v[14:15] op_sel_hi:[1,0,1]
	v_sub_f32_e32 v0, v18, v14
	s_cbranch_execz .LBB2_30
	s_branch .LBB2_31
.LBB2_29:
                                        ; implicit-def: $vgpr1
.LBB2_30:
	ds_load_b64 v[0:1], v2
.LBB2_31:
	s_wait_dscnt 0x0
	v_dual_mov_b32 v4, 0 :: v_dual_mov_b32 v14, v1
	v_mov_b32_e32 v15, v0
	ds_load_b64 v[4:5], v4 offset:8
	s_wait_dscnt 0x0
	v_pk_mul_f32 v[14:15], v[14:15], v[4:5] op_sel:[0,1]
	s_delay_alu instid0(VALU_DEP_1) | instskip(SKIP_1) | instid1(VALU_DEP_2)
	v_pk_fma_f32 v[18:19], v[0:1], v[4:5], v[14:15] op_sel_hi:[1,0,1]
	v_pk_fma_f32 v[0:1], v[0:1], v[4:5], v[14:15] neg_lo:[0,0,1] neg_hi:[0,0,1]
	v_mov_b32_e32 v1, v19
	ds_store_b64 v13, v[0:1] offset:8
.LBB2_32:
	s_or_b32 exec_lo, exec_lo, s5
	ds_load_b64 v[0:1], v13 offset:16
	s_mov_b32 s5, exec_lo
                                        ; implicit-def: $vgpr4
                                        ; implicit-def: $vgpr5
	s_wait_dscnt 0x0
	ds_store_b64 v2, v[0:1]
	s_wait_dscnt 0x0
	s_barrier_signal -1
	s_barrier_wait -1
	v_cmpx_ne_u32_e32 2, v16
	s_cbranch_execz .LBB2_40
; %bb.33:
	s_and_not1_b32 vcc_lo, exec_lo, s1
	s_cbranch_vccnz .LBB2_35
; %bb.34:
	ds_load_b64 v[4:5], v3
	ds_load_b64 v[14:15], v2
	s_wait_dscnt 0x0
	v_dual_mul_f32 v0, v15, v5 :: v_dual_mul_f32 v1, v14, v5
	s_delay_alu instid0(VALU_DEP_1)
	v_dual_fma_f32 v0, v14, v4, -v0 :: v_dual_fmac_f32 v1, v15, v4
	s_cbranch_execz .LBB2_36
	s_branch .LBB2_37
.LBB2_35:
                                        ; implicit-def: $vgpr1
.LBB2_36:
	ds_load_b64 v[0:1], v2
.LBB2_37:
	s_and_saveexec_b32 s1, s0
	s_cbranch_execz .LBB2_39
; %bb.38:
	v_mov_b32_e32 v4, 0
	ds_load_b64 v[2:3], v13 offset:8
	ds_load_b64 v[4:5], v4 offset:40
	s_wait_dscnt 0x0
	v_dual_mul_f32 v12, v5, v3 :: v_dual_mul_f32 v3, v4, v3
	s_delay_alu instid0(VALU_DEP_1) | instskip(NEXT) | instid1(VALU_DEP_1)
	v_dual_fma_f32 v4, v4, v2, -v12 :: v_dual_fmac_f32 v3, v5, v2
	v_dual_add_f32 v0, v0, v4 :: v_dual_add_f32 v1, v1, v3
.LBB2_39:
	s_or_b32 exec_lo, exec_lo, s1
	v_mov_b32_e32 v2, 0
	s_or_b32 s4, s4, exec_lo
	v_add_nc_u32_e32 v5, 20, v13
	ds_load_b64 v[2:3], v2 offset:16
	s_wait_dscnt 0x0
	v_dual_mul_f32 v12, v1, v3 :: v_dual_mul_f32 v4, v0, v3
	s_delay_alu instid0(VALU_DEP_1) | instskip(NEXT) | instid1(VALU_DEP_2)
	v_fma_f32 v0, v0, v2, -v12
	v_fmac_f32_e32 v4, v1, v2
	ds_store_b32 v13, v0 offset:16
.LBB2_40:
	s_or_b32 exec_lo, exec_lo, s5
.LBB2_41:
	v_lshl_add_u64 v[0:1], v[10:11], 3, s[2:3]
	s_and_saveexec_b32 s0, s4
; %bb.42:
	ds_store_b32 v5, v4
; %bb.43:
	s_or_b32 exec_lo, exec_lo, s0
	ds_load_b128 v[2:5], v13
	ds_load_b64 v[10:11], v13 offset:16
	s_wait_dscnt 0x1
	s_clause 0x1
	global_store_b64 v[6:7], v[2:3], off
	global_store_b64 v[8:9], v[4:5], off
	s_wait_dscnt 0x0
	global_store_b64 v[0:1], v[10:11], off
.LBB2_44:
	s_endpgm
	.section	.rodata,"a",@progbits
	.p2align	6, 0x0
	.amdhsa_kernel _ZN9rocsolver6v33100L18trti2_kernel_smallILi3E19rocblas_complex_numIfEPS3_EEv13rocblas_fill_17rocblas_diagonal_T1_iil
		.amdhsa_group_segment_fixed_size 1600
		.amdhsa_private_segment_fixed_size 0
		.amdhsa_kernarg_size 32
		.amdhsa_user_sgpr_count 4
		.amdhsa_user_sgpr_dispatch_ptr 1
		.amdhsa_user_sgpr_queue_ptr 0
		.amdhsa_user_sgpr_kernarg_segment_ptr 1
		.amdhsa_user_sgpr_dispatch_id 0
		.amdhsa_user_sgpr_kernarg_preload_length 0
		.amdhsa_user_sgpr_kernarg_preload_offset 0
		.amdhsa_user_sgpr_private_segment_size 0
		.amdhsa_wavefront_size32 1
		.amdhsa_uses_dynamic_stack 0
		.amdhsa_enable_private_segment 0
		.amdhsa_system_sgpr_workgroup_id_x 1
		.amdhsa_system_sgpr_workgroup_id_y 0
		.amdhsa_system_sgpr_workgroup_id_z 0
		.amdhsa_system_sgpr_workgroup_info 0
		.amdhsa_system_vgpr_workitem_id 2
		.amdhsa_next_free_vgpr 20
		.amdhsa_next_free_sgpr 14
		.amdhsa_named_barrier_count 0
		.amdhsa_reserve_vcc 1
		.amdhsa_float_round_mode_32 0
		.amdhsa_float_round_mode_16_64 0
		.amdhsa_float_denorm_mode_32 3
		.amdhsa_float_denorm_mode_16_64 3
		.amdhsa_fp16_overflow 0
		.amdhsa_memory_ordered 1
		.amdhsa_forward_progress 1
		.amdhsa_inst_pref_size 15
		.amdhsa_round_robin_scheduling 0
		.amdhsa_exception_fp_ieee_invalid_op 0
		.amdhsa_exception_fp_denorm_src 0
		.amdhsa_exception_fp_ieee_div_zero 0
		.amdhsa_exception_fp_ieee_overflow 0
		.amdhsa_exception_fp_ieee_underflow 0
		.amdhsa_exception_fp_ieee_inexact 0
		.amdhsa_exception_int_div_zero 0
	.end_amdhsa_kernel
	.section	.text._ZN9rocsolver6v33100L18trti2_kernel_smallILi3E19rocblas_complex_numIfEPS3_EEv13rocblas_fill_17rocblas_diagonal_T1_iil,"axG",@progbits,_ZN9rocsolver6v33100L18trti2_kernel_smallILi3E19rocblas_complex_numIfEPS3_EEv13rocblas_fill_17rocblas_diagonal_T1_iil,comdat
.Lfunc_end2:
	.size	_ZN9rocsolver6v33100L18trti2_kernel_smallILi3E19rocblas_complex_numIfEPS3_EEv13rocblas_fill_17rocblas_diagonal_T1_iil, .Lfunc_end2-_ZN9rocsolver6v33100L18trti2_kernel_smallILi3E19rocblas_complex_numIfEPS3_EEv13rocblas_fill_17rocblas_diagonal_T1_iil
                                        ; -- End function
	.set _ZN9rocsolver6v33100L18trti2_kernel_smallILi3E19rocblas_complex_numIfEPS3_EEv13rocblas_fill_17rocblas_diagonal_T1_iil.num_vgpr, 20
	.set _ZN9rocsolver6v33100L18trti2_kernel_smallILi3E19rocblas_complex_numIfEPS3_EEv13rocblas_fill_17rocblas_diagonal_T1_iil.num_agpr, 0
	.set _ZN9rocsolver6v33100L18trti2_kernel_smallILi3E19rocblas_complex_numIfEPS3_EEv13rocblas_fill_17rocblas_diagonal_T1_iil.numbered_sgpr, 14
	.set _ZN9rocsolver6v33100L18trti2_kernel_smallILi3E19rocblas_complex_numIfEPS3_EEv13rocblas_fill_17rocblas_diagonal_T1_iil.num_named_barrier, 0
	.set _ZN9rocsolver6v33100L18trti2_kernel_smallILi3E19rocblas_complex_numIfEPS3_EEv13rocblas_fill_17rocblas_diagonal_T1_iil.private_seg_size, 0
	.set _ZN9rocsolver6v33100L18trti2_kernel_smallILi3E19rocblas_complex_numIfEPS3_EEv13rocblas_fill_17rocblas_diagonal_T1_iil.uses_vcc, 1
	.set _ZN9rocsolver6v33100L18trti2_kernel_smallILi3E19rocblas_complex_numIfEPS3_EEv13rocblas_fill_17rocblas_diagonal_T1_iil.uses_flat_scratch, 0
	.set _ZN9rocsolver6v33100L18trti2_kernel_smallILi3E19rocblas_complex_numIfEPS3_EEv13rocblas_fill_17rocblas_diagonal_T1_iil.has_dyn_sized_stack, 0
	.set _ZN9rocsolver6v33100L18trti2_kernel_smallILi3E19rocblas_complex_numIfEPS3_EEv13rocblas_fill_17rocblas_diagonal_T1_iil.has_recursion, 0
	.set _ZN9rocsolver6v33100L18trti2_kernel_smallILi3E19rocblas_complex_numIfEPS3_EEv13rocblas_fill_17rocblas_diagonal_T1_iil.has_indirect_call, 0
	.section	.AMDGPU.csdata,"",@progbits
; Kernel info:
; codeLenInByte = 1864
; TotalNumSgprs: 16
; NumVgprs: 20
; ScratchSize: 0
; MemoryBound: 0
; FloatMode: 240
; IeeeMode: 1
; LDSByteSize: 1600 bytes/workgroup (compile time only)
; SGPRBlocks: 0
; VGPRBlocks: 1
; NumSGPRsForWavesPerEU: 16
; NumVGPRsForWavesPerEU: 20
; NamedBarCnt: 0
; Occupancy: 16
; WaveLimiterHint : 0
; COMPUTE_PGM_RSRC2:SCRATCH_EN: 0
; COMPUTE_PGM_RSRC2:USER_SGPR: 4
; COMPUTE_PGM_RSRC2:TRAP_HANDLER: 0
; COMPUTE_PGM_RSRC2:TGID_X_EN: 1
; COMPUTE_PGM_RSRC2:TGID_Y_EN: 0
; COMPUTE_PGM_RSRC2:TGID_Z_EN: 0
; COMPUTE_PGM_RSRC2:TIDIG_COMP_CNT: 2
	.section	.text._ZN9rocsolver6v33100L18trti2_kernel_smallILi4E19rocblas_complex_numIfEPS3_EEv13rocblas_fill_17rocblas_diagonal_T1_iil,"axG",@progbits,_ZN9rocsolver6v33100L18trti2_kernel_smallILi4E19rocblas_complex_numIfEPS3_EEv13rocblas_fill_17rocblas_diagonal_T1_iil,comdat
	.globl	_ZN9rocsolver6v33100L18trti2_kernel_smallILi4E19rocblas_complex_numIfEPS3_EEv13rocblas_fill_17rocblas_diagonal_T1_iil ; -- Begin function _ZN9rocsolver6v33100L18trti2_kernel_smallILi4E19rocblas_complex_numIfEPS3_EEv13rocblas_fill_17rocblas_diagonal_T1_iil
	.p2align	8
	.type	_ZN9rocsolver6v33100L18trti2_kernel_smallILi4E19rocblas_complex_numIfEPS3_EEv13rocblas_fill_17rocblas_diagonal_T1_iil,@function
_ZN9rocsolver6v33100L18trti2_kernel_smallILi4E19rocblas_complex_numIfEPS3_EEv13rocblas_fill_17rocblas_diagonal_T1_iil: ; @_ZN9rocsolver6v33100L18trti2_kernel_smallILi4E19rocblas_complex_numIfEPS3_EEv13rocblas_fill_17rocblas_diagonal_T1_iil
; %bb.0:
	v_and_b32_e32 v16, 0x3ff, v0
	s_mov_b32 s4, exec_lo
	s_delay_alu instid0(VALU_DEP_1)
	v_cmpx_gt_u32_e32 4, v16
	s_cbranch_execz .LBB3_64
; %bb.1:
	s_load_b64 s[12:13], s[0:1], 0x4
	s_load_b256 s[4:11], s[2:3], 0x0
	s_wait_xcnt 0x0
	s_bfe_u32 s0, ttmp6, 0x4000c
	s_and_b32 s1, ttmp6, 15
	s_add_co_i32 s0, s0, 1
	s_getreg_b32 s2, hwreg(HW_REG_IB_STS2, 6, 4)
	s_mul_i32 s0, ttmp9, s0
	v_dual_mov_b32 v11, 0 :: v_dual_lshlrev_b32 v10, 3, v16
	s_add_co_i32 s0, s1, s0
	v_bfe_u32 v1, v0, 10, 10
	v_bfe_u32 v0, v0, 20, 10
	s_wait_kmcnt 0x0
	s_lshr_b32 s12, s12, 16
	s_ashr_i32 s1, s8, 31
	s_cmp_eq_u32 s2, 0
	s_mul_i32 s12, s12, s13
	s_cselect_b32 s2, ttmp9, s0
	s_mov_b32 s0, s8
	s_ashr_i32 s3, s2, 31
	s_lshl_b64 s[0:1], s[0:1], 3
	s_mul_u64 s[2:3], s[10:11], s[2:3]
	v_mul_u32_u24_e32 v1, s13, v1
	s_lshl_b64 s[2:3], s[2:3], 3
	v_mul_u32_u24_e32 v7, s12, v16
	s_add_nc_u64 s[2:3], s[6:7], s[2:3]
	v_add3_u32 v6, s9, s9, v16
	s_add_nc_u64 s[2:3], s[2:3], s[0:1]
	s_mov_b32 s0, s9
	v_add_nc_u64_e32 v[2:3], s[2:3], v[10:11]
	s_ashr_i32 s1, s9, 31
	v_add3_u32 v17, v7, v1, v0
	v_add_nc_u32_e32 v8, s9, v6
	s_cmp_lg_u32 s5, 0x84
	s_cselect_b32 s5, -1, 0
	s_delay_alu instid0(VALU_DEP_3)
	v_lshl_add_u64 v[4:5], s[0:1], 3, v[2:3]
	v_lshlrev_b32_e32 v0, 5, v17
	s_mov_b32 s0, -1
	s_and_b32 vcc_lo, exec_lo, s5
	s_clause 0x3
	global_load_b64 v[12:13], v16, s[2:3] scale_offset
	global_load_b64 v[14:15], v[4:5], off
	global_load_b64 v[18:19], v6, s[2:3] scale_offset
	global_load_b64 v[20:21], v8, s[2:3] scale_offset
	s_wait_loadcnt 0x2
	ds_store_b128 v0, v[12:15] offset:64
	s_wait_loadcnt 0x0
	ds_store_b128 v0, v[18:21] offset:80
	v_add_nc_u32_e32 v11, 64, v0
	s_cbranch_vccz .LBB3_7
; %bb.2:
	s_delay_alu instid0(VALU_DEP_1) | instskip(SKIP_4) | instid1(SALU_CYCLE_1)
	v_lshl_add_u32 v7, v16, 3, v11
                                        ; implicit-def: $vgpr15
                                        ; implicit-def: $vgpr12
	ds_load_b64 v[0:1], v7
	s_wait_dscnt 0x0
	v_cmp_ngt_f32_e64 s0, |v0|, |v1|
	s_and_saveexec_b32 s1, s0
	s_xor_b32 s0, exec_lo, s1
	s_cbranch_execz .LBB3_4
; %bb.3:
	v_div_scale_f32 v9, null, v1, v1, v0
	v_div_scale_f32 v14, vcc_lo, v0, v1, v0
	s_delay_alu instid0(VALU_DEP_2) | instskip(SKIP_1) | instid1(TRANS32_DEP_1)
	v_rcp_f32_e32 v12, v9
	v_nop
	v_fma_f32 v13, -v9, v12, 1.0
	s_delay_alu instid0(VALU_DEP_1) | instskip(NEXT) | instid1(VALU_DEP_1)
	v_fmac_f32_e32 v12, v13, v12
	v_mul_f32_e32 v13, v14, v12
	s_delay_alu instid0(VALU_DEP_1) | instskip(NEXT) | instid1(VALU_DEP_1)
	v_fma_f32 v15, -v9, v13, v14
	v_fmac_f32_e32 v13, v15, v12
	s_delay_alu instid0(VALU_DEP_1) | instskip(NEXT) | instid1(VALU_DEP_1)
	v_fma_f32 v9, -v9, v13, v14
	v_div_fmas_f32 v9, v9, v12, v13
	s_delay_alu instid0(VALU_DEP_1) | instskip(NEXT) | instid1(VALU_DEP_1)
	v_div_fixup_f32 v9, v9, v1, v0
	v_fmac_f32_e32 v1, v0, v9
	s_delay_alu instid0(VALU_DEP_1) | instskip(NEXT) | instid1(VALU_DEP_1)
	v_div_scale_f32 v0, null, v1, v1, -1.0
	v_rcp_f32_e32 v12, v0
	v_nop
	s_delay_alu instid0(TRANS32_DEP_1) | instskip(NEXT) | instid1(VALU_DEP_1)
	v_fma_f32 v13, -v0, v12, 1.0
	v_fmac_f32_e32 v12, v13, v12
	v_div_scale_f32 v13, vcc_lo, -1.0, v1, -1.0
	s_delay_alu instid0(VALU_DEP_1) | instskip(NEXT) | instid1(VALU_DEP_1)
	v_mul_f32_e32 v14, v13, v12
	v_fma_f32 v15, -v0, v14, v13
	s_delay_alu instid0(VALU_DEP_1) | instskip(NEXT) | instid1(VALU_DEP_1)
	v_fmac_f32_e32 v14, v15, v12
	v_fma_f32 v0, -v0, v14, v13
	s_delay_alu instid0(VALU_DEP_1) | instskip(NEXT) | instid1(VALU_DEP_1)
	v_div_fmas_f32 v0, v0, v12, v14
	v_div_fixup_f32 v15, v0, v1, -1.0
                                        ; implicit-def: $vgpr0_vgpr1
	s_delay_alu instid0(VALU_DEP_1) | instskip(NEXT) | instid1(VALU_DEP_1)
	v_mul_f32_e32 v12, v9, v15
	v_xor_b32_e32 v14, 0x80000000, v12
.LBB3_4:
	s_and_not1_saveexec_b32 s0, s0
	s_cbranch_execz .LBB3_6
; %bb.5:
	v_div_scale_f32 v9, null, v0, v0, v1
	v_div_scale_f32 v14, vcc_lo, v1, v0, v1
	s_delay_alu instid0(VALU_DEP_2) | instskip(SKIP_1) | instid1(TRANS32_DEP_1)
	v_rcp_f32_e32 v12, v9
	v_nop
	v_fma_f32 v13, -v9, v12, 1.0
	s_delay_alu instid0(VALU_DEP_1) | instskip(NEXT) | instid1(VALU_DEP_1)
	v_fmac_f32_e32 v12, v13, v12
	v_mul_f32_e32 v13, v14, v12
	s_delay_alu instid0(VALU_DEP_1) | instskip(NEXT) | instid1(VALU_DEP_1)
	v_fma_f32 v15, -v9, v13, v14
	v_fmac_f32_e32 v13, v15, v12
	s_delay_alu instid0(VALU_DEP_1) | instskip(NEXT) | instid1(VALU_DEP_1)
	v_fma_f32 v9, -v9, v13, v14
	v_div_fmas_f32 v9, v9, v12, v13
	s_delay_alu instid0(VALU_DEP_1) | instskip(NEXT) | instid1(VALU_DEP_1)
	v_div_fixup_f32 v9, v9, v0, v1
	v_fmac_f32_e32 v0, v1, v9
	s_delay_alu instid0(VALU_DEP_1) | instskip(SKIP_1) | instid1(VALU_DEP_2)
	v_div_scale_f32 v1, null, v0, v0, 1.0
	v_div_scale_f32 v14, vcc_lo, 1.0, v0, 1.0
	v_rcp_f32_e32 v12, v1
	v_nop
	s_delay_alu instid0(TRANS32_DEP_1) | instskip(NEXT) | instid1(VALU_DEP_1)
	v_fma_f32 v13, -v1, v12, 1.0
	v_fmac_f32_e32 v12, v13, v12
	s_delay_alu instid0(VALU_DEP_1) | instskip(NEXT) | instid1(VALU_DEP_1)
	v_mul_f32_e32 v13, v14, v12
	v_fma_f32 v15, -v1, v13, v14
	s_delay_alu instid0(VALU_DEP_1) | instskip(NEXT) | instid1(VALU_DEP_1)
	v_fmac_f32_e32 v13, v15, v12
	v_fma_f32 v1, -v1, v13, v14
	s_delay_alu instid0(VALU_DEP_1) | instskip(NEXT) | instid1(VALU_DEP_1)
	v_div_fmas_f32 v1, v1, v12, v13
	v_div_fixup_f32 v14, v1, v0, 1.0
	s_delay_alu instid0(VALU_DEP_1)
	v_xor_b32_e32 v12, 0x80000000, v14
	v_mul_f32_e64 v15, v9, -v14
.LBB3_6:
	s_or_b32 exec_lo, exec_lo, s0
	s_delay_alu instid0(VALU_DEP_1)
	v_xor_b32_e32 v13, 0x80000000, v15
	s_mov_b32 s0, 0
	ds_store_b64 v7, v[14:15]
	ds_store_b64 v10, v[12:13]
.LBB3_7:
	s_and_b32 vcc_lo, exec_lo, s0
	s_cbranch_vccz .LBB3_9
; %bb.8:
	s_mov_b64 s[0:1], 0xbf800000
	s_delay_alu instid0(SALU_CYCLE_1)
	v_mov_b64_e32 v[0:1], s[0:1]
	ds_store_b64 v10, v[0:1]
.LBB3_9:
	v_dual_ashrrev_i32 v7, 31, v6 :: v_dual_ashrrev_i32 v9, 31, v8
	v_dual_add_nc_u32 v12, 32, v10 :: v_dual_add_nc_u32 v10, v11, v10
	s_cmp_eq_u32 s4, 0x79
	s_cbranch_scc1 .LBB3_13
; %bb.10:
	ds_load_b64 v[0:1], v11 offset:16
	v_cmp_eq_u32_e64 s1, 3, v16
	s_wait_dscnt 0x0
	ds_store_b64 v12, v[0:1]
	s_wait_dscnt 0x0
	s_barrier_signal -1
	s_barrier_wait -1
	s_and_saveexec_b32 s0, s1
	s_cbranch_execz .LBB3_17
; %bb.11:
	s_and_b32 vcc_lo, exec_lo, s5
	s_cbranch_vccz .LBB3_14
; %bb.12:
	ds_load_b64 v[0:1], v10
	ds_load_b64 v[14:15], v12
	s_wait_dscnt 0x0
	v_pk_mul_f32 v[18:19], v[14:15], v[0:1] op_sel:[1,1] op_sel_hi:[0,1]
	v_pk_mul_f32 v[20:21], v[14:15], v[0:1] op_sel_hi:[1,0]
	s_delay_alu instid0(VALU_DEP_2) | instskip(NEXT) | instid1(VALU_DEP_2)
	v_pk_fma_f32 v[0:1], v[14:15], v[0:1], v[18:19] op_sel_hi:[1,0,1]
	v_sub_f32_e32 v0, v20, v18
	s_cbranch_execz .LBB3_15
	s_branch .LBB3_16
.LBB3_13:
	s_mov_b32 s4, 0
                                        ; implicit-def: $vgpr14
                                        ; implicit-def: $vgpr15
	s_cbranch_execnz .LBB3_36
	s_branch .LBB3_61
.LBB3_14:
                                        ; implicit-def: $vgpr1
.LBB3_15:
	ds_load_b64 v[0:1], v12
.LBB3_16:
	s_wait_dscnt 0x0
	v_dual_mov_b32 v13, 0 :: v_dual_mov_b32 v18, v1
	v_mov_b32_e32 v19, v0
	ds_load_b64 v[14:15], v13 offset:16
	s_wait_dscnt 0x0
	v_pk_mul_f32 v[18:19], v[18:19], v[14:15] op_sel:[0,1]
	s_delay_alu instid0(VALU_DEP_1) | instskip(SKIP_1) | instid1(VALU_DEP_2)
	v_pk_fma_f32 v[20:21], v[0:1], v[14:15], v[18:19] op_sel_hi:[1,0,1]
	v_pk_fma_f32 v[0:1], v[0:1], v[14:15], v[18:19] neg_lo:[0,0,1] neg_hi:[0,0,1]
	v_mov_b32_e32 v1, v21
	ds_store_b64 v11, v[0:1] offset:16
.LBB3_17:
	s_or_b32 exec_lo, exec_lo, s0
	ds_load_b64 v[0:1], v11 offset:8
	v_cmp_lt_u32_e64 s0, 1, v16
	s_wait_dscnt 0x0
	ds_store_b64 v12, v[0:1]
	s_wait_dscnt 0x0
	s_barrier_signal -1
	s_barrier_wait -1
	s_and_saveexec_b32 s4, s0
	s_cbranch_execz .LBB3_25
; %bb.18:
	s_and_not1_b32 vcc_lo, exec_lo, s5
	s_cbranch_vccnz .LBB3_20
; %bb.19:
	ds_load_b64 v[0:1], v10
	ds_load_b64 v[14:15], v12
	s_wait_dscnt 0x0
	v_pk_mul_f32 v[18:19], v[14:15], v[0:1] op_sel:[1,1] op_sel_hi:[0,1]
	s_delay_alu instid0(VALU_DEP_1) | instskip(SKIP_1) | instid1(VALU_DEP_2)
	v_pk_fma_f32 v[20:21], v[14:15], v[0:1], v[18:19] op_sel_hi:[1,0,1]
	v_pk_fma_f32 v[0:1], v[14:15], v[0:1], v[18:19] neg_lo:[0,0,1] neg_hi:[0,0,1]
	v_mov_b32_e32 v1, v21
	s_cbranch_execz .LBB3_21
	s_branch .LBB3_22
.LBB3_20:
                                        ; implicit-def: $vgpr0_vgpr1
.LBB3_21:
	ds_load_b64 v[0:1], v12
.LBB3_22:
	s_and_saveexec_b32 s6, s1
	s_cbranch_execz .LBB3_24
; %bb.23:
	v_mov_b32_e32 v13, 0
	ds_load_b64 v[14:15], v11 offset:16
	ds_load_b64 v[18:19], v13 offset:48
	s_wait_dscnt 0x0
	v_pk_mul_f32 v[20:21], v[18:19], v[14:15] op_sel:[1,1] op_sel_hi:[0,1]
	s_delay_alu instid0(VALU_DEP_1) | instskip(SKIP_1) | instid1(VALU_DEP_2)
	v_pk_fma_f32 v[22:23], v[18:19], v[14:15], v[20:21] op_sel_hi:[1,0,1]
	v_pk_fma_f32 v[14:15], v[18:19], v[14:15], v[20:21] neg_lo:[0,0,1] neg_hi:[0,0,1]
	v_mov_b32_e32 v15, v23
	s_delay_alu instid0(VALU_DEP_1)
	v_pk_add_f32 v[0:1], v[0:1], v[14:15]
.LBB3_24:
	s_or_b32 exec_lo, exec_lo, s6
	v_mov_b32_e32 v13, 0
	ds_load_b64 v[14:15], v13 offset:8
	s_wait_dscnt 0x0
	v_pk_mul_f32 v[18:19], v[0:1], v[14:15] op_sel:[1,1] op_sel_hi:[0,1]
	s_delay_alu instid0(VALU_DEP_1) | instskip(SKIP_1) | instid1(VALU_DEP_2)
	v_pk_fma_f32 v[20:21], v[0:1], v[14:15], v[18:19] op_sel_hi:[1,0,1]
	v_pk_fma_f32 v[0:1], v[0:1], v[14:15], v[18:19] neg_lo:[0,0,1] neg_hi:[0,0,1]
	v_mov_b32_e32 v1, v21
	ds_store_b64 v11, v[0:1] offset:8
.LBB3_25:
	s_or_b32 exec_lo, exec_lo, s4
	ds_load_b64 v[0:1], v11
	s_mov_b32 s1, 0
	s_mov_b32 s4, 0
	s_mov_b32 s6, exec_lo
                                        ; implicit-def: $vgpr14
                                        ; implicit-def: $vgpr15
	s_wait_dscnt 0x0
	ds_store_b64 v12, v[0:1]
	s_wait_dscnt 0x0
	s_barrier_signal -1
	s_barrier_wait -1
	v_cmpx_ne_u32_e32 0, v16
	s_cbranch_execz .LBB3_35
; %bb.26:
	s_and_not1_b32 vcc_lo, exec_lo, s5
	s_cbranch_vccnz .LBB3_28
; %bb.27:
	ds_load_b64 v[14:15], v10
	ds_load_b64 v[18:19], v12
	s_wait_dscnt 0x0
	v_dual_mul_f32 v0, v19, v15 :: v_dual_mul_f32 v1, v18, v15
	s_delay_alu instid0(VALU_DEP_1)
	v_dual_fma_f32 v0, v18, v14, -v0 :: v_dual_fmac_f32 v1, v19, v14
	s_and_not1_b32 vcc_lo, exec_lo, s4
	s_cbranch_vccz .LBB3_29
	s_branch .LBB3_30
.LBB3_28:
                                        ; implicit-def: $vgpr0
.LBB3_29:
	ds_load_b64 v[0:1], v12
.LBB3_30:
	s_and_saveexec_b32 s4, s0
	s_cbranch_execz .LBB3_34
; %bb.31:
	v_add_nc_u32_e32 v13, -1, v16
	v_lshl_add_u32 v14, v17, 5, 0x48
	s_mov_b32 s7, 40
	s_mov_b32 s0, 0
.LBB3_32:                               ; =>This Inner Loop Header: Depth=1
	v_mov_b32_e32 v15, s7
	s_add_co_i32 s7, s7, 8
	ds_load_b64 v[18:19], v14
	ds_load_b64 v[20:21], v15
	v_add_nc_u32_e32 v13, -1, v13
	s_delay_alu instid0(VALU_DEP_1) | instskip(SKIP_3) | instid1(VALU_DEP_1)
	v_cmp_eq_u32_e32 vcc_lo, 0, v13
	s_or_b32 s0, vcc_lo, s0
	s_wait_dscnt 0x0
	v_dual_mul_f32 v15, v21, v19 :: v_dual_mul_f32 v17, v20, v19
	v_dual_fma_f32 v15, v20, v18, -v15 :: v_dual_fmac_f32 v17, v21, v18
	s_delay_alu instid0(VALU_DEP_1) | instskip(NEXT) | instid1(VALU_DEP_2)
	v_dual_add_nc_u32 v14, 8, v14 :: v_dual_add_f32 v0, v0, v15
	v_add_f32_e32 v1, v1, v17
	s_and_not1_b32 exec_lo, exec_lo, s0
	s_cbranch_execnz .LBB3_32
; %bb.33:
	s_or_b32 exec_lo, exec_lo, s0
.LBB3_34:
	s_delay_alu instid0(SALU_CYCLE_1)
	s_or_b32 exec_lo, exec_lo, s4
	v_mov_b32_e32 v13, 0
	s_mov_b32 s4, exec_lo
	ds_load_b64 v[18:19], v13
	s_wait_dscnt 0x0
	v_dual_mul_f32 v14, v0, v19 :: v_dual_mul_f32 v13, v1, v19
	s_delay_alu instid0(VALU_DEP_1) | instskip(NEXT) | instid1(VALU_DEP_2)
	v_dual_fmac_f32 v14, v1, v18 :: v_dual_add_nc_u32 v15, 4, v11
	v_fma_f32 v0, v0, v18, -v13
	ds_store_b32 v11, v0
.LBB3_35:
	s_or_b32 exec_lo, exec_lo, s6
	s_delay_alu instid0(SALU_CYCLE_1)
	s_and_b32 vcc_lo, exec_lo, s1
	s_cbranch_vccz .LBB3_61
.LBB3_36:
	ds_load_b64 v[0:1], v11 offset:8
	v_cmp_eq_u32_e64 s0, 0, v16
	s_wait_dscnt 0x0
	ds_store_b64 v12, v[0:1]
	s_wait_dscnt 0x0
	s_barrier_signal -1
	s_barrier_wait -1
	s_and_saveexec_b32 s1, s0
	s_cbranch_execz .LBB3_42
; %bb.37:
	s_and_b32 vcc_lo, exec_lo, s5
	s_cbranch_vccz .LBB3_39
; %bb.38:
	ds_load_b64 v[0:1], v10
	ds_load_b64 v[14:15], v12
	s_wait_dscnt 0x0
	v_pk_mul_f32 v[18:19], v[14:15], v[0:1] op_sel:[1,1] op_sel_hi:[0,1]
	v_pk_mul_f32 v[20:21], v[14:15], v[0:1] op_sel_hi:[1,0]
	s_delay_alu instid0(VALU_DEP_2) | instskip(NEXT) | instid1(VALU_DEP_2)
	v_pk_fma_f32 v[0:1], v[14:15], v[0:1], v[18:19] op_sel_hi:[1,0,1]
	v_sub_f32_e32 v0, v20, v18
	s_cbranch_execz .LBB3_40
	s_branch .LBB3_41
.LBB3_39:
                                        ; implicit-def: $vgpr1
.LBB3_40:
	ds_load_b64 v[0:1], v12
.LBB3_41:
	s_wait_dscnt 0x0
	v_dual_mov_b32 v13, 0 :: v_dual_mov_b32 v18, v1
	v_mov_b32_e32 v19, v0
	ds_load_b64 v[14:15], v13 offset:8
	s_wait_dscnt 0x0
	v_pk_mul_f32 v[18:19], v[18:19], v[14:15] op_sel:[0,1]
	s_delay_alu instid0(VALU_DEP_1) | instskip(SKIP_1) | instid1(VALU_DEP_2)
	v_pk_fma_f32 v[20:21], v[0:1], v[14:15], v[18:19] op_sel_hi:[1,0,1]
	v_pk_fma_f32 v[0:1], v[0:1], v[14:15], v[18:19] neg_lo:[0,0,1] neg_hi:[0,0,1]
	v_mov_b32_e32 v1, v21
	ds_store_b64 v11, v[0:1] offset:8
.LBB3_42:
	s_or_b32 exec_lo, exec_lo, s1
	ds_load_b64 v[0:1], v11 offset:16
	v_cmp_gt_u32_e64 s1, 2, v16
	v_cndmask_b32_e64 v13, 0, 1, s5
	s_wait_dscnt 0x0
	ds_store_b64 v12, v[0:1]
	s_wait_dscnt 0x0
	s_barrier_signal -1
	s_barrier_wait -1
	s_and_saveexec_b32 s6, s1
	s_cbranch_execz .LBB3_50
; %bb.43:
	s_and_not1_b32 vcc_lo, exec_lo, s5
	s_cbranch_vccnz .LBB3_45
; %bb.44:
	ds_load_b64 v[0:1], v10
	ds_load_b64 v[14:15], v12
	s_wait_dscnt 0x0
	v_pk_mul_f32 v[18:19], v[14:15], v[0:1] op_sel:[1,1] op_sel_hi:[0,1]
	s_delay_alu instid0(VALU_DEP_1) | instskip(SKIP_1) | instid1(VALU_DEP_2)
	v_pk_fma_f32 v[20:21], v[14:15], v[0:1], v[18:19] op_sel_hi:[1,0,1]
	v_pk_fma_f32 v[0:1], v[14:15], v[0:1], v[18:19] neg_lo:[0,0,1] neg_hi:[0,0,1]
	v_mov_b32_e32 v1, v21
	s_cbranch_execz .LBB3_46
	s_branch .LBB3_47
.LBB3_45:
                                        ; implicit-def: $vgpr0_vgpr1
.LBB3_46:
	ds_load_b64 v[0:1], v12
.LBB3_47:
	s_and_saveexec_b32 s5, s0
	s_cbranch_execz .LBB3_49
; %bb.48:
	v_mov_b32_e32 v17, 0
	ds_load_b64 v[14:15], v11 offset:8
	ds_load_b64 v[18:19], v17 offset:40
	s_wait_dscnt 0x0
	v_pk_mul_f32 v[20:21], v[18:19], v[14:15] op_sel:[1,1] op_sel_hi:[0,1]
	s_delay_alu instid0(VALU_DEP_1) | instskip(SKIP_1) | instid1(VALU_DEP_2)
	v_pk_fma_f32 v[22:23], v[18:19], v[14:15], v[20:21] op_sel_hi:[1,0,1]
	v_pk_fma_f32 v[14:15], v[18:19], v[14:15], v[20:21] neg_lo:[0,0,1] neg_hi:[0,0,1]
	v_mov_b32_e32 v15, v23
	s_delay_alu instid0(VALU_DEP_1)
	v_pk_add_f32 v[0:1], v[0:1], v[14:15]
.LBB3_49:
	s_or_b32 exec_lo, exec_lo, s5
	v_mov_b32_e32 v14, 0
	ds_load_b64 v[14:15], v14 offset:16
	s_wait_dscnt 0x0
	v_pk_mul_f32 v[18:19], v[0:1], v[14:15] op_sel:[1,1] op_sel_hi:[0,1]
	s_delay_alu instid0(VALU_DEP_1) | instskip(SKIP_1) | instid1(VALU_DEP_2)
	v_pk_fma_f32 v[20:21], v[0:1], v[14:15], v[18:19] op_sel_hi:[1,0,1]
	v_pk_fma_f32 v[0:1], v[0:1], v[14:15], v[18:19] neg_lo:[0,0,1] neg_hi:[0,0,1]
	v_mov_b32_e32 v1, v21
	ds_store_b64 v11, v[0:1] offset:16
.LBB3_50:
	s_or_b32 exec_lo, exec_lo, s6
	ds_load_b64 v[0:1], v11 offset:24
	s_mov_b32 s5, exec_lo
                                        ; implicit-def: $vgpr14
                                        ; implicit-def: $vgpr15
	s_wait_dscnt 0x0
	ds_store_b64 v12, v[0:1]
	s_wait_dscnt 0x0
	s_barrier_signal -1
	s_barrier_wait -1
	v_cmpx_ne_u32_e32 3, v16
	s_cbranch_execz .LBB3_60
; %bb.51:
	v_cmp_ne_u32_e32 vcc_lo, 1, v13
	s_cbranch_vccnz .LBB3_53
; %bb.52:
	ds_load_b64 v[14:15], v10
	ds_load_b64 v[16:17], v12
	s_wait_dscnt 0x0
	v_dual_mul_f32 v0, v17, v15 :: v_dual_mul_f32 v1, v16, v15
	s_delay_alu instid0(VALU_DEP_1)
	v_dual_fma_f32 v0, v16, v14, -v0 :: v_dual_fmac_f32 v1, v17, v14
	s_cbranch_execz .LBB3_54
	s_branch .LBB3_55
.LBB3_53:
                                        ; implicit-def: $vgpr1
.LBB3_54:
	ds_load_b64 v[0:1], v12
.LBB3_55:
	s_and_saveexec_b32 s6, s1
	s_cbranch_execz .LBB3_59
; %bb.56:
	ds_load_b64 v[14:15], v10 offset:8
	ds_load_b64 v[12:13], v12 offset:8
	s_wait_dscnt 0x0
	v_dual_mul_f32 v10, v13, v15 :: v_dual_mul_f32 v15, v12, v15
	s_delay_alu instid0(VALU_DEP_1) | instskip(NEXT) | instid1(VALU_DEP_1)
	v_dual_fma_f32 v10, v12, v14, -v10 :: v_dual_fmac_f32 v15, v13, v14
	v_dual_add_f32 v0, v0, v10 :: v_dual_add_f32 v1, v1, v15
	s_and_saveexec_b32 s1, s0
	s_cbranch_execz .LBB3_58
; %bb.57:
	v_mov_b32_e32 v10, 0
	ds_load_b64 v[12:13], v11 offset:16
	ds_load_b64 v[14:15], v10 offset:48
	s_wait_dscnt 0x0
	v_dual_mul_f32 v10, v14, v13 :: v_dual_mul_f32 v13, v15, v13
	s_delay_alu instid0(VALU_DEP_1) | instskip(NEXT) | instid1(VALU_DEP_1)
	v_dual_fmac_f32 v10, v15, v12 :: v_dual_fma_f32 v12, v14, v12, -v13
	v_dual_add_f32 v0, v0, v12 :: v_dual_add_f32 v1, v1, v10
.LBB3_58:
	s_or_b32 exec_lo, exec_lo, s1
.LBB3_59:
	s_delay_alu instid0(SALU_CYCLE_1)
	s_or_b32 exec_lo, exec_lo, s6
	v_mov_b32_e32 v10, 0
	s_or_b32 s4, s4, exec_lo
	v_add_nc_u32_e32 v15, 28, v11
	ds_load_b64 v[12:13], v10 offset:24
	s_wait_dscnt 0x0
	v_dual_mul_f32 v10, v1, v13 :: v_dual_mul_f32 v14, v0, v13
	s_delay_alu instid0(VALU_DEP_1) | instskip(NEXT) | instid1(VALU_DEP_2)
	v_fma_f32 v0, v0, v12, -v10
	v_fmac_f32_e32 v14, v1, v12
	ds_store_b32 v11, v0 offset:24
.LBB3_60:
	s_or_b32 exec_lo, exec_lo, s5
.LBB3_61:
	v_lshl_add_u64 v[0:1], v[6:7], 3, s[2:3]
	v_lshl_add_u64 v[6:7], v[8:9], 3, s[2:3]
	s_and_saveexec_b32 s0, s4
; %bb.62:
	ds_store_b32 v15, v14
; %bb.63:
	s_or_b32 exec_lo, exec_lo, s0
	ds_load_b128 v[12:15], v11
	ds_load_b128 v[8:11], v11 offset:16
	s_wait_dscnt 0x1
	s_clause 0x1
	global_store_b64 v[2:3], v[12:13], off
	global_store_b64 v[4:5], v[14:15], off
	s_wait_dscnt 0x0
	s_clause 0x1
	global_store_b64 v[0:1], v[8:9], off
	global_store_b64 v[6:7], v[10:11], off
.LBB3_64:
	s_endpgm
	.section	.rodata,"a",@progbits
	.p2align	6, 0x0
	.amdhsa_kernel _ZN9rocsolver6v33100L18trti2_kernel_smallILi4E19rocblas_complex_numIfEPS3_EEv13rocblas_fill_17rocblas_diagonal_T1_iil
		.amdhsa_group_segment_fixed_size 2112
		.amdhsa_private_segment_fixed_size 0
		.amdhsa_kernarg_size 32
		.amdhsa_user_sgpr_count 4
		.amdhsa_user_sgpr_dispatch_ptr 1
		.amdhsa_user_sgpr_queue_ptr 0
		.amdhsa_user_sgpr_kernarg_segment_ptr 1
		.amdhsa_user_sgpr_dispatch_id 0
		.amdhsa_user_sgpr_kernarg_preload_length 0
		.amdhsa_user_sgpr_kernarg_preload_offset 0
		.amdhsa_user_sgpr_private_segment_size 0
		.amdhsa_wavefront_size32 1
		.amdhsa_uses_dynamic_stack 0
		.amdhsa_enable_private_segment 0
		.amdhsa_system_sgpr_workgroup_id_x 1
		.amdhsa_system_sgpr_workgroup_id_y 0
		.amdhsa_system_sgpr_workgroup_id_z 0
		.amdhsa_system_sgpr_workgroup_info 0
		.amdhsa_system_vgpr_workitem_id 2
		.amdhsa_next_free_vgpr 24
		.amdhsa_next_free_sgpr 14
		.amdhsa_named_barrier_count 0
		.amdhsa_reserve_vcc 1
		.amdhsa_float_round_mode_32 0
		.amdhsa_float_round_mode_16_64 0
		.amdhsa_float_denorm_mode_32 3
		.amdhsa_float_denorm_mode_16_64 3
		.amdhsa_fp16_overflow 0
		.amdhsa_memory_ordered 1
		.amdhsa_forward_progress 1
		.amdhsa_inst_pref_size 21
		.amdhsa_round_robin_scheduling 0
		.amdhsa_exception_fp_ieee_invalid_op 0
		.amdhsa_exception_fp_denorm_src 0
		.amdhsa_exception_fp_ieee_div_zero 0
		.amdhsa_exception_fp_ieee_overflow 0
		.amdhsa_exception_fp_ieee_underflow 0
		.amdhsa_exception_fp_ieee_inexact 0
		.amdhsa_exception_int_div_zero 0
	.end_amdhsa_kernel
	.section	.text._ZN9rocsolver6v33100L18trti2_kernel_smallILi4E19rocblas_complex_numIfEPS3_EEv13rocblas_fill_17rocblas_diagonal_T1_iil,"axG",@progbits,_ZN9rocsolver6v33100L18trti2_kernel_smallILi4E19rocblas_complex_numIfEPS3_EEv13rocblas_fill_17rocblas_diagonal_T1_iil,comdat
.Lfunc_end3:
	.size	_ZN9rocsolver6v33100L18trti2_kernel_smallILi4E19rocblas_complex_numIfEPS3_EEv13rocblas_fill_17rocblas_diagonal_T1_iil, .Lfunc_end3-_ZN9rocsolver6v33100L18trti2_kernel_smallILi4E19rocblas_complex_numIfEPS3_EEv13rocblas_fill_17rocblas_diagonal_T1_iil
                                        ; -- End function
	.set _ZN9rocsolver6v33100L18trti2_kernel_smallILi4E19rocblas_complex_numIfEPS3_EEv13rocblas_fill_17rocblas_diagonal_T1_iil.num_vgpr, 24
	.set _ZN9rocsolver6v33100L18trti2_kernel_smallILi4E19rocblas_complex_numIfEPS3_EEv13rocblas_fill_17rocblas_diagonal_T1_iil.num_agpr, 0
	.set _ZN9rocsolver6v33100L18trti2_kernel_smallILi4E19rocblas_complex_numIfEPS3_EEv13rocblas_fill_17rocblas_diagonal_T1_iil.numbered_sgpr, 14
	.set _ZN9rocsolver6v33100L18trti2_kernel_smallILi4E19rocblas_complex_numIfEPS3_EEv13rocblas_fill_17rocblas_diagonal_T1_iil.num_named_barrier, 0
	.set _ZN9rocsolver6v33100L18trti2_kernel_smallILi4E19rocblas_complex_numIfEPS3_EEv13rocblas_fill_17rocblas_diagonal_T1_iil.private_seg_size, 0
	.set _ZN9rocsolver6v33100L18trti2_kernel_smallILi4E19rocblas_complex_numIfEPS3_EEv13rocblas_fill_17rocblas_diagonal_T1_iil.uses_vcc, 1
	.set _ZN9rocsolver6v33100L18trti2_kernel_smallILi4E19rocblas_complex_numIfEPS3_EEv13rocblas_fill_17rocblas_diagonal_T1_iil.uses_flat_scratch, 0
	.set _ZN9rocsolver6v33100L18trti2_kernel_smallILi4E19rocblas_complex_numIfEPS3_EEv13rocblas_fill_17rocblas_diagonal_T1_iil.has_dyn_sized_stack, 0
	.set _ZN9rocsolver6v33100L18trti2_kernel_smallILi4E19rocblas_complex_numIfEPS3_EEv13rocblas_fill_17rocblas_diagonal_T1_iil.has_recursion, 0
	.set _ZN9rocsolver6v33100L18trti2_kernel_smallILi4E19rocblas_complex_numIfEPS3_EEv13rocblas_fill_17rocblas_diagonal_T1_iil.has_indirect_call, 0
	.section	.AMDGPU.csdata,"",@progbits
; Kernel info:
; codeLenInByte = 2596
; TotalNumSgprs: 16
; NumVgprs: 24
; ScratchSize: 0
; MemoryBound: 0
; FloatMode: 240
; IeeeMode: 1
; LDSByteSize: 2112 bytes/workgroup (compile time only)
; SGPRBlocks: 0
; VGPRBlocks: 1
; NumSGPRsForWavesPerEU: 16
; NumVGPRsForWavesPerEU: 24
; NamedBarCnt: 0
; Occupancy: 16
; WaveLimiterHint : 0
; COMPUTE_PGM_RSRC2:SCRATCH_EN: 0
; COMPUTE_PGM_RSRC2:USER_SGPR: 4
; COMPUTE_PGM_RSRC2:TRAP_HANDLER: 0
; COMPUTE_PGM_RSRC2:TGID_X_EN: 1
; COMPUTE_PGM_RSRC2:TGID_Y_EN: 0
; COMPUTE_PGM_RSRC2:TGID_Z_EN: 0
; COMPUTE_PGM_RSRC2:TIDIG_COMP_CNT: 2
	.section	.text._ZN9rocsolver6v33100L18trti2_kernel_smallILi5E19rocblas_complex_numIfEPS3_EEv13rocblas_fill_17rocblas_diagonal_T1_iil,"axG",@progbits,_ZN9rocsolver6v33100L18trti2_kernel_smallILi5E19rocblas_complex_numIfEPS3_EEv13rocblas_fill_17rocblas_diagonal_T1_iil,comdat
	.globl	_ZN9rocsolver6v33100L18trti2_kernel_smallILi5E19rocblas_complex_numIfEPS3_EEv13rocblas_fill_17rocblas_diagonal_T1_iil ; -- Begin function _ZN9rocsolver6v33100L18trti2_kernel_smallILi5E19rocblas_complex_numIfEPS3_EEv13rocblas_fill_17rocblas_diagonal_T1_iil
	.p2align	8
	.type	_ZN9rocsolver6v33100L18trti2_kernel_smallILi5E19rocblas_complex_numIfEPS3_EEv13rocblas_fill_17rocblas_diagonal_T1_iil,@function
_ZN9rocsolver6v33100L18trti2_kernel_smallILi5E19rocblas_complex_numIfEPS3_EEv13rocblas_fill_17rocblas_diagonal_T1_iil: ; @_ZN9rocsolver6v33100L18trti2_kernel_smallILi5E19rocblas_complex_numIfEPS3_EEv13rocblas_fill_17rocblas_diagonal_T1_iil
; %bb.0:
	v_and_b32_e32 v18, 0x3ff, v0
	s_mov_b32 s4, exec_lo
	s_delay_alu instid0(VALU_DEP_1)
	v_cmpx_gt_u32_e32 5, v18
	s_cbranch_execz .LBB4_84
; %bb.1:
	s_load_b64 s[12:13], s[0:1], 0x4
	s_load_b256 s[4:11], s[2:3], 0x0
	s_wait_xcnt 0x0
	s_bfe_u32 s0, ttmp6, 0x4000c
	s_and_b32 s1, ttmp6, 15
	s_add_co_i32 s0, s0, 1
	s_getreg_b32 s2, hwreg(HW_REG_IB_STS2, 6, 4)
	s_mul_i32 s0, ttmp9, s0
	v_dual_mov_b32 v13, 0 :: v_dual_lshlrev_b32 v12, 3, v18
	s_add_co_i32 s0, s1, s0
	v_bfe_u32 v1, v0, 10, 10
	v_bfe_u32 v0, v0, 20, 10
	s_wait_kmcnt 0x0
	s_lshr_b32 s12, s12, 16
	s_ashr_i32 s1, s8, 31
	s_cmp_eq_u32 s2, 0
	v_add3_u32 v6, s9, s9, v18
	s_cselect_b32 s2, ttmp9, s0
	s_mov_b32 s0, s8
	s_ashr_i32 s3, s2, 31
	s_lshl_b64 s[0:1], s[0:1], 3
	s_mul_u64 s[2:3], s[10:11], s[2:3]
	v_add_nc_u32_e32 v8, s9, v6
	s_lshl_b64 s[2:3], s[2:3], 3
	s_mul_i32 s12, s12, s13
	s_add_nc_u64 s[2:3], s[6:7], s[2:3]
	v_mul_u32_u24_e32 v1, s13, v1
	s_add_nc_u64 s[2:3], s[2:3], s[0:1]
	s_mov_b32 s0, s9
	v_add_nc_u64_e32 v[2:3], s[2:3], v[12:13]
	s_ashr_i32 s1, s9, 31
	v_add_nc_u32_e32 v10, s9, v8
	v_mul_u32_u24_e32 v7, s12, v18
	s_cmp_lg_u32 s5, 0x84
	s_cselect_b32 s5, -1, 0
	s_delay_alu instid0(VALU_DEP_3) | instskip(NEXT) | instid1(VALU_DEP_2)
	v_lshl_add_u64 v[4:5], s[0:1], 3, v[2:3]
	v_add3_u32 v20, v7, v1, v0
	s_mov_b32 s0, -1
	s_clause 0x4
	global_load_b64 v[26:27], v10, s[2:3] scale_offset
	global_load_b64 v[14:15], v18, s[2:3] scale_offset
	global_load_b64 v[16:17], v[4:5], off
	global_load_b64 v[22:23], v6, s[2:3] scale_offset
	global_load_b64 v[24:25], v8, s[2:3] scale_offset
	s_and_b32 vcc_lo, exec_lo, s5
	v_mul_lo_u32 v19, v20, 40
	s_wait_loadcnt 0x4
	ds_store_b64 v19, v[26:27] offset:128
	s_wait_loadcnt 0x2
	ds_store_b128 v19, v[14:17] offset:96
	s_wait_loadcnt 0x0
	ds_store_b128 v19, v[22:25] offset:112
	v_add_nc_u32_e32 v13, 0x60, v19
	s_cbranch_vccz .LBB4_7
; %bb.2:
	s_delay_alu instid0(VALU_DEP_1) | instskip(SKIP_4) | instid1(SALU_CYCLE_1)
	v_lshl_add_u32 v7, v18, 3, v13
                                        ; implicit-def: $vgpr17
                                        ; implicit-def: $vgpr14
	ds_load_b64 v[0:1], v7
	s_wait_dscnt 0x0
	v_cmp_ngt_f32_e64 s0, |v0|, |v1|
	s_and_saveexec_b32 s1, s0
	s_xor_b32 s0, exec_lo, s1
	s_cbranch_execz .LBB4_4
; %bb.3:
	v_div_scale_f32 v9, null, v1, v1, v0
	v_div_scale_f32 v15, vcc_lo, v0, v1, v0
	s_delay_alu instid0(VALU_DEP_2) | instskip(SKIP_1) | instid1(TRANS32_DEP_1)
	v_rcp_f32_e32 v11, v9
	v_nop
	v_fma_f32 v14, -v9, v11, 1.0
	s_delay_alu instid0(VALU_DEP_1) | instskip(NEXT) | instid1(VALU_DEP_1)
	v_fmac_f32_e32 v11, v14, v11
	v_mul_f32_e32 v14, v15, v11
	s_delay_alu instid0(VALU_DEP_1) | instskip(NEXT) | instid1(VALU_DEP_1)
	v_fma_f32 v16, -v9, v14, v15
	v_fmac_f32_e32 v14, v16, v11
	s_delay_alu instid0(VALU_DEP_1) | instskip(NEXT) | instid1(VALU_DEP_1)
	v_fma_f32 v9, -v9, v14, v15
	v_div_fmas_f32 v9, v9, v11, v14
	s_delay_alu instid0(VALU_DEP_1) | instskip(NEXT) | instid1(VALU_DEP_1)
	v_div_fixup_f32 v9, v9, v1, v0
	v_fmac_f32_e32 v1, v0, v9
	s_delay_alu instid0(VALU_DEP_1) | instskip(NEXT) | instid1(VALU_DEP_1)
	v_div_scale_f32 v0, null, v1, v1, -1.0
	v_rcp_f32_e32 v11, v0
	v_nop
	s_delay_alu instid0(TRANS32_DEP_1) | instskip(NEXT) | instid1(VALU_DEP_1)
	v_fma_f32 v14, -v0, v11, 1.0
	v_fmac_f32_e32 v11, v14, v11
	v_div_scale_f32 v14, vcc_lo, -1.0, v1, -1.0
	s_delay_alu instid0(VALU_DEP_1) | instskip(NEXT) | instid1(VALU_DEP_1)
	v_mul_f32_e32 v15, v14, v11
	v_fma_f32 v16, -v0, v15, v14
	s_delay_alu instid0(VALU_DEP_1) | instskip(NEXT) | instid1(VALU_DEP_1)
	v_fmac_f32_e32 v15, v16, v11
	v_fma_f32 v0, -v0, v15, v14
	s_delay_alu instid0(VALU_DEP_1) | instskip(NEXT) | instid1(VALU_DEP_1)
	v_div_fmas_f32 v0, v0, v11, v15
	v_div_fixup_f32 v17, v0, v1, -1.0
                                        ; implicit-def: $vgpr0_vgpr1
	s_delay_alu instid0(VALU_DEP_1) | instskip(NEXT) | instid1(VALU_DEP_1)
	v_mul_f32_e32 v14, v9, v17
	v_xor_b32_e32 v16, 0x80000000, v14
.LBB4_4:
	s_and_not1_saveexec_b32 s0, s0
	s_cbranch_execz .LBB4_6
; %bb.5:
	v_div_scale_f32 v9, null, v0, v0, v1
	v_div_scale_f32 v15, vcc_lo, v1, v0, v1
	s_delay_alu instid0(VALU_DEP_2) | instskip(SKIP_1) | instid1(TRANS32_DEP_1)
	v_rcp_f32_e32 v11, v9
	v_nop
	v_fma_f32 v14, -v9, v11, 1.0
	s_delay_alu instid0(VALU_DEP_1) | instskip(NEXT) | instid1(VALU_DEP_1)
	v_fmac_f32_e32 v11, v14, v11
	v_mul_f32_e32 v14, v15, v11
	s_delay_alu instid0(VALU_DEP_1) | instskip(NEXT) | instid1(VALU_DEP_1)
	v_fma_f32 v16, -v9, v14, v15
	v_fmac_f32_e32 v14, v16, v11
	s_delay_alu instid0(VALU_DEP_1) | instskip(NEXT) | instid1(VALU_DEP_1)
	v_fma_f32 v9, -v9, v14, v15
	v_div_fmas_f32 v9, v9, v11, v14
	s_delay_alu instid0(VALU_DEP_1) | instskip(NEXT) | instid1(VALU_DEP_1)
	v_div_fixup_f32 v9, v9, v0, v1
	v_fmac_f32_e32 v0, v1, v9
	s_delay_alu instid0(VALU_DEP_1) | instskip(SKIP_1) | instid1(VALU_DEP_2)
	v_div_scale_f32 v1, null, v0, v0, 1.0
	v_div_scale_f32 v15, vcc_lo, 1.0, v0, 1.0
	v_rcp_f32_e32 v11, v1
	v_nop
	s_delay_alu instid0(TRANS32_DEP_1) | instskip(NEXT) | instid1(VALU_DEP_1)
	v_fma_f32 v14, -v1, v11, 1.0
	v_fmac_f32_e32 v11, v14, v11
	s_delay_alu instid0(VALU_DEP_1) | instskip(NEXT) | instid1(VALU_DEP_1)
	v_mul_f32_e32 v14, v15, v11
	v_fma_f32 v16, -v1, v14, v15
	s_delay_alu instid0(VALU_DEP_1) | instskip(NEXT) | instid1(VALU_DEP_1)
	v_fmac_f32_e32 v14, v16, v11
	v_fma_f32 v1, -v1, v14, v15
	s_delay_alu instid0(VALU_DEP_1) | instskip(NEXT) | instid1(VALU_DEP_1)
	v_div_fmas_f32 v1, v1, v11, v14
	v_div_fixup_f32 v16, v1, v0, 1.0
	s_delay_alu instid0(VALU_DEP_1)
	v_xor_b32_e32 v14, 0x80000000, v16
	v_mul_f32_e64 v17, v9, -v16
.LBB4_6:
	s_or_b32 exec_lo, exec_lo, s0
	s_delay_alu instid0(VALU_DEP_1)
	v_xor_b32_e32 v15, 0x80000000, v17
	s_mov_b32 s0, 0
	ds_store_b64 v7, v[16:17]
	ds_store_b64 v12, v[14:15]
.LBB4_7:
	s_and_b32 vcc_lo, exec_lo, s0
	s_cbranch_vccz .LBB4_9
; %bb.8:
	s_mov_b64 s[0:1], 0xbf800000
	s_delay_alu instid0(SALU_CYCLE_1)
	v_mov_b64_e32 v[0:1], s[0:1]
	ds_store_b64 v12, v[0:1]
.LBB4_9:
	v_dual_ashrrev_i32 v7, 31, v6 :: v_dual_ashrrev_i32 v9, 31, v8
	v_dual_ashrrev_i32 v11, 31, v10 :: v_dual_add_nc_u32 v14, 48, v12
	v_add_nc_u32_e32 v15, v13, v12
	s_cmp_eq_u32 s4, 0x79
	s_cbranch_scc1 .LBB4_13
; %bb.10:
	ds_load_b64 v[0:1], v13 offset:24
	v_cmp_eq_u32_e64 s0, 4, v18
	s_wait_dscnt 0x0
	ds_store_b64 v14, v[0:1]
	s_wait_dscnt 0x0
	s_barrier_signal -1
	s_barrier_wait -1
	s_and_saveexec_b32 s1, s0
	s_cbranch_execz .LBB4_17
; %bb.11:
	s_and_b32 vcc_lo, exec_lo, s5
	s_cbranch_vccz .LBB4_14
; %bb.12:
	ds_load_b64 v[0:1], v15
	ds_load_b64 v[16:17], v14
	s_wait_dscnt 0x0
	v_pk_mul_f32 v[22:23], v[16:17], v[0:1] op_sel:[1,1] op_sel_hi:[0,1]
	v_pk_mul_f32 v[24:25], v[16:17], v[0:1] op_sel_hi:[1,0]
	s_delay_alu instid0(VALU_DEP_2) | instskip(NEXT) | instid1(VALU_DEP_2)
	v_pk_fma_f32 v[0:1], v[16:17], v[0:1], v[22:23] op_sel_hi:[1,0,1]
	v_sub_f32_e32 v0, v24, v22
	s_cbranch_execz .LBB4_15
	s_branch .LBB4_16
.LBB4_13:
	s_mov_b32 s4, 0
                                        ; implicit-def: $vgpr17
                                        ; implicit-def: $vgpr21
	s_cbranch_execnz .LBB4_46
	s_branch .LBB4_81
.LBB4_14:
                                        ; implicit-def: $vgpr1
.LBB4_15:
	ds_load_b64 v[0:1], v14
.LBB4_16:
	s_wait_dscnt 0x0
	v_dual_mov_b32 v16, 0 :: v_dual_mov_b32 v22, v1
	v_mov_b32_e32 v23, v0
	ds_load_b64 v[16:17], v16 offset:24
	s_wait_dscnt 0x0
	v_pk_mul_f32 v[22:23], v[22:23], v[16:17] op_sel:[0,1]
	s_delay_alu instid0(VALU_DEP_1) | instskip(SKIP_1) | instid1(VALU_DEP_2)
	v_pk_fma_f32 v[24:25], v[0:1], v[16:17], v[22:23] op_sel_hi:[1,0,1]
	v_pk_fma_f32 v[0:1], v[0:1], v[16:17], v[22:23] neg_lo:[0,0,1] neg_hi:[0,0,1]
	v_mov_b32_e32 v1, v25
	ds_store_b64 v13, v[0:1] offset:24
.LBB4_17:
	s_or_b32 exec_lo, exec_lo, s1
	ds_load_b64 v[0:1], v13 offset:16
	v_cmp_lt_u32_e64 s1, 2, v18
	s_wait_dscnt 0x0
	ds_store_b64 v14, v[0:1]
	s_wait_dscnt 0x0
	s_barrier_signal -1
	s_barrier_wait -1
	s_and_saveexec_b32 s4, s1
	s_cbranch_execz .LBB4_25
; %bb.18:
	s_and_not1_b32 vcc_lo, exec_lo, s5
	s_cbranch_vccnz .LBB4_20
; %bb.19:
	ds_load_b64 v[0:1], v15
	ds_load_b64 v[16:17], v14
	s_wait_dscnt 0x0
	v_pk_mul_f32 v[22:23], v[16:17], v[0:1] op_sel:[1,1] op_sel_hi:[0,1]
	s_delay_alu instid0(VALU_DEP_1) | instskip(SKIP_1) | instid1(VALU_DEP_2)
	v_pk_fma_f32 v[24:25], v[16:17], v[0:1], v[22:23] op_sel_hi:[1,0,1]
	v_pk_fma_f32 v[0:1], v[16:17], v[0:1], v[22:23] neg_lo:[0,0,1] neg_hi:[0,0,1]
	v_mov_b32_e32 v1, v25
	s_cbranch_execz .LBB4_21
	s_branch .LBB4_22
.LBB4_20:
                                        ; implicit-def: $vgpr0_vgpr1
.LBB4_21:
	ds_load_b64 v[0:1], v14
.LBB4_22:
	s_and_saveexec_b32 s6, s0
	s_cbranch_execz .LBB4_24
; %bb.23:
	v_mov_b32_e32 v21, 0
	ds_load_b64 v[16:17], v13 offset:24
	ds_load_b64 v[22:23], v21 offset:72
	s_wait_dscnt 0x0
	v_pk_mul_f32 v[24:25], v[22:23], v[16:17] op_sel:[1,1] op_sel_hi:[0,1]
	s_delay_alu instid0(VALU_DEP_1) | instskip(SKIP_1) | instid1(VALU_DEP_2)
	v_pk_fma_f32 v[26:27], v[22:23], v[16:17], v[24:25] op_sel_hi:[1,0,1]
	v_pk_fma_f32 v[16:17], v[22:23], v[16:17], v[24:25] neg_lo:[0,0,1] neg_hi:[0,0,1]
	v_mov_b32_e32 v17, v27
	s_delay_alu instid0(VALU_DEP_1)
	v_pk_add_f32 v[0:1], v[0:1], v[16:17]
.LBB4_24:
	s_or_b32 exec_lo, exec_lo, s6
	v_mov_b32_e32 v16, 0
	ds_load_b64 v[16:17], v16 offset:16
	s_wait_dscnt 0x0
	v_pk_mul_f32 v[22:23], v[0:1], v[16:17] op_sel:[1,1] op_sel_hi:[0,1]
	s_delay_alu instid0(VALU_DEP_1) | instskip(SKIP_1) | instid1(VALU_DEP_2)
	v_pk_fma_f32 v[24:25], v[0:1], v[16:17], v[22:23] op_sel_hi:[1,0,1]
	v_pk_fma_f32 v[0:1], v[0:1], v[16:17], v[22:23] neg_lo:[0,0,1] neg_hi:[0,0,1]
	v_mov_b32_e32 v1, v25
	ds_store_b64 v13, v[0:1] offset:16
.LBB4_25:
	s_or_b32 exec_lo, exec_lo, s4
	ds_load_b64 v[0:1], v13 offset:8
	v_cmp_lt_u32_e64 s0, 1, v18
	s_wait_dscnt 0x0
	ds_store_b64 v14, v[0:1]
	s_wait_dscnt 0x0
	s_barrier_signal -1
	s_barrier_wait -1
	s_and_saveexec_b32 s4, s0
	s_cbranch_execz .LBB4_35
; %bb.26:
	s_and_not1_b32 vcc_lo, exec_lo, s5
	s_cbranch_vccnz .LBB4_28
; %bb.27:
	ds_load_b64 v[0:1], v15
	ds_load_b64 v[16:17], v14
	s_wait_dscnt 0x0
	v_pk_mul_f32 v[22:23], v[16:17], v[0:1] op_sel:[1,1] op_sel_hi:[0,1]
	s_delay_alu instid0(VALU_DEP_1) | instskip(SKIP_1) | instid1(VALU_DEP_2)
	v_pk_fma_f32 v[24:25], v[16:17], v[0:1], v[22:23] op_sel_hi:[1,0,1]
	v_pk_fma_f32 v[0:1], v[16:17], v[0:1], v[22:23] neg_lo:[0,0,1] neg_hi:[0,0,1]
	v_mov_b32_e32 v1, v25
	s_cbranch_execz .LBB4_29
	s_branch .LBB4_30
.LBB4_28:
                                        ; implicit-def: $vgpr0_vgpr1
.LBB4_29:
	ds_load_b64 v[0:1], v14
.LBB4_30:
	s_and_saveexec_b32 s6, s1
	s_cbranch_execz .LBB4_34
; %bb.31:
	v_mad_u32 v16, v20, 40, 0x70
	v_add_nc_u32_e32 v17, -2, v18
	s_mov_b32 s7, 64
	s_mov_b32 s1, 0
.LBB4_32:                               ; =>This Inner Loop Header: Depth=1
	s_delay_alu instid0(VALU_DEP_1)
	v_dual_mov_b32 v21, s7 :: v_dual_add_nc_u32 v17, -1, v17
	s_add_co_i32 s7, s7, 8
	ds_load_b64 v[22:23], v16
	ds_load_b64 v[24:25], v21
	v_add_nc_u32_e32 v16, 8, v16
	v_cmp_eq_u32_e32 vcc_lo, 0, v17
	s_or_b32 s1, vcc_lo, s1
	s_wait_dscnt 0x0
	v_pk_mul_f32 v[26:27], v[24:25], v[22:23] op_sel:[1,1] op_sel_hi:[0,1]
	s_delay_alu instid0(VALU_DEP_1) | instskip(SKIP_1) | instid1(VALU_DEP_2)
	v_pk_fma_f32 v[28:29], v[24:25], v[22:23], v[26:27] op_sel_hi:[1,0,1]
	v_pk_fma_f32 v[22:23], v[24:25], v[22:23], v[26:27] neg_lo:[0,0,1] neg_hi:[0,0,1]
	v_mov_b32_e32 v23, v29
	s_delay_alu instid0(VALU_DEP_1)
	v_pk_add_f32 v[0:1], v[0:1], v[22:23]
	s_and_not1_b32 exec_lo, exec_lo, s1
	s_cbranch_execnz .LBB4_32
; %bb.33:
	s_or_b32 exec_lo, exec_lo, s1
.LBB4_34:
	s_delay_alu instid0(SALU_CYCLE_1) | instskip(SKIP_4) | instid1(VALU_DEP_1)
	s_or_b32 exec_lo, exec_lo, s6
	v_mov_b32_e32 v16, 0
	ds_load_b64 v[16:17], v16 offset:8
	s_wait_dscnt 0x0
	v_pk_mul_f32 v[22:23], v[0:1], v[16:17] op_sel:[1,1] op_sel_hi:[0,1]
	v_pk_fma_f32 v[24:25], v[0:1], v[16:17], v[22:23] op_sel_hi:[1,0,1]
	v_pk_fma_f32 v[0:1], v[0:1], v[16:17], v[22:23] neg_lo:[0,0,1] neg_hi:[0,0,1]
	s_delay_alu instid0(VALU_DEP_2)
	v_mov_b32_e32 v1, v25
	ds_store_b64 v13, v[0:1] offset:8
.LBB4_35:
	s_or_b32 exec_lo, exec_lo, s4
	ds_load_b64 v[0:1], v13
	s_mov_b32 s1, 0
	s_mov_b32 s4, 0
	s_mov_b32 s6, exec_lo
                                        ; implicit-def: $vgpr17
                                        ; implicit-def: $vgpr21
	s_wait_dscnt 0x0
	ds_store_b64 v14, v[0:1]
	s_wait_dscnt 0x0
	s_barrier_signal -1
	s_barrier_wait -1
	v_cmpx_ne_u32_e32 0, v18
	s_cbranch_execz .LBB4_45
; %bb.36:
	s_and_not1_b32 vcc_lo, exec_lo, s5
	s_cbranch_vccnz .LBB4_38
; %bb.37:
	ds_load_b64 v[16:17], v15
	ds_load_b64 v[22:23], v14
	s_wait_dscnt 0x0
	v_dual_mul_f32 v0, v23, v17 :: v_dual_mul_f32 v1, v22, v17
	s_delay_alu instid0(VALU_DEP_1)
	v_dual_fma_f32 v0, v22, v16, -v0 :: v_dual_fmac_f32 v1, v23, v16
	s_and_not1_b32 vcc_lo, exec_lo, s4
	s_cbranch_vccz .LBB4_39
	s_branch .LBB4_40
.LBB4_38:
                                        ; implicit-def: $vgpr0
.LBB4_39:
	ds_load_b64 v[0:1], v14
.LBB4_40:
	s_and_saveexec_b32 s4, s0
	s_cbranch_execz .LBB4_44
; %bb.41:
	v_mad_u32 v16, v20, 40, 0x68
	v_add_nc_u32_e32 v17, -1, v18
	s_mov_b32 s7, 56
	s_mov_b32 s0, 0
.LBB4_42:                               ; =>This Inner Loop Header: Depth=1
	v_mov_b32_e32 v22, s7
	s_add_co_i32 s7, s7, 8
	ds_load_b64 v[20:21], v16
	ds_load_b64 v[22:23], v22
	s_wait_dscnt 0x0
	v_dual_mul_f32 v24, v23, v21 :: v_dual_mul_f32 v21, v22, v21
	s_delay_alu instid0(VALU_DEP_1) | instskip(NEXT) | instid1(VALU_DEP_2)
	v_dual_fma_f32 v22, v22, v20, -v24 :: v_dual_add_nc_u32 v17, -1, v17
	v_fmac_f32_e32 v21, v23, v20
	s_delay_alu instid0(VALU_DEP_2) | instskip(NEXT) | instid1(VALU_DEP_3)
	v_dual_add_nc_u32 v16, 8, v16 :: v_dual_add_f32 v0, v0, v22
	v_cmp_eq_u32_e32 vcc_lo, 0, v17
	s_delay_alu instid0(VALU_DEP_3) | instskip(SKIP_1) | instid1(SALU_CYCLE_1)
	v_add_f32_e32 v1, v1, v21
	s_or_b32 s0, vcc_lo, s0
	s_and_not1_b32 exec_lo, exec_lo, s0
	s_cbranch_execnz .LBB4_42
; %bb.43:
	s_or_b32 exec_lo, exec_lo, s0
.LBB4_44:
	s_delay_alu instid0(SALU_CYCLE_1)
	s_or_b32 exec_lo, exec_lo, s4
	v_mov_b32_e32 v16, 0
	s_mov_b32 s4, exec_lo
	ds_load_b64 v[16:17], v16
	s_wait_dscnt 0x0
	v_dual_mul_f32 v20, v1, v17 :: v_dual_mul_f32 v17, v0, v17
	s_delay_alu instid0(VALU_DEP_1) | instskip(NEXT) | instid1(VALU_DEP_2)
	v_dual_fma_f32 v0, v0, v16, -v20 :: v_dual_add_nc_u32 v21, 4, v13
	v_fmac_f32_e32 v17, v1, v16
	ds_store_b32 v13, v0
.LBB4_45:
	s_or_b32 exec_lo, exec_lo, s6
	s_delay_alu instid0(SALU_CYCLE_1)
	s_and_b32 vcc_lo, exec_lo, s1
	s_cbranch_vccz .LBB4_81
.LBB4_46:
	ds_load_b64 v[0:1], v13 offset:8
	v_cmp_eq_u32_e64 s0, 0, v18
	s_wait_dscnt 0x0
	ds_store_b64 v14, v[0:1]
	s_wait_dscnt 0x0
	s_barrier_signal -1
	s_barrier_wait -1
	s_and_saveexec_b32 s1, s0
	s_cbranch_execz .LBB4_52
; %bb.47:
	s_and_b32 vcc_lo, exec_lo, s5
	s_cbranch_vccz .LBB4_49
; %bb.48:
	ds_load_b64 v[0:1], v15
	ds_load_b64 v[16:17], v14
	s_wait_dscnt 0x0
	v_pk_mul_f32 v[20:21], v[16:17], v[0:1] op_sel:[1,1] op_sel_hi:[0,1]
	v_pk_mul_f32 v[22:23], v[16:17], v[0:1] op_sel_hi:[1,0]
	s_delay_alu instid0(VALU_DEP_2) | instskip(NEXT) | instid1(VALU_DEP_2)
	v_pk_fma_f32 v[0:1], v[16:17], v[0:1], v[20:21] op_sel_hi:[1,0,1]
	v_sub_f32_e32 v0, v22, v20
	s_cbranch_execz .LBB4_50
	s_branch .LBB4_51
.LBB4_49:
                                        ; implicit-def: $vgpr1
.LBB4_50:
	ds_load_b64 v[0:1], v14
.LBB4_51:
	s_wait_dscnt 0x0
	v_dual_mov_b32 v16, 0 :: v_dual_mov_b32 v20, v1
	v_mov_b32_e32 v21, v0
	ds_load_b64 v[16:17], v16 offset:8
	s_wait_dscnt 0x0
	v_pk_mul_f32 v[20:21], v[20:21], v[16:17] op_sel:[0,1]
	s_delay_alu instid0(VALU_DEP_1) | instskip(SKIP_1) | instid1(VALU_DEP_2)
	v_pk_fma_f32 v[22:23], v[0:1], v[16:17], v[20:21] op_sel_hi:[1,0,1]
	v_pk_fma_f32 v[0:1], v[0:1], v[16:17], v[20:21] neg_lo:[0,0,1] neg_hi:[0,0,1]
	v_mov_b32_e32 v1, v23
	ds_store_b64 v13, v[0:1] offset:8
.LBB4_52:
	s_or_b32 exec_lo, exec_lo, s1
	ds_load_b64 v[0:1], v13 offset:16
	v_cndmask_b32_e64 v16, 0, 1, s5
	s_mov_b32 s1, exec_lo
	s_wait_dscnt 0x0
	ds_store_b64 v14, v[0:1]
	s_wait_dscnt 0x0
	s_barrier_signal -1
	s_barrier_wait -1
	v_cmpx_gt_u32_e32 2, v18
	s_cbranch_execz .LBB4_60
; %bb.53:
	s_and_not1_b32 vcc_lo, exec_lo, s5
	s_cbranch_vccnz .LBB4_55
; %bb.54:
	ds_load_b64 v[0:1], v15
	ds_load_b64 v[20:21], v14
	s_wait_dscnt 0x0
	v_pk_mul_f32 v[22:23], v[20:21], v[0:1] op_sel:[1,1] op_sel_hi:[0,1]
	s_delay_alu instid0(VALU_DEP_1) | instskip(SKIP_1) | instid1(VALU_DEP_2)
	v_pk_fma_f32 v[24:25], v[20:21], v[0:1], v[22:23] op_sel_hi:[1,0,1]
	v_pk_fma_f32 v[0:1], v[20:21], v[0:1], v[22:23] neg_lo:[0,0,1] neg_hi:[0,0,1]
	v_mov_b32_e32 v1, v25
	s_cbranch_execz .LBB4_56
	s_branch .LBB4_57
.LBB4_55:
                                        ; implicit-def: $vgpr0_vgpr1
.LBB4_56:
	ds_load_b64 v[0:1], v14
.LBB4_57:
	s_and_saveexec_b32 s5, s0
	s_cbranch_execz .LBB4_59
; %bb.58:
	v_mov_b32_e32 v17, 0
	ds_load_b64 v[20:21], v13 offset:8
	ds_load_b64 v[22:23], v17 offset:56
	s_wait_dscnt 0x0
	v_pk_mul_f32 v[24:25], v[22:23], v[20:21] op_sel:[1,1] op_sel_hi:[0,1]
	s_delay_alu instid0(VALU_DEP_1) | instskip(SKIP_1) | instid1(VALU_DEP_2)
	v_pk_fma_f32 v[26:27], v[22:23], v[20:21], v[24:25] op_sel_hi:[1,0,1]
	v_pk_fma_f32 v[20:21], v[22:23], v[20:21], v[24:25] neg_lo:[0,0,1] neg_hi:[0,0,1]
	v_mov_b32_e32 v21, v27
	s_delay_alu instid0(VALU_DEP_1)
	v_pk_add_f32 v[0:1], v[0:1], v[20:21]
.LBB4_59:
	s_or_b32 exec_lo, exec_lo, s5
	v_mov_b32_e32 v17, 0
	ds_load_b64 v[20:21], v17 offset:16
	s_wait_dscnt 0x0
	v_pk_mul_f32 v[22:23], v[0:1], v[20:21] op_sel:[1,1] op_sel_hi:[0,1]
	s_delay_alu instid0(VALU_DEP_1) | instskip(SKIP_1) | instid1(VALU_DEP_2)
	v_pk_fma_f32 v[24:25], v[0:1], v[20:21], v[22:23] op_sel_hi:[1,0,1]
	v_pk_fma_f32 v[0:1], v[0:1], v[20:21], v[22:23] neg_lo:[0,0,1] neg_hi:[0,0,1]
	v_mov_b32_e32 v1, v25
	ds_store_b64 v13, v[0:1] offset:16
.LBB4_60:
	s_or_b32 exec_lo, exec_lo, s1
	ds_load_b64 v[0:1], v13 offset:24
	v_cmp_gt_u32_e64 s1, 3, v18
	s_wait_dscnt 0x0
	ds_store_b64 v14, v[0:1]
	s_wait_dscnt 0x0
	s_barrier_signal -1
	s_barrier_wait -1
	s_and_saveexec_b32 s5, s1
	s_cbranch_execz .LBB4_70
; %bb.61:
	v_cmp_ne_u32_e32 vcc_lo, 1, v16
	s_cbranch_vccnz .LBB4_63
; %bb.62:
	ds_load_b64 v[0:1], v15
	ds_load_b64 v[20:21], v14
	s_wait_dscnt 0x0
	v_pk_mul_f32 v[22:23], v[20:21], v[0:1] op_sel:[1,1] op_sel_hi:[0,1]
	s_delay_alu instid0(VALU_DEP_1) | instskip(SKIP_1) | instid1(VALU_DEP_2)
	v_pk_fma_f32 v[24:25], v[20:21], v[0:1], v[22:23] op_sel_hi:[1,0,1]
	v_pk_fma_f32 v[0:1], v[20:21], v[0:1], v[22:23] neg_lo:[0,0,1] neg_hi:[0,0,1]
	v_mov_b32_e32 v1, v25
	s_cbranch_execz .LBB4_64
	s_branch .LBB4_65
.LBB4_63:
                                        ; implicit-def: $vgpr0_vgpr1
.LBB4_64:
	ds_load_b64 v[0:1], v14
.LBB4_65:
	s_mov_b32 s6, exec_lo
	v_cmpx_ne_u32_e32 2, v18
	s_cbranch_execz .LBB4_69
; %bb.66:
	ds_load_b64 v[20:21], v15 offset:8
	ds_load_b64 v[22:23], v14 offset:8
	s_wait_dscnt 0x0
	v_pk_mul_f32 v[24:25], v[22:23], v[20:21] op_sel:[1,1] op_sel_hi:[0,1]
	s_delay_alu instid0(VALU_DEP_1) | instskip(SKIP_1) | instid1(VALU_DEP_2)
	v_pk_fma_f32 v[26:27], v[22:23], v[20:21], v[24:25] op_sel_hi:[1,0,1]
	v_pk_fma_f32 v[20:21], v[22:23], v[20:21], v[24:25] neg_lo:[0,0,1] neg_hi:[0,0,1]
	v_mov_b32_e32 v21, v27
	s_delay_alu instid0(VALU_DEP_1)
	v_pk_add_f32 v[0:1], v[0:1], v[20:21]
	s_and_saveexec_b32 s7, s0
	s_cbranch_execz .LBB4_68
; %bb.67:
	v_mov_b32_e32 v17, 0
	ds_load_b64 v[20:21], v17 offset:64
	ds_load_b64 v[22:23], v13 offset:16
	s_wait_dscnt 0x0
	v_pk_mul_f32 v[24:25], v[20:21], v[22:23] op_sel:[1,1] op_sel_hi:[0,1]
	s_delay_alu instid0(VALU_DEP_1) | instskip(SKIP_1) | instid1(VALU_DEP_2)
	v_pk_fma_f32 v[26:27], v[20:21], v[22:23], v[24:25] op_sel_hi:[1,0,1]
	v_pk_fma_f32 v[20:21], v[20:21], v[22:23], v[24:25] neg_lo:[0,0,1] neg_hi:[0,0,1]
	v_mov_b32_e32 v21, v27
	s_delay_alu instid0(VALU_DEP_1)
	v_pk_add_f32 v[0:1], v[0:1], v[20:21]
.LBB4_68:
	s_or_b32 exec_lo, exec_lo, s7
.LBB4_69:
	s_delay_alu instid0(SALU_CYCLE_1) | instskip(SKIP_4) | instid1(VALU_DEP_1)
	s_or_b32 exec_lo, exec_lo, s6
	v_mov_b32_e32 v17, 0
	ds_load_b64 v[20:21], v17 offset:24
	s_wait_dscnt 0x0
	v_pk_mul_f32 v[22:23], v[0:1], v[20:21] op_sel:[1,1] op_sel_hi:[0,1]
	v_pk_fma_f32 v[24:25], v[0:1], v[20:21], v[22:23] op_sel_hi:[1,0,1]
	v_pk_fma_f32 v[0:1], v[0:1], v[20:21], v[22:23] neg_lo:[0,0,1] neg_hi:[0,0,1]
	s_delay_alu instid0(VALU_DEP_2)
	v_mov_b32_e32 v1, v25
	ds_store_b64 v13, v[0:1] offset:24
.LBB4_70:
	s_or_b32 exec_lo, exec_lo, s5
	ds_load_b64 v[0:1], v13 offset:32
	s_mov_b32 s0, exec_lo
                                        ; implicit-def: $vgpr17
                                        ; implicit-def: $vgpr21
	s_wait_dscnt 0x0
	ds_store_b64 v14, v[0:1]
	s_wait_dscnt 0x0
	s_barrier_signal -1
	s_barrier_wait -1
	v_cmpx_ne_u32_e32 4, v18
	s_cbranch_execz .LBB4_80
; %bb.71:
	v_cmp_ne_u32_e32 vcc_lo, 1, v16
	s_cbranch_vccnz .LBB4_73
; %bb.72:
	ds_load_b64 v[16:17], v15
	ds_load_b64 v[20:21], v14
	s_wait_dscnt 0x0
	v_dual_mul_f32 v0, v21, v17 :: v_dual_mul_f32 v1, v20, v17
	s_delay_alu instid0(VALU_DEP_1)
	v_dual_fma_f32 v0, v20, v16, -v0 :: v_dual_fmac_f32 v1, v21, v16
	s_cbranch_execz .LBB4_74
	s_branch .LBB4_75
.LBB4_73:
                                        ; implicit-def: $vgpr1
.LBB4_74:
	ds_load_b64 v[0:1], v14
.LBB4_75:
	s_and_saveexec_b32 s5, s1
	s_cbranch_execz .LBB4_79
; %bb.76:
	v_add_nc_u32_e32 v14, 56, v12
	v_add3_u32 v12, v19, v12, 0x68
	s_mov_b32 s1, 0
.LBB4_77:                               ; =>This Inner Loop Header: Depth=1
	ds_load_b64 v[16:17], v12
	ds_load_b64 v[20:21], v14
	s_wait_dscnt 0x0
	v_dual_mul_f32 v15, v21, v17 :: v_dual_add_nc_u32 v14, 8, v14
	v_dual_mul_f32 v17, v20, v17 :: v_dual_add_nc_u32 v18, 1, v18
	s_delay_alu instid0(VALU_DEP_1) | instskip(NEXT) | instid1(VALU_DEP_2)
	v_dual_fma_f32 v15, v20, v16, -v15 :: v_dual_fmac_f32 v17, v21, v16
	v_cmp_lt_u32_e32 vcc_lo, 2, v18
	s_delay_alu instid0(VALU_DEP_2) | instskip(NEXT) | instid1(VALU_DEP_3)
	v_dual_add_nc_u32 v12, 8, v12 :: v_dual_add_f32 v0, v0, v15
	v_add_f32_e32 v1, v1, v17
	s_or_b32 s1, vcc_lo, s1
	s_delay_alu instid0(SALU_CYCLE_1)
	s_and_not1_b32 exec_lo, exec_lo, s1
	s_cbranch_execnz .LBB4_77
; %bb.78:
	s_or_b32 exec_lo, exec_lo, s1
.LBB4_79:
	s_delay_alu instid0(SALU_CYCLE_1)
	s_or_b32 exec_lo, exec_lo, s5
	v_mov_b32_e32 v12, 0
	s_or_b32 s4, s4, exec_lo
	v_add_nc_u32_e32 v21, 36, v13
	ds_load_b64 v[14:15], v12 offset:32
	s_wait_dscnt 0x0
	v_dual_mul_f32 v12, v1, v15 :: v_dual_mul_f32 v17, v0, v15
	s_delay_alu instid0(VALU_DEP_1)
	v_dual_fma_f32 v0, v0, v14, -v12 :: v_dual_fmac_f32 v17, v1, v14
	ds_store_b32 v13, v0 offset:32
.LBB4_80:
	s_or_b32 exec_lo, exec_lo, s0
.LBB4_81:
	v_lshl_add_u64 v[0:1], v[6:7], 3, s[2:3]
	v_lshl_add_u64 v[6:7], v[8:9], 3, s[2:3]
	;; [unrolled: 1-line block ×3, first 2 shown]
	s_and_saveexec_b32 s0, s4
; %bb.82:
	ds_store_b32 v21, v17
; %bb.83:
	s_or_b32 exec_lo, exec_lo, s0
	ds_load_b128 v[14:17], v13
	ds_load_b128 v[18:21], v13 offset:16
	ds_load_b64 v[10:11], v13 offset:32
	s_wait_dscnt 0x2
	s_clause 0x1
	global_store_b64 v[2:3], v[14:15], off
	global_store_b64 v[4:5], v[16:17], off
	s_wait_dscnt 0x1
	s_clause 0x1
	global_store_b64 v[0:1], v[18:19], off
	global_store_b64 v[6:7], v[20:21], off
	s_wait_dscnt 0x0
	global_store_b64 v[8:9], v[10:11], off
.LBB4_84:
	s_endpgm
	.section	.rodata,"a",@progbits
	.p2align	6, 0x0
	.amdhsa_kernel _ZN9rocsolver6v33100L18trti2_kernel_smallILi5E19rocblas_complex_numIfEPS3_EEv13rocblas_fill_17rocblas_diagonal_T1_iil
		.amdhsa_group_segment_fixed_size 2656
		.amdhsa_private_segment_fixed_size 0
		.amdhsa_kernarg_size 32
		.amdhsa_user_sgpr_count 4
		.amdhsa_user_sgpr_dispatch_ptr 1
		.amdhsa_user_sgpr_queue_ptr 0
		.amdhsa_user_sgpr_kernarg_segment_ptr 1
		.amdhsa_user_sgpr_dispatch_id 0
		.amdhsa_user_sgpr_kernarg_preload_length 0
		.amdhsa_user_sgpr_kernarg_preload_offset 0
		.amdhsa_user_sgpr_private_segment_size 0
		.amdhsa_wavefront_size32 1
		.amdhsa_uses_dynamic_stack 0
		.amdhsa_enable_private_segment 0
		.amdhsa_system_sgpr_workgroup_id_x 1
		.amdhsa_system_sgpr_workgroup_id_y 0
		.amdhsa_system_sgpr_workgroup_id_z 0
		.amdhsa_system_sgpr_workgroup_info 0
		.amdhsa_system_vgpr_workitem_id 2
		.amdhsa_next_free_vgpr 30
		.amdhsa_next_free_sgpr 14
		.amdhsa_named_barrier_count 0
		.amdhsa_reserve_vcc 1
		.amdhsa_float_round_mode_32 0
		.amdhsa_float_round_mode_16_64 0
		.amdhsa_float_denorm_mode_32 3
		.amdhsa_float_denorm_mode_16_64 3
		.amdhsa_fp16_overflow 0
		.amdhsa_memory_ordered 1
		.amdhsa_forward_progress 1
		.amdhsa_inst_pref_size 27
		.amdhsa_round_robin_scheduling 0
		.amdhsa_exception_fp_ieee_invalid_op 0
		.amdhsa_exception_fp_denorm_src 0
		.amdhsa_exception_fp_ieee_div_zero 0
		.amdhsa_exception_fp_ieee_overflow 0
		.amdhsa_exception_fp_ieee_underflow 0
		.amdhsa_exception_fp_ieee_inexact 0
		.amdhsa_exception_int_div_zero 0
	.end_amdhsa_kernel
	.section	.text._ZN9rocsolver6v33100L18trti2_kernel_smallILi5E19rocblas_complex_numIfEPS3_EEv13rocblas_fill_17rocblas_diagonal_T1_iil,"axG",@progbits,_ZN9rocsolver6v33100L18trti2_kernel_smallILi5E19rocblas_complex_numIfEPS3_EEv13rocblas_fill_17rocblas_diagonal_T1_iil,comdat
.Lfunc_end4:
	.size	_ZN9rocsolver6v33100L18trti2_kernel_smallILi5E19rocblas_complex_numIfEPS3_EEv13rocblas_fill_17rocblas_diagonal_T1_iil, .Lfunc_end4-_ZN9rocsolver6v33100L18trti2_kernel_smallILi5E19rocblas_complex_numIfEPS3_EEv13rocblas_fill_17rocblas_diagonal_T1_iil
                                        ; -- End function
	.set _ZN9rocsolver6v33100L18trti2_kernel_smallILi5E19rocblas_complex_numIfEPS3_EEv13rocblas_fill_17rocblas_diagonal_T1_iil.num_vgpr, 30
	.set _ZN9rocsolver6v33100L18trti2_kernel_smallILi5E19rocblas_complex_numIfEPS3_EEv13rocblas_fill_17rocblas_diagonal_T1_iil.num_agpr, 0
	.set _ZN9rocsolver6v33100L18trti2_kernel_smallILi5E19rocblas_complex_numIfEPS3_EEv13rocblas_fill_17rocblas_diagonal_T1_iil.numbered_sgpr, 14
	.set _ZN9rocsolver6v33100L18trti2_kernel_smallILi5E19rocblas_complex_numIfEPS3_EEv13rocblas_fill_17rocblas_diagonal_T1_iil.num_named_barrier, 0
	.set _ZN9rocsolver6v33100L18trti2_kernel_smallILi5E19rocblas_complex_numIfEPS3_EEv13rocblas_fill_17rocblas_diagonal_T1_iil.private_seg_size, 0
	.set _ZN9rocsolver6v33100L18trti2_kernel_smallILi5E19rocblas_complex_numIfEPS3_EEv13rocblas_fill_17rocblas_diagonal_T1_iil.uses_vcc, 1
	.set _ZN9rocsolver6v33100L18trti2_kernel_smallILi5E19rocblas_complex_numIfEPS3_EEv13rocblas_fill_17rocblas_diagonal_T1_iil.uses_flat_scratch, 0
	.set _ZN9rocsolver6v33100L18trti2_kernel_smallILi5E19rocblas_complex_numIfEPS3_EEv13rocblas_fill_17rocblas_diagonal_T1_iil.has_dyn_sized_stack, 0
	.set _ZN9rocsolver6v33100L18trti2_kernel_smallILi5E19rocblas_complex_numIfEPS3_EEv13rocblas_fill_17rocblas_diagonal_T1_iil.has_recursion, 0
	.set _ZN9rocsolver6v33100L18trti2_kernel_smallILi5E19rocblas_complex_numIfEPS3_EEv13rocblas_fill_17rocblas_diagonal_T1_iil.has_indirect_call, 0
	.section	.AMDGPU.csdata,"",@progbits
; Kernel info:
; codeLenInByte = 3344
; TotalNumSgprs: 16
; NumVgprs: 30
; ScratchSize: 0
; MemoryBound: 0
; FloatMode: 240
; IeeeMode: 1
; LDSByteSize: 2656 bytes/workgroup (compile time only)
; SGPRBlocks: 0
; VGPRBlocks: 1
; NumSGPRsForWavesPerEU: 16
; NumVGPRsForWavesPerEU: 30
; NamedBarCnt: 0
; Occupancy: 16
; WaveLimiterHint : 0
; COMPUTE_PGM_RSRC2:SCRATCH_EN: 0
; COMPUTE_PGM_RSRC2:USER_SGPR: 4
; COMPUTE_PGM_RSRC2:TRAP_HANDLER: 0
; COMPUTE_PGM_RSRC2:TGID_X_EN: 1
; COMPUTE_PGM_RSRC2:TGID_Y_EN: 0
; COMPUTE_PGM_RSRC2:TGID_Z_EN: 0
; COMPUTE_PGM_RSRC2:TIDIG_COMP_CNT: 2
	.section	.text._ZN9rocsolver6v33100L18trti2_kernel_smallILi6E19rocblas_complex_numIfEPS3_EEv13rocblas_fill_17rocblas_diagonal_T1_iil,"axG",@progbits,_ZN9rocsolver6v33100L18trti2_kernel_smallILi6E19rocblas_complex_numIfEPS3_EEv13rocblas_fill_17rocblas_diagonal_T1_iil,comdat
	.globl	_ZN9rocsolver6v33100L18trti2_kernel_smallILi6E19rocblas_complex_numIfEPS3_EEv13rocblas_fill_17rocblas_diagonal_T1_iil ; -- Begin function _ZN9rocsolver6v33100L18trti2_kernel_smallILi6E19rocblas_complex_numIfEPS3_EEv13rocblas_fill_17rocblas_diagonal_T1_iil
	.p2align	8
	.type	_ZN9rocsolver6v33100L18trti2_kernel_smallILi6E19rocblas_complex_numIfEPS3_EEv13rocblas_fill_17rocblas_diagonal_T1_iil,@function
_ZN9rocsolver6v33100L18trti2_kernel_smallILi6E19rocblas_complex_numIfEPS3_EEv13rocblas_fill_17rocblas_diagonal_T1_iil: ; @_ZN9rocsolver6v33100L18trti2_kernel_smallILi6E19rocblas_complex_numIfEPS3_EEv13rocblas_fill_17rocblas_diagonal_T1_iil
; %bb.0:
	v_and_b32_e32 v20, 0x3ff, v0
	s_mov_b32 s4, exec_lo
	s_delay_alu instid0(VALU_DEP_1)
	v_cmpx_gt_u32_e32 6, v20
	s_cbranch_execz .LBB5_104
; %bb.1:
	s_load_b64 s[12:13], s[0:1], 0x4
	s_load_b256 s[4:11], s[2:3], 0x0
	s_wait_xcnt 0x0
	s_bfe_u32 s0, ttmp6, 0x4000c
	s_and_b32 s1, ttmp6, 15
	s_add_co_i32 s0, s0, 1
	s_getreg_b32 s2, hwreg(HW_REG_IB_STS2, 6, 4)
	s_mul_i32 s0, ttmp9, s0
	v_dual_mov_b32 v15, 0 :: v_dual_lshlrev_b32 v14, 3, v20
	s_add_co_i32 s0, s1, s0
	v_bfe_u32 v1, v0, 10, 10
	v_bfe_u32 v0, v0, 20, 10
	s_wait_kmcnt 0x0
	s_lshr_b32 s12, s12, 16
	s_ashr_i32 s1, s8, 31
	s_cmp_eq_u32 s2, 0
	v_add3_u32 v4, s9, s9, v20
	s_cselect_b32 s2, ttmp9, s0
	s_mov_b32 s0, s8
	s_ashr_i32 s3, s2, 31
	s_lshl_b64 s[0:1], s[0:1], 3
	s_mul_u64 s[2:3], s[10:11], s[2:3]
	v_add_nc_u32_e32 v8, s9, v4
	s_lshl_b64 s[2:3], s[2:3], 3
	s_mul_i32 s12, s12, s13
	s_add_nc_u64 s[2:3], s[6:7], s[2:3]
	v_mul_u32_u24_e32 v1, s13, v1
	s_add_nc_u64 s[2:3], s[2:3], s[0:1]
	v_add_nc_u32_e32 v10, s9, v8
	v_add_nc_u64_e32 v[2:3], s[2:3], v[14:15]
	s_mov_b32 s0, s9
	s_ashr_i32 s1, s9, 31
	v_mul_u32_u24_e32 v5, s12, v20
	v_add_nc_u32_e32 v12, s9, v10
	s_cmp_lg_u32 s5, 0x84
	s_cselect_b32 s5, -1, 0
	v_lshl_add_u64 v[6:7], s[0:1], 3, v[2:3]
	s_clause 0x5
	global_load_b64 v[16:17], v10, s[2:3] scale_offset
	global_load_b64 v[18:19], v12, s[2:3] scale_offset
	;; [unrolled: 1-line block ×3, first 2 shown]
	global_load_b64 v[26:27], v[6:7], off
	global_load_b64 v[28:29], v4, s[2:3] scale_offset
	global_load_b64 v[30:31], v8, s[2:3] scale_offset
	v_add3_u32 v22, v5, v1, v0
	s_mov_b32 s0, -1
	s_and_b32 vcc_lo, exec_lo, s5
	s_delay_alu instid0(VALU_DEP_1)
	v_mul_lo_u32 v15, v22, 48
	s_wait_loadcnt 0x4
	ds_store_b128 v15, v[16:19] offset:128
	s_wait_loadcnt 0x2
	ds_store_b128 v15, v[24:27] offset:96
	;; [unrolled: 2-line block ×3, first 2 shown]
	v_add_nc_u32_e32 v21, 0x60, v15
	s_cbranch_vccz .LBB5_7
; %bb.2:
	s_delay_alu instid0(VALU_DEP_1) | instskip(SKIP_4) | instid1(SALU_CYCLE_1)
	v_lshl_add_u32 v5, v20, 3, v21
                                        ; implicit-def: $vgpr19
                                        ; implicit-def: $vgpr16
	ds_load_b64 v[0:1], v5
	s_wait_dscnt 0x0
	v_cmp_ngt_f32_e64 s0, |v0|, |v1|
	s_and_saveexec_b32 s1, s0
	s_xor_b32 s0, exec_lo, s1
	s_cbranch_execz .LBB5_4
; %bb.3:
	v_div_scale_f32 v9, null, v1, v1, v0
	v_div_scale_f32 v16, vcc_lo, v0, v1, v0
	s_delay_alu instid0(VALU_DEP_2) | instskip(SKIP_1) | instid1(TRANS32_DEP_1)
	v_rcp_f32_e32 v11, v9
	v_nop
	v_fma_f32 v13, -v9, v11, 1.0
	s_delay_alu instid0(VALU_DEP_1) | instskip(NEXT) | instid1(VALU_DEP_1)
	v_fmac_f32_e32 v11, v13, v11
	v_mul_f32_e32 v13, v16, v11
	s_delay_alu instid0(VALU_DEP_1) | instskip(NEXT) | instid1(VALU_DEP_1)
	v_fma_f32 v17, -v9, v13, v16
	v_fmac_f32_e32 v13, v17, v11
	s_delay_alu instid0(VALU_DEP_1) | instskip(NEXT) | instid1(VALU_DEP_1)
	v_fma_f32 v9, -v9, v13, v16
	v_div_fmas_f32 v9, v9, v11, v13
	s_delay_alu instid0(VALU_DEP_1) | instskip(NEXT) | instid1(VALU_DEP_1)
	v_div_fixup_f32 v9, v9, v1, v0
	v_fmac_f32_e32 v1, v0, v9
	s_delay_alu instid0(VALU_DEP_1) | instskip(NEXT) | instid1(VALU_DEP_1)
	v_div_scale_f32 v0, null, v1, v1, -1.0
	v_rcp_f32_e32 v11, v0
	v_nop
	s_delay_alu instid0(TRANS32_DEP_1) | instskip(NEXT) | instid1(VALU_DEP_1)
	v_fma_f32 v13, -v0, v11, 1.0
	v_fmac_f32_e32 v11, v13, v11
	v_div_scale_f32 v13, vcc_lo, -1.0, v1, -1.0
	s_delay_alu instid0(VALU_DEP_1) | instskip(NEXT) | instid1(VALU_DEP_1)
	v_mul_f32_e32 v16, v13, v11
	v_fma_f32 v17, -v0, v16, v13
	s_delay_alu instid0(VALU_DEP_1) | instskip(NEXT) | instid1(VALU_DEP_1)
	v_fmac_f32_e32 v16, v17, v11
	v_fma_f32 v0, -v0, v16, v13
	s_delay_alu instid0(VALU_DEP_1) | instskip(NEXT) | instid1(VALU_DEP_1)
	v_div_fmas_f32 v0, v0, v11, v16
	v_div_fixup_f32 v19, v0, v1, -1.0
                                        ; implicit-def: $vgpr0_vgpr1
	s_delay_alu instid0(VALU_DEP_1) | instskip(NEXT) | instid1(VALU_DEP_1)
	v_mul_f32_e32 v16, v9, v19
	v_xor_b32_e32 v18, 0x80000000, v16
.LBB5_4:
	s_and_not1_saveexec_b32 s0, s0
	s_cbranch_execz .LBB5_6
; %bb.5:
	v_div_scale_f32 v9, null, v0, v0, v1
	v_div_scale_f32 v16, vcc_lo, v1, v0, v1
	s_delay_alu instid0(VALU_DEP_2) | instskip(SKIP_1) | instid1(TRANS32_DEP_1)
	v_rcp_f32_e32 v11, v9
	v_nop
	v_fma_f32 v13, -v9, v11, 1.0
	s_delay_alu instid0(VALU_DEP_1) | instskip(NEXT) | instid1(VALU_DEP_1)
	v_fmac_f32_e32 v11, v13, v11
	v_mul_f32_e32 v13, v16, v11
	s_delay_alu instid0(VALU_DEP_1) | instskip(NEXT) | instid1(VALU_DEP_1)
	v_fma_f32 v17, -v9, v13, v16
	v_fmac_f32_e32 v13, v17, v11
	s_delay_alu instid0(VALU_DEP_1) | instskip(NEXT) | instid1(VALU_DEP_1)
	v_fma_f32 v9, -v9, v13, v16
	v_div_fmas_f32 v9, v9, v11, v13
	s_delay_alu instid0(VALU_DEP_1) | instskip(NEXT) | instid1(VALU_DEP_1)
	v_div_fixup_f32 v9, v9, v0, v1
	v_fmac_f32_e32 v0, v1, v9
	s_delay_alu instid0(VALU_DEP_1) | instskip(SKIP_1) | instid1(VALU_DEP_2)
	v_div_scale_f32 v1, null, v0, v0, 1.0
	v_div_scale_f32 v16, vcc_lo, 1.0, v0, 1.0
	v_rcp_f32_e32 v11, v1
	v_nop
	s_delay_alu instid0(TRANS32_DEP_1) | instskip(NEXT) | instid1(VALU_DEP_1)
	v_fma_f32 v13, -v1, v11, 1.0
	v_fmac_f32_e32 v11, v13, v11
	s_delay_alu instid0(VALU_DEP_1) | instskip(NEXT) | instid1(VALU_DEP_1)
	v_mul_f32_e32 v13, v16, v11
	v_fma_f32 v17, -v1, v13, v16
	s_delay_alu instid0(VALU_DEP_1) | instskip(NEXT) | instid1(VALU_DEP_1)
	v_fmac_f32_e32 v13, v17, v11
	v_fma_f32 v1, -v1, v13, v16
	s_delay_alu instid0(VALU_DEP_1) | instskip(NEXT) | instid1(VALU_DEP_1)
	v_div_fmas_f32 v1, v1, v11, v13
	v_div_fixup_f32 v18, v1, v0, 1.0
	s_delay_alu instid0(VALU_DEP_1)
	v_xor_b32_e32 v16, 0x80000000, v18
	v_mul_f32_e64 v19, v9, -v18
.LBB5_6:
	s_or_b32 exec_lo, exec_lo, s0
	s_delay_alu instid0(VALU_DEP_1)
	v_xor_b32_e32 v17, 0x80000000, v19
	s_mov_b32 s0, 0
	ds_store_b64 v5, v[18:19]
	ds_store_b64 v14, v[16:17]
.LBB5_7:
	s_and_b32 vcc_lo, exec_lo, s0
	s_cbranch_vccz .LBB5_9
; %bb.8:
	s_mov_b64 s[0:1], 0xbf800000
	s_delay_alu instid0(SALU_CYCLE_1)
	v_mov_b64_e32 v[0:1], s[0:1]
	ds_store_b64 v14, v[0:1]
.LBB5_9:
	v_dual_ashrrev_i32 v5, 31, v4 :: v_dual_ashrrev_i32 v11, 31, v10
	v_dual_ashrrev_i32 v9, 31, v8 :: v_dual_add_nc_u32 v16, 48, v14
	v_dual_ashrrev_i32 v13, 31, v12 :: v_dual_add_nc_u32 v17, v21, v14
	s_cmp_eq_u32 s4, 0x79
	s_cbranch_scc1 .LBB5_13
; %bb.10:
	ds_load_b64 v[0:1], v21 offset:32
	v_cmp_eq_u32_e64 s1, 5, v20
	s_wait_dscnt 0x0
	ds_store_b64 v16, v[0:1]
	s_wait_dscnt 0x0
	s_barrier_signal -1
	s_barrier_wait -1
	s_and_saveexec_b32 s0, s1
	s_cbranch_execz .LBB5_17
; %bb.11:
	s_and_b32 vcc_lo, exec_lo, s5
	s_cbranch_vccz .LBB5_14
; %bb.12:
	ds_load_b64 v[0:1], v17
	ds_load_b64 v[18:19], v16
	s_wait_dscnt 0x0
	v_pk_mul_f32 v[24:25], v[18:19], v[0:1] op_sel:[1,1] op_sel_hi:[0,1]
	v_pk_mul_f32 v[26:27], v[18:19], v[0:1] op_sel_hi:[1,0]
	s_delay_alu instid0(VALU_DEP_2) | instskip(NEXT) | instid1(VALU_DEP_2)
	v_pk_fma_f32 v[0:1], v[18:19], v[0:1], v[24:25] op_sel_hi:[1,0,1]
	v_sub_f32_e32 v0, v26, v24
	s_cbranch_execz .LBB5_15
	s_branch .LBB5_16
.LBB5_13:
	s_mov_b32 s1, 0
                                        ; implicit-def: $vgpr19
                                        ; implicit-def: $vgpr23
	s_cbranch_execnz .LBB5_56
	s_branch .LBB5_101
.LBB5_14:
                                        ; implicit-def: $vgpr1
.LBB5_15:
	ds_load_b64 v[0:1], v16
.LBB5_16:
	s_wait_dscnt 0x0
	v_dual_mov_b32 v18, 0 :: v_dual_mov_b32 v24, v1
	v_mov_b32_e32 v25, v0
	ds_load_b64 v[18:19], v18 offset:32
	s_wait_dscnt 0x0
	v_pk_mul_f32 v[24:25], v[24:25], v[18:19] op_sel:[0,1]
	s_delay_alu instid0(VALU_DEP_1) | instskip(SKIP_1) | instid1(VALU_DEP_2)
	v_pk_fma_f32 v[26:27], v[0:1], v[18:19], v[24:25] op_sel_hi:[1,0,1]
	v_pk_fma_f32 v[0:1], v[0:1], v[18:19], v[24:25] neg_lo:[0,0,1] neg_hi:[0,0,1]
	v_mov_b32_e32 v1, v27
	ds_store_b64 v21, v[0:1] offset:32
.LBB5_17:
	s_or_b32 exec_lo, exec_lo, s0
	ds_load_b64 v[0:1], v21 offset:24
	v_cmp_lt_u32_e64 s0, 3, v20
	s_wait_dscnt 0x0
	ds_store_b64 v16, v[0:1]
	s_wait_dscnt 0x0
	s_barrier_signal -1
	s_barrier_wait -1
	s_and_saveexec_b32 s4, s0
	s_cbranch_execz .LBB5_25
; %bb.18:
	s_and_not1_b32 vcc_lo, exec_lo, s5
	s_cbranch_vccnz .LBB5_20
; %bb.19:
	ds_load_b64 v[0:1], v17
	ds_load_b64 v[18:19], v16
	s_wait_dscnt 0x0
	v_pk_mul_f32 v[24:25], v[18:19], v[0:1] op_sel:[1,1] op_sel_hi:[0,1]
	s_delay_alu instid0(VALU_DEP_1) | instskip(SKIP_1) | instid1(VALU_DEP_2)
	v_pk_fma_f32 v[26:27], v[18:19], v[0:1], v[24:25] op_sel_hi:[1,0,1]
	v_pk_fma_f32 v[0:1], v[18:19], v[0:1], v[24:25] neg_lo:[0,0,1] neg_hi:[0,0,1]
	v_mov_b32_e32 v1, v27
	s_cbranch_execz .LBB5_21
	s_branch .LBB5_22
.LBB5_20:
                                        ; implicit-def: $vgpr0_vgpr1
.LBB5_21:
	ds_load_b64 v[0:1], v16
.LBB5_22:
	s_and_saveexec_b32 s6, s1
	s_cbranch_execz .LBB5_24
; %bb.23:
	v_mov_b32_e32 v23, 0
	ds_load_b64 v[18:19], v21 offset:32
	ds_load_b64 v[24:25], v23 offset:80
	s_wait_dscnt 0x0
	v_pk_mul_f32 v[26:27], v[24:25], v[18:19] op_sel:[1,1] op_sel_hi:[0,1]
	s_delay_alu instid0(VALU_DEP_1) | instskip(SKIP_1) | instid1(VALU_DEP_2)
	v_pk_fma_f32 v[28:29], v[24:25], v[18:19], v[26:27] op_sel_hi:[1,0,1]
	v_pk_fma_f32 v[18:19], v[24:25], v[18:19], v[26:27] neg_lo:[0,0,1] neg_hi:[0,0,1]
	v_mov_b32_e32 v19, v29
	s_delay_alu instid0(VALU_DEP_1)
	v_pk_add_f32 v[0:1], v[0:1], v[18:19]
.LBB5_24:
	s_or_b32 exec_lo, exec_lo, s6
	v_mov_b32_e32 v18, 0
	ds_load_b64 v[18:19], v18 offset:24
	s_wait_dscnt 0x0
	v_pk_mul_f32 v[24:25], v[0:1], v[18:19] op_sel:[1,1] op_sel_hi:[0,1]
	s_delay_alu instid0(VALU_DEP_1) | instskip(SKIP_1) | instid1(VALU_DEP_2)
	v_pk_fma_f32 v[26:27], v[0:1], v[18:19], v[24:25] op_sel_hi:[1,0,1]
	v_pk_fma_f32 v[0:1], v[0:1], v[18:19], v[24:25] neg_lo:[0,0,1] neg_hi:[0,0,1]
	v_mov_b32_e32 v1, v27
	ds_store_b64 v21, v[0:1] offset:24
.LBB5_25:
	s_or_b32 exec_lo, exec_lo, s4
	ds_load_b64 v[0:1], v21 offset:16
	v_cmp_lt_u32_e64 s1, 2, v20
	s_wait_dscnt 0x0
	ds_store_b64 v16, v[0:1]
	s_wait_dscnt 0x0
	s_barrier_signal -1
	s_barrier_wait -1
	s_and_saveexec_b32 s4, s1
	s_cbranch_execz .LBB5_35
; %bb.26:
	s_and_not1_b32 vcc_lo, exec_lo, s5
	s_cbranch_vccnz .LBB5_28
; %bb.27:
	ds_load_b64 v[0:1], v17
	ds_load_b64 v[18:19], v16
	s_wait_dscnt 0x0
	v_pk_mul_f32 v[24:25], v[18:19], v[0:1] op_sel:[1,1] op_sel_hi:[0,1]
	s_delay_alu instid0(VALU_DEP_1) | instskip(SKIP_1) | instid1(VALU_DEP_2)
	v_pk_fma_f32 v[26:27], v[18:19], v[0:1], v[24:25] op_sel_hi:[1,0,1]
	v_pk_fma_f32 v[0:1], v[18:19], v[0:1], v[24:25] neg_lo:[0,0,1] neg_hi:[0,0,1]
	v_mov_b32_e32 v1, v27
	s_cbranch_execz .LBB5_29
	s_branch .LBB5_30
.LBB5_28:
                                        ; implicit-def: $vgpr0_vgpr1
.LBB5_29:
	ds_load_b64 v[0:1], v16
.LBB5_30:
	s_and_saveexec_b32 s6, s0
	s_cbranch_execz .LBB5_34
; %bb.31:
	v_mad_u32 v18, v22, 48, 0x78
	v_add_nc_u32_e32 v19, -3, v20
	s_movk_i32 s7, 0x48
	s_mov_b32 s0, 0
.LBB5_32:                               ; =>This Inner Loop Header: Depth=1
	s_delay_alu instid0(VALU_DEP_1)
	v_dual_mov_b32 v23, s7 :: v_dual_add_nc_u32 v19, -1, v19
	s_add_co_i32 s7, s7, 8
	ds_load_b64 v[24:25], v18
	ds_load_b64 v[26:27], v23
	v_add_nc_u32_e32 v18, 8, v18
	v_cmp_eq_u32_e32 vcc_lo, 0, v19
	s_or_b32 s0, vcc_lo, s0
	s_wait_dscnt 0x0
	v_pk_mul_f32 v[28:29], v[26:27], v[24:25] op_sel:[1,1] op_sel_hi:[0,1]
	s_delay_alu instid0(VALU_DEP_1) | instskip(SKIP_1) | instid1(VALU_DEP_2)
	v_pk_fma_f32 v[30:31], v[26:27], v[24:25], v[28:29] op_sel_hi:[1,0,1]
	v_pk_fma_f32 v[24:25], v[26:27], v[24:25], v[28:29] neg_lo:[0,0,1] neg_hi:[0,0,1]
	v_mov_b32_e32 v25, v31
	s_delay_alu instid0(VALU_DEP_1)
	v_pk_add_f32 v[0:1], v[0:1], v[24:25]
	s_and_not1_b32 exec_lo, exec_lo, s0
	s_cbranch_execnz .LBB5_32
; %bb.33:
	s_or_b32 exec_lo, exec_lo, s0
.LBB5_34:
	s_delay_alu instid0(SALU_CYCLE_1) | instskip(SKIP_4) | instid1(VALU_DEP_1)
	s_or_b32 exec_lo, exec_lo, s6
	v_mov_b32_e32 v18, 0
	ds_load_b64 v[18:19], v18 offset:16
	s_wait_dscnt 0x0
	v_pk_mul_f32 v[24:25], v[0:1], v[18:19] op_sel:[1,1] op_sel_hi:[0,1]
	v_pk_fma_f32 v[26:27], v[0:1], v[18:19], v[24:25] op_sel_hi:[1,0,1]
	v_pk_fma_f32 v[0:1], v[0:1], v[18:19], v[24:25] neg_lo:[0,0,1] neg_hi:[0,0,1]
	s_delay_alu instid0(VALU_DEP_2)
	v_mov_b32_e32 v1, v27
	ds_store_b64 v21, v[0:1] offset:16
.LBB5_35:
	s_or_b32 exec_lo, exec_lo, s4
	ds_load_b64 v[0:1], v21 offset:8
	v_cmp_lt_u32_e64 s0, 1, v20
	s_wait_dscnt 0x0
	ds_store_b64 v16, v[0:1]
	s_wait_dscnt 0x0
	s_barrier_signal -1
	s_barrier_wait -1
	s_and_saveexec_b32 s4, s0
	s_cbranch_execz .LBB5_45
; %bb.36:
	s_and_not1_b32 vcc_lo, exec_lo, s5
	s_cbranch_vccnz .LBB5_38
; %bb.37:
	ds_load_b64 v[0:1], v17
	ds_load_b64 v[18:19], v16
	s_wait_dscnt 0x0
	v_pk_mul_f32 v[24:25], v[18:19], v[0:1] op_sel:[1,1] op_sel_hi:[0,1]
	s_delay_alu instid0(VALU_DEP_1) | instskip(SKIP_1) | instid1(VALU_DEP_2)
	v_pk_fma_f32 v[26:27], v[18:19], v[0:1], v[24:25] op_sel_hi:[1,0,1]
	v_pk_fma_f32 v[0:1], v[18:19], v[0:1], v[24:25] neg_lo:[0,0,1] neg_hi:[0,0,1]
	v_mov_b32_e32 v1, v27
	s_cbranch_execz .LBB5_39
	s_branch .LBB5_40
.LBB5_38:
                                        ; implicit-def: $vgpr0_vgpr1
.LBB5_39:
	ds_load_b64 v[0:1], v16
.LBB5_40:
	s_and_saveexec_b32 s6, s1
	s_cbranch_execz .LBB5_44
; %bb.41:
	v_mad_u32 v18, v22, 48, 0x70
	v_add_nc_u32_e32 v19, -2, v20
	s_mov_b32 s7, 64
	s_mov_b32 s1, 0
.LBB5_42:                               ; =>This Inner Loop Header: Depth=1
	s_delay_alu instid0(VALU_DEP_1)
	v_dual_mov_b32 v23, s7 :: v_dual_add_nc_u32 v19, -1, v19
	s_add_co_i32 s7, s7, 8
	ds_load_b64 v[24:25], v18
	ds_load_b64 v[26:27], v23
	v_add_nc_u32_e32 v18, 8, v18
	v_cmp_eq_u32_e32 vcc_lo, 0, v19
	s_or_b32 s1, vcc_lo, s1
	s_wait_dscnt 0x0
	v_pk_mul_f32 v[28:29], v[26:27], v[24:25] op_sel:[1,1] op_sel_hi:[0,1]
	s_delay_alu instid0(VALU_DEP_1) | instskip(SKIP_1) | instid1(VALU_DEP_2)
	v_pk_fma_f32 v[30:31], v[26:27], v[24:25], v[28:29] op_sel_hi:[1,0,1]
	v_pk_fma_f32 v[24:25], v[26:27], v[24:25], v[28:29] neg_lo:[0,0,1] neg_hi:[0,0,1]
	v_mov_b32_e32 v25, v31
	s_delay_alu instid0(VALU_DEP_1)
	v_pk_add_f32 v[0:1], v[0:1], v[24:25]
	s_and_not1_b32 exec_lo, exec_lo, s1
	s_cbranch_execnz .LBB5_42
; %bb.43:
	s_or_b32 exec_lo, exec_lo, s1
.LBB5_44:
	s_delay_alu instid0(SALU_CYCLE_1) | instskip(SKIP_4) | instid1(VALU_DEP_1)
	s_or_b32 exec_lo, exec_lo, s6
	v_mov_b32_e32 v18, 0
	ds_load_b64 v[18:19], v18 offset:8
	s_wait_dscnt 0x0
	v_pk_mul_f32 v[24:25], v[0:1], v[18:19] op_sel:[1,1] op_sel_hi:[0,1]
	v_pk_fma_f32 v[26:27], v[0:1], v[18:19], v[24:25] op_sel_hi:[1,0,1]
	v_pk_fma_f32 v[0:1], v[0:1], v[18:19], v[24:25] neg_lo:[0,0,1] neg_hi:[0,0,1]
	s_delay_alu instid0(VALU_DEP_2)
	v_mov_b32_e32 v1, v27
	ds_store_b64 v21, v[0:1] offset:8
.LBB5_45:
	s_or_b32 exec_lo, exec_lo, s4
	ds_load_b64 v[0:1], v21
	s_mov_b32 s4, 0
	s_mov_b32 s1, 0
	s_mov_b32 s6, exec_lo
                                        ; implicit-def: $vgpr19
                                        ; implicit-def: $vgpr23
	s_wait_dscnt 0x0
	ds_store_b64 v16, v[0:1]
	s_wait_dscnt 0x0
	s_barrier_signal -1
	s_barrier_wait -1
	v_cmpx_ne_u32_e32 0, v20
	s_cbranch_execz .LBB5_55
; %bb.46:
	s_and_not1_b32 vcc_lo, exec_lo, s5
	s_cbranch_vccnz .LBB5_48
; %bb.47:
	ds_load_b64 v[18:19], v17
	ds_load_b64 v[24:25], v16
	s_wait_dscnt 0x0
	v_dual_mul_f32 v0, v25, v19 :: v_dual_mul_f32 v1, v24, v19
	s_delay_alu instid0(VALU_DEP_1)
	v_dual_fma_f32 v0, v24, v18, -v0 :: v_dual_fmac_f32 v1, v25, v18
	s_and_not1_b32 vcc_lo, exec_lo, s1
	s_cbranch_vccz .LBB5_49
	s_branch .LBB5_50
.LBB5_48:
                                        ; implicit-def: $vgpr0
.LBB5_49:
	ds_load_b64 v[0:1], v16
.LBB5_50:
	s_and_saveexec_b32 s1, s0
	s_cbranch_execz .LBB5_54
; %bb.51:
	v_mad_u32 v18, v22, 48, 0x68
	v_add_nc_u32_e32 v19, -1, v20
	s_mov_b32 s7, 56
	s_mov_b32 s0, 0
.LBB5_52:                               ; =>This Inner Loop Header: Depth=1
	v_mov_b32_e32 v24, s7
	s_add_co_i32 s7, s7, 8
	ds_load_b64 v[22:23], v18
	ds_load_b64 v[24:25], v24
	s_wait_dscnt 0x0
	v_dual_mul_f32 v26, v25, v23 :: v_dual_mul_f32 v23, v24, v23
	s_delay_alu instid0(VALU_DEP_1) | instskip(NEXT) | instid1(VALU_DEP_2)
	v_dual_fma_f32 v24, v24, v22, -v26 :: v_dual_add_nc_u32 v19, -1, v19
	v_fmac_f32_e32 v23, v25, v22
	s_delay_alu instid0(VALU_DEP_2) | instskip(NEXT) | instid1(VALU_DEP_3)
	v_dual_add_nc_u32 v18, 8, v18 :: v_dual_add_f32 v0, v0, v24
	v_cmp_eq_u32_e32 vcc_lo, 0, v19
	s_delay_alu instid0(VALU_DEP_3) | instskip(SKIP_1) | instid1(SALU_CYCLE_1)
	v_add_f32_e32 v1, v1, v23
	s_or_b32 s0, vcc_lo, s0
	s_and_not1_b32 exec_lo, exec_lo, s0
	s_cbranch_execnz .LBB5_52
; %bb.53:
	s_or_b32 exec_lo, exec_lo, s0
.LBB5_54:
	s_delay_alu instid0(SALU_CYCLE_1)
	s_or_b32 exec_lo, exec_lo, s1
	v_mov_b32_e32 v18, 0
	s_mov_b32 s1, exec_lo
	v_add_nc_u32_e32 v23, 4, v21
	ds_load_b64 v[18:19], v18
	s_wait_dscnt 0x0
	v_dual_mul_f32 v22, v1, v19 :: v_dual_mul_f32 v19, v0, v19
	s_delay_alu instid0(VALU_DEP_1)
	v_dual_fma_f32 v0, v0, v18, -v22 :: v_dual_fmac_f32 v19, v1, v18
	ds_store_b32 v21, v0
.LBB5_55:
	s_or_b32 exec_lo, exec_lo, s6
	s_delay_alu instid0(SALU_CYCLE_1)
	s_and_b32 vcc_lo, exec_lo, s4
	s_cbranch_vccz .LBB5_101
.LBB5_56:
	ds_load_b64 v[0:1], v21 offset:8
	v_cmp_eq_u32_e64 s0, 0, v20
	s_wait_dscnt 0x0
	ds_store_b64 v16, v[0:1]
	s_wait_dscnt 0x0
	s_barrier_signal -1
	s_barrier_wait -1
	s_and_saveexec_b32 s4, s0
	s_cbranch_execz .LBB5_62
; %bb.57:
	s_and_b32 vcc_lo, exec_lo, s5
	s_cbranch_vccz .LBB5_59
; %bb.58:
	ds_load_b64 v[0:1], v17
	ds_load_b64 v[18:19], v16
	s_wait_dscnt 0x0
	v_pk_mul_f32 v[22:23], v[18:19], v[0:1] op_sel:[1,1] op_sel_hi:[0,1]
	v_pk_mul_f32 v[24:25], v[18:19], v[0:1] op_sel_hi:[1,0]
	s_delay_alu instid0(VALU_DEP_2) | instskip(NEXT) | instid1(VALU_DEP_2)
	v_pk_fma_f32 v[0:1], v[18:19], v[0:1], v[22:23] op_sel_hi:[1,0,1]
	v_sub_f32_e32 v0, v24, v22
	s_cbranch_execz .LBB5_60
	s_branch .LBB5_61
.LBB5_59:
                                        ; implicit-def: $vgpr1
.LBB5_60:
	ds_load_b64 v[0:1], v16
.LBB5_61:
	s_wait_dscnt 0x0
	v_dual_mov_b32 v18, 0 :: v_dual_mov_b32 v22, v1
	v_mov_b32_e32 v23, v0
	ds_load_b64 v[18:19], v18 offset:8
	s_wait_dscnt 0x0
	v_pk_mul_f32 v[22:23], v[22:23], v[18:19] op_sel:[0,1]
	s_delay_alu instid0(VALU_DEP_1) | instskip(SKIP_1) | instid1(VALU_DEP_2)
	v_pk_fma_f32 v[24:25], v[0:1], v[18:19], v[22:23] op_sel_hi:[1,0,1]
	v_pk_fma_f32 v[0:1], v[0:1], v[18:19], v[22:23] neg_lo:[0,0,1] neg_hi:[0,0,1]
	v_mov_b32_e32 v1, v25
	ds_store_b64 v21, v[0:1] offset:8
.LBB5_62:
	s_or_b32 exec_lo, exec_lo, s4
	ds_load_b64 v[0:1], v21 offset:16
	v_cndmask_b32_e64 v18, 0, 1, s5
	s_mov_b32 s4, exec_lo
	s_wait_dscnt 0x0
	ds_store_b64 v16, v[0:1]
	s_wait_dscnt 0x0
	s_barrier_signal -1
	s_barrier_wait -1
	v_cmpx_gt_u32_e32 2, v20
	s_cbranch_execz .LBB5_70
; %bb.63:
	s_and_not1_b32 vcc_lo, exec_lo, s5
	s_cbranch_vccnz .LBB5_65
; %bb.64:
	ds_load_b64 v[0:1], v17
	ds_load_b64 v[22:23], v16
	s_wait_dscnt 0x0
	v_pk_mul_f32 v[24:25], v[22:23], v[0:1] op_sel:[1,1] op_sel_hi:[0,1]
	s_delay_alu instid0(VALU_DEP_1) | instskip(SKIP_1) | instid1(VALU_DEP_2)
	v_pk_fma_f32 v[26:27], v[22:23], v[0:1], v[24:25] op_sel_hi:[1,0,1]
	v_pk_fma_f32 v[0:1], v[22:23], v[0:1], v[24:25] neg_lo:[0,0,1] neg_hi:[0,0,1]
	v_mov_b32_e32 v1, v27
	s_cbranch_execz .LBB5_66
	s_branch .LBB5_67
.LBB5_65:
                                        ; implicit-def: $vgpr0_vgpr1
.LBB5_66:
	ds_load_b64 v[0:1], v16
.LBB5_67:
	s_and_saveexec_b32 s5, s0
	s_cbranch_execz .LBB5_69
; %bb.68:
	v_mov_b32_e32 v19, 0
	ds_load_b64 v[22:23], v21 offset:8
	ds_load_b64 v[24:25], v19 offset:56
	s_wait_dscnt 0x0
	v_pk_mul_f32 v[26:27], v[24:25], v[22:23] op_sel:[1,1] op_sel_hi:[0,1]
	s_delay_alu instid0(VALU_DEP_1) | instskip(SKIP_1) | instid1(VALU_DEP_2)
	v_pk_fma_f32 v[28:29], v[24:25], v[22:23], v[26:27] op_sel_hi:[1,0,1]
	v_pk_fma_f32 v[22:23], v[24:25], v[22:23], v[26:27] neg_lo:[0,0,1] neg_hi:[0,0,1]
	v_mov_b32_e32 v23, v29
	s_delay_alu instid0(VALU_DEP_1)
	v_pk_add_f32 v[0:1], v[0:1], v[22:23]
.LBB5_69:
	s_or_b32 exec_lo, exec_lo, s5
	v_mov_b32_e32 v19, 0
	ds_load_b64 v[22:23], v19 offset:16
	s_wait_dscnt 0x0
	v_pk_mul_f32 v[24:25], v[0:1], v[22:23] op_sel:[1,1] op_sel_hi:[0,1]
	s_delay_alu instid0(VALU_DEP_1) | instskip(SKIP_1) | instid1(VALU_DEP_2)
	v_pk_fma_f32 v[26:27], v[0:1], v[22:23], v[24:25] op_sel_hi:[1,0,1]
	v_pk_fma_f32 v[0:1], v[0:1], v[22:23], v[24:25] neg_lo:[0,0,1] neg_hi:[0,0,1]
	v_mov_b32_e32 v1, v27
	ds_store_b64 v21, v[0:1] offset:16
.LBB5_70:
	s_or_b32 exec_lo, exec_lo, s4
	ds_load_b64 v[0:1], v21 offset:24
	s_mov_b32 s4, exec_lo
	s_wait_dscnt 0x0
	ds_store_b64 v16, v[0:1]
	s_wait_dscnt 0x0
	s_barrier_signal -1
	s_barrier_wait -1
	v_cmpx_gt_u32_e32 3, v20
	s_cbranch_execz .LBB5_80
; %bb.71:
	v_cmp_ne_u32_e32 vcc_lo, 1, v18
	s_cbranch_vccnz .LBB5_73
; %bb.72:
	ds_load_b64 v[0:1], v17
	ds_load_b64 v[22:23], v16
	s_wait_dscnt 0x0
	v_pk_mul_f32 v[24:25], v[22:23], v[0:1] op_sel:[1,1] op_sel_hi:[0,1]
	s_delay_alu instid0(VALU_DEP_1) | instskip(SKIP_1) | instid1(VALU_DEP_2)
	v_pk_fma_f32 v[26:27], v[22:23], v[0:1], v[24:25] op_sel_hi:[1,0,1]
	v_pk_fma_f32 v[0:1], v[22:23], v[0:1], v[24:25] neg_lo:[0,0,1] neg_hi:[0,0,1]
	v_mov_b32_e32 v1, v27
	s_cbranch_execz .LBB5_74
	s_branch .LBB5_75
.LBB5_73:
                                        ; implicit-def: $vgpr0_vgpr1
.LBB5_74:
	ds_load_b64 v[0:1], v16
.LBB5_75:
	s_mov_b32 s5, exec_lo
	v_cmpx_ne_u32_e32 2, v20
	s_cbranch_execz .LBB5_79
; %bb.76:
	ds_load_b64 v[22:23], v17 offset:8
	ds_load_b64 v[24:25], v16 offset:8
	s_wait_dscnt 0x0
	v_pk_mul_f32 v[26:27], v[24:25], v[22:23] op_sel:[1,1] op_sel_hi:[0,1]
	s_delay_alu instid0(VALU_DEP_1) | instskip(SKIP_1) | instid1(VALU_DEP_2)
	v_pk_fma_f32 v[28:29], v[24:25], v[22:23], v[26:27] op_sel_hi:[1,0,1]
	v_pk_fma_f32 v[22:23], v[24:25], v[22:23], v[26:27] neg_lo:[0,0,1] neg_hi:[0,0,1]
	v_mov_b32_e32 v23, v29
	s_delay_alu instid0(VALU_DEP_1)
	v_pk_add_f32 v[0:1], v[0:1], v[22:23]
	s_and_saveexec_b32 s6, s0
	s_cbranch_execz .LBB5_78
; %bb.77:
	v_mov_b32_e32 v19, 0
	ds_load_b64 v[22:23], v19 offset:64
	ds_load_b64 v[24:25], v21 offset:16
	s_wait_dscnt 0x0
	v_pk_mul_f32 v[26:27], v[22:23], v[24:25] op_sel:[1,1] op_sel_hi:[0,1]
	s_delay_alu instid0(VALU_DEP_1) | instskip(SKIP_1) | instid1(VALU_DEP_2)
	v_pk_fma_f32 v[28:29], v[22:23], v[24:25], v[26:27] op_sel_hi:[1,0,1]
	v_pk_fma_f32 v[22:23], v[22:23], v[24:25], v[26:27] neg_lo:[0,0,1] neg_hi:[0,0,1]
	v_mov_b32_e32 v23, v29
	s_delay_alu instid0(VALU_DEP_1)
	v_pk_add_f32 v[0:1], v[0:1], v[22:23]
.LBB5_78:
	s_or_b32 exec_lo, exec_lo, s6
.LBB5_79:
	s_delay_alu instid0(SALU_CYCLE_1) | instskip(SKIP_4) | instid1(VALU_DEP_1)
	s_or_b32 exec_lo, exec_lo, s5
	v_mov_b32_e32 v19, 0
	ds_load_b64 v[22:23], v19 offset:24
	s_wait_dscnt 0x0
	v_pk_mul_f32 v[24:25], v[0:1], v[22:23] op_sel:[1,1] op_sel_hi:[0,1]
	v_pk_fma_f32 v[26:27], v[0:1], v[22:23], v[24:25] op_sel_hi:[1,0,1]
	v_pk_fma_f32 v[0:1], v[0:1], v[22:23], v[24:25] neg_lo:[0,0,1] neg_hi:[0,0,1]
	s_delay_alu instid0(VALU_DEP_2)
	v_mov_b32_e32 v1, v27
	ds_store_b64 v21, v[0:1] offset:24
.LBB5_80:
	s_or_b32 exec_lo, exec_lo, s4
	ds_load_b64 v[0:1], v21 offset:32
	v_cmp_gt_u32_e64 s0, 4, v20
	s_wait_dscnt 0x0
	ds_store_b64 v16, v[0:1]
	s_wait_dscnt 0x0
	s_barrier_signal -1
	s_barrier_wait -1
	s_and_saveexec_b32 s4, s0
	s_cbranch_execz .LBB5_90
; %bb.81:
	v_cmp_ne_u32_e32 vcc_lo, 1, v18
	s_cbranch_vccnz .LBB5_83
; %bb.82:
	ds_load_b64 v[0:1], v17
	ds_load_b64 v[22:23], v16
	s_wait_dscnt 0x0
	v_pk_mul_f32 v[24:25], v[22:23], v[0:1] op_sel:[1,1] op_sel_hi:[0,1]
	s_delay_alu instid0(VALU_DEP_1) | instskip(SKIP_1) | instid1(VALU_DEP_2)
	v_pk_fma_f32 v[26:27], v[22:23], v[0:1], v[24:25] op_sel_hi:[1,0,1]
	v_pk_fma_f32 v[0:1], v[22:23], v[0:1], v[24:25] neg_lo:[0,0,1] neg_hi:[0,0,1]
	v_mov_b32_e32 v1, v27
	s_cbranch_execz .LBB5_84
	s_branch .LBB5_85
.LBB5_83:
                                        ; implicit-def: $vgpr0_vgpr1
.LBB5_84:
	ds_load_b64 v[0:1], v16
.LBB5_85:
	s_mov_b32 s5, exec_lo
	v_cmpx_ne_u32_e32 3, v20
	s_cbranch_execz .LBB5_89
; %bb.86:
	v_dual_add_nc_u32 v19, 56, v14 :: v_dual_mov_b32 v23, v20
	v_add3_u32 v22, v15, v14, 0x68
	s_mov_b32 s6, 0
.LBB5_87:                               ; =>This Inner Loop Header: Depth=1
	ds_load_b64 v[24:25], v22
	ds_load_b64 v[26:27], v19
	v_dual_add_nc_u32 v19, 8, v19 :: v_dual_add_nc_u32 v22, 8, v22
	s_wait_dscnt 0x0
	v_pk_mul_f32 v[28:29], v[26:27], v[24:25] op_sel:[1,1] op_sel_hi:[0,1]
	s_delay_alu instid0(VALU_DEP_1) | instskip(SKIP_2) | instid1(VALU_DEP_3)
	v_pk_fma_f32 v[30:31], v[26:27], v[24:25], v[28:29] op_sel_hi:[1,0,1]
	v_add_nc_u32_e32 v23, 1, v23
	v_pk_fma_f32 v[24:25], v[26:27], v[24:25], v[28:29] neg_lo:[0,0,1] neg_hi:[0,0,1]
	v_mov_b32_e32 v25, v31
	s_delay_alu instid0(VALU_DEP_3) | instskip(NEXT) | instid1(VALU_DEP_2)
	v_cmp_lt_u32_e32 vcc_lo, 2, v23
	v_pk_add_f32 v[0:1], v[0:1], v[24:25]
	s_or_b32 s6, vcc_lo, s6
	s_delay_alu instid0(SALU_CYCLE_1)
	s_and_not1_b32 exec_lo, exec_lo, s6
	s_cbranch_execnz .LBB5_87
; %bb.88:
	s_or_b32 exec_lo, exec_lo, s6
.LBB5_89:
	s_delay_alu instid0(SALU_CYCLE_1) | instskip(SKIP_4) | instid1(VALU_DEP_1)
	s_or_b32 exec_lo, exec_lo, s5
	v_mov_b32_e32 v19, 0
	ds_load_b64 v[22:23], v19 offset:32
	s_wait_dscnt 0x0
	v_pk_mul_f32 v[24:25], v[0:1], v[22:23] op_sel:[1,1] op_sel_hi:[0,1]
	v_pk_fma_f32 v[26:27], v[0:1], v[22:23], v[24:25] op_sel_hi:[1,0,1]
	v_pk_fma_f32 v[0:1], v[0:1], v[22:23], v[24:25] neg_lo:[0,0,1] neg_hi:[0,0,1]
	s_delay_alu instid0(VALU_DEP_2)
	v_mov_b32_e32 v1, v27
	ds_store_b64 v21, v[0:1] offset:32
.LBB5_90:
	s_or_b32 exec_lo, exec_lo, s4
	ds_load_b64 v[0:1], v21 offset:40
	s_mov_b32 s4, exec_lo
                                        ; implicit-def: $vgpr19
                                        ; implicit-def: $vgpr23
	s_wait_dscnt 0x0
	ds_store_b64 v16, v[0:1]
	s_wait_dscnt 0x0
	s_barrier_signal -1
	s_barrier_wait -1
	v_cmpx_ne_u32_e32 5, v20
	s_cbranch_execz .LBB5_100
; %bb.91:
	v_cmp_ne_u32_e32 vcc_lo, 1, v18
	s_cbranch_vccnz .LBB5_93
; %bb.92:
	ds_load_b64 v[18:19], v17
	ds_load_b64 v[22:23], v16
	s_wait_dscnt 0x0
	v_dual_mul_f32 v0, v23, v19 :: v_dual_mul_f32 v1, v22, v19
	s_delay_alu instid0(VALU_DEP_1)
	v_dual_fma_f32 v0, v22, v18, -v0 :: v_dual_fmac_f32 v1, v23, v18
	s_cbranch_execz .LBB5_94
	s_branch .LBB5_95
.LBB5_93:
                                        ; implicit-def: $vgpr1
.LBB5_94:
	ds_load_b64 v[0:1], v16
.LBB5_95:
	s_and_saveexec_b32 s5, s0
	s_cbranch_execz .LBB5_99
; %bb.96:
	v_add_nc_u32_e32 v16, 56, v14
	v_add3_u32 v14, v15, v14, 0x68
	s_mov_b32 s0, 0
.LBB5_97:                               ; =>This Inner Loop Header: Depth=1
	ds_load_b64 v[18:19], v14
	ds_load_b64 v[22:23], v16
	s_wait_dscnt 0x0
	v_dual_mul_f32 v15, v23, v19 :: v_dual_add_nc_u32 v16, 8, v16
	v_dual_mul_f32 v17, v22, v19 :: v_dual_add_nc_u32 v20, 1, v20
	s_delay_alu instid0(VALU_DEP_1) | instskip(NEXT) | instid1(VALU_DEP_2)
	v_dual_fma_f32 v15, v22, v18, -v15 :: v_dual_fmac_f32 v17, v23, v18
	v_cmp_lt_u32_e32 vcc_lo, 3, v20
	s_delay_alu instid0(VALU_DEP_2) | instskip(NEXT) | instid1(VALU_DEP_3)
	v_dual_add_nc_u32 v14, 8, v14 :: v_dual_add_f32 v0, v0, v15
	v_add_f32_e32 v1, v1, v17
	s_or_b32 s0, vcc_lo, s0
	s_delay_alu instid0(SALU_CYCLE_1)
	s_and_not1_b32 exec_lo, exec_lo, s0
	s_cbranch_execnz .LBB5_97
; %bb.98:
	s_or_b32 exec_lo, exec_lo, s0
.LBB5_99:
	s_delay_alu instid0(SALU_CYCLE_1)
	s_or_b32 exec_lo, exec_lo, s5
	v_mov_b32_e32 v14, 0
	s_or_b32 s1, s1, exec_lo
	v_add_nc_u32_e32 v23, 44, v21
	ds_load_b64 v[14:15], v14 offset:40
	s_wait_dscnt 0x0
	v_dual_mul_f32 v16, v1, v15 :: v_dual_mul_f32 v19, v0, v15
	s_delay_alu instid0(VALU_DEP_1)
	v_dual_fma_f32 v0, v0, v14, -v16 :: v_dual_fmac_f32 v19, v1, v14
	ds_store_b32 v21, v0 offset:40
.LBB5_100:
	s_or_b32 exec_lo, exec_lo, s4
.LBB5_101:
	v_lshl_add_u64 v[14:15], v[4:5], 3, s[2:3]
	v_lshl_add_u64 v[8:9], v[8:9], 3, s[2:3]
	;; [unrolled: 1-line block ×4, first 2 shown]
	s_and_saveexec_b32 s0, s1
; %bb.102:
	ds_store_b32 v23, v19
; %bb.103:
	s_or_b32 exec_lo, exec_lo, s0
	ds_load_b128 v[10:13], v21
	ds_load_b128 v[16:19], v21 offset:16
	ds_load_b128 v[20:23], v21 offset:32
	s_wait_dscnt 0x2
	s_clause 0x1
	global_store_b64 v[2:3], v[10:11], off
	global_store_b64 v[6:7], v[12:13], off
	s_wait_dscnt 0x1
	s_clause 0x1
	global_store_b64 v[14:15], v[16:17], off
	global_store_b64 v[8:9], v[18:19], off
	;; [unrolled: 4-line block ×3, first 2 shown]
.LBB5_104:
	s_endpgm
	.section	.rodata,"a",@progbits
	.p2align	6, 0x0
	.amdhsa_kernel _ZN9rocsolver6v33100L18trti2_kernel_smallILi6E19rocblas_complex_numIfEPS3_EEv13rocblas_fill_17rocblas_diagonal_T1_iil
		.amdhsa_group_segment_fixed_size 3168
		.amdhsa_private_segment_fixed_size 0
		.amdhsa_kernarg_size 32
		.amdhsa_user_sgpr_count 4
		.amdhsa_user_sgpr_dispatch_ptr 1
		.amdhsa_user_sgpr_queue_ptr 0
		.amdhsa_user_sgpr_kernarg_segment_ptr 1
		.amdhsa_user_sgpr_dispatch_id 0
		.amdhsa_user_sgpr_kernarg_preload_length 0
		.amdhsa_user_sgpr_kernarg_preload_offset 0
		.amdhsa_user_sgpr_private_segment_size 0
		.amdhsa_wavefront_size32 1
		.amdhsa_uses_dynamic_stack 0
		.amdhsa_enable_private_segment 0
		.amdhsa_system_sgpr_workgroup_id_x 1
		.amdhsa_system_sgpr_workgroup_id_y 0
		.amdhsa_system_sgpr_workgroup_id_z 0
		.amdhsa_system_sgpr_workgroup_info 0
		.amdhsa_system_vgpr_workitem_id 2
		.amdhsa_next_free_vgpr 32
		.amdhsa_next_free_sgpr 14
		.amdhsa_named_barrier_count 0
		.amdhsa_reserve_vcc 1
		.amdhsa_float_round_mode_32 0
		.amdhsa_float_round_mode_16_64 0
		.amdhsa_float_denorm_mode_32 3
		.amdhsa_float_denorm_mode_16_64 3
		.amdhsa_fp16_overflow 0
		.amdhsa_memory_ordered 1
		.amdhsa_forward_progress 1
		.amdhsa_inst_pref_size 32
		.amdhsa_round_robin_scheduling 0
		.amdhsa_exception_fp_ieee_invalid_op 0
		.amdhsa_exception_fp_denorm_src 0
		.amdhsa_exception_fp_ieee_div_zero 0
		.amdhsa_exception_fp_ieee_overflow 0
		.amdhsa_exception_fp_ieee_underflow 0
		.amdhsa_exception_fp_ieee_inexact 0
		.amdhsa_exception_int_div_zero 0
	.end_amdhsa_kernel
	.section	.text._ZN9rocsolver6v33100L18trti2_kernel_smallILi6E19rocblas_complex_numIfEPS3_EEv13rocblas_fill_17rocblas_diagonal_T1_iil,"axG",@progbits,_ZN9rocsolver6v33100L18trti2_kernel_smallILi6E19rocblas_complex_numIfEPS3_EEv13rocblas_fill_17rocblas_diagonal_T1_iil,comdat
.Lfunc_end5:
	.size	_ZN9rocsolver6v33100L18trti2_kernel_smallILi6E19rocblas_complex_numIfEPS3_EEv13rocblas_fill_17rocblas_diagonal_T1_iil, .Lfunc_end5-_ZN9rocsolver6v33100L18trti2_kernel_smallILi6E19rocblas_complex_numIfEPS3_EEv13rocblas_fill_17rocblas_diagonal_T1_iil
                                        ; -- End function
	.set _ZN9rocsolver6v33100L18trti2_kernel_smallILi6E19rocblas_complex_numIfEPS3_EEv13rocblas_fill_17rocblas_diagonal_T1_iil.num_vgpr, 32
	.set _ZN9rocsolver6v33100L18trti2_kernel_smallILi6E19rocblas_complex_numIfEPS3_EEv13rocblas_fill_17rocblas_diagonal_T1_iil.num_agpr, 0
	.set _ZN9rocsolver6v33100L18trti2_kernel_smallILi6E19rocblas_complex_numIfEPS3_EEv13rocblas_fill_17rocblas_diagonal_T1_iil.numbered_sgpr, 14
	.set _ZN9rocsolver6v33100L18trti2_kernel_smallILi6E19rocblas_complex_numIfEPS3_EEv13rocblas_fill_17rocblas_diagonal_T1_iil.num_named_barrier, 0
	.set _ZN9rocsolver6v33100L18trti2_kernel_smallILi6E19rocblas_complex_numIfEPS3_EEv13rocblas_fill_17rocblas_diagonal_T1_iil.private_seg_size, 0
	.set _ZN9rocsolver6v33100L18trti2_kernel_smallILi6E19rocblas_complex_numIfEPS3_EEv13rocblas_fill_17rocblas_diagonal_T1_iil.uses_vcc, 1
	.set _ZN9rocsolver6v33100L18trti2_kernel_smallILi6E19rocblas_complex_numIfEPS3_EEv13rocblas_fill_17rocblas_diagonal_T1_iil.uses_flat_scratch, 0
	.set _ZN9rocsolver6v33100L18trti2_kernel_smallILi6E19rocblas_complex_numIfEPS3_EEv13rocblas_fill_17rocblas_diagonal_T1_iil.has_dyn_sized_stack, 0
	.set _ZN9rocsolver6v33100L18trti2_kernel_smallILi6E19rocblas_complex_numIfEPS3_EEv13rocblas_fill_17rocblas_diagonal_T1_iil.has_recursion, 0
	.set _ZN9rocsolver6v33100L18trti2_kernel_smallILi6E19rocblas_complex_numIfEPS3_EEv13rocblas_fill_17rocblas_diagonal_T1_iil.has_indirect_call, 0
	.section	.AMDGPU.csdata,"",@progbits
; Kernel info:
; codeLenInByte = 4056
; TotalNumSgprs: 16
; NumVgprs: 32
; ScratchSize: 0
; MemoryBound: 0
; FloatMode: 240
; IeeeMode: 1
; LDSByteSize: 3168 bytes/workgroup (compile time only)
; SGPRBlocks: 0
; VGPRBlocks: 1
; NumSGPRsForWavesPerEU: 16
; NumVGPRsForWavesPerEU: 32
; NamedBarCnt: 0
; Occupancy: 16
; WaveLimiterHint : 0
; COMPUTE_PGM_RSRC2:SCRATCH_EN: 0
; COMPUTE_PGM_RSRC2:USER_SGPR: 4
; COMPUTE_PGM_RSRC2:TRAP_HANDLER: 0
; COMPUTE_PGM_RSRC2:TGID_X_EN: 1
; COMPUTE_PGM_RSRC2:TGID_Y_EN: 0
; COMPUTE_PGM_RSRC2:TGID_Z_EN: 0
; COMPUTE_PGM_RSRC2:TIDIG_COMP_CNT: 2
	.section	.text._ZN9rocsolver6v33100L18trti2_kernel_smallILi7E19rocblas_complex_numIfEPS3_EEv13rocblas_fill_17rocblas_diagonal_T1_iil,"axG",@progbits,_ZN9rocsolver6v33100L18trti2_kernel_smallILi7E19rocblas_complex_numIfEPS3_EEv13rocblas_fill_17rocblas_diagonal_T1_iil,comdat
	.globl	_ZN9rocsolver6v33100L18trti2_kernel_smallILi7E19rocblas_complex_numIfEPS3_EEv13rocblas_fill_17rocblas_diagonal_T1_iil ; -- Begin function _ZN9rocsolver6v33100L18trti2_kernel_smallILi7E19rocblas_complex_numIfEPS3_EEv13rocblas_fill_17rocblas_diagonal_T1_iil
	.p2align	8
	.type	_ZN9rocsolver6v33100L18trti2_kernel_smallILi7E19rocblas_complex_numIfEPS3_EEv13rocblas_fill_17rocblas_diagonal_T1_iil,@function
_ZN9rocsolver6v33100L18trti2_kernel_smallILi7E19rocblas_complex_numIfEPS3_EEv13rocblas_fill_17rocblas_diagonal_T1_iil: ; @_ZN9rocsolver6v33100L18trti2_kernel_smallILi7E19rocblas_complex_numIfEPS3_EEv13rocblas_fill_17rocblas_diagonal_T1_iil
; %bb.0:
	v_and_b32_e32 v22, 0x3ff, v0
	s_mov_b32 s4, exec_lo
	s_delay_alu instid0(VALU_DEP_1)
	v_cmpx_gt_u32_e32 7, v22
	s_cbranch_execz .LBB6_124
; %bb.1:
	s_load_b64 s[12:13], s[0:1], 0x4
	s_load_b256 s[4:11], s[2:3], 0x0
	s_wait_xcnt 0x0
	s_bfe_u32 s0, ttmp6, 0x4000c
	s_and_b32 s1, ttmp6, 15
	s_add_co_i32 s0, s0, 1
	s_getreg_b32 s2, hwreg(HW_REG_IB_STS2, 6, 4)
	s_mul_i32 s0, ttmp9, s0
	v_dual_mov_b32 v17, 0 :: v_dual_lshlrev_b32 v16, 3, v22
	s_add_co_i32 s0, s1, s0
	v_bfe_u32 v1, v0, 10, 10
	v_bfe_u32 v0, v0, 20, 10
	s_wait_kmcnt 0x0
	s_lshr_b32 s12, s12, 16
	s_ashr_i32 s1, s8, 31
	v_add3_u32 v4, s9, s9, v22
	s_cmp_eq_u32 s2, 0
	s_mul_i32 s12, s12, s13
	s_cselect_b32 s2, ttmp9, s0
	s_mov_b32 s0, s8
	s_ashr_i32 s3, s2, 31
	v_add_nc_u32_e32 v6, s9, v4
	s_mul_u64 s[2:3], s[10:11], s[2:3]
	s_lshl_b64 s[0:1], s[0:1], 3
	s_lshl_b64 s[2:3], s[2:3], 3
	v_mul_u32_u24_e32 v1, s13, v1
	v_add_nc_u32_e32 v10, s9, v6
	s_add_nc_u64 s[2:3], s[6:7], s[2:3]
	v_mul_u32_u24_e32 v5, s12, v22
	s_add_nc_u64 s[2:3], s[2:3], s[0:1]
	s_mov_b32 s0, s9
	v_add_nc_u64_e32 v[2:3], s[2:3], v[16:17]
	v_add_nc_u32_e32 v12, s9, v10
	s_ashr_i32 s1, s9, 31
	v_add3_u32 v24, v5, v1, v0
	s_cmp_lg_u32 s5, 0x84
	s_delay_alu instid0(VALU_DEP_2) | instskip(NEXT) | instid1(VALU_DEP_4)
	v_add_nc_u32_e32 v14, s9, v12
	v_lshl_add_u64 v[8:9], s[0:1], 3, v[2:3]
	s_clause 0x6
	global_load_b64 v[18:19], v10, s[2:3] scale_offset
	global_load_b64 v[20:21], v12, s[2:3] scale_offset
	;; [unrolled: 1-line block ×4, first 2 shown]
	global_load_b64 v[28:29], v[8:9], off
	global_load_b64 v[30:31], v4, s[2:3] scale_offset
	global_load_b64 v[32:33], v6, s[2:3] scale_offset
	v_mul_lo_u32 v17, v24, 56
	s_cselect_b32 s5, -1, 0
	s_mov_b32 s0, -1
	s_and_b32 vcc_lo, exec_lo, s5
	s_wait_loadcnt 0x5
	ds_store_b128 v17, v[18:21] offset:160
	s_wait_loadcnt 0x4
	ds_store_b64 v17, v[34:35] offset:176
	s_wait_loadcnt 0x2
	ds_store_b128 v17, v[26:29] offset:128
	s_wait_loadcnt 0x0
	ds_store_b128 v17, v[30:33] offset:144
	v_add_nc_u32_e32 v23, 0x80, v17
	s_cbranch_vccz .LBB6_7
; %bb.2:
	s_delay_alu instid0(VALU_DEP_1) | instskip(SKIP_4) | instid1(SALU_CYCLE_1)
	v_lshl_add_u32 v5, v22, 3, v23
                                        ; implicit-def: $vgpr21
                                        ; implicit-def: $vgpr18
	ds_load_b64 v[0:1], v5
	s_wait_dscnt 0x0
	v_cmp_ngt_f32_e64 s0, |v0|, |v1|
	s_and_saveexec_b32 s1, s0
	s_xor_b32 s0, exec_lo, s1
	s_cbranch_execz .LBB6_4
; %bb.3:
	v_div_scale_f32 v7, null, v1, v1, v0
	v_div_scale_f32 v15, vcc_lo, v0, v1, v0
	s_delay_alu instid0(VALU_DEP_2) | instskip(SKIP_1) | instid1(TRANS32_DEP_1)
	v_rcp_f32_e32 v11, v7
	v_nop
	v_fma_f32 v13, -v7, v11, 1.0
	s_delay_alu instid0(VALU_DEP_1) | instskip(NEXT) | instid1(VALU_DEP_1)
	v_fmac_f32_e32 v11, v13, v11
	v_mul_f32_e32 v13, v15, v11
	s_delay_alu instid0(VALU_DEP_1) | instskip(NEXT) | instid1(VALU_DEP_1)
	v_fma_f32 v18, -v7, v13, v15
	v_fmac_f32_e32 v13, v18, v11
	s_delay_alu instid0(VALU_DEP_1) | instskip(NEXT) | instid1(VALU_DEP_1)
	v_fma_f32 v7, -v7, v13, v15
	v_div_fmas_f32 v7, v7, v11, v13
	s_delay_alu instid0(VALU_DEP_1) | instskip(NEXT) | instid1(VALU_DEP_1)
	v_div_fixup_f32 v7, v7, v1, v0
	v_fmac_f32_e32 v1, v0, v7
	s_delay_alu instid0(VALU_DEP_1) | instskip(NEXT) | instid1(VALU_DEP_1)
	v_div_scale_f32 v0, null, v1, v1, -1.0
	v_rcp_f32_e32 v11, v0
	v_nop
	s_delay_alu instid0(TRANS32_DEP_1) | instskip(NEXT) | instid1(VALU_DEP_1)
	v_fma_f32 v13, -v0, v11, 1.0
	v_fmac_f32_e32 v11, v13, v11
	v_div_scale_f32 v13, vcc_lo, -1.0, v1, -1.0
	s_delay_alu instid0(VALU_DEP_1) | instskip(NEXT) | instid1(VALU_DEP_1)
	v_mul_f32_e32 v15, v13, v11
	v_fma_f32 v18, -v0, v15, v13
	s_delay_alu instid0(VALU_DEP_1) | instskip(NEXT) | instid1(VALU_DEP_1)
	v_fmac_f32_e32 v15, v18, v11
	v_fma_f32 v0, -v0, v15, v13
	s_delay_alu instid0(VALU_DEP_1) | instskip(NEXT) | instid1(VALU_DEP_1)
	v_div_fmas_f32 v0, v0, v11, v15
	v_div_fixup_f32 v21, v0, v1, -1.0
                                        ; implicit-def: $vgpr0_vgpr1
	s_delay_alu instid0(VALU_DEP_1) | instskip(NEXT) | instid1(VALU_DEP_1)
	v_mul_f32_e32 v18, v7, v21
	v_xor_b32_e32 v20, 0x80000000, v18
.LBB6_4:
	s_and_not1_saveexec_b32 s0, s0
	s_cbranch_execz .LBB6_6
; %bb.5:
	v_div_scale_f32 v7, null, v0, v0, v1
	v_div_scale_f32 v15, vcc_lo, v1, v0, v1
	s_delay_alu instid0(VALU_DEP_2) | instskip(SKIP_1) | instid1(TRANS32_DEP_1)
	v_rcp_f32_e32 v11, v7
	v_nop
	v_fma_f32 v13, -v7, v11, 1.0
	s_delay_alu instid0(VALU_DEP_1) | instskip(NEXT) | instid1(VALU_DEP_1)
	v_fmac_f32_e32 v11, v13, v11
	v_mul_f32_e32 v13, v15, v11
	s_delay_alu instid0(VALU_DEP_1) | instskip(NEXT) | instid1(VALU_DEP_1)
	v_fma_f32 v18, -v7, v13, v15
	v_fmac_f32_e32 v13, v18, v11
	s_delay_alu instid0(VALU_DEP_1) | instskip(NEXT) | instid1(VALU_DEP_1)
	v_fma_f32 v7, -v7, v13, v15
	v_div_fmas_f32 v7, v7, v11, v13
	s_delay_alu instid0(VALU_DEP_1) | instskip(NEXT) | instid1(VALU_DEP_1)
	v_div_fixup_f32 v7, v7, v0, v1
	v_fmac_f32_e32 v0, v1, v7
	s_delay_alu instid0(VALU_DEP_1) | instskip(SKIP_1) | instid1(VALU_DEP_2)
	v_div_scale_f32 v1, null, v0, v0, 1.0
	v_div_scale_f32 v15, vcc_lo, 1.0, v0, 1.0
	v_rcp_f32_e32 v11, v1
	v_nop
	s_delay_alu instid0(TRANS32_DEP_1) | instskip(NEXT) | instid1(VALU_DEP_1)
	v_fma_f32 v13, -v1, v11, 1.0
	v_fmac_f32_e32 v11, v13, v11
	s_delay_alu instid0(VALU_DEP_1) | instskip(NEXT) | instid1(VALU_DEP_1)
	v_mul_f32_e32 v13, v15, v11
	v_fma_f32 v18, -v1, v13, v15
	s_delay_alu instid0(VALU_DEP_1) | instskip(NEXT) | instid1(VALU_DEP_1)
	v_fmac_f32_e32 v13, v18, v11
	v_fma_f32 v1, -v1, v13, v15
	s_delay_alu instid0(VALU_DEP_1) | instskip(NEXT) | instid1(VALU_DEP_1)
	v_div_fmas_f32 v1, v1, v11, v13
	v_div_fixup_f32 v20, v1, v0, 1.0
	s_delay_alu instid0(VALU_DEP_1)
	v_xor_b32_e32 v18, 0x80000000, v20
	v_mul_f32_e64 v21, v7, -v20
.LBB6_6:
	s_or_b32 exec_lo, exec_lo, s0
	s_delay_alu instid0(VALU_DEP_1)
	v_xor_b32_e32 v19, 0x80000000, v21
	s_mov_b32 s0, 0
	ds_store_b64 v5, v[20:21]
	ds_store_b64 v16, v[18:19]
.LBB6_7:
	s_and_b32 vcc_lo, exec_lo, s0
	s_cbranch_vccz .LBB6_9
; %bb.8:
	s_mov_b64 s[0:1], 0xbf800000
	s_delay_alu instid0(SALU_CYCLE_1)
	v_mov_b64_e32 v[0:1], s[0:1]
	ds_store_b64 v16, v[0:1]
.LBB6_9:
	v_dual_ashrrev_i32 v5, 31, v4 :: v_dual_ashrrev_i32 v7, 31, v6
	v_dual_ashrrev_i32 v11, 31, v10 :: v_dual_ashrrev_i32 v13, 31, v12
	v_dual_ashrrev_i32 v15, 31, v14 :: v_dual_add_nc_u32 v18, 64, v16
	v_add_nc_u32_e32 v19, v23, v16
	s_cmp_eq_u32 s4, 0x79
	s_cbranch_scc1 .LBB6_13
; %bb.10:
	ds_load_b64 v[0:1], v23 offset:40
	v_cmp_eq_u32_e64 s0, 6, v22
	s_wait_dscnt 0x0
	ds_store_b64 v18, v[0:1]
	s_wait_dscnt 0x0
	s_barrier_signal -1
	s_barrier_wait -1
	s_and_saveexec_b32 s1, s0
	s_cbranch_execz .LBB6_17
; %bb.11:
	s_and_b32 vcc_lo, exec_lo, s5
	s_cbranch_vccz .LBB6_14
; %bb.12:
	ds_load_b64 v[0:1], v19
	ds_load_b64 v[20:21], v18
	s_wait_dscnt 0x0
	v_pk_mul_f32 v[26:27], v[20:21], v[0:1] op_sel:[1,1] op_sel_hi:[0,1]
	v_pk_mul_f32 v[28:29], v[20:21], v[0:1] op_sel_hi:[1,0]
	s_delay_alu instid0(VALU_DEP_2) | instskip(NEXT) | instid1(VALU_DEP_2)
	v_pk_fma_f32 v[0:1], v[20:21], v[0:1], v[26:27] op_sel_hi:[1,0,1]
	v_sub_f32_e32 v0, v28, v26
	s_cbranch_execz .LBB6_15
	s_branch .LBB6_16
.LBB6_13:
	s_mov_b32 s1, 0
                                        ; implicit-def: $vgpr21
                                        ; implicit-def: $vgpr25
	s_cbranch_execnz .LBB6_66
	s_branch .LBB6_121
.LBB6_14:
                                        ; implicit-def: $vgpr1
.LBB6_15:
	ds_load_b64 v[0:1], v18
.LBB6_16:
	s_wait_dscnt 0x0
	v_dual_mov_b32 v20, 0 :: v_dual_mov_b32 v26, v1
	v_mov_b32_e32 v27, v0
	ds_load_b64 v[20:21], v20 offset:40
	s_wait_dscnt 0x0
	v_pk_mul_f32 v[26:27], v[26:27], v[20:21] op_sel:[0,1]
	s_delay_alu instid0(VALU_DEP_1) | instskip(SKIP_1) | instid1(VALU_DEP_2)
	v_pk_fma_f32 v[28:29], v[0:1], v[20:21], v[26:27] op_sel_hi:[1,0,1]
	v_pk_fma_f32 v[0:1], v[0:1], v[20:21], v[26:27] neg_lo:[0,0,1] neg_hi:[0,0,1]
	v_mov_b32_e32 v1, v29
	ds_store_b64 v23, v[0:1] offset:40
.LBB6_17:
	s_or_b32 exec_lo, exec_lo, s1
	ds_load_b64 v[0:1], v23 offset:32
	v_cmp_lt_u32_e64 s1, 4, v22
	s_wait_dscnt 0x0
	ds_store_b64 v18, v[0:1]
	s_wait_dscnt 0x0
	s_barrier_signal -1
	s_barrier_wait -1
	s_and_saveexec_b32 s4, s1
	s_cbranch_execz .LBB6_25
; %bb.18:
	s_and_not1_b32 vcc_lo, exec_lo, s5
	s_cbranch_vccnz .LBB6_20
; %bb.19:
	ds_load_b64 v[0:1], v19
	ds_load_b64 v[20:21], v18
	s_wait_dscnt 0x0
	v_pk_mul_f32 v[26:27], v[20:21], v[0:1] op_sel:[1,1] op_sel_hi:[0,1]
	s_delay_alu instid0(VALU_DEP_1) | instskip(SKIP_1) | instid1(VALU_DEP_2)
	v_pk_fma_f32 v[28:29], v[20:21], v[0:1], v[26:27] op_sel_hi:[1,0,1]
	v_pk_fma_f32 v[0:1], v[20:21], v[0:1], v[26:27] neg_lo:[0,0,1] neg_hi:[0,0,1]
	v_mov_b32_e32 v1, v29
	s_cbranch_execz .LBB6_21
	s_branch .LBB6_22
.LBB6_20:
                                        ; implicit-def: $vgpr0_vgpr1
.LBB6_21:
	ds_load_b64 v[0:1], v18
.LBB6_22:
	s_and_saveexec_b32 s6, s0
	s_cbranch_execz .LBB6_24
; %bb.23:
	v_mov_b32_e32 v25, 0
	ds_load_b64 v[20:21], v23 offset:40
	ds_load_b64 v[26:27], v25 offset:104
	s_wait_dscnt 0x0
	v_pk_mul_f32 v[28:29], v[26:27], v[20:21] op_sel:[1,1] op_sel_hi:[0,1]
	s_delay_alu instid0(VALU_DEP_1) | instskip(SKIP_1) | instid1(VALU_DEP_2)
	v_pk_fma_f32 v[30:31], v[26:27], v[20:21], v[28:29] op_sel_hi:[1,0,1]
	v_pk_fma_f32 v[20:21], v[26:27], v[20:21], v[28:29] neg_lo:[0,0,1] neg_hi:[0,0,1]
	v_mov_b32_e32 v21, v31
	s_delay_alu instid0(VALU_DEP_1)
	v_pk_add_f32 v[0:1], v[0:1], v[20:21]
.LBB6_24:
	s_or_b32 exec_lo, exec_lo, s6
	v_mov_b32_e32 v20, 0
	ds_load_b64 v[20:21], v20 offset:32
	s_wait_dscnt 0x0
	v_pk_mul_f32 v[26:27], v[0:1], v[20:21] op_sel:[1,1] op_sel_hi:[0,1]
	s_delay_alu instid0(VALU_DEP_1) | instskip(SKIP_1) | instid1(VALU_DEP_2)
	v_pk_fma_f32 v[28:29], v[0:1], v[20:21], v[26:27] op_sel_hi:[1,0,1]
	v_pk_fma_f32 v[0:1], v[0:1], v[20:21], v[26:27] neg_lo:[0,0,1] neg_hi:[0,0,1]
	v_mov_b32_e32 v1, v29
	ds_store_b64 v23, v[0:1] offset:32
.LBB6_25:
	s_or_b32 exec_lo, exec_lo, s4
	ds_load_b64 v[0:1], v23 offset:24
	v_cmp_lt_u32_e64 s0, 3, v22
	s_wait_dscnt 0x0
	ds_store_b64 v18, v[0:1]
	s_wait_dscnt 0x0
	s_barrier_signal -1
	s_barrier_wait -1
	s_and_saveexec_b32 s4, s0
	s_cbranch_execz .LBB6_35
; %bb.26:
	s_and_not1_b32 vcc_lo, exec_lo, s5
	s_cbranch_vccnz .LBB6_28
; %bb.27:
	ds_load_b64 v[0:1], v19
	ds_load_b64 v[20:21], v18
	s_wait_dscnt 0x0
	v_pk_mul_f32 v[26:27], v[20:21], v[0:1] op_sel:[1,1] op_sel_hi:[0,1]
	s_delay_alu instid0(VALU_DEP_1) | instskip(SKIP_1) | instid1(VALU_DEP_2)
	v_pk_fma_f32 v[28:29], v[20:21], v[0:1], v[26:27] op_sel_hi:[1,0,1]
	v_pk_fma_f32 v[0:1], v[20:21], v[0:1], v[26:27] neg_lo:[0,0,1] neg_hi:[0,0,1]
	v_mov_b32_e32 v1, v29
	s_cbranch_execz .LBB6_29
	s_branch .LBB6_30
.LBB6_28:
                                        ; implicit-def: $vgpr0_vgpr1
.LBB6_29:
	ds_load_b64 v[0:1], v18
.LBB6_30:
	s_and_saveexec_b32 s6, s1
	s_cbranch_execz .LBB6_34
; %bb.31:
	v_mad_u32 v20, v24, 56, 0xa0
	v_add_nc_u32_e32 v21, -4, v22
	s_movk_i32 s7, 0x60
	s_mov_b32 s1, 0
.LBB6_32:                               ; =>This Inner Loop Header: Depth=1
	s_delay_alu instid0(VALU_DEP_1)
	v_dual_mov_b32 v25, s7 :: v_dual_add_nc_u32 v21, -1, v21
	s_add_co_i32 s7, s7, 8
	ds_load_b64 v[26:27], v20
	ds_load_b64 v[28:29], v25
	v_add_nc_u32_e32 v20, 8, v20
	v_cmp_eq_u32_e32 vcc_lo, 0, v21
	s_or_b32 s1, vcc_lo, s1
	s_wait_dscnt 0x0
	v_pk_mul_f32 v[30:31], v[28:29], v[26:27] op_sel:[1,1] op_sel_hi:[0,1]
	s_delay_alu instid0(VALU_DEP_1) | instskip(SKIP_1) | instid1(VALU_DEP_2)
	v_pk_fma_f32 v[32:33], v[28:29], v[26:27], v[30:31] op_sel_hi:[1,0,1]
	v_pk_fma_f32 v[26:27], v[28:29], v[26:27], v[30:31] neg_lo:[0,0,1] neg_hi:[0,0,1]
	v_mov_b32_e32 v27, v33
	s_delay_alu instid0(VALU_DEP_1)
	v_pk_add_f32 v[0:1], v[0:1], v[26:27]
	s_and_not1_b32 exec_lo, exec_lo, s1
	s_cbranch_execnz .LBB6_32
; %bb.33:
	s_or_b32 exec_lo, exec_lo, s1
.LBB6_34:
	s_delay_alu instid0(SALU_CYCLE_1) | instskip(SKIP_4) | instid1(VALU_DEP_1)
	s_or_b32 exec_lo, exec_lo, s6
	v_mov_b32_e32 v20, 0
	ds_load_b64 v[20:21], v20 offset:24
	s_wait_dscnt 0x0
	v_pk_mul_f32 v[26:27], v[0:1], v[20:21] op_sel:[1,1] op_sel_hi:[0,1]
	v_pk_fma_f32 v[28:29], v[0:1], v[20:21], v[26:27] op_sel_hi:[1,0,1]
	v_pk_fma_f32 v[0:1], v[0:1], v[20:21], v[26:27] neg_lo:[0,0,1] neg_hi:[0,0,1]
	s_delay_alu instid0(VALU_DEP_2)
	v_mov_b32_e32 v1, v29
	ds_store_b64 v23, v[0:1] offset:24
.LBB6_35:
	s_or_b32 exec_lo, exec_lo, s4
	ds_load_b64 v[0:1], v23 offset:16
	v_cmp_lt_u32_e64 s1, 2, v22
	s_wait_dscnt 0x0
	ds_store_b64 v18, v[0:1]
	s_wait_dscnt 0x0
	s_barrier_signal -1
	s_barrier_wait -1
	s_and_saveexec_b32 s4, s1
	s_cbranch_execz .LBB6_45
; %bb.36:
	s_and_not1_b32 vcc_lo, exec_lo, s5
	s_cbranch_vccnz .LBB6_38
; %bb.37:
	ds_load_b64 v[0:1], v19
	ds_load_b64 v[20:21], v18
	s_wait_dscnt 0x0
	v_pk_mul_f32 v[26:27], v[20:21], v[0:1] op_sel:[1,1] op_sel_hi:[0,1]
	s_delay_alu instid0(VALU_DEP_1) | instskip(SKIP_1) | instid1(VALU_DEP_2)
	v_pk_fma_f32 v[28:29], v[20:21], v[0:1], v[26:27] op_sel_hi:[1,0,1]
	v_pk_fma_f32 v[0:1], v[20:21], v[0:1], v[26:27] neg_lo:[0,0,1] neg_hi:[0,0,1]
	v_mov_b32_e32 v1, v29
	s_cbranch_execz .LBB6_39
	s_branch .LBB6_40
.LBB6_38:
                                        ; implicit-def: $vgpr0_vgpr1
.LBB6_39:
	ds_load_b64 v[0:1], v18
.LBB6_40:
	s_and_saveexec_b32 s6, s0
	s_cbranch_execz .LBB6_44
; %bb.41:
	v_mad_u32 v20, v24, 56, 0x98
	v_add_nc_u32_e32 v21, -3, v22
	s_movk_i32 s7, 0x58
	s_mov_b32 s0, 0
.LBB6_42:                               ; =>This Inner Loop Header: Depth=1
	s_delay_alu instid0(VALU_DEP_1)
	v_dual_mov_b32 v25, s7 :: v_dual_add_nc_u32 v21, -1, v21
	s_add_co_i32 s7, s7, 8
	ds_load_b64 v[26:27], v20
	ds_load_b64 v[28:29], v25
	v_add_nc_u32_e32 v20, 8, v20
	v_cmp_eq_u32_e32 vcc_lo, 0, v21
	s_or_b32 s0, vcc_lo, s0
	s_wait_dscnt 0x0
	v_pk_mul_f32 v[30:31], v[28:29], v[26:27] op_sel:[1,1] op_sel_hi:[0,1]
	s_delay_alu instid0(VALU_DEP_1) | instskip(SKIP_1) | instid1(VALU_DEP_2)
	v_pk_fma_f32 v[32:33], v[28:29], v[26:27], v[30:31] op_sel_hi:[1,0,1]
	v_pk_fma_f32 v[26:27], v[28:29], v[26:27], v[30:31] neg_lo:[0,0,1] neg_hi:[0,0,1]
	v_mov_b32_e32 v27, v33
	s_delay_alu instid0(VALU_DEP_1)
	v_pk_add_f32 v[0:1], v[0:1], v[26:27]
	s_and_not1_b32 exec_lo, exec_lo, s0
	s_cbranch_execnz .LBB6_42
; %bb.43:
	s_or_b32 exec_lo, exec_lo, s0
.LBB6_44:
	s_delay_alu instid0(SALU_CYCLE_1) | instskip(SKIP_4) | instid1(VALU_DEP_1)
	s_or_b32 exec_lo, exec_lo, s6
	v_mov_b32_e32 v20, 0
	ds_load_b64 v[20:21], v20 offset:16
	s_wait_dscnt 0x0
	v_pk_mul_f32 v[26:27], v[0:1], v[20:21] op_sel:[1,1] op_sel_hi:[0,1]
	v_pk_fma_f32 v[28:29], v[0:1], v[20:21], v[26:27] op_sel_hi:[1,0,1]
	v_pk_fma_f32 v[0:1], v[0:1], v[20:21], v[26:27] neg_lo:[0,0,1] neg_hi:[0,0,1]
	s_delay_alu instid0(VALU_DEP_2)
	v_mov_b32_e32 v1, v29
	ds_store_b64 v23, v[0:1] offset:16
.LBB6_45:
	s_or_b32 exec_lo, exec_lo, s4
	ds_load_b64 v[0:1], v23 offset:8
	v_cmp_lt_u32_e64 s0, 1, v22
	s_wait_dscnt 0x0
	ds_store_b64 v18, v[0:1]
	s_wait_dscnt 0x0
	s_barrier_signal -1
	s_barrier_wait -1
	s_and_saveexec_b32 s4, s0
	s_cbranch_execz .LBB6_55
; %bb.46:
	s_and_not1_b32 vcc_lo, exec_lo, s5
	s_cbranch_vccnz .LBB6_48
; %bb.47:
	ds_load_b64 v[0:1], v19
	ds_load_b64 v[20:21], v18
	s_wait_dscnt 0x0
	v_pk_mul_f32 v[26:27], v[20:21], v[0:1] op_sel:[1,1] op_sel_hi:[0,1]
	s_delay_alu instid0(VALU_DEP_1) | instskip(SKIP_1) | instid1(VALU_DEP_2)
	v_pk_fma_f32 v[28:29], v[20:21], v[0:1], v[26:27] op_sel_hi:[1,0,1]
	v_pk_fma_f32 v[0:1], v[20:21], v[0:1], v[26:27] neg_lo:[0,0,1] neg_hi:[0,0,1]
	v_mov_b32_e32 v1, v29
	s_cbranch_execz .LBB6_49
	s_branch .LBB6_50
.LBB6_48:
                                        ; implicit-def: $vgpr0_vgpr1
.LBB6_49:
	ds_load_b64 v[0:1], v18
.LBB6_50:
	s_and_saveexec_b32 s6, s1
	s_cbranch_execz .LBB6_54
; %bb.51:
	v_mad_u32 v20, v24, 56, 0x90
	v_add_nc_u32_e32 v21, -2, v22
	s_movk_i32 s7, 0x50
	s_mov_b32 s1, 0
.LBB6_52:                               ; =>This Inner Loop Header: Depth=1
	s_delay_alu instid0(VALU_DEP_1)
	v_dual_mov_b32 v25, s7 :: v_dual_add_nc_u32 v21, -1, v21
	s_add_co_i32 s7, s7, 8
	ds_load_b64 v[26:27], v20
	ds_load_b64 v[28:29], v25
	v_add_nc_u32_e32 v20, 8, v20
	v_cmp_eq_u32_e32 vcc_lo, 0, v21
	s_or_b32 s1, vcc_lo, s1
	s_wait_dscnt 0x0
	v_pk_mul_f32 v[30:31], v[28:29], v[26:27] op_sel:[1,1] op_sel_hi:[0,1]
	s_delay_alu instid0(VALU_DEP_1) | instskip(SKIP_1) | instid1(VALU_DEP_2)
	v_pk_fma_f32 v[32:33], v[28:29], v[26:27], v[30:31] op_sel_hi:[1,0,1]
	v_pk_fma_f32 v[26:27], v[28:29], v[26:27], v[30:31] neg_lo:[0,0,1] neg_hi:[0,0,1]
	v_mov_b32_e32 v27, v33
	s_delay_alu instid0(VALU_DEP_1)
	v_pk_add_f32 v[0:1], v[0:1], v[26:27]
	s_and_not1_b32 exec_lo, exec_lo, s1
	s_cbranch_execnz .LBB6_52
; %bb.53:
	s_or_b32 exec_lo, exec_lo, s1
.LBB6_54:
	s_delay_alu instid0(SALU_CYCLE_1) | instskip(SKIP_4) | instid1(VALU_DEP_1)
	s_or_b32 exec_lo, exec_lo, s6
	v_mov_b32_e32 v20, 0
	ds_load_b64 v[20:21], v20 offset:8
	s_wait_dscnt 0x0
	v_pk_mul_f32 v[26:27], v[0:1], v[20:21] op_sel:[1,1] op_sel_hi:[0,1]
	v_pk_fma_f32 v[28:29], v[0:1], v[20:21], v[26:27] op_sel_hi:[1,0,1]
	v_pk_fma_f32 v[0:1], v[0:1], v[20:21], v[26:27] neg_lo:[0,0,1] neg_hi:[0,0,1]
	s_delay_alu instid0(VALU_DEP_2)
	v_mov_b32_e32 v1, v29
	ds_store_b64 v23, v[0:1] offset:8
.LBB6_55:
	s_or_b32 exec_lo, exec_lo, s4
	ds_load_b64 v[0:1], v23
	s_mov_b32 s4, 0
	s_mov_b32 s1, 0
	s_mov_b32 s6, exec_lo
                                        ; implicit-def: $vgpr21
                                        ; implicit-def: $vgpr25
	s_wait_dscnt 0x0
	ds_store_b64 v18, v[0:1]
	s_wait_dscnt 0x0
	s_barrier_signal -1
	s_barrier_wait -1
	v_cmpx_ne_u32_e32 0, v22
	s_cbranch_execz .LBB6_65
; %bb.56:
	s_and_not1_b32 vcc_lo, exec_lo, s5
	s_cbranch_vccnz .LBB6_58
; %bb.57:
	ds_load_b64 v[20:21], v19
	ds_load_b64 v[26:27], v18
	s_wait_dscnt 0x0
	v_dual_mul_f32 v0, v27, v21 :: v_dual_mul_f32 v1, v26, v21
	s_delay_alu instid0(VALU_DEP_1)
	v_dual_fma_f32 v0, v26, v20, -v0 :: v_dual_fmac_f32 v1, v27, v20
	s_and_not1_b32 vcc_lo, exec_lo, s1
	s_cbranch_vccz .LBB6_59
	s_branch .LBB6_60
.LBB6_58:
                                        ; implicit-def: $vgpr0
.LBB6_59:
	ds_load_b64 v[0:1], v18
.LBB6_60:
	s_and_saveexec_b32 s1, s0
	s_cbranch_execz .LBB6_64
; %bb.61:
	v_mad_u32 v20, v24, 56, 0x88
	v_add_nc_u32_e32 v21, -1, v22
	s_movk_i32 s7, 0x48
	s_mov_b32 s0, 0
.LBB6_62:                               ; =>This Inner Loop Header: Depth=1
	v_mov_b32_e32 v26, s7
	s_add_co_i32 s7, s7, 8
	ds_load_b64 v[24:25], v20
	ds_load_b64 v[26:27], v26
	s_wait_dscnt 0x0
	v_dual_mul_f32 v28, v27, v25 :: v_dual_mul_f32 v25, v26, v25
	s_delay_alu instid0(VALU_DEP_1) | instskip(NEXT) | instid1(VALU_DEP_2)
	v_dual_fma_f32 v26, v26, v24, -v28 :: v_dual_add_nc_u32 v21, -1, v21
	v_fmac_f32_e32 v25, v27, v24
	s_delay_alu instid0(VALU_DEP_2) | instskip(NEXT) | instid1(VALU_DEP_3)
	v_dual_add_nc_u32 v20, 8, v20 :: v_dual_add_f32 v0, v0, v26
	v_cmp_eq_u32_e32 vcc_lo, 0, v21
	s_delay_alu instid0(VALU_DEP_3) | instskip(SKIP_1) | instid1(SALU_CYCLE_1)
	v_add_f32_e32 v1, v1, v25
	s_or_b32 s0, vcc_lo, s0
	s_and_not1_b32 exec_lo, exec_lo, s0
	s_cbranch_execnz .LBB6_62
; %bb.63:
	s_or_b32 exec_lo, exec_lo, s0
.LBB6_64:
	s_delay_alu instid0(SALU_CYCLE_1)
	s_or_b32 exec_lo, exec_lo, s1
	v_mov_b32_e32 v20, 0
	s_mov_b32 s1, exec_lo
	v_add_nc_u32_e32 v25, 4, v23
	ds_load_b64 v[20:21], v20
	s_wait_dscnt 0x0
	v_dual_mul_f32 v24, v1, v21 :: v_dual_mul_f32 v21, v0, v21
	s_delay_alu instid0(VALU_DEP_1)
	v_dual_fma_f32 v0, v0, v20, -v24 :: v_dual_fmac_f32 v21, v1, v20
	ds_store_b32 v23, v0
.LBB6_65:
	s_or_b32 exec_lo, exec_lo, s6
	s_delay_alu instid0(SALU_CYCLE_1)
	s_and_b32 vcc_lo, exec_lo, s4
	s_cbranch_vccz .LBB6_121
.LBB6_66:
	ds_load_b64 v[0:1], v23 offset:8
	v_cmp_eq_u32_e64 s0, 0, v22
	s_wait_dscnt 0x0
	ds_store_b64 v18, v[0:1]
	s_wait_dscnt 0x0
	s_barrier_signal -1
	s_barrier_wait -1
	s_and_saveexec_b32 s4, s0
	s_cbranch_execz .LBB6_72
; %bb.67:
	s_and_b32 vcc_lo, exec_lo, s5
	s_cbranch_vccz .LBB6_69
; %bb.68:
	ds_load_b64 v[0:1], v19
	ds_load_b64 v[20:21], v18
	s_wait_dscnt 0x0
	v_pk_mul_f32 v[24:25], v[20:21], v[0:1] op_sel:[1,1] op_sel_hi:[0,1]
	v_pk_mul_f32 v[26:27], v[20:21], v[0:1] op_sel_hi:[1,0]
	s_delay_alu instid0(VALU_DEP_2) | instskip(NEXT) | instid1(VALU_DEP_2)
	v_pk_fma_f32 v[0:1], v[20:21], v[0:1], v[24:25] op_sel_hi:[1,0,1]
	v_sub_f32_e32 v0, v26, v24
	s_cbranch_execz .LBB6_70
	s_branch .LBB6_71
.LBB6_69:
                                        ; implicit-def: $vgpr1
.LBB6_70:
	ds_load_b64 v[0:1], v18
.LBB6_71:
	s_wait_dscnt 0x0
	v_dual_mov_b32 v20, 0 :: v_dual_mov_b32 v24, v1
	v_mov_b32_e32 v25, v0
	ds_load_b64 v[20:21], v20 offset:8
	s_wait_dscnt 0x0
	v_pk_mul_f32 v[24:25], v[24:25], v[20:21] op_sel:[0,1]
	s_delay_alu instid0(VALU_DEP_1) | instskip(SKIP_1) | instid1(VALU_DEP_2)
	v_pk_fma_f32 v[26:27], v[0:1], v[20:21], v[24:25] op_sel_hi:[1,0,1]
	v_pk_fma_f32 v[0:1], v[0:1], v[20:21], v[24:25] neg_lo:[0,0,1] neg_hi:[0,0,1]
	v_mov_b32_e32 v1, v27
	ds_store_b64 v23, v[0:1] offset:8
.LBB6_72:
	s_or_b32 exec_lo, exec_lo, s4
	ds_load_b64 v[0:1], v23 offset:16
	v_cndmask_b32_e64 v20, 0, 1, s5
	s_mov_b32 s4, exec_lo
	s_wait_dscnt 0x0
	ds_store_b64 v18, v[0:1]
	s_wait_dscnt 0x0
	s_barrier_signal -1
	s_barrier_wait -1
	v_cmpx_gt_u32_e32 2, v22
	s_cbranch_execz .LBB6_80
; %bb.73:
	s_and_not1_b32 vcc_lo, exec_lo, s5
	s_cbranch_vccnz .LBB6_75
; %bb.74:
	ds_load_b64 v[0:1], v19
	ds_load_b64 v[24:25], v18
	s_wait_dscnt 0x0
	v_pk_mul_f32 v[26:27], v[24:25], v[0:1] op_sel:[1,1] op_sel_hi:[0,1]
	s_delay_alu instid0(VALU_DEP_1) | instskip(SKIP_1) | instid1(VALU_DEP_2)
	v_pk_fma_f32 v[28:29], v[24:25], v[0:1], v[26:27] op_sel_hi:[1,0,1]
	v_pk_fma_f32 v[0:1], v[24:25], v[0:1], v[26:27] neg_lo:[0,0,1] neg_hi:[0,0,1]
	v_mov_b32_e32 v1, v29
	s_cbranch_execz .LBB6_76
	s_branch .LBB6_77
.LBB6_75:
                                        ; implicit-def: $vgpr0_vgpr1
.LBB6_76:
	ds_load_b64 v[0:1], v18
.LBB6_77:
	s_and_saveexec_b32 s5, s0
	s_cbranch_execz .LBB6_79
; %bb.78:
	v_mov_b32_e32 v21, 0
	ds_load_b64 v[24:25], v23 offset:8
	ds_load_b64 v[26:27], v21 offset:72
	s_wait_dscnt 0x0
	v_pk_mul_f32 v[28:29], v[26:27], v[24:25] op_sel:[1,1] op_sel_hi:[0,1]
	s_delay_alu instid0(VALU_DEP_1) | instskip(SKIP_1) | instid1(VALU_DEP_2)
	v_pk_fma_f32 v[30:31], v[26:27], v[24:25], v[28:29] op_sel_hi:[1,0,1]
	v_pk_fma_f32 v[24:25], v[26:27], v[24:25], v[28:29] neg_lo:[0,0,1] neg_hi:[0,0,1]
	v_mov_b32_e32 v25, v31
	s_delay_alu instid0(VALU_DEP_1)
	v_pk_add_f32 v[0:1], v[0:1], v[24:25]
.LBB6_79:
	s_or_b32 exec_lo, exec_lo, s5
	v_mov_b32_e32 v21, 0
	ds_load_b64 v[24:25], v21 offset:16
	s_wait_dscnt 0x0
	v_pk_mul_f32 v[26:27], v[0:1], v[24:25] op_sel:[1,1] op_sel_hi:[0,1]
	s_delay_alu instid0(VALU_DEP_1) | instskip(SKIP_1) | instid1(VALU_DEP_2)
	v_pk_fma_f32 v[28:29], v[0:1], v[24:25], v[26:27] op_sel_hi:[1,0,1]
	v_pk_fma_f32 v[0:1], v[0:1], v[24:25], v[26:27] neg_lo:[0,0,1] neg_hi:[0,0,1]
	v_mov_b32_e32 v1, v29
	ds_store_b64 v23, v[0:1] offset:16
.LBB6_80:
	s_or_b32 exec_lo, exec_lo, s4
	ds_load_b64 v[0:1], v23 offset:24
	s_mov_b32 s4, exec_lo
	s_wait_dscnt 0x0
	ds_store_b64 v18, v[0:1]
	s_wait_dscnt 0x0
	s_barrier_signal -1
	s_barrier_wait -1
	v_cmpx_gt_u32_e32 3, v22
	s_cbranch_execz .LBB6_90
; %bb.81:
	v_cmp_ne_u32_e32 vcc_lo, 1, v20
	s_cbranch_vccnz .LBB6_83
; %bb.82:
	ds_load_b64 v[0:1], v19
	ds_load_b64 v[24:25], v18
	s_wait_dscnt 0x0
	v_pk_mul_f32 v[26:27], v[24:25], v[0:1] op_sel:[1,1] op_sel_hi:[0,1]
	s_delay_alu instid0(VALU_DEP_1) | instskip(SKIP_1) | instid1(VALU_DEP_2)
	v_pk_fma_f32 v[28:29], v[24:25], v[0:1], v[26:27] op_sel_hi:[1,0,1]
	v_pk_fma_f32 v[0:1], v[24:25], v[0:1], v[26:27] neg_lo:[0,0,1] neg_hi:[0,0,1]
	v_mov_b32_e32 v1, v29
	s_cbranch_execz .LBB6_84
	s_branch .LBB6_85
.LBB6_83:
                                        ; implicit-def: $vgpr0_vgpr1
.LBB6_84:
	ds_load_b64 v[0:1], v18
.LBB6_85:
	s_mov_b32 s5, exec_lo
	v_cmpx_ne_u32_e32 2, v22
	s_cbranch_execz .LBB6_89
; %bb.86:
	ds_load_b64 v[24:25], v19 offset:8
	ds_load_b64 v[26:27], v18 offset:8
	s_wait_dscnt 0x0
	v_pk_mul_f32 v[28:29], v[26:27], v[24:25] op_sel:[1,1] op_sel_hi:[0,1]
	s_delay_alu instid0(VALU_DEP_1) | instskip(SKIP_1) | instid1(VALU_DEP_2)
	v_pk_fma_f32 v[30:31], v[26:27], v[24:25], v[28:29] op_sel_hi:[1,0,1]
	v_pk_fma_f32 v[24:25], v[26:27], v[24:25], v[28:29] neg_lo:[0,0,1] neg_hi:[0,0,1]
	v_mov_b32_e32 v25, v31
	s_delay_alu instid0(VALU_DEP_1)
	v_pk_add_f32 v[0:1], v[0:1], v[24:25]
	s_and_saveexec_b32 s6, s0
	s_cbranch_execz .LBB6_88
; %bb.87:
	v_mov_b32_e32 v21, 0
	ds_load_b64 v[24:25], v21 offset:80
	ds_load_b64 v[26:27], v23 offset:16
	s_wait_dscnt 0x0
	v_pk_mul_f32 v[28:29], v[24:25], v[26:27] op_sel:[1,1] op_sel_hi:[0,1]
	s_delay_alu instid0(VALU_DEP_1) | instskip(SKIP_1) | instid1(VALU_DEP_2)
	v_pk_fma_f32 v[30:31], v[24:25], v[26:27], v[28:29] op_sel_hi:[1,0,1]
	v_pk_fma_f32 v[24:25], v[24:25], v[26:27], v[28:29] neg_lo:[0,0,1] neg_hi:[0,0,1]
	v_mov_b32_e32 v25, v31
	s_delay_alu instid0(VALU_DEP_1)
	v_pk_add_f32 v[0:1], v[0:1], v[24:25]
.LBB6_88:
	s_or_b32 exec_lo, exec_lo, s6
.LBB6_89:
	s_delay_alu instid0(SALU_CYCLE_1) | instskip(SKIP_4) | instid1(VALU_DEP_1)
	s_or_b32 exec_lo, exec_lo, s5
	v_mov_b32_e32 v21, 0
	ds_load_b64 v[24:25], v21 offset:24
	s_wait_dscnt 0x0
	v_pk_mul_f32 v[26:27], v[0:1], v[24:25] op_sel:[1,1] op_sel_hi:[0,1]
	v_pk_fma_f32 v[28:29], v[0:1], v[24:25], v[26:27] op_sel_hi:[1,0,1]
	v_pk_fma_f32 v[0:1], v[0:1], v[24:25], v[26:27] neg_lo:[0,0,1] neg_hi:[0,0,1]
	s_delay_alu instid0(VALU_DEP_2)
	v_mov_b32_e32 v1, v29
	ds_store_b64 v23, v[0:1] offset:24
.LBB6_90:
	s_or_b32 exec_lo, exec_lo, s4
	ds_load_b64 v[0:1], v23 offset:32
	s_mov_b32 s0, exec_lo
	s_wait_dscnt 0x0
	ds_store_b64 v18, v[0:1]
	s_wait_dscnt 0x0
	s_barrier_signal -1
	s_barrier_wait -1
	v_cmpx_gt_u32_e32 4, v22
	s_cbranch_execz .LBB6_100
; %bb.91:
	v_cmp_ne_u32_e32 vcc_lo, 1, v20
	s_cbranch_vccnz .LBB6_93
; %bb.92:
	ds_load_b64 v[0:1], v19
	ds_load_b64 v[24:25], v18
	s_wait_dscnt 0x0
	v_pk_mul_f32 v[26:27], v[24:25], v[0:1] op_sel:[1,1] op_sel_hi:[0,1]
	s_delay_alu instid0(VALU_DEP_1) | instskip(SKIP_1) | instid1(VALU_DEP_2)
	v_pk_fma_f32 v[28:29], v[24:25], v[0:1], v[26:27] op_sel_hi:[1,0,1]
	v_pk_fma_f32 v[0:1], v[24:25], v[0:1], v[26:27] neg_lo:[0,0,1] neg_hi:[0,0,1]
	v_mov_b32_e32 v1, v29
	s_cbranch_execz .LBB6_94
	s_branch .LBB6_95
.LBB6_93:
                                        ; implicit-def: $vgpr0_vgpr1
.LBB6_94:
	ds_load_b64 v[0:1], v18
.LBB6_95:
	s_mov_b32 s4, exec_lo
	v_cmpx_ne_u32_e32 3, v22
	s_cbranch_execz .LBB6_99
; %bb.96:
	v_add_nc_u32_e32 v21, 0x48, v16
	v_add3_u32 v24, v17, v16, 0x88
	v_mov_b32_e32 v25, v22
	s_mov_b32 s5, 0
.LBB6_97:                               ; =>This Inner Loop Header: Depth=1
	ds_load_b64 v[26:27], v24
	ds_load_b64 v[28:29], v21
	v_dual_add_nc_u32 v21, 8, v21 :: v_dual_add_nc_u32 v24, 8, v24
	s_wait_dscnt 0x0
	v_pk_mul_f32 v[30:31], v[28:29], v[26:27] op_sel:[1,1] op_sel_hi:[0,1]
	s_delay_alu instid0(VALU_DEP_1) | instskip(SKIP_2) | instid1(VALU_DEP_3)
	v_pk_fma_f32 v[32:33], v[28:29], v[26:27], v[30:31] op_sel_hi:[1,0,1]
	v_add_nc_u32_e32 v25, 1, v25
	v_pk_fma_f32 v[26:27], v[28:29], v[26:27], v[30:31] neg_lo:[0,0,1] neg_hi:[0,0,1]
	v_mov_b32_e32 v27, v33
	s_delay_alu instid0(VALU_DEP_3) | instskip(NEXT) | instid1(VALU_DEP_2)
	v_cmp_lt_u32_e32 vcc_lo, 2, v25
	v_pk_add_f32 v[0:1], v[0:1], v[26:27]
	s_or_b32 s5, vcc_lo, s5
	s_delay_alu instid0(SALU_CYCLE_1)
	s_and_not1_b32 exec_lo, exec_lo, s5
	s_cbranch_execnz .LBB6_97
; %bb.98:
	s_or_b32 exec_lo, exec_lo, s5
.LBB6_99:
	s_delay_alu instid0(SALU_CYCLE_1) | instskip(SKIP_4) | instid1(VALU_DEP_1)
	s_or_b32 exec_lo, exec_lo, s4
	v_mov_b32_e32 v21, 0
	ds_load_b64 v[24:25], v21 offset:32
	s_wait_dscnt 0x0
	v_pk_mul_f32 v[26:27], v[0:1], v[24:25] op_sel:[1,1] op_sel_hi:[0,1]
	v_pk_fma_f32 v[28:29], v[0:1], v[24:25], v[26:27] op_sel_hi:[1,0,1]
	v_pk_fma_f32 v[0:1], v[0:1], v[24:25], v[26:27] neg_lo:[0,0,1] neg_hi:[0,0,1]
	s_delay_alu instid0(VALU_DEP_2)
	v_mov_b32_e32 v1, v29
	ds_store_b64 v23, v[0:1] offset:32
.LBB6_100:
	s_or_b32 exec_lo, exec_lo, s0
	ds_load_b64 v[0:1], v23 offset:40
	v_cmp_gt_u32_e64 s0, 5, v22
	s_wait_dscnt 0x0
	ds_store_b64 v18, v[0:1]
	s_wait_dscnt 0x0
	s_barrier_signal -1
	s_barrier_wait -1
	s_and_saveexec_b32 s4, s0
	s_cbranch_execz .LBB6_110
; %bb.101:
	v_cmp_ne_u32_e32 vcc_lo, 1, v20
	s_cbranch_vccnz .LBB6_103
; %bb.102:
	ds_load_b64 v[0:1], v19
	ds_load_b64 v[24:25], v18
	s_wait_dscnt 0x0
	v_pk_mul_f32 v[26:27], v[24:25], v[0:1] op_sel:[1,1] op_sel_hi:[0,1]
	s_delay_alu instid0(VALU_DEP_1) | instskip(SKIP_1) | instid1(VALU_DEP_2)
	v_pk_fma_f32 v[28:29], v[24:25], v[0:1], v[26:27] op_sel_hi:[1,0,1]
	v_pk_fma_f32 v[0:1], v[24:25], v[0:1], v[26:27] neg_lo:[0,0,1] neg_hi:[0,0,1]
	v_mov_b32_e32 v1, v29
	s_cbranch_execz .LBB6_104
	s_branch .LBB6_105
.LBB6_103:
                                        ; implicit-def: $vgpr0_vgpr1
.LBB6_104:
	ds_load_b64 v[0:1], v18
.LBB6_105:
	s_mov_b32 s5, exec_lo
	v_cmpx_ne_u32_e32 4, v22
	s_cbranch_execz .LBB6_109
; %bb.106:
	v_add_nc_u32_e32 v21, 0x48, v16
	v_add3_u32 v24, v17, v16, 0x88
	v_mov_b32_e32 v25, v22
	s_mov_b32 s6, 0
.LBB6_107:                              ; =>This Inner Loop Header: Depth=1
	ds_load_b64 v[26:27], v24
	ds_load_b64 v[28:29], v21
	v_dual_add_nc_u32 v21, 8, v21 :: v_dual_add_nc_u32 v24, 8, v24
	s_wait_dscnt 0x0
	v_pk_mul_f32 v[30:31], v[28:29], v[26:27] op_sel:[1,1] op_sel_hi:[0,1]
	s_delay_alu instid0(VALU_DEP_1) | instskip(SKIP_2) | instid1(VALU_DEP_3)
	v_pk_fma_f32 v[32:33], v[28:29], v[26:27], v[30:31] op_sel_hi:[1,0,1]
	v_add_nc_u32_e32 v25, 1, v25
	v_pk_fma_f32 v[26:27], v[28:29], v[26:27], v[30:31] neg_lo:[0,0,1] neg_hi:[0,0,1]
	v_mov_b32_e32 v27, v33
	s_delay_alu instid0(VALU_DEP_3) | instskip(NEXT) | instid1(VALU_DEP_2)
	v_cmp_lt_u32_e32 vcc_lo, 3, v25
	v_pk_add_f32 v[0:1], v[0:1], v[26:27]
	s_or_b32 s6, vcc_lo, s6
	s_delay_alu instid0(SALU_CYCLE_1)
	s_and_not1_b32 exec_lo, exec_lo, s6
	s_cbranch_execnz .LBB6_107
; %bb.108:
	s_or_b32 exec_lo, exec_lo, s6
.LBB6_109:
	s_delay_alu instid0(SALU_CYCLE_1) | instskip(SKIP_4) | instid1(VALU_DEP_1)
	s_or_b32 exec_lo, exec_lo, s5
	v_mov_b32_e32 v21, 0
	ds_load_b64 v[24:25], v21 offset:40
	s_wait_dscnt 0x0
	v_pk_mul_f32 v[26:27], v[0:1], v[24:25] op_sel:[1,1] op_sel_hi:[0,1]
	v_pk_fma_f32 v[28:29], v[0:1], v[24:25], v[26:27] op_sel_hi:[1,0,1]
	v_pk_fma_f32 v[0:1], v[0:1], v[24:25], v[26:27] neg_lo:[0,0,1] neg_hi:[0,0,1]
	s_delay_alu instid0(VALU_DEP_2)
	v_mov_b32_e32 v1, v29
	ds_store_b64 v23, v[0:1] offset:40
.LBB6_110:
	s_or_b32 exec_lo, exec_lo, s4
	ds_load_b64 v[0:1], v23 offset:48
	s_mov_b32 s4, exec_lo
                                        ; implicit-def: $vgpr21
                                        ; implicit-def: $vgpr25
	s_wait_dscnt 0x0
	ds_store_b64 v18, v[0:1]
	s_wait_dscnt 0x0
	s_barrier_signal -1
	s_barrier_wait -1
	v_cmpx_ne_u32_e32 6, v22
	s_cbranch_execz .LBB6_120
; %bb.111:
	v_cmp_ne_u32_e32 vcc_lo, 1, v20
	s_cbranch_vccnz .LBB6_113
; %bb.112:
	ds_load_b64 v[20:21], v19
	ds_load_b64 v[24:25], v18
	s_wait_dscnt 0x0
	v_dual_mul_f32 v0, v25, v21 :: v_dual_mul_f32 v1, v24, v21
	s_delay_alu instid0(VALU_DEP_1)
	v_dual_fma_f32 v0, v24, v20, -v0 :: v_dual_fmac_f32 v1, v25, v20
	s_cbranch_execz .LBB6_114
	s_branch .LBB6_115
.LBB6_113:
                                        ; implicit-def: $vgpr1
.LBB6_114:
	ds_load_b64 v[0:1], v18
.LBB6_115:
	s_and_saveexec_b32 s5, s0
	s_cbranch_execz .LBB6_119
; %bb.116:
	v_add_nc_u32_e32 v18, 0x48, v16
	v_add3_u32 v16, v17, v16, 0x88
	s_mov_b32 s0, 0
.LBB6_117:                              ; =>This Inner Loop Header: Depth=1
	ds_load_b64 v[20:21], v16
	ds_load_b64 v[24:25], v18
	s_wait_dscnt 0x0
	v_dual_mul_f32 v17, v25, v21 :: v_dual_add_nc_u32 v18, 8, v18
	v_dual_mul_f32 v19, v24, v21 :: v_dual_add_nc_u32 v22, 1, v22
	s_delay_alu instid0(VALU_DEP_1) | instskip(NEXT) | instid1(VALU_DEP_2)
	v_dual_fma_f32 v17, v24, v20, -v17 :: v_dual_fmac_f32 v19, v25, v20
	v_cmp_lt_u32_e32 vcc_lo, 4, v22
	s_delay_alu instid0(VALU_DEP_2) | instskip(NEXT) | instid1(VALU_DEP_3)
	v_dual_add_nc_u32 v16, 8, v16 :: v_dual_add_f32 v0, v0, v17
	v_add_f32_e32 v1, v1, v19
	s_or_b32 s0, vcc_lo, s0
	s_delay_alu instid0(SALU_CYCLE_1)
	s_and_not1_b32 exec_lo, exec_lo, s0
	s_cbranch_execnz .LBB6_117
; %bb.118:
	s_or_b32 exec_lo, exec_lo, s0
.LBB6_119:
	s_delay_alu instid0(SALU_CYCLE_1)
	s_or_b32 exec_lo, exec_lo, s5
	v_mov_b32_e32 v16, 0
	s_or_b32 s1, s1, exec_lo
	v_add_nc_u32_e32 v25, 52, v23
	ds_load_b64 v[16:17], v16 offset:48
	s_wait_dscnt 0x0
	v_dual_mul_f32 v18, v1, v17 :: v_dual_mul_f32 v21, v0, v17
	s_delay_alu instid0(VALU_DEP_1)
	v_dual_fma_f32 v0, v0, v16, -v18 :: v_dual_fmac_f32 v21, v1, v16
	ds_store_b32 v23, v0 offset:48
.LBB6_120:
	s_or_b32 exec_lo, exec_lo, s4
.LBB6_121:
	v_lshl_add_u64 v[16:17], v[4:5], 3, s[2:3]
	v_lshl_add_u64 v[18:19], v[6:7], 3, s[2:3]
	;; [unrolled: 1-line block ×5, first 2 shown]
	s_and_saveexec_b32 s0, s1
; %bb.122:
	ds_store_b32 v25, v21
; %bb.123:
	s_or_b32 exec_lo, exec_lo, s0
	ds_load_b128 v[10:13], v23
	ds_load_b128 v[24:27], v23 offset:16
	ds_load_b128 v[28:31], v23 offset:32
	ds_load_b64 v[14:15], v23 offset:48
	s_wait_dscnt 0x3
	s_clause 0x1
	global_store_b64 v[2:3], v[10:11], off
	global_store_b64 v[8:9], v[12:13], off
	s_wait_dscnt 0x2
	s_clause 0x1
	global_store_b64 v[16:17], v[24:25], off
	global_store_b64 v[18:19], v[26:27], off
	;; [unrolled: 4-line block ×3, first 2 shown]
	s_wait_dscnt 0x0
	global_store_b64 v[6:7], v[14:15], off
.LBB6_124:
	s_endpgm
	.section	.rodata,"a",@progbits
	.p2align	6, 0x0
	.amdhsa_kernel _ZN9rocsolver6v33100L18trti2_kernel_smallILi7E19rocblas_complex_numIfEPS3_EEv13rocblas_fill_17rocblas_diagonal_T1_iil
		.amdhsa_group_segment_fixed_size 3712
		.amdhsa_private_segment_fixed_size 0
		.amdhsa_kernarg_size 32
		.amdhsa_user_sgpr_count 4
		.amdhsa_user_sgpr_dispatch_ptr 1
		.amdhsa_user_sgpr_queue_ptr 0
		.amdhsa_user_sgpr_kernarg_segment_ptr 1
		.amdhsa_user_sgpr_dispatch_id 0
		.amdhsa_user_sgpr_kernarg_preload_length 0
		.amdhsa_user_sgpr_kernarg_preload_offset 0
		.amdhsa_user_sgpr_private_segment_size 0
		.amdhsa_wavefront_size32 1
		.amdhsa_uses_dynamic_stack 0
		.amdhsa_enable_private_segment 0
		.amdhsa_system_sgpr_workgroup_id_x 1
		.amdhsa_system_sgpr_workgroup_id_y 0
		.amdhsa_system_sgpr_workgroup_id_z 0
		.amdhsa_system_sgpr_workgroup_info 0
		.amdhsa_system_vgpr_workitem_id 2
		.amdhsa_next_free_vgpr 36
		.amdhsa_next_free_sgpr 14
		.amdhsa_named_barrier_count 0
		.amdhsa_reserve_vcc 1
		.amdhsa_float_round_mode_32 0
		.amdhsa_float_round_mode_16_64 0
		.amdhsa_float_denorm_mode_32 3
		.amdhsa_float_denorm_mode_16_64 3
		.amdhsa_fp16_overflow 0
		.amdhsa_memory_ordered 1
		.amdhsa_forward_progress 1
		.amdhsa_inst_pref_size 38
		.amdhsa_round_robin_scheduling 0
		.amdhsa_exception_fp_ieee_invalid_op 0
		.amdhsa_exception_fp_denorm_src 0
		.amdhsa_exception_fp_ieee_div_zero 0
		.amdhsa_exception_fp_ieee_overflow 0
		.amdhsa_exception_fp_ieee_underflow 0
		.amdhsa_exception_fp_ieee_inexact 0
		.amdhsa_exception_int_div_zero 0
	.end_amdhsa_kernel
	.section	.text._ZN9rocsolver6v33100L18trti2_kernel_smallILi7E19rocblas_complex_numIfEPS3_EEv13rocblas_fill_17rocblas_diagonal_T1_iil,"axG",@progbits,_ZN9rocsolver6v33100L18trti2_kernel_smallILi7E19rocblas_complex_numIfEPS3_EEv13rocblas_fill_17rocblas_diagonal_T1_iil,comdat
.Lfunc_end6:
	.size	_ZN9rocsolver6v33100L18trti2_kernel_smallILi7E19rocblas_complex_numIfEPS3_EEv13rocblas_fill_17rocblas_diagonal_T1_iil, .Lfunc_end6-_ZN9rocsolver6v33100L18trti2_kernel_smallILi7E19rocblas_complex_numIfEPS3_EEv13rocblas_fill_17rocblas_diagonal_T1_iil
                                        ; -- End function
	.set _ZN9rocsolver6v33100L18trti2_kernel_smallILi7E19rocblas_complex_numIfEPS3_EEv13rocblas_fill_17rocblas_diagonal_T1_iil.num_vgpr, 36
	.set _ZN9rocsolver6v33100L18trti2_kernel_smallILi7E19rocblas_complex_numIfEPS3_EEv13rocblas_fill_17rocblas_diagonal_T1_iil.num_agpr, 0
	.set _ZN9rocsolver6v33100L18trti2_kernel_smallILi7E19rocblas_complex_numIfEPS3_EEv13rocblas_fill_17rocblas_diagonal_T1_iil.numbered_sgpr, 14
	.set _ZN9rocsolver6v33100L18trti2_kernel_smallILi7E19rocblas_complex_numIfEPS3_EEv13rocblas_fill_17rocblas_diagonal_T1_iil.num_named_barrier, 0
	.set _ZN9rocsolver6v33100L18trti2_kernel_smallILi7E19rocblas_complex_numIfEPS3_EEv13rocblas_fill_17rocblas_diagonal_T1_iil.private_seg_size, 0
	.set _ZN9rocsolver6v33100L18trti2_kernel_smallILi7E19rocblas_complex_numIfEPS3_EEv13rocblas_fill_17rocblas_diagonal_T1_iil.uses_vcc, 1
	.set _ZN9rocsolver6v33100L18trti2_kernel_smallILi7E19rocblas_complex_numIfEPS3_EEv13rocblas_fill_17rocblas_diagonal_T1_iil.uses_flat_scratch, 0
	.set _ZN9rocsolver6v33100L18trti2_kernel_smallILi7E19rocblas_complex_numIfEPS3_EEv13rocblas_fill_17rocblas_diagonal_T1_iil.has_dyn_sized_stack, 0
	.set _ZN9rocsolver6v33100L18trti2_kernel_smallILi7E19rocblas_complex_numIfEPS3_EEv13rocblas_fill_17rocblas_diagonal_T1_iil.has_recursion, 0
	.set _ZN9rocsolver6v33100L18trti2_kernel_smallILi7E19rocblas_complex_numIfEPS3_EEv13rocblas_fill_17rocblas_diagonal_T1_iil.has_indirect_call, 0
	.section	.AMDGPU.csdata,"",@progbits
; Kernel info:
; codeLenInByte = 4788
; TotalNumSgprs: 16
; NumVgprs: 36
; ScratchSize: 0
; MemoryBound: 0
; FloatMode: 240
; IeeeMode: 1
; LDSByteSize: 3712 bytes/workgroup (compile time only)
; SGPRBlocks: 0
; VGPRBlocks: 2
; NumSGPRsForWavesPerEU: 16
; NumVGPRsForWavesPerEU: 36
; NamedBarCnt: 0
; Occupancy: 16
; WaveLimiterHint : 0
; COMPUTE_PGM_RSRC2:SCRATCH_EN: 0
; COMPUTE_PGM_RSRC2:USER_SGPR: 4
; COMPUTE_PGM_RSRC2:TRAP_HANDLER: 0
; COMPUTE_PGM_RSRC2:TGID_X_EN: 1
; COMPUTE_PGM_RSRC2:TGID_Y_EN: 0
; COMPUTE_PGM_RSRC2:TGID_Z_EN: 0
; COMPUTE_PGM_RSRC2:TIDIG_COMP_CNT: 2
	.section	.text._ZN9rocsolver6v33100L18trti2_kernel_smallILi8E19rocblas_complex_numIfEPS3_EEv13rocblas_fill_17rocblas_diagonal_T1_iil,"axG",@progbits,_ZN9rocsolver6v33100L18trti2_kernel_smallILi8E19rocblas_complex_numIfEPS3_EEv13rocblas_fill_17rocblas_diagonal_T1_iil,comdat
	.globl	_ZN9rocsolver6v33100L18trti2_kernel_smallILi8E19rocblas_complex_numIfEPS3_EEv13rocblas_fill_17rocblas_diagonal_T1_iil ; -- Begin function _ZN9rocsolver6v33100L18trti2_kernel_smallILi8E19rocblas_complex_numIfEPS3_EEv13rocblas_fill_17rocblas_diagonal_T1_iil
	.p2align	8
	.type	_ZN9rocsolver6v33100L18trti2_kernel_smallILi8E19rocblas_complex_numIfEPS3_EEv13rocblas_fill_17rocblas_diagonal_T1_iil,@function
_ZN9rocsolver6v33100L18trti2_kernel_smallILi8E19rocblas_complex_numIfEPS3_EEv13rocblas_fill_17rocblas_diagonal_T1_iil: ; @_ZN9rocsolver6v33100L18trti2_kernel_smallILi8E19rocblas_complex_numIfEPS3_EEv13rocblas_fill_17rocblas_diagonal_T1_iil
; %bb.0:
	v_and_b32_e32 v24, 0x3ff, v0
	s_mov_b32 s4, exec_lo
	s_delay_alu instid0(VALU_DEP_1)
	v_cmpx_gt_u32_e32 8, v24
	s_cbranch_execz .LBB7_144
; %bb.1:
	s_load_b64 s[12:13], s[0:1], 0x4
	s_load_b256 s[4:11], s[2:3], 0x0
	s_wait_xcnt 0x0
	s_bfe_u32 s0, ttmp6, 0x4000c
	s_and_b32 s1, ttmp6, 15
	s_add_co_i32 s0, s0, 1
	s_getreg_b32 s2, hwreg(HW_REG_IB_STS2, 6, 4)
	s_mul_i32 s0, ttmp9, s0
	v_dual_mov_b32 v19, 0 :: v_dual_lshlrev_b32 v18, 3, v24
	s_add_co_i32 s0, s1, s0
	v_bfe_u32 v1, v0, 10, 10
	v_bfe_u32 v0, v0, 20, 10
	s_wait_kmcnt 0x0
	s_lshr_b32 s12, s12, 16
	s_ashr_i32 s1, s8, 31
	v_add3_u32 v4, s9, s9, v24
	s_cmp_eq_u32 s2, 0
	s_mul_i32 s12, s12, s13
	s_cselect_b32 s2, ttmp9, s0
	s_mov_b32 s0, s8
	s_ashr_i32 s3, s2, 31
	v_add_nc_u32_e32 v6, s9, v4
	s_mul_u64 s[2:3], s[10:11], s[2:3]
	s_lshl_b64 s[0:1], s[0:1], 3
	s_lshl_b64 s[2:3], s[2:3], 3
	v_mul_u32_u24_e32 v1, s13, v1
	v_add_nc_u32_e32 v10, s9, v6
	s_add_nc_u64 s[2:3], s[6:7], s[2:3]
	v_mul_u32_u24_e32 v5, s12, v24
	s_add_nc_u64 s[6:7], s[2:3], s[0:1]
	s_mov_b32 s0, s9
	v_add_nc_u64_e32 v[2:3], s[6:7], v[18:19]
	v_add_nc_u32_e32 v12, s9, v10
	s_ashr_i32 s1, s9, 31
	v_add3_u32 v26, v5, v1, v0
	s_cmp_lg_u32 s5, 0x84
	s_delay_alu instid0(VALU_DEP_2) | instskip(NEXT) | instid1(VALU_DEP_4)
	v_add_nc_u32_e32 v14, s9, v12
	v_lshl_add_u64 v[8:9], s[0:1], 3, v[2:3]
	s_delay_alu instid0(VALU_DEP_3)
	v_lshlrev_b32_e32 v19, 6, v26
	s_cselect_b32 s3, -1, 0
	s_mov_b32 s0, -1
	v_add_nc_u32_e32 v16, s9, v14
	s_clause 0x7
	global_load_b64 v[20:21], v24, s[6:7] scale_offset
	global_load_b64 v[22:23], v[8:9], off
	global_load_b64 v[28:29], v4, s[6:7] scale_offset
	global_load_b64 v[30:31], v6, s[6:7] scale_offset
	;; [unrolled: 1-line block ×6, first 2 shown]
	v_add_nc_u32_e32 v25, 0x80, v19
	s_and_b32 vcc_lo, exec_lo, s3
	s_wait_loadcnt 0x6
	ds_store_b128 v19, v[20:23] offset:128
	s_wait_loadcnt 0x4
	ds_store_b128 v19, v[28:31] offset:144
	;; [unrolled: 2-line block ×4, first 2 shown]
	s_cbranch_vccz .LBB7_7
; %bb.2:
	v_lshl_add_u32 v5, v24, 3, v25
                                        ; implicit-def: $vgpr23
                                        ; implicit-def: $vgpr20
	ds_load_b64 v[0:1], v5
	s_wait_dscnt 0x0
	v_cmp_ngt_f32_e64 s0, |v0|, |v1|
	s_and_saveexec_b32 s1, s0
	s_delay_alu instid0(SALU_CYCLE_1)
	s_xor_b32 s0, exec_lo, s1
	s_cbranch_execz .LBB7_4
; %bb.3:
	v_div_scale_f32 v7, null, v1, v1, v0
	v_div_scale_f32 v15, vcc_lo, v0, v1, v0
	s_delay_alu instid0(VALU_DEP_2) | instskip(SKIP_1) | instid1(TRANS32_DEP_1)
	v_rcp_f32_e32 v11, v7
	v_nop
	v_fma_f32 v13, -v7, v11, 1.0
	s_delay_alu instid0(VALU_DEP_1) | instskip(NEXT) | instid1(VALU_DEP_1)
	v_fmac_f32_e32 v11, v13, v11
	v_mul_f32_e32 v13, v15, v11
	s_delay_alu instid0(VALU_DEP_1) | instskip(NEXT) | instid1(VALU_DEP_1)
	v_fma_f32 v17, -v7, v13, v15
	v_fmac_f32_e32 v13, v17, v11
	s_delay_alu instid0(VALU_DEP_1) | instskip(NEXT) | instid1(VALU_DEP_1)
	v_fma_f32 v7, -v7, v13, v15
	v_div_fmas_f32 v7, v7, v11, v13
	s_delay_alu instid0(VALU_DEP_1) | instskip(NEXT) | instid1(VALU_DEP_1)
	v_div_fixup_f32 v7, v7, v1, v0
	v_fmac_f32_e32 v1, v0, v7
	s_delay_alu instid0(VALU_DEP_1) | instskip(NEXT) | instid1(VALU_DEP_1)
	v_div_scale_f32 v0, null, v1, v1, -1.0
	v_rcp_f32_e32 v11, v0
	v_nop
	s_delay_alu instid0(TRANS32_DEP_1) | instskip(NEXT) | instid1(VALU_DEP_1)
	v_fma_f32 v13, -v0, v11, 1.0
	v_fmac_f32_e32 v11, v13, v11
	v_div_scale_f32 v13, vcc_lo, -1.0, v1, -1.0
	s_delay_alu instid0(VALU_DEP_1) | instskip(NEXT) | instid1(VALU_DEP_1)
	v_mul_f32_e32 v15, v13, v11
	v_fma_f32 v17, -v0, v15, v13
	s_delay_alu instid0(VALU_DEP_1) | instskip(NEXT) | instid1(VALU_DEP_1)
	v_fmac_f32_e32 v15, v17, v11
	v_fma_f32 v0, -v0, v15, v13
	s_delay_alu instid0(VALU_DEP_1) | instskip(NEXT) | instid1(VALU_DEP_1)
	v_div_fmas_f32 v0, v0, v11, v15
	v_div_fixup_f32 v23, v0, v1, -1.0
                                        ; implicit-def: $vgpr0_vgpr1
	s_delay_alu instid0(VALU_DEP_1) | instskip(NEXT) | instid1(VALU_DEP_1)
	v_mul_f32_e32 v20, v7, v23
	v_xor_b32_e32 v22, 0x80000000, v20
.LBB7_4:
	s_and_not1_saveexec_b32 s0, s0
	s_cbranch_execz .LBB7_6
; %bb.5:
	v_div_scale_f32 v7, null, v0, v0, v1
	v_div_scale_f32 v15, vcc_lo, v1, v0, v1
	s_delay_alu instid0(VALU_DEP_2) | instskip(SKIP_1) | instid1(TRANS32_DEP_1)
	v_rcp_f32_e32 v11, v7
	v_nop
	v_fma_f32 v13, -v7, v11, 1.0
	s_delay_alu instid0(VALU_DEP_1) | instskip(NEXT) | instid1(VALU_DEP_1)
	v_fmac_f32_e32 v11, v13, v11
	v_mul_f32_e32 v13, v15, v11
	s_delay_alu instid0(VALU_DEP_1) | instskip(NEXT) | instid1(VALU_DEP_1)
	v_fma_f32 v17, -v7, v13, v15
	v_fmac_f32_e32 v13, v17, v11
	s_delay_alu instid0(VALU_DEP_1) | instskip(NEXT) | instid1(VALU_DEP_1)
	v_fma_f32 v7, -v7, v13, v15
	v_div_fmas_f32 v7, v7, v11, v13
	s_delay_alu instid0(VALU_DEP_1) | instskip(NEXT) | instid1(VALU_DEP_1)
	v_div_fixup_f32 v7, v7, v0, v1
	v_fmac_f32_e32 v0, v1, v7
	s_delay_alu instid0(VALU_DEP_1) | instskip(SKIP_1) | instid1(VALU_DEP_2)
	v_div_scale_f32 v1, null, v0, v0, 1.0
	v_div_scale_f32 v15, vcc_lo, 1.0, v0, 1.0
	v_rcp_f32_e32 v11, v1
	v_nop
	s_delay_alu instid0(TRANS32_DEP_1) | instskip(NEXT) | instid1(VALU_DEP_1)
	v_fma_f32 v13, -v1, v11, 1.0
	v_fmac_f32_e32 v11, v13, v11
	s_delay_alu instid0(VALU_DEP_1) | instskip(NEXT) | instid1(VALU_DEP_1)
	v_mul_f32_e32 v13, v15, v11
	v_fma_f32 v17, -v1, v13, v15
	s_delay_alu instid0(VALU_DEP_1) | instskip(NEXT) | instid1(VALU_DEP_1)
	v_fmac_f32_e32 v13, v17, v11
	v_fma_f32 v1, -v1, v13, v15
	s_delay_alu instid0(VALU_DEP_1) | instskip(NEXT) | instid1(VALU_DEP_1)
	v_div_fmas_f32 v1, v1, v11, v13
	v_div_fixup_f32 v22, v1, v0, 1.0
	s_delay_alu instid0(VALU_DEP_1)
	v_xor_b32_e32 v20, 0x80000000, v22
	v_mul_f32_e64 v23, v7, -v22
.LBB7_6:
	s_or_b32 exec_lo, exec_lo, s0
	s_delay_alu instid0(VALU_DEP_1)
	v_xor_b32_e32 v21, 0x80000000, v23
	s_mov_b32 s0, 0
	ds_store_b64 v5, v[22:23]
	ds_store_b64 v18, v[20:21]
.LBB7_7:
	s_and_b32 vcc_lo, exec_lo, s0
	s_cbranch_vccz .LBB7_9
; %bb.8:
	s_mov_b64 s[0:1], 0xbf800000
	s_delay_alu instid0(SALU_CYCLE_1)
	v_mov_b64_e32 v[0:1], s[0:1]
	ds_store_b64 v18, v[0:1]
.LBB7_9:
	v_dual_ashrrev_i32 v5, 31, v4 :: v_dual_ashrrev_i32 v7, 31, v6
	v_dual_ashrrev_i32 v11, 31, v10 :: v_dual_ashrrev_i32 v13, 31, v12
	;; [unrolled: 1-line block ×3, first 2 shown]
	v_dual_add_nc_u32 v20, 64, v18 :: v_dual_add_nc_u32 v21, v25, v18
	s_cmp_eq_u32 s4, 0x79
	s_cbranch_scc1 .LBB7_13
; %bb.10:
	ds_load_b64 v[0:1], v25 offset:48
	v_cmp_eq_u32_e64 s0, 7, v24
	s_wait_dscnt 0x0
	ds_store_b64 v20, v[0:1]
	s_wait_dscnt 0x0
	s_barrier_signal -1
	s_barrier_wait -1
	s_and_saveexec_b32 s1, s0
	s_cbranch_execz .LBB7_17
; %bb.11:
	s_and_b32 vcc_lo, exec_lo, s3
	s_cbranch_vccz .LBB7_14
; %bb.12:
	ds_load_b64 v[0:1], v21
	ds_load_b64 v[22:23], v20
	s_wait_dscnt 0x0
	v_pk_mul_f32 v[28:29], v[22:23], v[0:1] op_sel:[1,1] op_sel_hi:[0,1]
	v_pk_mul_f32 v[30:31], v[22:23], v[0:1] op_sel_hi:[1,0]
	s_delay_alu instid0(VALU_DEP_2) | instskip(NEXT) | instid1(VALU_DEP_2)
	v_pk_fma_f32 v[0:1], v[22:23], v[0:1], v[28:29] op_sel_hi:[1,0,1]
	v_sub_f32_e32 v0, v30, v28
	s_cbranch_execz .LBB7_15
	s_branch .LBB7_16
.LBB7_13:
	s_mov_b32 s1, 0
                                        ; implicit-def: $vgpr23
                                        ; implicit-def: $vgpr27
	s_cbranch_execnz .LBB7_76
	s_branch .LBB7_141
.LBB7_14:
                                        ; implicit-def: $vgpr1
.LBB7_15:
	ds_load_b64 v[0:1], v20
.LBB7_16:
	s_wait_dscnt 0x0
	v_dual_mov_b32 v22, 0 :: v_dual_mov_b32 v28, v1
	v_mov_b32_e32 v29, v0
	ds_load_b64 v[22:23], v22 offset:48
	s_wait_dscnt 0x0
	v_pk_mul_f32 v[28:29], v[28:29], v[22:23] op_sel:[0,1]
	s_delay_alu instid0(VALU_DEP_1) | instskip(SKIP_1) | instid1(VALU_DEP_2)
	v_pk_fma_f32 v[30:31], v[0:1], v[22:23], v[28:29] op_sel_hi:[1,0,1]
	v_pk_fma_f32 v[0:1], v[0:1], v[22:23], v[28:29] neg_lo:[0,0,1] neg_hi:[0,0,1]
	v_mov_b32_e32 v1, v31
	ds_store_b64 v25, v[0:1] offset:48
.LBB7_17:
	s_or_b32 exec_lo, exec_lo, s1
	ds_load_b64 v[0:1], v25 offset:40
	v_cmp_lt_u32_e64 s1, 5, v24
	s_wait_dscnt 0x0
	ds_store_b64 v20, v[0:1]
	s_wait_dscnt 0x0
	s_barrier_signal -1
	s_barrier_wait -1
	s_and_saveexec_b32 s2, s1
	s_cbranch_execz .LBB7_25
; %bb.18:
	s_and_not1_b32 vcc_lo, exec_lo, s3
	s_cbranch_vccnz .LBB7_20
; %bb.19:
	ds_load_b64 v[0:1], v21
	ds_load_b64 v[22:23], v20
	s_wait_dscnt 0x0
	v_pk_mul_f32 v[28:29], v[22:23], v[0:1] op_sel:[1,1] op_sel_hi:[0,1]
	s_delay_alu instid0(VALU_DEP_1) | instskip(SKIP_1) | instid1(VALU_DEP_2)
	v_pk_fma_f32 v[30:31], v[22:23], v[0:1], v[28:29] op_sel_hi:[1,0,1]
	v_pk_fma_f32 v[0:1], v[22:23], v[0:1], v[28:29] neg_lo:[0,0,1] neg_hi:[0,0,1]
	v_mov_b32_e32 v1, v31
	s_cbranch_execz .LBB7_21
	s_branch .LBB7_22
.LBB7_20:
                                        ; implicit-def: $vgpr0_vgpr1
.LBB7_21:
	ds_load_b64 v[0:1], v20
.LBB7_22:
	s_and_saveexec_b32 s4, s0
	s_cbranch_execz .LBB7_24
; %bb.23:
	v_mov_b32_e32 v27, 0
	ds_load_b64 v[22:23], v25 offset:48
	ds_load_b64 v[28:29], v27 offset:112
	s_wait_dscnt 0x0
	v_pk_mul_f32 v[30:31], v[28:29], v[22:23] op_sel:[1,1] op_sel_hi:[0,1]
	s_delay_alu instid0(VALU_DEP_1) | instskip(SKIP_1) | instid1(VALU_DEP_2)
	v_pk_fma_f32 v[32:33], v[28:29], v[22:23], v[30:31] op_sel_hi:[1,0,1]
	v_pk_fma_f32 v[22:23], v[28:29], v[22:23], v[30:31] neg_lo:[0,0,1] neg_hi:[0,0,1]
	v_mov_b32_e32 v23, v33
	s_delay_alu instid0(VALU_DEP_1)
	v_pk_add_f32 v[0:1], v[0:1], v[22:23]
.LBB7_24:
	s_or_b32 exec_lo, exec_lo, s4
	v_mov_b32_e32 v22, 0
	ds_load_b64 v[22:23], v22 offset:40
	s_wait_dscnt 0x0
	v_pk_mul_f32 v[28:29], v[0:1], v[22:23] op_sel:[1,1] op_sel_hi:[0,1]
	s_delay_alu instid0(VALU_DEP_1) | instskip(SKIP_1) | instid1(VALU_DEP_2)
	v_pk_fma_f32 v[30:31], v[0:1], v[22:23], v[28:29] op_sel_hi:[1,0,1]
	v_pk_fma_f32 v[0:1], v[0:1], v[22:23], v[28:29] neg_lo:[0,0,1] neg_hi:[0,0,1]
	v_mov_b32_e32 v1, v31
	ds_store_b64 v25, v[0:1] offset:40
.LBB7_25:
	s_or_b32 exec_lo, exec_lo, s2
	ds_load_b64 v[0:1], v25 offset:32
	v_cmp_lt_u32_e64 s0, 4, v24
	s_wait_dscnt 0x0
	ds_store_b64 v20, v[0:1]
	s_wait_dscnt 0x0
	s_barrier_signal -1
	s_barrier_wait -1
	s_and_saveexec_b32 s2, s0
	s_cbranch_execz .LBB7_35
; %bb.26:
	s_and_not1_b32 vcc_lo, exec_lo, s3
	s_cbranch_vccnz .LBB7_28
; %bb.27:
	ds_load_b64 v[0:1], v21
	ds_load_b64 v[22:23], v20
	s_wait_dscnt 0x0
	v_pk_mul_f32 v[28:29], v[22:23], v[0:1] op_sel:[1,1] op_sel_hi:[0,1]
	s_delay_alu instid0(VALU_DEP_1) | instskip(SKIP_1) | instid1(VALU_DEP_2)
	v_pk_fma_f32 v[30:31], v[22:23], v[0:1], v[28:29] op_sel_hi:[1,0,1]
	v_pk_fma_f32 v[0:1], v[22:23], v[0:1], v[28:29] neg_lo:[0,0,1] neg_hi:[0,0,1]
	v_mov_b32_e32 v1, v31
	s_cbranch_execz .LBB7_29
	s_branch .LBB7_30
.LBB7_28:
                                        ; implicit-def: $vgpr0_vgpr1
.LBB7_29:
	ds_load_b64 v[0:1], v20
.LBB7_30:
	s_and_saveexec_b32 s4, s1
	s_cbranch_execz .LBB7_34
; %bb.31:
	v_add_nc_u32_e32 v22, -5, v24
	v_lshl_add_u32 v23, v26, 6, 0xa8
	s_movk_i32 s5, 0x68
	s_mov_b32 s1, 0
.LBB7_32:                               ; =>This Inner Loop Header: Depth=1
	s_delay_alu instid0(VALU_DEP_2)
	v_dual_mov_b32 v27, s5 :: v_dual_add_nc_u32 v22, -1, v22
	s_add_co_i32 s5, s5, 8
	ds_load_b64 v[28:29], v23
	ds_load_b64 v[30:31], v27
	v_add_nc_u32_e32 v23, 8, v23
	v_cmp_eq_u32_e32 vcc_lo, 0, v22
	s_or_b32 s1, vcc_lo, s1
	s_wait_dscnt 0x0
	v_pk_mul_f32 v[32:33], v[30:31], v[28:29] op_sel:[1,1] op_sel_hi:[0,1]
	s_delay_alu instid0(VALU_DEP_1) | instskip(SKIP_1) | instid1(VALU_DEP_2)
	v_pk_fma_f32 v[34:35], v[30:31], v[28:29], v[32:33] op_sel_hi:[1,0,1]
	v_pk_fma_f32 v[28:29], v[30:31], v[28:29], v[32:33] neg_lo:[0,0,1] neg_hi:[0,0,1]
	v_mov_b32_e32 v29, v35
	s_delay_alu instid0(VALU_DEP_1)
	v_pk_add_f32 v[0:1], v[0:1], v[28:29]
	s_and_not1_b32 exec_lo, exec_lo, s1
	s_cbranch_execnz .LBB7_32
; %bb.33:
	s_or_b32 exec_lo, exec_lo, s1
.LBB7_34:
	s_delay_alu instid0(SALU_CYCLE_1) | instskip(SKIP_4) | instid1(VALU_DEP_1)
	s_or_b32 exec_lo, exec_lo, s4
	v_mov_b32_e32 v22, 0
	ds_load_b64 v[22:23], v22 offset:32
	s_wait_dscnt 0x0
	v_pk_mul_f32 v[28:29], v[0:1], v[22:23] op_sel:[1,1] op_sel_hi:[0,1]
	v_pk_fma_f32 v[30:31], v[0:1], v[22:23], v[28:29] op_sel_hi:[1,0,1]
	v_pk_fma_f32 v[0:1], v[0:1], v[22:23], v[28:29] neg_lo:[0,0,1] neg_hi:[0,0,1]
	s_delay_alu instid0(VALU_DEP_2)
	v_mov_b32_e32 v1, v31
	ds_store_b64 v25, v[0:1] offset:32
.LBB7_35:
	s_or_b32 exec_lo, exec_lo, s2
	ds_load_b64 v[0:1], v25 offset:24
	v_cmp_lt_u32_e64 s1, 3, v24
	s_wait_dscnt 0x0
	ds_store_b64 v20, v[0:1]
	s_wait_dscnt 0x0
	s_barrier_signal -1
	s_barrier_wait -1
	s_and_saveexec_b32 s2, s1
	s_cbranch_execz .LBB7_45
; %bb.36:
	s_and_not1_b32 vcc_lo, exec_lo, s3
	s_cbranch_vccnz .LBB7_38
; %bb.37:
	ds_load_b64 v[0:1], v21
	ds_load_b64 v[22:23], v20
	s_wait_dscnt 0x0
	v_pk_mul_f32 v[28:29], v[22:23], v[0:1] op_sel:[1,1] op_sel_hi:[0,1]
	s_delay_alu instid0(VALU_DEP_1) | instskip(SKIP_1) | instid1(VALU_DEP_2)
	v_pk_fma_f32 v[30:31], v[22:23], v[0:1], v[28:29] op_sel_hi:[1,0,1]
	v_pk_fma_f32 v[0:1], v[22:23], v[0:1], v[28:29] neg_lo:[0,0,1] neg_hi:[0,0,1]
	v_mov_b32_e32 v1, v31
	s_cbranch_execz .LBB7_39
	s_branch .LBB7_40
.LBB7_38:
                                        ; implicit-def: $vgpr0_vgpr1
.LBB7_39:
	ds_load_b64 v[0:1], v20
.LBB7_40:
	s_and_saveexec_b32 s4, s0
	s_cbranch_execz .LBB7_44
; %bb.41:
	v_add_nc_u32_e32 v22, -4, v24
	v_lshl_add_u32 v23, v26, 6, 0xa0
	s_movk_i32 s5, 0x60
	s_mov_b32 s0, 0
.LBB7_42:                               ; =>This Inner Loop Header: Depth=1
	s_delay_alu instid0(VALU_DEP_2)
	v_dual_mov_b32 v27, s5 :: v_dual_add_nc_u32 v22, -1, v22
	s_add_co_i32 s5, s5, 8
	ds_load_b64 v[28:29], v23
	ds_load_b64 v[30:31], v27
	v_add_nc_u32_e32 v23, 8, v23
	v_cmp_eq_u32_e32 vcc_lo, 0, v22
	s_or_b32 s0, vcc_lo, s0
	s_wait_dscnt 0x0
	v_pk_mul_f32 v[32:33], v[30:31], v[28:29] op_sel:[1,1] op_sel_hi:[0,1]
	s_delay_alu instid0(VALU_DEP_1) | instskip(SKIP_1) | instid1(VALU_DEP_2)
	v_pk_fma_f32 v[34:35], v[30:31], v[28:29], v[32:33] op_sel_hi:[1,0,1]
	v_pk_fma_f32 v[28:29], v[30:31], v[28:29], v[32:33] neg_lo:[0,0,1] neg_hi:[0,0,1]
	v_mov_b32_e32 v29, v35
	s_delay_alu instid0(VALU_DEP_1)
	v_pk_add_f32 v[0:1], v[0:1], v[28:29]
	s_and_not1_b32 exec_lo, exec_lo, s0
	s_cbranch_execnz .LBB7_42
; %bb.43:
	s_or_b32 exec_lo, exec_lo, s0
.LBB7_44:
	s_delay_alu instid0(SALU_CYCLE_1) | instskip(SKIP_4) | instid1(VALU_DEP_1)
	s_or_b32 exec_lo, exec_lo, s4
	v_mov_b32_e32 v22, 0
	ds_load_b64 v[22:23], v22 offset:24
	s_wait_dscnt 0x0
	v_pk_mul_f32 v[28:29], v[0:1], v[22:23] op_sel:[1,1] op_sel_hi:[0,1]
	v_pk_fma_f32 v[30:31], v[0:1], v[22:23], v[28:29] op_sel_hi:[1,0,1]
	v_pk_fma_f32 v[0:1], v[0:1], v[22:23], v[28:29] neg_lo:[0,0,1] neg_hi:[0,0,1]
	s_delay_alu instid0(VALU_DEP_2)
	v_mov_b32_e32 v1, v31
	ds_store_b64 v25, v[0:1] offset:24
.LBB7_45:
	s_or_b32 exec_lo, exec_lo, s2
	ds_load_b64 v[0:1], v25 offset:16
	v_cmp_lt_u32_e64 s2, 2, v24
	s_wait_dscnt 0x0
	ds_store_b64 v20, v[0:1]
	s_wait_dscnt 0x0
	s_barrier_signal -1
	s_barrier_wait -1
	s_and_saveexec_b32 s0, s2
	s_cbranch_execz .LBB7_55
; %bb.46:
	s_and_not1_b32 vcc_lo, exec_lo, s3
	s_cbranch_vccnz .LBB7_48
; %bb.47:
	ds_load_b64 v[0:1], v21
	ds_load_b64 v[22:23], v20
	s_wait_dscnt 0x0
	v_pk_mul_f32 v[28:29], v[22:23], v[0:1] op_sel:[1,1] op_sel_hi:[0,1]
	s_delay_alu instid0(VALU_DEP_1) | instskip(SKIP_1) | instid1(VALU_DEP_2)
	v_pk_fma_f32 v[30:31], v[22:23], v[0:1], v[28:29] op_sel_hi:[1,0,1]
	v_pk_fma_f32 v[0:1], v[22:23], v[0:1], v[28:29] neg_lo:[0,0,1] neg_hi:[0,0,1]
	v_mov_b32_e32 v1, v31
	s_cbranch_execz .LBB7_49
	s_branch .LBB7_50
.LBB7_48:
                                        ; implicit-def: $vgpr0_vgpr1
.LBB7_49:
	ds_load_b64 v[0:1], v20
.LBB7_50:
	s_and_saveexec_b32 s4, s1
	s_cbranch_execz .LBB7_54
; %bb.51:
	v_add_nc_u32_e32 v22, -3, v24
	v_lshl_add_u32 v23, v26, 6, 0x98
	s_movk_i32 s5, 0x58
	s_mov_b32 s1, 0
.LBB7_52:                               ; =>This Inner Loop Header: Depth=1
	s_delay_alu instid0(VALU_DEP_2)
	v_dual_mov_b32 v27, s5 :: v_dual_add_nc_u32 v22, -1, v22
	s_add_co_i32 s5, s5, 8
	ds_load_b64 v[28:29], v23
	ds_load_b64 v[30:31], v27
	v_add_nc_u32_e32 v23, 8, v23
	v_cmp_eq_u32_e32 vcc_lo, 0, v22
	s_or_b32 s1, vcc_lo, s1
	s_wait_dscnt 0x0
	v_pk_mul_f32 v[32:33], v[30:31], v[28:29] op_sel:[1,1] op_sel_hi:[0,1]
	s_delay_alu instid0(VALU_DEP_1) | instskip(SKIP_1) | instid1(VALU_DEP_2)
	v_pk_fma_f32 v[34:35], v[30:31], v[28:29], v[32:33] op_sel_hi:[1,0,1]
	v_pk_fma_f32 v[28:29], v[30:31], v[28:29], v[32:33] neg_lo:[0,0,1] neg_hi:[0,0,1]
	v_mov_b32_e32 v29, v35
	s_delay_alu instid0(VALU_DEP_1)
	v_pk_add_f32 v[0:1], v[0:1], v[28:29]
	s_and_not1_b32 exec_lo, exec_lo, s1
	s_cbranch_execnz .LBB7_52
; %bb.53:
	s_or_b32 exec_lo, exec_lo, s1
.LBB7_54:
	s_delay_alu instid0(SALU_CYCLE_1) | instskip(SKIP_4) | instid1(VALU_DEP_1)
	s_or_b32 exec_lo, exec_lo, s4
	v_mov_b32_e32 v22, 0
	ds_load_b64 v[22:23], v22 offset:16
	s_wait_dscnt 0x0
	v_pk_mul_f32 v[28:29], v[0:1], v[22:23] op_sel:[1,1] op_sel_hi:[0,1]
	v_pk_fma_f32 v[30:31], v[0:1], v[22:23], v[28:29] op_sel_hi:[1,0,1]
	v_pk_fma_f32 v[0:1], v[0:1], v[22:23], v[28:29] neg_lo:[0,0,1] neg_hi:[0,0,1]
	s_delay_alu instid0(VALU_DEP_2)
	v_mov_b32_e32 v1, v31
	ds_store_b64 v25, v[0:1] offset:16
.LBB7_55:
	s_or_b32 exec_lo, exec_lo, s0
	ds_load_b64 v[0:1], v25 offset:8
	v_cmp_lt_u32_e64 s0, 1, v24
	s_wait_dscnt 0x0
	ds_store_b64 v20, v[0:1]
	s_wait_dscnt 0x0
	s_barrier_signal -1
	s_barrier_wait -1
	s_and_saveexec_b32 s1, s0
	s_cbranch_execz .LBB7_65
; %bb.56:
	s_and_not1_b32 vcc_lo, exec_lo, s3
	s_cbranch_vccnz .LBB7_58
; %bb.57:
	ds_load_b64 v[0:1], v21
	ds_load_b64 v[22:23], v20
	s_wait_dscnt 0x0
	v_pk_mul_f32 v[28:29], v[22:23], v[0:1] op_sel:[1,1] op_sel_hi:[0,1]
	s_delay_alu instid0(VALU_DEP_1) | instskip(SKIP_1) | instid1(VALU_DEP_2)
	v_pk_fma_f32 v[30:31], v[22:23], v[0:1], v[28:29] op_sel_hi:[1,0,1]
	v_pk_fma_f32 v[0:1], v[22:23], v[0:1], v[28:29] neg_lo:[0,0,1] neg_hi:[0,0,1]
	v_mov_b32_e32 v1, v31
	s_cbranch_execz .LBB7_59
	s_branch .LBB7_60
.LBB7_58:
                                        ; implicit-def: $vgpr0_vgpr1
.LBB7_59:
	ds_load_b64 v[0:1], v20
.LBB7_60:
	s_and_saveexec_b32 s4, s2
	s_cbranch_execz .LBB7_64
; %bb.61:
	v_add_nc_u32_e32 v22, -2, v24
	v_lshl_add_u32 v23, v26, 6, 0x90
	s_movk_i32 s5, 0x50
	s_mov_b32 s2, 0
.LBB7_62:                               ; =>This Inner Loop Header: Depth=1
	s_delay_alu instid0(VALU_DEP_2)
	v_dual_mov_b32 v27, s5 :: v_dual_add_nc_u32 v22, -1, v22
	s_add_co_i32 s5, s5, 8
	ds_load_b64 v[28:29], v23
	ds_load_b64 v[30:31], v27
	v_add_nc_u32_e32 v23, 8, v23
	v_cmp_eq_u32_e32 vcc_lo, 0, v22
	s_or_b32 s2, vcc_lo, s2
	s_wait_dscnt 0x0
	v_pk_mul_f32 v[32:33], v[30:31], v[28:29] op_sel:[1,1] op_sel_hi:[0,1]
	s_delay_alu instid0(VALU_DEP_1) | instskip(SKIP_1) | instid1(VALU_DEP_2)
	v_pk_fma_f32 v[34:35], v[30:31], v[28:29], v[32:33] op_sel_hi:[1,0,1]
	v_pk_fma_f32 v[28:29], v[30:31], v[28:29], v[32:33] neg_lo:[0,0,1] neg_hi:[0,0,1]
	v_mov_b32_e32 v29, v35
	s_delay_alu instid0(VALU_DEP_1)
	v_pk_add_f32 v[0:1], v[0:1], v[28:29]
	s_and_not1_b32 exec_lo, exec_lo, s2
	s_cbranch_execnz .LBB7_62
; %bb.63:
	s_or_b32 exec_lo, exec_lo, s2
.LBB7_64:
	s_delay_alu instid0(SALU_CYCLE_1) | instskip(SKIP_4) | instid1(VALU_DEP_1)
	s_or_b32 exec_lo, exec_lo, s4
	v_mov_b32_e32 v22, 0
	ds_load_b64 v[22:23], v22 offset:8
	s_wait_dscnt 0x0
	v_pk_mul_f32 v[28:29], v[0:1], v[22:23] op_sel:[1,1] op_sel_hi:[0,1]
	v_pk_fma_f32 v[30:31], v[0:1], v[22:23], v[28:29] op_sel_hi:[1,0,1]
	v_pk_fma_f32 v[0:1], v[0:1], v[22:23], v[28:29] neg_lo:[0,0,1] neg_hi:[0,0,1]
	s_delay_alu instid0(VALU_DEP_2)
	v_mov_b32_e32 v1, v31
	ds_store_b64 v25, v[0:1] offset:8
.LBB7_65:
	s_or_b32 exec_lo, exec_lo, s1
	ds_load_b64 v[0:1], v25
	s_mov_b32 s2, 0
	s_mov_b32 s1, 0
	s_mov_b32 s4, exec_lo
                                        ; implicit-def: $vgpr23
                                        ; implicit-def: $vgpr27
	s_wait_dscnt 0x0
	ds_store_b64 v20, v[0:1]
	s_wait_dscnt 0x0
	s_barrier_signal -1
	s_barrier_wait -1
	v_cmpx_ne_u32_e32 0, v24
	s_cbranch_execz .LBB7_75
; %bb.66:
	s_and_not1_b32 vcc_lo, exec_lo, s3
	s_cbranch_vccnz .LBB7_68
; %bb.67:
	ds_load_b64 v[22:23], v21
	ds_load_b64 v[28:29], v20
	s_wait_dscnt 0x0
	v_dual_mul_f32 v0, v29, v23 :: v_dual_mul_f32 v1, v28, v23
	s_delay_alu instid0(VALU_DEP_1)
	v_dual_fma_f32 v0, v28, v22, -v0 :: v_dual_fmac_f32 v1, v29, v22
	s_and_not1_b32 vcc_lo, exec_lo, s1
	s_cbranch_vccz .LBB7_69
	s_branch .LBB7_70
.LBB7_68:
                                        ; implicit-def: $vgpr0
.LBB7_69:
	ds_load_b64 v[0:1], v20
.LBB7_70:
	s_and_saveexec_b32 s1, s0
	s_cbranch_execz .LBB7_74
; %bb.71:
	v_add_nc_u32_e32 v22, -1, v24
	v_lshl_add_u32 v23, v26, 6, 0x88
	s_movk_i32 s5, 0x48
	s_mov_b32 s0, 0
.LBB7_72:                               ; =>This Inner Loop Header: Depth=1
	v_mov_b32_e32 v28, s5
	s_add_co_i32 s5, s5, 8
	ds_load_b64 v[26:27], v23
	ds_load_b64 v[28:29], v28
	v_add_nc_u32_e32 v22, -1, v22
	s_delay_alu instid0(VALU_DEP_1) | instskip(SKIP_3) | instid1(VALU_DEP_1)
	v_cmp_eq_u32_e32 vcc_lo, 0, v22
	s_or_b32 s0, vcc_lo, s0
	s_wait_dscnt 0x0
	v_dual_mul_f32 v30, v29, v27 :: v_dual_mul_f32 v27, v28, v27
	v_dual_fma_f32 v28, v28, v26, -v30 :: v_dual_fmac_f32 v27, v29, v26
	s_delay_alu instid0(VALU_DEP_1) | instskip(NEXT) | instid1(VALU_DEP_2)
	v_dual_add_f32 v0, v0, v28 :: v_dual_add_nc_u32 v23, 8, v23
	v_add_f32_e32 v1, v1, v27
	s_and_not1_b32 exec_lo, exec_lo, s0
	s_cbranch_execnz .LBB7_72
; %bb.73:
	s_or_b32 exec_lo, exec_lo, s0
.LBB7_74:
	s_delay_alu instid0(SALU_CYCLE_1)
	s_or_b32 exec_lo, exec_lo, s1
	v_mov_b32_e32 v22, 0
	s_mov_b32 s1, exec_lo
	v_add_nc_u32_e32 v27, 4, v25
	ds_load_b64 v[22:23], v22
	s_wait_dscnt 0x0
	v_dual_mul_f32 v26, v1, v23 :: v_dual_mul_f32 v23, v0, v23
	s_delay_alu instid0(VALU_DEP_1)
	v_dual_fma_f32 v0, v0, v22, -v26 :: v_dual_fmac_f32 v23, v1, v22
	ds_store_b32 v25, v0
.LBB7_75:
	s_or_b32 exec_lo, exec_lo, s4
	s_delay_alu instid0(SALU_CYCLE_1)
	s_and_b32 vcc_lo, exec_lo, s2
	s_cbranch_vccz .LBB7_141
.LBB7_76:
	ds_load_b64 v[0:1], v25 offset:8
	v_cmp_eq_u32_e64 s0, 0, v24
	s_wait_dscnt 0x0
	ds_store_b64 v20, v[0:1]
	s_wait_dscnt 0x0
	s_barrier_signal -1
	s_barrier_wait -1
	s_and_saveexec_b32 s2, s0
	s_cbranch_execz .LBB7_82
; %bb.77:
	s_and_b32 vcc_lo, exec_lo, s3
	s_cbranch_vccz .LBB7_79
; %bb.78:
	ds_load_b64 v[0:1], v21
	ds_load_b64 v[22:23], v20
	s_wait_dscnt 0x0
	v_pk_mul_f32 v[26:27], v[22:23], v[0:1] op_sel:[1,1] op_sel_hi:[0,1]
	v_pk_mul_f32 v[28:29], v[22:23], v[0:1] op_sel_hi:[1,0]
	s_delay_alu instid0(VALU_DEP_2) | instskip(NEXT) | instid1(VALU_DEP_2)
	v_pk_fma_f32 v[0:1], v[22:23], v[0:1], v[26:27] op_sel_hi:[1,0,1]
	v_sub_f32_e32 v0, v28, v26
	s_cbranch_execz .LBB7_80
	s_branch .LBB7_81
.LBB7_79:
                                        ; implicit-def: $vgpr1
.LBB7_80:
	ds_load_b64 v[0:1], v20
.LBB7_81:
	s_wait_dscnt 0x0
	v_dual_mov_b32 v22, 0 :: v_dual_mov_b32 v26, v1
	v_mov_b32_e32 v27, v0
	ds_load_b64 v[22:23], v22 offset:8
	s_wait_dscnt 0x0
	v_pk_mul_f32 v[26:27], v[26:27], v[22:23] op_sel:[0,1]
	s_delay_alu instid0(VALU_DEP_1) | instskip(SKIP_1) | instid1(VALU_DEP_2)
	v_pk_fma_f32 v[28:29], v[0:1], v[22:23], v[26:27] op_sel_hi:[1,0,1]
	v_pk_fma_f32 v[0:1], v[0:1], v[22:23], v[26:27] neg_lo:[0,0,1] neg_hi:[0,0,1]
	v_mov_b32_e32 v1, v29
	ds_store_b64 v25, v[0:1] offset:8
.LBB7_82:
	s_or_b32 exec_lo, exec_lo, s2
	ds_load_b64 v[0:1], v25 offset:16
	v_cndmask_b32_e64 v22, 0, 1, s3
	s_mov_b32 s2, exec_lo
	s_wait_dscnt 0x0
	ds_store_b64 v20, v[0:1]
	s_wait_dscnt 0x0
	s_barrier_signal -1
	s_barrier_wait -1
	v_cmpx_gt_u32_e32 2, v24
	s_cbranch_execz .LBB7_90
; %bb.83:
	s_and_not1_b32 vcc_lo, exec_lo, s3
	s_cbranch_vccnz .LBB7_85
; %bb.84:
	ds_load_b64 v[0:1], v21
	ds_load_b64 v[26:27], v20
	s_wait_dscnt 0x0
	v_pk_mul_f32 v[28:29], v[26:27], v[0:1] op_sel:[1,1] op_sel_hi:[0,1]
	s_delay_alu instid0(VALU_DEP_1) | instskip(SKIP_1) | instid1(VALU_DEP_2)
	v_pk_fma_f32 v[30:31], v[26:27], v[0:1], v[28:29] op_sel_hi:[1,0,1]
	v_pk_fma_f32 v[0:1], v[26:27], v[0:1], v[28:29] neg_lo:[0,0,1] neg_hi:[0,0,1]
	v_mov_b32_e32 v1, v31
	s_cbranch_execz .LBB7_86
	s_branch .LBB7_87
.LBB7_85:
                                        ; implicit-def: $vgpr0_vgpr1
.LBB7_86:
	ds_load_b64 v[0:1], v20
.LBB7_87:
	s_and_saveexec_b32 s3, s0
	s_cbranch_execz .LBB7_89
; %bb.88:
	v_mov_b32_e32 v23, 0
	ds_load_b64 v[26:27], v25 offset:8
	ds_load_b64 v[28:29], v23 offset:72
	s_wait_dscnt 0x0
	v_pk_mul_f32 v[30:31], v[28:29], v[26:27] op_sel:[1,1] op_sel_hi:[0,1]
	s_delay_alu instid0(VALU_DEP_1) | instskip(SKIP_1) | instid1(VALU_DEP_2)
	v_pk_fma_f32 v[32:33], v[28:29], v[26:27], v[30:31] op_sel_hi:[1,0,1]
	v_pk_fma_f32 v[26:27], v[28:29], v[26:27], v[30:31] neg_lo:[0,0,1] neg_hi:[0,0,1]
	v_mov_b32_e32 v27, v33
	s_delay_alu instid0(VALU_DEP_1)
	v_pk_add_f32 v[0:1], v[0:1], v[26:27]
.LBB7_89:
	s_or_b32 exec_lo, exec_lo, s3
	v_mov_b32_e32 v23, 0
	ds_load_b64 v[26:27], v23 offset:16
	s_wait_dscnt 0x0
	v_pk_mul_f32 v[28:29], v[0:1], v[26:27] op_sel:[1,1] op_sel_hi:[0,1]
	s_delay_alu instid0(VALU_DEP_1) | instskip(SKIP_1) | instid1(VALU_DEP_2)
	v_pk_fma_f32 v[30:31], v[0:1], v[26:27], v[28:29] op_sel_hi:[1,0,1]
	v_pk_fma_f32 v[0:1], v[0:1], v[26:27], v[28:29] neg_lo:[0,0,1] neg_hi:[0,0,1]
	v_mov_b32_e32 v1, v31
	ds_store_b64 v25, v[0:1] offset:16
.LBB7_90:
	s_or_b32 exec_lo, exec_lo, s2
	ds_load_b64 v[0:1], v25 offset:24
	s_mov_b32 s2, exec_lo
	s_wait_dscnt 0x0
	ds_store_b64 v20, v[0:1]
	s_wait_dscnt 0x0
	s_barrier_signal -1
	s_barrier_wait -1
	v_cmpx_gt_u32_e32 3, v24
	s_cbranch_execz .LBB7_100
; %bb.91:
	v_cmp_ne_u32_e32 vcc_lo, 1, v22
	s_cbranch_vccnz .LBB7_93
; %bb.92:
	ds_load_b64 v[0:1], v21
	ds_load_b64 v[26:27], v20
	s_wait_dscnt 0x0
	v_pk_mul_f32 v[28:29], v[26:27], v[0:1] op_sel:[1,1] op_sel_hi:[0,1]
	s_delay_alu instid0(VALU_DEP_1) | instskip(SKIP_1) | instid1(VALU_DEP_2)
	v_pk_fma_f32 v[30:31], v[26:27], v[0:1], v[28:29] op_sel_hi:[1,0,1]
	v_pk_fma_f32 v[0:1], v[26:27], v[0:1], v[28:29] neg_lo:[0,0,1] neg_hi:[0,0,1]
	v_mov_b32_e32 v1, v31
	s_cbranch_execz .LBB7_94
	s_branch .LBB7_95
.LBB7_93:
                                        ; implicit-def: $vgpr0_vgpr1
.LBB7_94:
	ds_load_b64 v[0:1], v20
.LBB7_95:
	s_mov_b32 s3, exec_lo
	v_cmpx_ne_u32_e32 2, v24
	s_cbranch_execz .LBB7_99
; %bb.96:
	ds_load_b64 v[26:27], v21 offset:8
	ds_load_b64 v[28:29], v20 offset:8
	s_wait_dscnt 0x0
	v_pk_mul_f32 v[30:31], v[28:29], v[26:27] op_sel:[1,1] op_sel_hi:[0,1]
	s_delay_alu instid0(VALU_DEP_1) | instskip(SKIP_1) | instid1(VALU_DEP_2)
	v_pk_fma_f32 v[32:33], v[28:29], v[26:27], v[30:31] op_sel_hi:[1,0,1]
	v_pk_fma_f32 v[26:27], v[28:29], v[26:27], v[30:31] neg_lo:[0,0,1] neg_hi:[0,0,1]
	v_mov_b32_e32 v27, v33
	s_delay_alu instid0(VALU_DEP_1)
	v_pk_add_f32 v[0:1], v[0:1], v[26:27]
	s_and_saveexec_b32 s4, s0
	s_cbranch_execz .LBB7_98
; %bb.97:
	v_mov_b32_e32 v23, 0
	ds_load_b64 v[26:27], v23 offset:80
	ds_load_b64 v[28:29], v25 offset:16
	s_wait_dscnt 0x0
	v_pk_mul_f32 v[30:31], v[26:27], v[28:29] op_sel:[1,1] op_sel_hi:[0,1]
	s_delay_alu instid0(VALU_DEP_1) | instskip(SKIP_1) | instid1(VALU_DEP_2)
	v_pk_fma_f32 v[32:33], v[26:27], v[28:29], v[30:31] op_sel_hi:[1,0,1]
	v_pk_fma_f32 v[26:27], v[26:27], v[28:29], v[30:31] neg_lo:[0,0,1] neg_hi:[0,0,1]
	v_mov_b32_e32 v27, v33
	s_delay_alu instid0(VALU_DEP_1)
	v_pk_add_f32 v[0:1], v[0:1], v[26:27]
.LBB7_98:
	s_or_b32 exec_lo, exec_lo, s4
.LBB7_99:
	s_delay_alu instid0(SALU_CYCLE_1) | instskip(SKIP_4) | instid1(VALU_DEP_1)
	s_or_b32 exec_lo, exec_lo, s3
	v_mov_b32_e32 v23, 0
	ds_load_b64 v[26:27], v23 offset:24
	s_wait_dscnt 0x0
	v_pk_mul_f32 v[28:29], v[0:1], v[26:27] op_sel:[1,1] op_sel_hi:[0,1]
	v_pk_fma_f32 v[30:31], v[0:1], v[26:27], v[28:29] op_sel_hi:[1,0,1]
	v_pk_fma_f32 v[0:1], v[0:1], v[26:27], v[28:29] neg_lo:[0,0,1] neg_hi:[0,0,1]
	s_delay_alu instid0(VALU_DEP_2)
	v_mov_b32_e32 v1, v31
	ds_store_b64 v25, v[0:1] offset:24
.LBB7_100:
	s_or_b32 exec_lo, exec_lo, s2
	ds_load_b64 v[0:1], v25 offset:32
	s_mov_b32 s0, exec_lo
	s_wait_dscnt 0x0
	ds_store_b64 v20, v[0:1]
	s_wait_dscnt 0x0
	s_barrier_signal -1
	s_barrier_wait -1
	v_cmpx_gt_u32_e32 4, v24
	s_cbranch_execz .LBB7_110
; %bb.101:
	v_cmp_ne_u32_e32 vcc_lo, 1, v22
	s_cbranch_vccnz .LBB7_103
; %bb.102:
	ds_load_b64 v[0:1], v21
	ds_load_b64 v[26:27], v20
	s_wait_dscnt 0x0
	v_pk_mul_f32 v[28:29], v[26:27], v[0:1] op_sel:[1,1] op_sel_hi:[0,1]
	s_delay_alu instid0(VALU_DEP_1) | instskip(SKIP_1) | instid1(VALU_DEP_2)
	v_pk_fma_f32 v[30:31], v[26:27], v[0:1], v[28:29] op_sel_hi:[1,0,1]
	v_pk_fma_f32 v[0:1], v[26:27], v[0:1], v[28:29] neg_lo:[0,0,1] neg_hi:[0,0,1]
	v_mov_b32_e32 v1, v31
	s_cbranch_execz .LBB7_104
	s_branch .LBB7_105
.LBB7_103:
                                        ; implicit-def: $vgpr0_vgpr1
.LBB7_104:
	ds_load_b64 v[0:1], v20
.LBB7_105:
	s_mov_b32 s2, exec_lo
	v_cmpx_ne_u32_e32 3, v24
	s_cbranch_execz .LBB7_109
; %bb.106:
	v_add_nc_u32_e32 v23, 0x48, v18
	v_add3_u32 v26, v19, v18, 0x88
	v_mov_b32_e32 v27, v24
	s_mov_b32 s3, 0
.LBB7_107:                              ; =>This Inner Loop Header: Depth=1
	ds_load_b64 v[28:29], v26
	ds_load_b64 v[30:31], v23
	v_dual_add_nc_u32 v23, 8, v23 :: v_dual_add_nc_u32 v26, 8, v26
	s_wait_dscnt 0x0
	v_pk_mul_f32 v[32:33], v[30:31], v[28:29] op_sel:[1,1] op_sel_hi:[0,1]
	s_delay_alu instid0(VALU_DEP_1) | instskip(SKIP_2) | instid1(VALU_DEP_3)
	v_pk_fma_f32 v[34:35], v[30:31], v[28:29], v[32:33] op_sel_hi:[1,0,1]
	v_add_nc_u32_e32 v27, 1, v27
	v_pk_fma_f32 v[28:29], v[30:31], v[28:29], v[32:33] neg_lo:[0,0,1] neg_hi:[0,0,1]
	v_mov_b32_e32 v29, v35
	s_delay_alu instid0(VALU_DEP_3) | instskip(NEXT) | instid1(VALU_DEP_2)
	v_cmp_lt_u32_e32 vcc_lo, 2, v27
	v_pk_add_f32 v[0:1], v[0:1], v[28:29]
	s_or_b32 s3, vcc_lo, s3
	s_delay_alu instid0(SALU_CYCLE_1)
	s_and_not1_b32 exec_lo, exec_lo, s3
	s_cbranch_execnz .LBB7_107
; %bb.108:
	s_or_b32 exec_lo, exec_lo, s3
.LBB7_109:
	s_delay_alu instid0(SALU_CYCLE_1) | instskip(SKIP_4) | instid1(VALU_DEP_1)
	s_or_b32 exec_lo, exec_lo, s2
	v_mov_b32_e32 v23, 0
	ds_load_b64 v[26:27], v23 offset:32
	s_wait_dscnt 0x0
	v_pk_mul_f32 v[28:29], v[0:1], v[26:27] op_sel:[1,1] op_sel_hi:[0,1]
	v_pk_fma_f32 v[30:31], v[0:1], v[26:27], v[28:29] op_sel_hi:[1,0,1]
	v_pk_fma_f32 v[0:1], v[0:1], v[26:27], v[28:29] neg_lo:[0,0,1] neg_hi:[0,0,1]
	s_delay_alu instid0(VALU_DEP_2)
	v_mov_b32_e32 v1, v31
	ds_store_b64 v25, v[0:1] offset:32
.LBB7_110:
	s_or_b32 exec_lo, exec_lo, s0
	ds_load_b64 v[0:1], v25 offset:40
	s_mov_b32 s0, exec_lo
	s_wait_dscnt 0x0
	ds_store_b64 v20, v[0:1]
	s_wait_dscnt 0x0
	s_barrier_signal -1
	s_barrier_wait -1
	v_cmpx_gt_u32_e32 5, v24
	s_cbranch_execz .LBB7_120
; %bb.111:
	v_cmp_ne_u32_e32 vcc_lo, 1, v22
	s_cbranch_vccnz .LBB7_113
; %bb.112:
	ds_load_b64 v[0:1], v21
	ds_load_b64 v[26:27], v20
	s_wait_dscnt 0x0
	v_pk_mul_f32 v[28:29], v[26:27], v[0:1] op_sel:[1,1] op_sel_hi:[0,1]
	s_delay_alu instid0(VALU_DEP_1) | instskip(SKIP_1) | instid1(VALU_DEP_2)
	v_pk_fma_f32 v[30:31], v[26:27], v[0:1], v[28:29] op_sel_hi:[1,0,1]
	v_pk_fma_f32 v[0:1], v[26:27], v[0:1], v[28:29] neg_lo:[0,0,1] neg_hi:[0,0,1]
	v_mov_b32_e32 v1, v31
	s_cbranch_execz .LBB7_114
	s_branch .LBB7_115
.LBB7_113:
                                        ; implicit-def: $vgpr0_vgpr1
.LBB7_114:
	ds_load_b64 v[0:1], v20
.LBB7_115:
	s_mov_b32 s2, exec_lo
	v_cmpx_ne_u32_e32 4, v24
	s_cbranch_execz .LBB7_119
; %bb.116:
	v_add_nc_u32_e32 v23, 0x48, v18
	v_add3_u32 v26, v19, v18, 0x88
	v_mov_b32_e32 v27, v24
	s_mov_b32 s3, 0
.LBB7_117:                              ; =>This Inner Loop Header: Depth=1
	ds_load_b64 v[28:29], v26
	ds_load_b64 v[30:31], v23
	v_dual_add_nc_u32 v23, 8, v23 :: v_dual_add_nc_u32 v26, 8, v26
	s_wait_dscnt 0x0
	v_pk_mul_f32 v[32:33], v[30:31], v[28:29] op_sel:[1,1] op_sel_hi:[0,1]
	s_delay_alu instid0(VALU_DEP_1) | instskip(SKIP_2) | instid1(VALU_DEP_3)
	v_pk_fma_f32 v[34:35], v[30:31], v[28:29], v[32:33] op_sel_hi:[1,0,1]
	v_add_nc_u32_e32 v27, 1, v27
	v_pk_fma_f32 v[28:29], v[30:31], v[28:29], v[32:33] neg_lo:[0,0,1] neg_hi:[0,0,1]
	v_mov_b32_e32 v29, v35
	s_delay_alu instid0(VALU_DEP_3) | instskip(NEXT) | instid1(VALU_DEP_2)
	v_cmp_lt_u32_e32 vcc_lo, 3, v27
	v_pk_add_f32 v[0:1], v[0:1], v[28:29]
	s_or_b32 s3, vcc_lo, s3
	s_delay_alu instid0(SALU_CYCLE_1)
	s_and_not1_b32 exec_lo, exec_lo, s3
	s_cbranch_execnz .LBB7_117
; %bb.118:
	s_or_b32 exec_lo, exec_lo, s3
.LBB7_119:
	s_delay_alu instid0(SALU_CYCLE_1) | instskip(SKIP_4) | instid1(VALU_DEP_1)
	s_or_b32 exec_lo, exec_lo, s2
	v_mov_b32_e32 v23, 0
	ds_load_b64 v[26:27], v23 offset:40
	s_wait_dscnt 0x0
	v_pk_mul_f32 v[28:29], v[0:1], v[26:27] op_sel:[1,1] op_sel_hi:[0,1]
	v_pk_fma_f32 v[30:31], v[0:1], v[26:27], v[28:29] op_sel_hi:[1,0,1]
	v_pk_fma_f32 v[0:1], v[0:1], v[26:27], v[28:29] neg_lo:[0,0,1] neg_hi:[0,0,1]
	s_delay_alu instid0(VALU_DEP_2)
	v_mov_b32_e32 v1, v31
	ds_store_b64 v25, v[0:1] offset:40
.LBB7_120:
	s_or_b32 exec_lo, exec_lo, s0
	ds_load_b64 v[0:1], v25 offset:48
	v_cmp_gt_u32_e64 s0, 6, v24
	s_wait_dscnt 0x0
	ds_store_b64 v20, v[0:1]
	s_wait_dscnt 0x0
	s_barrier_signal -1
	s_barrier_wait -1
	s_and_saveexec_b32 s2, s0
	s_cbranch_execz .LBB7_130
; %bb.121:
	v_cmp_ne_u32_e32 vcc_lo, 1, v22
	s_cbranch_vccnz .LBB7_123
; %bb.122:
	ds_load_b64 v[0:1], v21
	ds_load_b64 v[26:27], v20
	s_wait_dscnt 0x0
	v_pk_mul_f32 v[28:29], v[26:27], v[0:1] op_sel:[1,1] op_sel_hi:[0,1]
	s_delay_alu instid0(VALU_DEP_1) | instskip(SKIP_1) | instid1(VALU_DEP_2)
	v_pk_fma_f32 v[30:31], v[26:27], v[0:1], v[28:29] op_sel_hi:[1,0,1]
	v_pk_fma_f32 v[0:1], v[26:27], v[0:1], v[28:29] neg_lo:[0,0,1] neg_hi:[0,0,1]
	v_mov_b32_e32 v1, v31
	s_cbranch_execz .LBB7_124
	s_branch .LBB7_125
.LBB7_123:
                                        ; implicit-def: $vgpr0_vgpr1
.LBB7_124:
	ds_load_b64 v[0:1], v20
.LBB7_125:
	s_mov_b32 s3, exec_lo
	v_cmpx_ne_u32_e32 5, v24
	s_cbranch_execz .LBB7_129
; %bb.126:
	v_add_nc_u32_e32 v23, 0x48, v18
	v_add3_u32 v26, v19, v18, 0x88
	v_mov_b32_e32 v27, v24
	s_mov_b32 s4, 0
.LBB7_127:                              ; =>This Inner Loop Header: Depth=1
	ds_load_b64 v[28:29], v26
	ds_load_b64 v[30:31], v23
	v_dual_add_nc_u32 v23, 8, v23 :: v_dual_add_nc_u32 v26, 8, v26
	s_wait_dscnt 0x0
	v_pk_mul_f32 v[32:33], v[30:31], v[28:29] op_sel:[1,1] op_sel_hi:[0,1]
	s_delay_alu instid0(VALU_DEP_1) | instskip(SKIP_2) | instid1(VALU_DEP_3)
	v_pk_fma_f32 v[34:35], v[30:31], v[28:29], v[32:33] op_sel_hi:[1,0,1]
	v_add_nc_u32_e32 v27, 1, v27
	v_pk_fma_f32 v[28:29], v[30:31], v[28:29], v[32:33] neg_lo:[0,0,1] neg_hi:[0,0,1]
	v_mov_b32_e32 v29, v35
	s_delay_alu instid0(VALU_DEP_3) | instskip(NEXT) | instid1(VALU_DEP_2)
	v_cmp_lt_u32_e32 vcc_lo, 4, v27
	v_pk_add_f32 v[0:1], v[0:1], v[28:29]
	s_or_b32 s4, vcc_lo, s4
	s_delay_alu instid0(SALU_CYCLE_1)
	s_and_not1_b32 exec_lo, exec_lo, s4
	s_cbranch_execnz .LBB7_127
; %bb.128:
	s_or_b32 exec_lo, exec_lo, s4
.LBB7_129:
	s_delay_alu instid0(SALU_CYCLE_1) | instskip(SKIP_4) | instid1(VALU_DEP_1)
	s_or_b32 exec_lo, exec_lo, s3
	v_mov_b32_e32 v23, 0
	ds_load_b64 v[26:27], v23 offset:48
	s_wait_dscnt 0x0
	v_pk_mul_f32 v[28:29], v[0:1], v[26:27] op_sel:[1,1] op_sel_hi:[0,1]
	v_pk_fma_f32 v[30:31], v[0:1], v[26:27], v[28:29] op_sel_hi:[1,0,1]
	v_pk_fma_f32 v[0:1], v[0:1], v[26:27], v[28:29] neg_lo:[0,0,1] neg_hi:[0,0,1]
	s_delay_alu instid0(VALU_DEP_2)
	v_mov_b32_e32 v1, v31
	ds_store_b64 v25, v[0:1] offset:48
.LBB7_130:
	s_or_b32 exec_lo, exec_lo, s2
	ds_load_b64 v[0:1], v25 offset:56
	s_mov_b32 s2, exec_lo
                                        ; implicit-def: $vgpr23
                                        ; implicit-def: $vgpr27
	s_wait_dscnt 0x0
	ds_store_b64 v20, v[0:1]
	s_wait_dscnt 0x0
	s_barrier_signal -1
	s_barrier_wait -1
	v_cmpx_ne_u32_e32 7, v24
	s_cbranch_execz .LBB7_140
; %bb.131:
	v_cmp_ne_u32_e32 vcc_lo, 1, v22
	s_cbranch_vccnz .LBB7_133
; %bb.132:
	ds_load_b64 v[22:23], v21
	ds_load_b64 v[26:27], v20
	s_wait_dscnt 0x0
	v_dual_mul_f32 v0, v27, v23 :: v_dual_mul_f32 v1, v26, v23
	s_delay_alu instid0(VALU_DEP_1)
	v_dual_fma_f32 v0, v26, v22, -v0 :: v_dual_fmac_f32 v1, v27, v22
	s_cbranch_execz .LBB7_134
	s_branch .LBB7_135
.LBB7_133:
                                        ; implicit-def: $vgpr1
.LBB7_134:
	ds_load_b64 v[0:1], v20
.LBB7_135:
	s_and_saveexec_b32 s3, s0
	s_cbranch_execz .LBB7_139
; %bb.136:
	v_add_nc_u32_e32 v20, 0x48, v18
	v_add3_u32 v18, v19, v18, 0x88
	s_mov_b32 s0, 0
.LBB7_137:                              ; =>This Inner Loop Header: Depth=1
	ds_load_b64 v[22:23], v18
	ds_load_b64 v[26:27], v20
	s_wait_dscnt 0x0
	v_dual_mul_f32 v19, v27, v23 :: v_dual_add_nc_u32 v20, 8, v20
	v_dual_mul_f32 v21, v26, v23 :: v_dual_add_nc_u32 v24, 1, v24
	s_delay_alu instid0(VALU_DEP_1) | instskip(NEXT) | instid1(VALU_DEP_2)
	v_dual_fma_f32 v19, v26, v22, -v19 :: v_dual_fmac_f32 v21, v27, v22
	v_cmp_lt_u32_e32 vcc_lo, 5, v24
	s_delay_alu instid0(VALU_DEP_2) | instskip(NEXT) | instid1(VALU_DEP_3)
	v_dual_add_nc_u32 v18, 8, v18 :: v_dual_add_f32 v0, v0, v19
	v_add_f32_e32 v1, v1, v21
	s_or_b32 s0, vcc_lo, s0
	s_delay_alu instid0(SALU_CYCLE_1)
	s_and_not1_b32 exec_lo, exec_lo, s0
	s_cbranch_execnz .LBB7_137
; %bb.138:
	s_or_b32 exec_lo, exec_lo, s0
.LBB7_139:
	s_delay_alu instid0(SALU_CYCLE_1)
	s_or_b32 exec_lo, exec_lo, s3
	v_mov_b32_e32 v18, 0
	s_or_b32 s1, s1, exec_lo
	v_add_nc_u32_e32 v27, 60, v25
	ds_load_b64 v[18:19], v18 offset:56
	s_wait_dscnt 0x0
	v_dual_mul_f32 v20, v1, v19 :: v_dual_mul_f32 v23, v0, v19
	s_delay_alu instid0(VALU_DEP_1)
	v_dual_fma_f32 v0, v0, v18, -v20 :: v_dual_fmac_f32 v23, v1, v18
	ds_store_b32 v25, v0 offset:56
.LBB7_140:
	s_or_b32 exec_lo, exec_lo, s2
.LBB7_141:
	v_lshl_add_u64 v[18:19], v[4:5], 3, s[6:7]
	v_lshl_add_u64 v[20:21], v[6:7], 3, s[6:7]
	;; [unrolled: 1-line block ×6, first 2 shown]
	s_and_saveexec_b32 s0, s1
; %bb.142:
	ds_store_b32 v27, v23
; %bb.143:
	s_or_b32 exec_lo, exec_lo, s0
	ds_load_b128 v[12:15], v25
	ds_load_b128 v[26:29], v25 offset:16
	ds_load_b128 v[30:33], v25 offset:32
	;; [unrolled: 1-line block ×3, first 2 shown]
	s_wait_dscnt 0x3
	s_clause 0x1
	global_store_b64 v[2:3], v[12:13], off
	global_store_b64 v[8:9], v[14:15], off
	s_wait_dscnt 0x2
	s_clause 0x1
	global_store_b64 v[18:19], v[26:27], off
	global_store_b64 v[20:21], v[28:29], off
	;; [unrolled: 4-line block ×4, first 2 shown]
.LBB7_144:
	s_endpgm
	.section	.rodata,"a",@progbits
	.p2align	6, 0x0
	.amdhsa_kernel _ZN9rocsolver6v33100L18trti2_kernel_smallILi8E19rocblas_complex_numIfEPS3_EEv13rocblas_fill_17rocblas_diagonal_T1_iil
		.amdhsa_group_segment_fixed_size 4224
		.amdhsa_private_segment_fixed_size 0
		.amdhsa_kernarg_size 32
		.amdhsa_user_sgpr_count 4
		.amdhsa_user_sgpr_dispatch_ptr 1
		.amdhsa_user_sgpr_queue_ptr 0
		.amdhsa_user_sgpr_kernarg_segment_ptr 1
		.amdhsa_user_sgpr_dispatch_id 0
		.amdhsa_user_sgpr_kernarg_preload_length 0
		.amdhsa_user_sgpr_kernarg_preload_offset 0
		.amdhsa_user_sgpr_private_segment_size 0
		.amdhsa_wavefront_size32 1
		.amdhsa_uses_dynamic_stack 0
		.amdhsa_enable_private_segment 0
		.amdhsa_system_sgpr_workgroup_id_x 1
		.amdhsa_system_sgpr_workgroup_id_y 0
		.amdhsa_system_sgpr_workgroup_id_z 0
		.amdhsa_system_sgpr_workgroup_info 0
		.amdhsa_system_vgpr_workitem_id 2
		.amdhsa_next_free_vgpr 40
		.amdhsa_next_free_sgpr 14
		.amdhsa_named_barrier_count 0
		.amdhsa_reserve_vcc 1
		.amdhsa_float_round_mode_32 0
		.amdhsa_float_round_mode_16_64 0
		.amdhsa_float_denorm_mode_32 3
		.amdhsa_float_denorm_mode_16_64 3
		.amdhsa_fp16_overflow 0
		.amdhsa_memory_ordered 1
		.amdhsa_forward_progress 1
		.amdhsa_inst_pref_size 43
		.amdhsa_round_robin_scheduling 0
		.amdhsa_exception_fp_ieee_invalid_op 0
		.amdhsa_exception_fp_denorm_src 0
		.amdhsa_exception_fp_ieee_div_zero 0
		.amdhsa_exception_fp_ieee_overflow 0
		.amdhsa_exception_fp_ieee_underflow 0
		.amdhsa_exception_fp_ieee_inexact 0
		.amdhsa_exception_int_div_zero 0
	.end_amdhsa_kernel
	.section	.text._ZN9rocsolver6v33100L18trti2_kernel_smallILi8E19rocblas_complex_numIfEPS3_EEv13rocblas_fill_17rocblas_diagonal_T1_iil,"axG",@progbits,_ZN9rocsolver6v33100L18trti2_kernel_smallILi8E19rocblas_complex_numIfEPS3_EEv13rocblas_fill_17rocblas_diagonal_T1_iil,comdat
.Lfunc_end7:
	.size	_ZN9rocsolver6v33100L18trti2_kernel_smallILi8E19rocblas_complex_numIfEPS3_EEv13rocblas_fill_17rocblas_diagonal_T1_iil, .Lfunc_end7-_ZN9rocsolver6v33100L18trti2_kernel_smallILi8E19rocblas_complex_numIfEPS3_EEv13rocblas_fill_17rocblas_diagonal_T1_iil
                                        ; -- End function
	.set _ZN9rocsolver6v33100L18trti2_kernel_smallILi8E19rocblas_complex_numIfEPS3_EEv13rocblas_fill_17rocblas_diagonal_T1_iil.num_vgpr, 40
	.set _ZN9rocsolver6v33100L18trti2_kernel_smallILi8E19rocblas_complex_numIfEPS3_EEv13rocblas_fill_17rocblas_diagonal_T1_iil.num_agpr, 0
	.set _ZN9rocsolver6v33100L18trti2_kernel_smallILi8E19rocblas_complex_numIfEPS3_EEv13rocblas_fill_17rocblas_diagonal_T1_iil.numbered_sgpr, 14
	.set _ZN9rocsolver6v33100L18trti2_kernel_smallILi8E19rocblas_complex_numIfEPS3_EEv13rocblas_fill_17rocblas_diagonal_T1_iil.num_named_barrier, 0
	.set _ZN9rocsolver6v33100L18trti2_kernel_smallILi8E19rocblas_complex_numIfEPS3_EEv13rocblas_fill_17rocblas_diagonal_T1_iil.private_seg_size, 0
	.set _ZN9rocsolver6v33100L18trti2_kernel_smallILi8E19rocblas_complex_numIfEPS3_EEv13rocblas_fill_17rocblas_diagonal_T1_iil.uses_vcc, 1
	.set _ZN9rocsolver6v33100L18trti2_kernel_smallILi8E19rocblas_complex_numIfEPS3_EEv13rocblas_fill_17rocblas_diagonal_T1_iil.uses_flat_scratch, 0
	.set _ZN9rocsolver6v33100L18trti2_kernel_smallILi8E19rocblas_complex_numIfEPS3_EEv13rocblas_fill_17rocblas_diagonal_T1_iil.has_dyn_sized_stack, 0
	.set _ZN9rocsolver6v33100L18trti2_kernel_smallILi8E19rocblas_complex_numIfEPS3_EEv13rocblas_fill_17rocblas_diagonal_T1_iil.has_recursion, 0
	.set _ZN9rocsolver6v33100L18trti2_kernel_smallILi8E19rocblas_complex_numIfEPS3_EEv13rocblas_fill_17rocblas_diagonal_T1_iil.has_indirect_call, 0
	.section	.AMDGPU.csdata,"",@progbits
; Kernel info:
; codeLenInByte = 5476
; TotalNumSgprs: 16
; NumVgprs: 40
; ScratchSize: 0
; MemoryBound: 0
; FloatMode: 240
; IeeeMode: 1
; LDSByteSize: 4224 bytes/workgroup (compile time only)
; SGPRBlocks: 0
; VGPRBlocks: 2
; NumSGPRsForWavesPerEU: 16
; NumVGPRsForWavesPerEU: 40
; NamedBarCnt: 0
; Occupancy: 16
; WaveLimiterHint : 0
; COMPUTE_PGM_RSRC2:SCRATCH_EN: 0
; COMPUTE_PGM_RSRC2:USER_SGPR: 4
; COMPUTE_PGM_RSRC2:TRAP_HANDLER: 0
; COMPUTE_PGM_RSRC2:TGID_X_EN: 1
; COMPUTE_PGM_RSRC2:TGID_Y_EN: 0
; COMPUTE_PGM_RSRC2:TGID_Z_EN: 0
; COMPUTE_PGM_RSRC2:TIDIG_COMP_CNT: 2
	.section	.text._ZN9rocsolver6v33100L18trti2_kernel_smallILi9E19rocblas_complex_numIfEPS3_EEv13rocblas_fill_17rocblas_diagonal_T1_iil,"axG",@progbits,_ZN9rocsolver6v33100L18trti2_kernel_smallILi9E19rocblas_complex_numIfEPS3_EEv13rocblas_fill_17rocblas_diagonal_T1_iil,comdat
	.globl	_ZN9rocsolver6v33100L18trti2_kernel_smallILi9E19rocblas_complex_numIfEPS3_EEv13rocblas_fill_17rocblas_diagonal_T1_iil ; -- Begin function _ZN9rocsolver6v33100L18trti2_kernel_smallILi9E19rocblas_complex_numIfEPS3_EEv13rocblas_fill_17rocblas_diagonal_T1_iil
	.p2align	8
	.type	_ZN9rocsolver6v33100L18trti2_kernel_smallILi9E19rocblas_complex_numIfEPS3_EEv13rocblas_fill_17rocblas_diagonal_T1_iil,@function
_ZN9rocsolver6v33100L18trti2_kernel_smallILi9E19rocblas_complex_numIfEPS3_EEv13rocblas_fill_17rocblas_diagonal_T1_iil: ; @_ZN9rocsolver6v33100L18trti2_kernel_smallILi9E19rocblas_complex_numIfEPS3_EEv13rocblas_fill_17rocblas_diagonal_T1_iil
; %bb.0:
	v_and_b32_e32 v26, 0x3ff, v0
	s_mov_b32 s4, exec_lo
	s_delay_alu instid0(VALU_DEP_1)
	v_cmpx_gt_u32_e32 9, v26
	s_cbranch_execz .LBB8_164
; %bb.1:
	s_load_b64 s[12:13], s[0:1], 0x4
	s_load_b256 s[4:11], s[2:3], 0x0
	s_wait_xcnt 0x0
	s_bfe_u32 s0, ttmp6, 0x4000c
	s_and_b32 s1, ttmp6, 15
	s_add_co_i32 s0, s0, 1
	s_getreg_b32 s2, hwreg(HW_REG_IB_STS2, 6, 4)
	s_mul_i32 s0, ttmp9, s0
	v_dual_mov_b32 v21, 0 :: v_dual_lshlrev_b32 v20, 3, v26
	s_add_co_i32 s0, s1, s0
	v_bfe_u32 v1, v0, 10, 10
	v_bfe_u32 v0, v0, 20, 10
	s_wait_kmcnt 0x0
	s_lshr_b32 s12, s12, 16
	v_add3_u32 v6, s9, s9, v26
	s_ashr_i32 s1, s8, 31
	s_cmp_eq_u32 s2, 0
	s_mul_i32 s12, s12, s13
	s_cselect_b32 s2, ttmp9, s0
	v_add_nc_u32_e32 v8, s9, v6
	s_ashr_i32 s3, s2, 31
	s_mov_b32 s0, s8
	s_mul_u64 s[2:3], s[10:11], s[2:3]
	s_lshl_b64 s[0:1], s[0:1], 3
	v_add_nc_u32_e32 v10, s9, v8
	s_lshl_b64 s[2:3], s[2:3], 3
	v_mul_u32_u24_e32 v1, s13, v1
	s_add_nc_u64 s[2:3], s[6:7], s[2:3]
	v_mul_u32_u24_e32 v7, s12, v26
	v_add_nc_u32_e32 v12, s9, v10
	s_add_nc_u64 s[2:3], s[2:3], s[0:1]
	s_mov_b32 s0, s9
	v_add_nc_u64_e32 v[2:3], s[2:3], v[20:21]
	s_ashr_i32 s1, s9, 31
	v_add_nc_u32_e32 v14, s9, v12
	v_add3_u32 v28, v7, v1, v0
	s_cmp_lg_u32 s5, 0x84
	s_cselect_b32 s5, -1, 0
	s_delay_alu instid0(VALU_DEP_2)
	v_add_nc_u32_e32 v16, s9, v14
	v_lshl_add_u64 v[4:5], s[0:1], 3, v[2:3]
	s_clause 0x3
	global_load_b64 v[22:23], v26, s[2:3] scale_offset
	global_load_b64 v[24:25], v[4:5], off
	global_load_b64 v[30:31], v6, s[2:3] scale_offset
	global_load_b64 v[32:33], v8, s[2:3] scale_offset
	v_add_nc_u32_e32 v18, s9, v16
	s_clause 0x4
	global_load_b64 v[34:35], v10, s[2:3] scale_offset
	global_load_b64 v[36:37], v12, s[2:3] scale_offset
	;; [unrolled: 1-line block ×5, first 2 shown]
	v_mul_lo_u32 v27, 0x48, v28
	s_mov_b32 s0, -1
	s_and_b32 vcc_lo, exec_lo, s5
	s_wait_loadcnt 0x7
	ds_store_b128 v27, v[22:25] offset:160
	s_wait_loadcnt 0x5
	ds_store_b128 v27, v[30:33] offset:176
	;; [unrolled: 2-line block ×4, first 2 shown]
	s_wait_loadcnt 0x0
	ds_store_b64 v27, v[42:43] offset:224
	v_add_nc_u32_e32 v21, 0xa0, v27
	s_cbranch_vccz .LBB8_7
; %bb.2:
	s_delay_alu instid0(VALU_DEP_1) | instskip(SKIP_4) | instid1(SALU_CYCLE_1)
	v_lshl_add_u32 v7, v26, 3, v21
                                        ; implicit-def: $vgpr25
                                        ; implicit-def: $vgpr22
	ds_load_b64 v[0:1], v7
	s_wait_dscnt 0x0
	v_cmp_ngt_f32_e64 s0, |v0|, |v1|
	s_and_saveexec_b32 s1, s0
	s_xor_b32 s0, exec_lo, s1
	s_cbranch_execz .LBB8_4
; %bb.3:
	v_div_scale_f32 v9, null, v1, v1, v0
	v_div_scale_f32 v15, vcc_lo, v0, v1, v0
	s_delay_alu instid0(VALU_DEP_2) | instskip(SKIP_1) | instid1(TRANS32_DEP_1)
	v_rcp_f32_e32 v11, v9
	v_nop
	v_fma_f32 v13, -v9, v11, 1.0
	s_delay_alu instid0(VALU_DEP_1) | instskip(NEXT) | instid1(VALU_DEP_1)
	v_fmac_f32_e32 v11, v13, v11
	v_mul_f32_e32 v13, v15, v11
	s_delay_alu instid0(VALU_DEP_1) | instskip(NEXT) | instid1(VALU_DEP_1)
	v_fma_f32 v17, -v9, v13, v15
	v_fmac_f32_e32 v13, v17, v11
	s_delay_alu instid0(VALU_DEP_1) | instskip(NEXT) | instid1(VALU_DEP_1)
	v_fma_f32 v9, -v9, v13, v15
	v_div_fmas_f32 v9, v9, v11, v13
	s_delay_alu instid0(VALU_DEP_1) | instskip(NEXT) | instid1(VALU_DEP_1)
	v_div_fixup_f32 v9, v9, v1, v0
	v_fmac_f32_e32 v1, v0, v9
	s_delay_alu instid0(VALU_DEP_1) | instskip(NEXT) | instid1(VALU_DEP_1)
	v_div_scale_f32 v0, null, v1, v1, -1.0
	v_rcp_f32_e32 v11, v0
	v_nop
	s_delay_alu instid0(TRANS32_DEP_1) | instskip(NEXT) | instid1(VALU_DEP_1)
	v_fma_f32 v13, -v0, v11, 1.0
	v_fmac_f32_e32 v11, v13, v11
	v_div_scale_f32 v13, vcc_lo, -1.0, v1, -1.0
	s_delay_alu instid0(VALU_DEP_1) | instskip(NEXT) | instid1(VALU_DEP_1)
	v_mul_f32_e32 v15, v13, v11
	v_fma_f32 v17, -v0, v15, v13
	s_delay_alu instid0(VALU_DEP_1) | instskip(NEXT) | instid1(VALU_DEP_1)
	v_fmac_f32_e32 v15, v17, v11
	v_fma_f32 v0, -v0, v15, v13
	s_delay_alu instid0(VALU_DEP_1) | instskip(NEXT) | instid1(VALU_DEP_1)
	v_div_fmas_f32 v0, v0, v11, v15
	v_div_fixup_f32 v25, v0, v1, -1.0
                                        ; implicit-def: $vgpr0_vgpr1
	s_delay_alu instid0(VALU_DEP_1) | instskip(NEXT) | instid1(VALU_DEP_1)
	v_mul_f32_e32 v22, v9, v25
	v_xor_b32_e32 v24, 0x80000000, v22
.LBB8_4:
	s_and_not1_saveexec_b32 s0, s0
	s_cbranch_execz .LBB8_6
; %bb.5:
	v_div_scale_f32 v9, null, v0, v0, v1
	v_div_scale_f32 v15, vcc_lo, v1, v0, v1
	s_delay_alu instid0(VALU_DEP_2) | instskip(SKIP_1) | instid1(TRANS32_DEP_1)
	v_rcp_f32_e32 v11, v9
	v_nop
	v_fma_f32 v13, -v9, v11, 1.0
	s_delay_alu instid0(VALU_DEP_1) | instskip(NEXT) | instid1(VALU_DEP_1)
	v_fmac_f32_e32 v11, v13, v11
	v_mul_f32_e32 v13, v15, v11
	s_delay_alu instid0(VALU_DEP_1) | instskip(NEXT) | instid1(VALU_DEP_1)
	v_fma_f32 v17, -v9, v13, v15
	v_fmac_f32_e32 v13, v17, v11
	s_delay_alu instid0(VALU_DEP_1) | instskip(NEXT) | instid1(VALU_DEP_1)
	v_fma_f32 v9, -v9, v13, v15
	v_div_fmas_f32 v9, v9, v11, v13
	s_delay_alu instid0(VALU_DEP_1) | instskip(NEXT) | instid1(VALU_DEP_1)
	v_div_fixup_f32 v9, v9, v0, v1
	v_fmac_f32_e32 v0, v1, v9
	s_delay_alu instid0(VALU_DEP_1) | instskip(SKIP_1) | instid1(VALU_DEP_2)
	v_div_scale_f32 v1, null, v0, v0, 1.0
	v_div_scale_f32 v15, vcc_lo, 1.0, v0, 1.0
	v_rcp_f32_e32 v11, v1
	v_nop
	s_delay_alu instid0(TRANS32_DEP_1) | instskip(NEXT) | instid1(VALU_DEP_1)
	v_fma_f32 v13, -v1, v11, 1.0
	v_fmac_f32_e32 v11, v13, v11
	s_delay_alu instid0(VALU_DEP_1) | instskip(NEXT) | instid1(VALU_DEP_1)
	v_mul_f32_e32 v13, v15, v11
	v_fma_f32 v17, -v1, v13, v15
	s_delay_alu instid0(VALU_DEP_1) | instskip(NEXT) | instid1(VALU_DEP_1)
	v_fmac_f32_e32 v13, v17, v11
	v_fma_f32 v1, -v1, v13, v15
	s_delay_alu instid0(VALU_DEP_1) | instskip(NEXT) | instid1(VALU_DEP_1)
	v_div_fmas_f32 v1, v1, v11, v13
	v_div_fixup_f32 v24, v1, v0, 1.0
	s_delay_alu instid0(VALU_DEP_1)
	v_xor_b32_e32 v22, 0x80000000, v24
	v_mul_f32_e64 v25, v9, -v24
.LBB8_6:
	s_or_b32 exec_lo, exec_lo, s0
	s_delay_alu instid0(VALU_DEP_1)
	v_xor_b32_e32 v23, 0x80000000, v25
	s_mov_b32 s0, 0
	ds_store_b64 v7, v[24:25]
	ds_store_b64 v20, v[22:23]
.LBB8_7:
	s_and_b32 vcc_lo, exec_lo, s0
	s_cbranch_vccz .LBB8_9
; %bb.8:
	s_mov_b64 s[0:1], 0xbf800000
	s_delay_alu instid0(SALU_CYCLE_1)
	v_mov_b64_e32 v[0:1], s[0:1]
	ds_store_b64 v20, v[0:1]
.LBB8_9:
	v_dual_ashrrev_i32 v7, 31, v6 :: v_dual_ashrrev_i32 v9, 31, v8
	v_dual_ashrrev_i32 v11, 31, v10 :: v_dual_ashrrev_i32 v13, 31, v12
	;; [unrolled: 1-line block ×3, first 2 shown]
	v_dual_ashrrev_i32 v19, 31, v18 :: v_dual_add_nc_u32 v23, v21, v20
	v_add_nc_u32_e32 v22, 0x50, v20
	s_cmp_eq_u32 s4, 0x79
	s_cbranch_scc1 .LBB8_13
; %bb.10:
	ds_load_b64 v[0:1], v21 offset:56
	v_cmp_eq_u32_e64 s0, 8, v26
	s_wait_dscnt 0x0
	ds_store_b64 v22, v[0:1]
	s_wait_dscnt 0x0
	s_barrier_signal -1
	s_barrier_wait -1
	s_and_saveexec_b32 s1, s0
	s_cbranch_execz .LBB8_17
; %bb.11:
	s_and_b32 vcc_lo, exec_lo, s5
	s_cbranch_vccz .LBB8_14
; %bb.12:
	ds_load_b64 v[0:1], v23
	ds_load_b64 v[24:25], v22
	s_wait_dscnt 0x0
	v_pk_mul_f32 v[30:31], v[24:25], v[0:1] op_sel:[1,1] op_sel_hi:[0,1]
	v_pk_mul_f32 v[32:33], v[24:25], v[0:1] op_sel_hi:[1,0]
	s_delay_alu instid0(VALU_DEP_2) | instskip(NEXT) | instid1(VALU_DEP_2)
	v_pk_fma_f32 v[0:1], v[24:25], v[0:1], v[30:31] op_sel_hi:[1,0,1]
	v_sub_f32_e32 v0, v32, v30
	s_cbranch_execz .LBB8_15
	s_branch .LBB8_16
.LBB8_13:
	s_mov_b32 s1, 0
                                        ; implicit-def: $vgpr25
                                        ; implicit-def: $vgpr29
	s_cbranch_execnz .LBB8_86
	s_branch .LBB8_161
.LBB8_14:
                                        ; implicit-def: $vgpr1
.LBB8_15:
	ds_load_b64 v[0:1], v22
.LBB8_16:
	s_wait_dscnt 0x0
	v_dual_mov_b32 v24, 0 :: v_dual_mov_b32 v30, v1
	v_mov_b32_e32 v31, v0
	ds_load_b64 v[24:25], v24 offset:56
	s_wait_dscnt 0x0
	v_pk_mul_f32 v[30:31], v[30:31], v[24:25] op_sel:[0,1]
	s_delay_alu instid0(VALU_DEP_1) | instskip(SKIP_1) | instid1(VALU_DEP_2)
	v_pk_fma_f32 v[32:33], v[0:1], v[24:25], v[30:31] op_sel_hi:[1,0,1]
	v_pk_fma_f32 v[0:1], v[0:1], v[24:25], v[30:31] neg_lo:[0,0,1] neg_hi:[0,0,1]
	v_mov_b32_e32 v1, v33
	ds_store_b64 v21, v[0:1] offset:56
.LBB8_17:
	s_or_b32 exec_lo, exec_lo, s1
	ds_load_b64 v[0:1], v21 offset:48
	v_cmp_lt_u32_e64 s1, 6, v26
	s_wait_dscnt 0x0
	ds_store_b64 v22, v[0:1]
	s_wait_dscnt 0x0
	s_barrier_signal -1
	s_barrier_wait -1
	s_and_saveexec_b32 s4, s1
	s_cbranch_execz .LBB8_25
; %bb.18:
	s_and_not1_b32 vcc_lo, exec_lo, s5
	s_cbranch_vccnz .LBB8_20
; %bb.19:
	ds_load_b64 v[0:1], v23
	ds_load_b64 v[24:25], v22
	s_wait_dscnt 0x0
	v_pk_mul_f32 v[30:31], v[24:25], v[0:1] op_sel:[1,1] op_sel_hi:[0,1]
	s_delay_alu instid0(VALU_DEP_1) | instskip(SKIP_1) | instid1(VALU_DEP_2)
	v_pk_fma_f32 v[32:33], v[24:25], v[0:1], v[30:31] op_sel_hi:[1,0,1]
	v_pk_fma_f32 v[0:1], v[24:25], v[0:1], v[30:31] neg_lo:[0,0,1] neg_hi:[0,0,1]
	v_mov_b32_e32 v1, v33
	s_cbranch_execz .LBB8_21
	s_branch .LBB8_22
.LBB8_20:
                                        ; implicit-def: $vgpr0_vgpr1
.LBB8_21:
	ds_load_b64 v[0:1], v22
.LBB8_22:
	s_and_saveexec_b32 s6, s0
	s_cbranch_execz .LBB8_24
; %bb.23:
	v_mov_b32_e32 v29, 0
	ds_load_b64 v[24:25], v21 offset:56
	ds_load_b64 v[30:31], v29 offset:136
	s_wait_dscnt 0x0
	v_pk_mul_f32 v[32:33], v[30:31], v[24:25] op_sel:[1,1] op_sel_hi:[0,1]
	s_delay_alu instid0(VALU_DEP_1) | instskip(SKIP_1) | instid1(VALU_DEP_2)
	v_pk_fma_f32 v[34:35], v[30:31], v[24:25], v[32:33] op_sel_hi:[1,0,1]
	v_pk_fma_f32 v[24:25], v[30:31], v[24:25], v[32:33] neg_lo:[0,0,1] neg_hi:[0,0,1]
	v_mov_b32_e32 v25, v35
	s_delay_alu instid0(VALU_DEP_1)
	v_pk_add_f32 v[0:1], v[0:1], v[24:25]
.LBB8_24:
	s_or_b32 exec_lo, exec_lo, s6
	v_mov_b32_e32 v24, 0
	ds_load_b64 v[24:25], v24 offset:48
	s_wait_dscnt 0x0
	v_pk_mul_f32 v[30:31], v[0:1], v[24:25] op_sel:[1,1] op_sel_hi:[0,1]
	s_delay_alu instid0(VALU_DEP_1) | instskip(SKIP_1) | instid1(VALU_DEP_2)
	v_pk_fma_f32 v[32:33], v[0:1], v[24:25], v[30:31] op_sel_hi:[1,0,1]
	v_pk_fma_f32 v[0:1], v[0:1], v[24:25], v[30:31] neg_lo:[0,0,1] neg_hi:[0,0,1]
	v_mov_b32_e32 v1, v33
	ds_store_b64 v21, v[0:1] offset:48
.LBB8_25:
	s_or_b32 exec_lo, exec_lo, s4
	ds_load_b64 v[0:1], v21 offset:40
	v_cmp_lt_u32_e64 s0, 5, v26
	s_wait_dscnt 0x0
	ds_store_b64 v22, v[0:1]
	s_wait_dscnt 0x0
	s_barrier_signal -1
	s_barrier_wait -1
	s_and_saveexec_b32 s4, s0
	s_cbranch_execz .LBB8_35
; %bb.26:
	s_and_not1_b32 vcc_lo, exec_lo, s5
	s_cbranch_vccnz .LBB8_28
; %bb.27:
	ds_load_b64 v[0:1], v23
	ds_load_b64 v[24:25], v22
	s_wait_dscnt 0x0
	v_pk_mul_f32 v[30:31], v[24:25], v[0:1] op_sel:[1,1] op_sel_hi:[0,1]
	s_delay_alu instid0(VALU_DEP_1) | instskip(SKIP_1) | instid1(VALU_DEP_2)
	v_pk_fma_f32 v[32:33], v[24:25], v[0:1], v[30:31] op_sel_hi:[1,0,1]
	v_pk_fma_f32 v[0:1], v[24:25], v[0:1], v[30:31] neg_lo:[0,0,1] neg_hi:[0,0,1]
	v_mov_b32_e32 v1, v33
	s_cbranch_execz .LBB8_29
	s_branch .LBB8_30
.LBB8_28:
                                        ; implicit-def: $vgpr0_vgpr1
.LBB8_29:
	ds_load_b64 v[0:1], v22
.LBB8_30:
	s_and_saveexec_b32 s6, s1
	s_cbranch_execz .LBB8_34
; %bb.31:
	s_movk_i32 s1, 0x48
	v_add_nc_u32_e32 v25, -6, v26
	v_mad_u32 v24, v28, s1, 0xd0
	s_movk_i32 s7, 0x80
	s_mov_b32 s1, 0
.LBB8_32:                               ; =>This Inner Loop Header: Depth=1
	s_delay_alu instid0(VALU_DEP_2)
	v_dual_mov_b32 v29, s7 :: v_dual_add_nc_u32 v25, -1, v25
	s_add_co_i32 s7, s7, 8
	ds_load_b64 v[30:31], v24
	ds_load_b64 v[32:33], v29
	v_add_nc_u32_e32 v24, 8, v24
	v_cmp_eq_u32_e32 vcc_lo, 0, v25
	s_or_b32 s1, vcc_lo, s1
	s_wait_dscnt 0x0
	v_pk_mul_f32 v[34:35], v[32:33], v[30:31] op_sel:[1,1] op_sel_hi:[0,1]
	s_delay_alu instid0(VALU_DEP_1) | instskip(SKIP_1) | instid1(VALU_DEP_2)
	v_pk_fma_f32 v[36:37], v[32:33], v[30:31], v[34:35] op_sel_hi:[1,0,1]
	v_pk_fma_f32 v[30:31], v[32:33], v[30:31], v[34:35] neg_lo:[0,0,1] neg_hi:[0,0,1]
	v_mov_b32_e32 v31, v37
	s_delay_alu instid0(VALU_DEP_1)
	v_pk_add_f32 v[0:1], v[0:1], v[30:31]
	s_and_not1_b32 exec_lo, exec_lo, s1
	s_cbranch_execnz .LBB8_32
; %bb.33:
	s_or_b32 exec_lo, exec_lo, s1
.LBB8_34:
	s_delay_alu instid0(SALU_CYCLE_1) | instskip(SKIP_4) | instid1(VALU_DEP_1)
	s_or_b32 exec_lo, exec_lo, s6
	v_mov_b32_e32 v24, 0
	ds_load_b64 v[24:25], v24 offset:40
	s_wait_dscnt 0x0
	v_pk_mul_f32 v[30:31], v[0:1], v[24:25] op_sel:[1,1] op_sel_hi:[0,1]
	v_pk_fma_f32 v[32:33], v[0:1], v[24:25], v[30:31] op_sel_hi:[1,0,1]
	v_pk_fma_f32 v[0:1], v[0:1], v[24:25], v[30:31] neg_lo:[0,0,1] neg_hi:[0,0,1]
	s_delay_alu instid0(VALU_DEP_2)
	v_mov_b32_e32 v1, v33
	ds_store_b64 v21, v[0:1] offset:40
.LBB8_35:
	s_or_b32 exec_lo, exec_lo, s4
	ds_load_b64 v[0:1], v21 offset:32
	v_cmp_lt_u32_e64 s1, 4, v26
	s_wait_dscnt 0x0
	ds_store_b64 v22, v[0:1]
	s_wait_dscnt 0x0
	s_barrier_signal -1
	s_barrier_wait -1
	s_and_saveexec_b32 s4, s1
	s_cbranch_execz .LBB8_45
; %bb.36:
	s_and_not1_b32 vcc_lo, exec_lo, s5
	s_cbranch_vccnz .LBB8_38
; %bb.37:
	ds_load_b64 v[0:1], v23
	ds_load_b64 v[24:25], v22
	s_wait_dscnt 0x0
	v_pk_mul_f32 v[30:31], v[24:25], v[0:1] op_sel:[1,1] op_sel_hi:[0,1]
	s_delay_alu instid0(VALU_DEP_1) | instskip(SKIP_1) | instid1(VALU_DEP_2)
	v_pk_fma_f32 v[32:33], v[24:25], v[0:1], v[30:31] op_sel_hi:[1,0,1]
	v_pk_fma_f32 v[0:1], v[24:25], v[0:1], v[30:31] neg_lo:[0,0,1] neg_hi:[0,0,1]
	v_mov_b32_e32 v1, v33
	s_cbranch_execz .LBB8_39
	s_branch .LBB8_40
.LBB8_38:
                                        ; implicit-def: $vgpr0_vgpr1
.LBB8_39:
	ds_load_b64 v[0:1], v22
.LBB8_40:
	s_and_saveexec_b32 s6, s0
	s_cbranch_execz .LBB8_44
; %bb.41:
	s_movk_i32 s0, 0x48
	v_add_nc_u32_e32 v25, -5, v26
	v_mad_u32 v24, v28, s0, 0xc8
	s_movk_i32 s7, 0x78
	s_mov_b32 s0, 0
.LBB8_42:                               ; =>This Inner Loop Header: Depth=1
	s_delay_alu instid0(VALU_DEP_2)
	v_dual_mov_b32 v29, s7 :: v_dual_add_nc_u32 v25, -1, v25
	s_add_co_i32 s7, s7, 8
	ds_load_b64 v[30:31], v24
	ds_load_b64 v[32:33], v29
	v_add_nc_u32_e32 v24, 8, v24
	v_cmp_eq_u32_e32 vcc_lo, 0, v25
	s_or_b32 s0, vcc_lo, s0
	s_wait_dscnt 0x0
	v_pk_mul_f32 v[34:35], v[32:33], v[30:31] op_sel:[1,1] op_sel_hi:[0,1]
	s_delay_alu instid0(VALU_DEP_1) | instskip(SKIP_1) | instid1(VALU_DEP_2)
	v_pk_fma_f32 v[36:37], v[32:33], v[30:31], v[34:35] op_sel_hi:[1,0,1]
	v_pk_fma_f32 v[30:31], v[32:33], v[30:31], v[34:35] neg_lo:[0,0,1] neg_hi:[0,0,1]
	v_mov_b32_e32 v31, v37
	s_delay_alu instid0(VALU_DEP_1)
	v_pk_add_f32 v[0:1], v[0:1], v[30:31]
	s_and_not1_b32 exec_lo, exec_lo, s0
	s_cbranch_execnz .LBB8_42
; %bb.43:
	s_or_b32 exec_lo, exec_lo, s0
.LBB8_44:
	s_delay_alu instid0(SALU_CYCLE_1) | instskip(SKIP_4) | instid1(VALU_DEP_1)
	s_or_b32 exec_lo, exec_lo, s6
	v_mov_b32_e32 v24, 0
	ds_load_b64 v[24:25], v24 offset:32
	s_wait_dscnt 0x0
	v_pk_mul_f32 v[30:31], v[0:1], v[24:25] op_sel:[1,1] op_sel_hi:[0,1]
	v_pk_fma_f32 v[32:33], v[0:1], v[24:25], v[30:31] op_sel_hi:[1,0,1]
	v_pk_fma_f32 v[0:1], v[0:1], v[24:25], v[30:31] neg_lo:[0,0,1] neg_hi:[0,0,1]
	s_delay_alu instid0(VALU_DEP_2)
	v_mov_b32_e32 v1, v33
	ds_store_b64 v21, v[0:1] offset:32
.LBB8_45:
	s_or_b32 exec_lo, exec_lo, s4
	ds_load_b64 v[0:1], v21 offset:24
	v_cmp_lt_u32_e64 s0, 3, v26
	s_wait_dscnt 0x0
	ds_store_b64 v22, v[0:1]
	s_wait_dscnt 0x0
	s_barrier_signal -1
	s_barrier_wait -1
	s_and_saveexec_b32 s4, s0
	s_cbranch_execz .LBB8_55
; %bb.46:
	s_and_not1_b32 vcc_lo, exec_lo, s5
	s_cbranch_vccnz .LBB8_48
; %bb.47:
	ds_load_b64 v[0:1], v23
	ds_load_b64 v[24:25], v22
	s_wait_dscnt 0x0
	v_pk_mul_f32 v[30:31], v[24:25], v[0:1] op_sel:[1,1] op_sel_hi:[0,1]
	s_delay_alu instid0(VALU_DEP_1) | instskip(SKIP_1) | instid1(VALU_DEP_2)
	v_pk_fma_f32 v[32:33], v[24:25], v[0:1], v[30:31] op_sel_hi:[1,0,1]
	v_pk_fma_f32 v[0:1], v[24:25], v[0:1], v[30:31] neg_lo:[0,0,1] neg_hi:[0,0,1]
	v_mov_b32_e32 v1, v33
	s_cbranch_execz .LBB8_49
	s_branch .LBB8_50
.LBB8_48:
                                        ; implicit-def: $vgpr0_vgpr1
.LBB8_49:
	ds_load_b64 v[0:1], v22
.LBB8_50:
	s_and_saveexec_b32 s6, s1
	s_cbranch_execz .LBB8_54
; %bb.51:
	s_movk_i32 s1, 0x48
	v_add_nc_u32_e32 v25, -4, v26
	v_mad_u32 v24, v28, s1, 0xc0
	s_movk_i32 s7, 0x70
	s_mov_b32 s1, 0
.LBB8_52:                               ; =>This Inner Loop Header: Depth=1
	s_delay_alu instid0(VALU_DEP_2)
	v_dual_mov_b32 v29, s7 :: v_dual_add_nc_u32 v25, -1, v25
	s_add_co_i32 s7, s7, 8
	ds_load_b64 v[30:31], v24
	ds_load_b64 v[32:33], v29
	v_add_nc_u32_e32 v24, 8, v24
	v_cmp_eq_u32_e32 vcc_lo, 0, v25
	s_or_b32 s1, vcc_lo, s1
	s_wait_dscnt 0x0
	v_pk_mul_f32 v[34:35], v[32:33], v[30:31] op_sel:[1,1] op_sel_hi:[0,1]
	s_delay_alu instid0(VALU_DEP_1) | instskip(SKIP_1) | instid1(VALU_DEP_2)
	v_pk_fma_f32 v[36:37], v[32:33], v[30:31], v[34:35] op_sel_hi:[1,0,1]
	v_pk_fma_f32 v[30:31], v[32:33], v[30:31], v[34:35] neg_lo:[0,0,1] neg_hi:[0,0,1]
	v_mov_b32_e32 v31, v37
	s_delay_alu instid0(VALU_DEP_1)
	v_pk_add_f32 v[0:1], v[0:1], v[30:31]
	s_and_not1_b32 exec_lo, exec_lo, s1
	s_cbranch_execnz .LBB8_52
; %bb.53:
	s_or_b32 exec_lo, exec_lo, s1
.LBB8_54:
	s_delay_alu instid0(SALU_CYCLE_1) | instskip(SKIP_4) | instid1(VALU_DEP_1)
	s_or_b32 exec_lo, exec_lo, s6
	v_mov_b32_e32 v24, 0
	ds_load_b64 v[24:25], v24 offset:24
	s_wait_dscnt 0x0
	v_pk_mul_f32 v[30:31], v[0:1], v[24:25] op_sel:[1,1] op_sel_hi:[0,1]
	v_pk_fma_f32 v[32:33], v[0:1], v[24:25], v[30:31] op_sel_hi:[1,0,1]
	v_pk_fma_f32 v[0:1], v[0:1], v[24:25], v[30:31] neg_lo:[0,0,1] neg_hi:[0,0,1]
	s_delay_alu instid0(VALU_DEP_2)
	v_mov_b32_e32 v1, v33
	ds_store_b64 v21, v[0:1] offset:24
.LBB8_55:
	s_or_b32 exec_lo, exec_lo, s4
	ds_load_b64 v[0:1], v21 offset:16
	v_cmp_lt_u32_e64 s1, 2, v26
	s_wait_dscnt 0x0
	ds_store_b64 v22, v[0:1]
	s_wait_dscnt 0x0
	s_barrier_signal -1
	s_barrier_wait -1
	s_and_saveexec_b32 s4, s1
	s_cbranch_execz .LBB8_65
; %bb.56:
	s_and_not1_b32 vcc_lo, exec_lo, s5
	s_cbranch_vccnz .LBB8_58
; %bb.57:
	ds_load_b64 v[0:1], v23
	ds_load_b64 v[24:25], v22
	s_wait_dscnt 0x0
	v_pk_mul_f32 v[30:31], v[24:25], v[0:1] op_sel:[1,1] op_sel_hi:[0,1]
	s_delay_alu instid0(VALU_DEP_1) | instskip(SKIP_1) | instid1(VALU_DEP_2)
	v_pk_fma_f32 v[32:33], v[24:25], v[0:1], v[30:31] op_sel_hi:[1,0,1]
	v_pk_fma_f32 v[0:1], v[24:25], v[0:1], v[30:31] neg_lo:[0,0,1] neg_hi:[0,0,1]
	v_mov_b32_e32 v1, v33
	s_cbranch_execz .LBB8_59
	s_branch .LBB8_60
.LBB8_58:
                                        ; implicit-def: $vgpr0_vgpr1
.LBB8_59:
	ds_load_b64 v[0:1], v22
.LBB8_60:
	s_and_saveexec_b32 s6, s0
	s_cbranch_execz .LBB8_64
; %bb.61:
	s_movk_i32 s0, 0x48
	v_add_nc_u32_e32 v25, -3, v26
	v_mad_u32 v24, v28, s0, 0xb8
	s_movk_i32 s7, 0x68
	s_mov_b32 s0, 0
.LBB8_62:                               ; =>This Inner Loop Header: Depth=1
	s_delay_alu instid0(VALU_DEP_2)
	v_dual_mov_b32 v29, s7 :: v_dual_add_nc_u32 v25, -1, v25
	s_add_co_i32 s7, s7, 8
	ds_load_b64 v[30:31], v24
	ds_load_b64 v[32:33], v29
	v_add_nc_u32_e32 v24, 8, v24
	v_cmp_eq_u32_e32 vcc_lo, 0, v25
	s_or_b32 s0, vcc_lo, s0
	s_wait_dscnt 0x0
	v_pk_mul_f32 v[34:35], v[32:33], v[30:31] op_sel:[1,1] op_sel_hi:[0,1]
	s_delay_alu instid0(VALU_DEP_1) | instskip(SKIP_1) | instid1(VALU_DEP_2)
	v_pk_fma_f32 v[36:37], v[32:33], v[30:31], v[34:35] op_sel_hi:[1,0,1]
	v_pk_fma_f32 v[30:31], v[32:33], v[30:31], v[34:35] neg_lo:[0,0,1] neg_hi:[0,0,1]
	v_mov_b32_e32 v31, v37
	s_delay_alu instid0(VALU_DEP_1)
	v_pk_add_f32 v[0:1], v[0:1], v[30:31]
	s_and_not1_b32 exec_lo, exec_lo, s0
	s_cbranch_execnz .LBB8_62
; %bb.63:
	s_or_b32 exec_lo, exec_lo, s0
.LBB8_64:
	s_delay_alu instid0(SALU_CYCLE_1) | instskip(SKIP_4) | instid1(VALU_DEP_1)
	s_or_b32 exec_lo, exec_lo, s6
	v_mov_b32_e32 v24, 0
	ds_load_b64 v[24:25], v24 offset:16
	s_wait_dscnt 0x0
	v_pk_mul_f32 v[30:31], v[0:1], v[24:25] op_sel:[1,1] op_sel_hi:[0,1]
	v_pk_fma_f32 v[32:33], v[0:1], v[24:25], v[30:31] op_sel_hi:[1,0,1]
	v_pk_fma_f32 v[0:1], v[0:1], v[24:25], v[30:31] neg_lo:[0,0,1] neg_hi:[0,0,1]
	s_delay_alu instid0(VALU_DEP_2)
	v_mov_b32_e32 v1, v33
	ds_store_b64 v21, v[0:1] offset:16
.LBB8_65:
	s_or_b32 exec_lo, exec_lo, s4
	ds_load_b64 v[0:1], v21 offset:8
	v_cmp_lt_u32_e64 s0, 1, v26
	s_wait_dscnt 0x0
	ds_store_b64 v22, v[0:1]
	s_wait_dscnt 0x0
	s_barrier_signal -1
	s_barrier_wait -1
	s_and_saveexec_b32 s4, s0
	s_cbranch_execz .LBB8_75
; %bb.66:
	s_and_not1_b32 vcc_lo, exec_lo, s5
	s_cbranch_vccnz .LBB8_68
; %bb.67:
	ds_load_b64 v[0:1], v23
	ds_load_b64 v[24:25], v22
	s_wait_dscnt 0x0
	v_pk_mul_f32 v[30:31], v[24:25], v[0:1] op_sel:[1,1] op_sel_hi:[0,1]
	s_delay_alu instid0(VALU_DEP_1) | instskip(SKIP_1) | instid1(VALU_DEP_2)
	v_pk_fma_f32 v[32:33], v[24:25], v[0:1], v[30:31] op_sel_hi:[1,0,1]
	v_pk_fma_f32 v[0:1], v[24:25], v[0:1], v[30:31] neg_lo:[0,0,1] neg_hi:[0,0,1]
	v_mov_b32_e32 v1, v33
	s_cbranch_execz .LBB8_69
	s_branch .LBB8_70
.LBB8_68:
                                        ; implicit-def: $vgpr0_vgpr1
.LBB8_69:
	ds_load_b64 v[0:1], v22
.LBB8_70:
	s_and_saveexec_b32 s6, s1
	s_cbranch_execz .LBB8_74
; %bb.71:
	s_movk_i32 s1, 0x48
	v_add_nc_u32_e32 v25, -2, v26
	v_mad_u32 v24, v28, s1, 0xb0
	s_movk_i32 s7, 0x60
	s_mov_b32 s1, 0
.LBB8_72:                               ; =>This Inner Loop Header: Depth=1
	s_delay_alu instid0(VALU_DEP_2)
	v_dual_mov_b32 v29, s7 :: v_dual_add_nc_u32 v25, -1, v25
	s_add_co_i32 s7, s7, 8
	ds_load_b64 v[30:31], v24
	ds_load_b64 v[32:33], v29
	v_add_nc_u32_e32 v24, 8, v24
	v_cmp_eq_u32_e32 vcc_lo, 0, v25
	s_or_b32 s1, vcc_lo, s1
	s_wait_dscnt 0x0
	v_pk_mul_f32 v[34:35], v[32:33], v[30:31] op_sel:[1,1] op_sel_hi:[0,1]
	s_delay_alu instid0(VALU_DEP_1) | instskip(SKIP_1) | instid1(VALU_DEP_2)
	v_pk_fma_f32 v[36:37], v[32:33], v[30:31], v[34:35] op_sel_hi:[1,0,1]
	v_pk_fma_f32 v[30:31], v[32:33], v[30:31], v[34:35] neg_lo:[0,0,1] neg_hi:[0,0,1]
	v_mov_b32_e32 v31, v37
	s_delay_alu instid0(VALU_DEP_1)
	v_pk_add_f32 v[0:1], v[0:1], v[30:31]
	s_and_not1_b32 exec_lo, exec_lo, s1
	s_cbranch_execnz .LBB8_72
; %bb.73:
	s_or_b32 exec_lo, exec_lo, s1
.LBB8_74:
	s_delay_alu instid0(SALU_CYCLE_1) | instskip(SKIP_4) | instid1(VALU_DEP_1)
	s_or_b32 exec_lo, exec_lo, s6
	v_mov_b32_e32 v24, 0
	ds_load_b64 v[24:25], v24 offset:8
	s_wait_dscnt 0x0
	v_pk_mul_f32 v[30:31], v[0:1], v[24:25] op_sel:[1,1] op_sel_hi:[0,1]
	v_pk_fma_f32 v[32:33], v[0:1], v[24:25], v[30:31] op_sel_hi:[1,0,1]
	v_pk_fma_f32 v[0:1], v[0:1], v[24:25], v[30:31] neg_lo:[0,0,1] neg_hi:[0,0,1]
	s_delay_alu instid0(VALU_DEP_2)
	v_mov_b32_e32 v1, v33
	ds_store_b64 v21, v[0:1] offset:8
.LBB8_75:
	s_or_b32 exec_lo, exec_lo, s4
	ds_load_b64 v[0:1], v21
	s_mov_b32 s4, 0
	s_mov_b32 s1, 0
	s_mov_b32 s6, exec_lo
                                        ; implicit-def: $vgpr25
                                        ; implicit-def: $vgpr29
	s_wait_dscnt 0x0
	ds_store_b64 v22, v[0:1]
	s_wait_dscnt 0x0
	s_barrier_signal -1
	s_barrier_wait -1
	v_cmpx_ne_u32_e32 0, v26
	s_cbranch_execz .LBB8_85
; %bb.76:
	s_and_not1_b32 vcc_lo, exec_lo, s5
	s_cbranch_vccnz .LBB8_78
; %bb.77:
	ds_load_b64 v[24:25], v23
	ds_load_b64 v[30:31], v22
	s_wait_dscnt 0x0
	v_dual_mul_f32 v0, v31, v25 :: v_dual_mul_f32 v1, v30, v25
	s_delay_alu instid0(VALU_DEP_1)
	v_dual_fma_f32 v0, v30, v24, -v0 :: v_dual_fmac_f32 v1, v31, v24
	s_and_not1_b32 vcc_lo, exec_lo, s1
	s_cbranch_vccz .LBB8_79
	s_branch .LBB8_80
.LBB8_78:
                                        ; implicit-def: $vgpr0
.LBB8_79:
	ds_load_b64 v[0:1], v22
.LBB8_80:
	s_and_saveexec_b32 s1, s0
	s_cbranch_execz .LBB8_84
; %bb.81:
	s_movk_i32 s0, 0x48
	v_add_nc_u32_e32 v25, -1, v26
	v_mad_u32 v24, v28, s0, 0xa8
	s_movk_i32 s7, 0x58
	s_mov_b32 s0, 0
.LBB8_82:                               ; =>This Inner Loop Header: Depth=1
	v_mov_b32_e32 v30, s7
	s_add_co_i32 s7, s7, 8
	ds_load_b64 v[28:29], v24
	ds_load_b64 v[30:31], v30
	s_wait_dscnt 0x0
	v_dual_mul_f32 v32, v31, v29 :: v_dual_mul_f32 v29, v30, v29
	s_delay_alu instid0(VALU_DEP_1) | instskip(NEXT) | instid1(VALU_DEP_2)
	v_dual_fma_f32 v30, v30, v28, -v32 :: v_dual_add_nc_u32 v25, -1, v25
	v_fmac_f32_e32 v29, v31, v28
	s_delay_alu instid0(VALU_DEP_2) | instskip(NEXT) | instid1(VALU_DEP_3)
	v_dual_add_nc_u32 v24, 8, v24 :: v_dual_add_f32 v0, v0, v30
	v_cmp_eq_u32_e32 vcc_lo, 0, v25
	s_delay_alu instid0(VALU_DEP_3) | instskip(SKIP_1) | instid1(SALU_CYCLE_1)
	v_add_f32_e32 v1, v1, v29
	s_or_b32 s0, vcc_lo, s0
	s_and_not1_b32 exec_lo, exec_lo, s0
	s_cbranch_execnz .LBB8_82
; %bb.83:
	s_or_b32 exec_lo, exec_lo, s0
.LBB8_84:
	s_delay_alu instid0(SALU_CYCLE_1)
	s_or_b32 exec_lo, exec_lo, s1
	v_mov_b32_e32 v24, 0
	s_mov_b32 s1, exec_lo
	ds_load_b64 v[24:25], v24
	s_wait_dscnt 0x0
	v_dual_mul_f32 v28, v1, v25 :: v_dual_mul_f32 v25, v0, v25
	s_delay_alu instid0(VALU_DEP_1) | instskip(NEXT) | instid1(VALU_DEP_2)
	v_dual_fma_f32 v0, v0, v24, -v28 :: v_dual_add_nc_u32 v29, 4, v21
	v_fmac_f32_e32 v25, v1, v24
	ds_store_b32 v21, v0
.LBB8_85:
	s_or_b32 exec_lo, exec_lo, s6
	s_delay_alu instid0(SALU_CYCLE_1)
	s_and_b32 vcc_lo, exec_lo, s4
	s_cbranch_vccz .LBB8_161
.LBB8_86:
	ds_load_b64 v[0:1], v21 offset:8
	v_cmp_eq_u32_e64 s0, 0, v26
	s_wait_dscnt 0x0
	ds_store_b64 v22, v[0:1]
	s_wait_dscnt 0x0
	s_barrier_signal -1
	s_barrier_wait -1
	s_and_saveexec_b32 s4, s0
	s_cbranch_execz .LBB8_92
; %bb.87:
	s_and_b32 vcc_lo, exec_lo, s5
	s_cbranch_vccz .LBB8_89
; %bb.88:
	ds_load_b64 v[0:1], v23
	ds_load_b64 v[24:25], v22
	s_wait_dscnt 0x0
	v_pk_mul_f32 v[28:29], v[24:25], v[0:1] op_sel:[1,1] op_sel_hi:[0,1]
	v_pk_mul_f32 v[30:31], v[24:25], v[0:1] op_sel_hi:[1,0]
	s_delay_alu instid0(VALU_DEP_2) | instskip(NEXT) | instid1(VALU_DEP_2)
	v_pk_fma_f32 v[0:1], v[24:25], v[0:1], v[28:29] op_sel_hi:[1,0,1]
	v_sub_f32_e32 v0, v30, v28
	s_cbranch_execz .LBB8_90
	s_branch .LBB8_91
.LBB8_89:
                                        ; implicit-def: $vgpr1
.LBB8_90:
	ds_load_b64 v[0:1], v22
.LBB8_91:
	s_wait_dscnt 0x0
	v_dual_mov_b32 v24, 0 :: v_dual_mov_b32 v28, v1
	v_mov_b32_e32 v29, v0
	ds_load_b64 v[24:25], v24 offset:8
	s_wait_dscnt 0x0
	v_pk_mul_f32 v[28:29], v[28:29], v[24:25] op_sel:[0,1]
	s_delay_alu instid0(VALU_DEP_1) | instskip(SKIP_1) | instid1(VALU_DEP_2)
	v_pk_fma_f32 v[30:31], v[0:1], v[24:25], v[28:29] op_sel_hi:[1,0,1]
	v_pk_fma_f32 v[0:1], v[0:1], v[24:25], v[28:29] neg_lo:[0,0,1] neg_hi:[0,0,1]
	v_mov_b32_e32 v1, v31
	ds_store_b64 v21, v[0:1] offset:8
.LBB8_92:
	s_or_b32 exec_lo, exec_lo, s4
	ds_load_b64 v[0:1], v21 offset:16
	v_cndmask_b32_e64 v24, 0, 1, s5
	s_mov_b32 s4, exec_lo
	s_wait_dscnt 0x0
	ds_store_b64 v22, v[0:1]
	s_wait_dscnt 0x0
	s_barrier_signal -1
	s_barrier_wait -1
	v_cmpx_gt_u32_e32 2, v26
	s_cbranch_execz .LBB8_100
; %bb.93:
	s_and_not1_b32 vcc_lo, exec_lo, s5
	s_cbranch_vccnz .LBB8_95
; %bb.94:
	ds_load_b64 v[0:1], v23
	ds_load_b64 v[28:29], v22
	s_wait_dscnt 0x0
	v_pk_mul_f32 v[30:31], v[28:29], v[0:1] op_sel:[1,1] op_sel_hi:[0,1]
	s_delay_alu instid0(VALU_DEP_1) | instskip(SKIP_1) | instid1(VALU_DEP_2)
	v_pk_fma_f32 v[32:33], v[28:29], v[0:1], v[30:31] op_sel_hi:[1,0,1]
	v_pk_fma_f32 v[0:1], v[28:29], v[0:1], v[30:31] neg_lo:[0,0,1] neg_hi:[0,0,1]
	v_mov_b32_e32 v1, v33
	s_cbranch_execz .LBB8_96
	s_branch .LBB8_97
.LBB8_95:
                                        ; implicit-def: $vgpr0_vgpr1
.LBB8_96:
	ds_load_b64 v[0:1], v22
.LBB8_97:
	s_and_saveexec_b32 s5, s0
	s_cbranch_execz .LBB8_99
; %bb.98:
	v_mov_b32_e32 v25, 0
	ds_load_b64 v[28:29], v21 offset:8
	ds_load_b64 v[30:31], v25 offset:88
	s_wait_dscnt 0x0
	v_pk_mul_f32 v[32:33], v[30:31], v[28:29] op_sel:[1,1] op_sel_hi:[0,1]
	s_delay_alu instid0(VALU_DEP_1) | instskip(SKIP_1) | instid1(VALU_DEP_2)
	v_pk_fma_f32 v[34:35], v[30:31], v[28:29], v[32:33] op_sel_hi:[1,0,1]
	v_pk_fma_f32 v[28:29], v[30:31], v[28:29], v[32:33] neg_lo:[0,0,1] neg_hi:[0,0,1]
	v_mov_b32_e32 v29, v35
	s_delay_alu instid0(VALU_DEP_1)
	v_pk_add_f32 v[0:1], v[0:1], v[28:29]
.LBB8_99:
	s_or_b32 exec_lo, exec_lo, s5
	v_mov_b32_e32 v25, 0
	ds_load_b64 v[28:29], v25 offset:16
	s_wait_dscnt 0x0
	v_pk_mul_f32 v[30:31], v[0:1], v[28:29] op_sel:[1,1] op_sel_hi:[0,1]
	s_delay_alu instid0(VALU_DEP_1) | instskip(SKIP_1) | instid1(VALU_DEP_2)
	v_pk_fma_f32 v[32:33], v[0:1], v[28:29], v[30:31] op_sel_hi:[1,0,1]
	v_pk_fma_f32 v[0:1], v[0:1], v[28:29], v[30:31] neg_lo:[0,0,1] neg_hi:[0,0,1]
	v_mov_b32_e32 v1, v33
	ds_store_b64 v21, v[0:1] offset:16
.LBB8_100:
	s_or_b32 exec_lo, exec_lo, s4
	ds_load_b64 v[0:1], v21 offset:24
	s_mov_b32 s4, exec_lo
	s_wait_dscnt 0x0
	ds_store_b64 v22, v[0:1]
	s_wait_dscnt 0x0
	s_barrier_signal -1
	s_barrier_wait -1
	v_cmpx_gt_u32_e32 3, v26
	s_cbranch_execz .LBB8_110
; %bb.101:
	v_cmp_ne_u32_e32 vcc_lo, 1, v24
	s_cbranch_vccnz .LBB8_103
; %bb.102:
	ds_load_b64 v[0:1], v23
	ds_load_b64 v[28:29], v22
	s_wait_dscnt 0x0
	v_pk_mul_f32 v[30:31], v[28:29], v[0:1] op_sel:[1,1] op_sel_hi:[0,1]
	s_delay_alu instid0(VALU_DEP_1) | instskip(SKIP_1) | instid1(VALU_DEP_2)
	v_pk_fma_f32 v[32:33], v[28:29], v[0:1], v[30:31] op_sel_hi:[1,0,1]
	v_pk_fma_f32 v[0:1], v[28:29], v[0:1], v[30:31] neg_lo:[0,0,1] neg_hi:[0,0,1]
	v_mov_b32_e32 v1, v33
	s_cbranch_execz .LBB8_104
	s_branch .LBB8_105
.LBB8_103:
                                        ; implicit-def: $vgpr0_vgpr1
.LBB8_104:
	ds_load_b64 v[0:1], v22
.LBB8_105:
	s_mov_b32 s5, exec_lo
	v_cmpx_ne_u32_e32 2, v26
	s_cbranch_execz .LBB8_109
; %bb.106:
	ds_load_b64 v[28:29], v23 offset:8
	ds_load_b64 v[30:31], v22 offset:8
	s_wait_dscnt 0x0
	v_pk_mul_f32 v[32:33], v[30:31], v[28:29] op_sel:[1,1] op_sel_hi:[0,1]
	s_delay_alu instid0(VALU_DEP_1) | instskip(SKIP_1) | instid1(VALU_DEP_2)
	v_pk_fma_f32 v[34:35], v[30:31], v[28:29], v[32:33] op_sel_hi:[1,0,1]
	v_pk_fma_f32 v[28:29], v[30:31], v[28:29], v[32:33] neg_lo:[0,0,1] neg_hi:[0,0,1]
	v_mov_b32_e32 v29, v35
	s_delay_alu instid0(VALU_DEP_1)
	v_pk_add_f32 v[0:1], v[0:1], v[28:29]
	s_and_saveexec_b32 s6, s0
	s_cbranch_execz .LBB8_108
; %bb.107:
	v_mov_b32_e32 v25, 0
	ds_load_b64 v[28:29], v25 offset:96
	ds_load_b64 v[30:31], v21 offset:16
	s_wait_dscnt 0x0
	v_pk_mul_f32 v[32:33], v[28:29], v[30:31] op_sel:[1,1] op_sel_hi:[0,1]
	s_delay_alu instid0(VALU_DEP_1) | instskip(SKIP_1) | instid1(VALU_DEP_2)
	v_pk_fma_f32 v[34:35], v[28:29], v[30:31], v[32:33] op_sel_hi:[1,0,1]
	v_pk_fma_f32 v[28:29], v[28:29], v[30:31], v[32:33] neg_lo:[0,0,1] neg_hi:[0,0,1]
	v_mov_b32_e32 v29, v35
	s_delay_alu instid0(VALU_DEP_1)
	v_pk_add_f32 v[0:1], v[0:1], v[28:29]
.LBB8_108:
	s_or_b32 exec_lo, exec_lo, s6
.LBB8_109:
	s_delay_alu instid0(SALU_CYCLE_1) | instskip(SKIP_4) | instid1(VALU_DEP_1)
	s_or_b32 exec_lo, exec_lo, s5
	v_mov_b32_e32 v25, 0
	ds_load_b64 v[28:29], v25 offset:24
	s_wait_dscnt 0x0
	v_pk_mul_f32 v[30:31], v[0:1], v[28:29] op_sel:[1,1] op_sel_hi:[0,1]
	v_pk_fma_f32 v[32:33], v[0:1], v[28:29], v[30:31] op_sel_hi:[1,0,1]
	v_pk_fma_f32 v[0:1], v[0:1], v[28:29], v[30:31] neg_lo:[0,0,1] neg_hi:[0,0,1]
	s_delay_alu instid0(VALU_DEP_2)
	v_mov_b32_e32 v1, v33
	ds_store_b64 v21, v[0:1] offset:24
.LBB8_110:
	s_or_b32 exec_lo, exec_lo, s4
	ds_load_b64 v[0:1], v21 offset:32
	s_mov_b32 s0, exec_lo
	s_wait_dscnt 0x0
	ds_store_b64 v22, v[0:1]
	s_wait_dscnt 0x0
	s_barrier_signal -1
	s_barrier_wait -1
	v_cmpx_gt_u32_e32 4, v26
	s_cbranch_execz .LBB8_120
; %bb.111:
	v_cmp_ne_u32_e32 vcc_lo, 1, v24
	s_cbranch_vccnz .LBB8_113
; %bb.112:
	ds_load_b64 v[0:1], v23
	ds_load_b64 v[28:29], v22
	s_wait_dscnt 0x0
	v_pk_mul_f32 v[30:31], v[28:29], v[0:1] op_sel:[1,1] op_sel_hi:[0,1]
	s_delay_alu instid0(VALU_DEP_1) | instskip(SKIP_1) | instid1(VALU_DEP_2)
	v_pk_fma_f32 v[32:33], v[28:29], v[0:1], v[30:31] op_sel_hi:[1,0,1]
	v_pk_fma_f32 v[0:1], v[28:29], v[0:1], v[30:31] neg_lo:[0,0,1] neg_hi:[0,0,1]
	v_mov_b32_e32 v1, v33
	s_cbranch_execz .LBB8_114
	s_branch .LBB8_115
.LBB8_113:
                                        ; implicit-def: $vgpr0_vgpr1
.LBB8_114:
	ds_load_b64 v[0:1], v22
.LBB8_115:
	s_mov_b32 s4, exec_lo
	v_cmpx_ne_u32_e32 3, v26
	s_cbranch_execz .LBB8_119
; %bb.116:
	v_add_nc_u32_e32 v25, 0x58, v20
	v_add3_u32 v28, v27, v20, 0xa8
	v_mov_b32_e32 v29, v26
	s_mov_b32 s5, 0
.LBB8_117:                              ; =>This Inner Loop Header: Depth=1
	ds_load_b64 v[30:31], v28
	ds_load_b64 v[32:33], v25
	v_dual_add_nc_u32 v25, 8, v25 :: v_dual_add_nc_u32 v28, 8, v28
	s_wait_dscnt 0x0
	v_pk_mul_f32 v[34:35], v[32:33], v[30:31] op_sel:[1,1] op_sel_hi:[0,1]
	s_delay_alu instid0(VALU_DEP_1) | instskip(SKIP_2) | instid1(VALU_DEP_3)
	v_pk_fma_f32 v[36:37], v[32:33], v[30:31], v[34:35] op_sel_hi:[1,0,1]
	v_add_nc_u32_e32 v29, 1, v29
	v_pk_fma_f32 v[30:31], v[32:33], v[30:31], v[34:35] neg_lo:[0,0,1] neg_hi:[0,0,1]
	v_mov_b32_e32 v31, v37
	s_delay_alu instid0(VALU_DEP_3) | instskip(NEXT) | instid1(VALU_DEP_2)
	v_cmp_lt_u32_e32 vcc_lo, 2, v29
	v_pk_add_f32 v[0:1], v[0:1], v[30:31]
	s_or_b32 s5, vcc_lo, s5
	s_delay_alu instid0(SALU_CYCLE_1)
	s_and_not1_b32 exec_lo, exec_lo, s5
	s_cbranch_execnz .LBB8_117
; %bb.118:
	s_or_b32 exec_lo, exec_lo, s5
.LBB8_119:
	s_delay_alu instid0(SALU_CYCLE_1) | instskip(SKIP_4) | instid1(VALU_DEP_1)
	s_or_b32 exec_lo, exec_lo, s4
	v_mov_b32_e32 v25, 0
	ds_load_b64 v[28:29], v25 offset:32
	s_wait_dscnt 0x0
	v_pk_mul_f32 v[30:31], v[0:1], v[28:29] op_sel:[1,1] op_sel_hi:[0,1]
	v_pk_fma_f32 v[32:33], v[0:1], v[28:29], v[30:31] op_sel_hi:[1,0,1]
	v_pk_fma_f32 v[0:1], v[0:1], v[28:29], v[30:31] neg_lo:[0,0,1] neg_hi:[0,0,1]
	s_delay_alu instid0(VALU_DEP_2)
	v_mov_b32_e32 v1, v33
	ds_store_b64 v21, v[0:1] offset:32
.LBB8_120:
	s_or_b32 exec_lo, exec_lo, s0
	ds_load_b64 v[0:1], v21 offset:40
	s_mov_b32 s0, exec_lo
	s_wait_dscnt 0x0
	ds_store_b64 v22, v[0:1]
	s_wait_dscnt 0x0
	s_barrier_signal -1
	s_barrier_wait -1
	v_cmpx_gt_u32_e32 5, v26
	s_cbranch_execz .LBB8_130
; %bb.121:
	v_cmp_ne_u32_e32 vcc_lo, 1, v24
	s_cbranch_vccnz .LBB8_123
; %bb.122:
	ds_load_b64 v[0:1], v23
	ds_load_b64 v[28:29], v22
	s_wait_dscnt 0x0
	v_pk_mul_f32 v[30:31], v[28:29], v[0:1] op_sel:[1,1] op_sel_hi:[0,1]
	s_delay_alu instid0(VALU_DEP_1) | instskip(SKIP_1) | instid1(VALU_DEP_2)
	v_pk_fma_f32 v[32:33], v[28:29], v[0:1], v[30:31] op_sel_hi:[1,0,1]
	v_pk_fma_f32 v[0:1], v[28:29], v[0:1], v[30:31] neg_lo:[0,0,1] neg_hi:[0,0,1]
	v_mov_b32_e32 v1, v33
	s_cbranch_execz .LBB8_124
	s_branch .LBB8_125
.LBB8_123:
                                        ; implicit-def: $vgpr0_vgpr1
.LBB8_124:
	ds_load_b64 v[0:1], v22
.LBB8_125:
	s_mov_b32 s4, exec_lo
	v_cmpx_ne_u32_e32 4, v26
	s_cbranch_execz .LBB8_129
; %bb.126:
	v_add_nc_u32_e32 v25, 0x58, v20
	v_add3_u32 v28, v27, v20, 0xa8
	v_mov_b32_e32 v29, v26
	s_mov_b32 s5, 0
.LBB8_127:                              ; =>This Inner Loop Header: Depth=1
	ds_load_b64 v[30:31], v28
	ds_load_b64 v[32:33], v25
	v_dual_add_nc_u32 v25, 8, v25 :: v_dual_add_nc_u32 v28, 8, v28
	s_wait_dscnt 0x0
	v_pk_mul_f32 v[34:35], v[32:33], v[30:31] op_sel:[1,1] op_sel_hi:[0,1]
	s_delay_alu instid0(VALU_DEP_1) | instskip(SKIP_2) | instid1(VALU_DEP_3)
	v_pk_fma_f32 v[36:37], v[32:33], v[30:31], v[34:35] op_sel_hi:[1,0,1]
	v_add_nc_u32_e32 v29, 1, v29
	v_pk_fma_f32 v[30:31], v[32:33], v[30:31], v[34:35] neg_lo:[0,0,1] neg_hi:[0,0,1]
	v_mov_b32_e32 v31, v37
	s_delay_alu instid0(VALU_DEP_3) | instskip(NEXT) | instid1(VALU_DEP_2)
	v_cmp_lt_u32_e32 vcc_lo, 3, v29
	v_pk_add_f32 v[0:1], v[0:1], v[30:31]
	s_or_b32 s5, vcc_lo, s5
	s_delay_alu instid0(SALU_CYCLE_1)
	s_and_not1_b32 exec_lo, exec_lo, s5
	s_cbranch_execnz .LBB8_127
; %bb.128:
	s_or_b32 exec_lo, exec_lo, s5
.LBB8_129:
	s_delay_alu instid0(SALU_CYCLE_1) | instskip(SKIP_4) | instid1(VALU_DEP_1)
	s_or_b32 exec_lo, exec_lo, s4
	v_mov_b32_e32 v25, 0
	ds_load_b64 v[28:29], v25 offset:40
	s_wait_dscnt 0x0
	v_pk_mul_f32 v[30:31], v[0:1], v[28:29] op_sel:[1,1] op_sel_hi:[0,1]
	v_pk_fma_f32 v[32:33], v[0:1], v[28:29], v[30:31] op_sel_hi:[1,0,1]
	v_pk_fma_f32 v[0:1], v[0:1], v[28:29], v[30:31] neg_lo:[0,0,1] neg_hi:[0,0,1]
	s_delay_alu instid0(VALU_DEP_2)
	v_mov_b32_e32 v1, v33
	ds_store_b64 v21, v[0:1] offset:40
.LBB8_130:
	s_or_b32 exec_lo, exec_lo, s0
	ds_load_b64 v[0:1], v21 offset:48
	s_mov_b32 s0, exec_lo
	s_wait_dscnt 0x0
	ds_store_b64 v22, v[0:1]
	s_wait_dscnt 0x0
	s_barrier_signal -1
	s_barrier_wait -1
	v_cmpx_gt_u32_e32 6, v26
	s_cbranch_execz .LBB8_140
; %bb.131:
	v_cmp_ne_u32_e32 vcc_lo, 1, v24
	s_cbranch_vccnz .LBB8_133
; %bb.132:
	ds_load_b64 v[0:1], v23
	ds_load_b64 v[28:29], v22
	s_wait_dscnt 0x0
	v_pk_mul_f32 v[30:31], v[28:29], v[0:1] op_sel:[1,1] op_sel_hi:[0,1]
	s_delay_alu instid0(VALU_DEP_1) | instskip(SKIP_1) | instid1(VALU_DEP_2)
	v_pk_fma_f32 v[32:33], v[28:29], v[0:1], v[30:31] op_sel_hi:[1,0,1]
	v_pk_fma_f32 v[0:1], v[28:29], v[0:1], v[30:31] neg_lo:[0,0,1] neg_hi:[0,0,1]
	v_mov_b32_e32 v1, v33
	s_cbranch_execz .LBB8_134
	s_branch .LBB8_135
.LBB8_133:
                                        ; implicit-def: $vgpr0_vgpr1
.LBB8_134:
	ds_load_b64 v[0:1], v22
.LBB8_135:
	s_mov_b32 s4, exec_lo
	v_cmpx_ne_u32_e32 5, v26
	s_cbranch_execz .LBB8_139
; %bb.136:
	v_add_nc_u32_e32 v25, 0x58, v20
	v_add3_u32 v28, v27, v20, 0xa8
	v_mov_b32_e32 v29, v26
	s_mov_b32 s5, 0
.LBB8_137:                              ; =>This Inner Loop Header: Depth=1
	ds_load_b64 v[30:31], v28
	ds_load_b64 v[32:33], v25
	v_dual_add_nc_u32 v25, 8, v25 :: v_dual_add_nc_u32 v28, 8, v28
	s_wait_dscnt 0x0
	v_pk_mul_f32 v[34:35], v[32:33], v[30:31] op_sel:[1,1] op_sel_hi:[0,1]
	s_delay_alu instid0(VALU_DEP_1) | instskip(SKIP_2) | instid1(VALU_DEP_3)
	v_pk_fma_f32 v[36:37], v[32:33], v[30:31], v[34:35] op_sel_hi:[1,0,1]
	v_add_nc_u32_e32 v29, 1, v29
	v_pk_fma_f32 v[30:31], v[32:33], v[30:31], v[34:35] neg_lo:[0,0,1] neg_hi:[0,0,1]
	v_mov_b32_e32 v31, v37
	s_delay_alu instid0(VALU_DEP_3) | instskip(NEXT) | instid1(VALU_DEP_2)
	v_cmp_lt_u32_e32 vcc_lo, 4, v29
	v_pk_add_f32 v[0:1], v[0:1], v[30:31]
	s_or_b32 s5, vcc_lo, s5
	s_delay_alu instid0(SALU_CYCLE_1)
	s_and_not1_b32 exec_lo, exec_lo, s5
	s_cbranch_execnz .LBB8_137
; %bb.138:
	s_or_b32 exec_lo, exec_lo, s5
.LBB8_139:
	s_delay_alu instid0(SALU_CYCLE_1) | instskip(SKIP_4) | instid1(VALU_DEP_1)
	s_or_b32 exec_lo, exec_lo, s4
	v_mov_b32_e32 v25, 0
	ds_load_b64 v[28:29], v25 offset:48
	s_wait_dscnt 0x0
	v_pk_mul_f32 v[30:31], v[0:1], v[28:29] op_sel:[1,1] op_sel_hi:[0,1]
	v_pk_fma_f32 v[32:33], v[0:1], v[28:29], v[30:31] op_sel_hi:[1,0,1]
	v_pk_fma_f32 v[0:1], v[0:1], v[28:29], v[30:31] neg_lo:[0,0,1] neg_hi:[0,0,1]
	s_delay_alu instid0(VALU_DEP_2)
	v_mov_b32_e32 v1, v33
	ds_store_b64 v21, v[0:1] offset:48
.LBB8_140:
	s_or_b32 exec_lo, exec_lo, s0
	ds_load_b64 v[0:1], v21 offset:56
	v_cmp_gt_u32_e64 s0, 7, v26
	s_wait_dscnt 0x0
	ds_store_b64 v22, v[0:1]
	s_wait_dscnt 0x0
	s_barrier_signal -1
	s_barrier_wait -1
	s_and_saveexec_b32 s4, s0
	s_cbranch_execz .LBB8_150
; %bb.141:
	v_cmp_ne_u32_e32 vcc_lo, 1, v24
	s_cbranch_vccnz .LBB8_143
; %bb.142:
	ds_load_b64 v[0:1], v23
	ds_load_b64 v[28:29], v22
	s_wait_dscnt 0x0
	v_pk_mul_f32 v[30:31], v[28:29], v[0:1] op_sel:[1,1] op_sel_hi:[0,1]
	s_delay_alu instid0(VALU_DEP_1) | instskip(SKIP_1) | instid1(VALU_DEP_2)
	v_pk_fma_f32 v[32:33], v[28:29], v[0:1], v[30:31] op_sel_hi:[1,0,1]
	v_pk_fma_f32 v[0:1], v[28:29], v[0:1], v[30:31] neg_lo:[0,0,1] neg_hi:[0,0,1]
	v_mov_b32_e32 v1, v33
	s_cbranch_execz .LBB8_144
	s_branch .LBB8_145
.LBB8_143:
                                        ; implicit-def: $vgpr0_vgpr1
.LBB8_144:
	ds_load_b64 v[0:1], v22
.LBB8_145:
	s_mov_b32 s5, exec_lo
	v_cmpx_ne_u32_e32 6, v26
	s_cbranch_execz .LBB8_149
; %bb.146:
	v_add_nc_u32_e32 v25, 0x58, v20
	v_add3_u32 v28, v27, v20, 0xa8
	v_mov_b32_e32 v29, v26
	s_mov_b32 s6, 0
.LBB8_147:                              ; =>This Inner Loop Header: Depth=1
	ds_load_b64 v[30:31], v28
	ds_load_b64 v[32:33], v25
	v_dual_add_nc_u32 v25, 8, v25 :: v_dual_add_nc_u32 v28, 8, v28
	s_wait_dscnt 0x0
	v_pk_mul_f32 v[34:35], v[32:33], v[30:31] op_sel:[1,1] op_sel_hi:[0,1]
	s_delay_alu instid0(VALU_DEP_1) | instskip(SKIP_2) | instid1(VALU_DEP_3)
	v_pk_fma_f32 v[36:37], v[32:33], v[30:31], v[34:35] op_sel_hi:[1,0,1]
	v_add_nc_u32_e32 v29, 1, v29
	v_pk_fma_f32 v[30:31], v[32:33], v[30:31], v[34:35] neg_lo:[0,0,1] neg_hi:[0,0,1]
	v_mov_b32_e32 v31, v37
	s_delay_alu instid0(VALU_DEP_3) | instskip(NEXT) | instid1(VALU_DEP_2)
	v_cmp_lt_u32_e32 vcc_lo, 5, v29
	v_pk_add_f32 v[0:1], v[0:1], v[30:31]
	s_or_b32 s6, vcc_lo, s6
	s_delay_alu instid0(SALU_CYCLE_1)
	s_and_not1_b32 exec_lo, exec_lo, s6
	s_cbranch_execnz .LBB8_147
; %bb.148:
	s_or_b32 exec_lo, exec_lo, s6
.LBB8_149:
	s_delay_alu instid0(SALU_CYCLE_1) | instskip(SKIP_4) | instid1(VALU_DEP_1)
	s_or_b32 exec_lo, exec_lo, s5
	v_mov_b32_e32 v25, 0
	ds_load_b64 v[28:29], v25 offset:56
	s_wait_dscnt 0x0
	v_pk_mul_f32 v[30:31], v[0:1], v[28:29] op_sel:[1,1] op_sel_hi:[0,1]
	v_pk_fma_f32 v[32:33], v[0:1], v[28:29], v[30:31] op_sel_hi:[1,0,1]
	v_pk_fma_f32 v[0:1], v[0:1], v[28:29], v[30:31] neg_lo:[0,0,1] neg_hi:[0,0,1]
	s_delay_alu instid0(VALU_DEP_2)
	v_mov_b32_e32 v1, v33
	ds_store_b64 v21, v[0:1] offset:56
.LBB8_150:
	s_or_b32 exec_lo, exec_lo, s4
	ds_load_b64 v[0:1], v21 offset:64
	s_mov_b32 s4, exec_lo
                                        ; implicit-def: $vgpr25
                                        ; implicit-def: $vgpr29
	s_wait_dscnt 0x0
	ds_store_b64 v22, v[0:1]
	s_wait_dscnt 0x0
	s_barrier_signal -1
	s_barrier_wait -1
	v_cmpx_ne_u32_e32 8, v26
	s_cbranch_execz .LBB8_160
; %bb.151:
	v_cmp_ne_u32_e32 vcc_lo, 1, v24
	s_cbranch_vccnz .LBB8_153
; %bb.152:
	ds_load_b64 v[24:25], v23
	ds_load_b64 v[28:29], v22
	s_wait_dscnt 0x0
	v_dual_mul_f32 v0, v29, v25 :: v_dual_mul_f32 v1, v28, v25
	s_delay_alu instid0(VALU_DEP_1)
	v_dual_fma_f32 v0, v28, v24, -v0 :: v_dual_fmac_f32 v1, v29, v24
	s_cbranch_execz .LBB8_154
	s_branch .LBB8_155
.LBB8_153:
                                        ; implicit-def: $vgpr1
.LBB8_154:
	ds_load_b64 v[0:1], v22
.LBB8_155:
	s_and_saveexec_b32 s5, s0
	s_cbranch_execz .LBB8_159
; %bb.156:
	v_add_nc_u32_e32 v22, 0x58, v20
	v_add3_u32 v20, v27, v20, 0xa8
	s_mov_b32 s0, 0
.LBB8_157:                              ; =>This Inner Loop Header: Depth=1
	ds_load_b64 v[24:25], v20
	ds_load_b64 v[28:29], v22
	s_wait_dscnt 0x0
	v_dual_mul_f32 v23, v29, v25 :: v_dual_add_nc_u32 v22, 8, v22
	v_dual_mul_f32 v25, v28, v25 :: v_dual_add_nc_u32 v26, 1, v26
	s_delay_alu instid0(VALU_DEP_1) | instskip(NEXT) | instid1(VALU_DEP_2)
	v_dual_fma_f32 v23, v28, v24, -v23 :: v_dual_fmac_f32 v25, v29, v24
	v_cmp_lt_u32_e32 vcc_lo, 6, v26
	s_delay_alu instid0(VALU_DEP_2) | instskip(NEXT) | instid1(VALU_DEP_3)
	v_dual_add_nc_u32 v20, 8, v20 :: v_dual_add_f32 v0, v0, v23
	v_add_f32_e32 v1, v1, v25
	s_or_b32 s0, vcc_lo, s0
	s_delay_alu instid0(SALU_CYCLE_1)
	s_and_not1_b32 exec_lo, exec_lo, s0
	s_cbranch_execnz .LBB8_157
; %bb.158:
	s_or_b32 exec_lo, exec_lo, s0
.LBB8_159:
	s_delay_alu instid0(SALU_CYCLE_1)
	s_or_b32 exec_lo, exec_lo, s5
	v_mov_b32_e32 v20, 0
	s_or_b32 s1, s1, exec_lo
	v_add_nc_u32_e32 v29, 0x44, v21
	ds_load_b64 v[22:23], v20 offset:64
	s_wait_dscnt 0x0
	v_dual_mul_f32 v20, v1, v23 :: v_dual_mul_f32 v25, v0, v23
	s_delay_alu instid0(VALU_DEP_1)
	v_dual_fma_f32 v0, v0, v22, -v20 :: v_dual_fmac_f32 v25, v1, v22
	ds_store_b32 v21, v0 offset:64
.LBB8_160:
	s_or_b32 exec_lo, exec_lo, s4
.LBB8_161:
	v_lshl_add_u64 v[0:1], v[6:7], 3, s[2:3]
	v_lshl_add_u64 v[6:7], v[8:9], 3, s[2:3]
	;; [unrolled: 1-line block ×7, first 2 shown]
	s_and_saveexec_b32 s0, s1
; %bb.162:
	ds_store_b32 v29, v25
; %bb.163:
	s_or_b32 exec_lo, exec_lo, s0
	ds_load_b128 v[22:25], v21
	ds_load_b128 v[26:29], v21 offset:16
	ds_load_b128 v[30:33], v21 offset:32
	;; [unrolled: 1-line block ×3, first 2 shown]
	ds_load_b64 v[18:19], v21 offset:64
	s_wait_dscnt 0x4
	s_clause 0x1
	global_store_b64 v[2:3], v[22:23], off
	global_store_b64 v[4:5], v[24:25], off
	s_wait_dscnt 0x3
	s_clause 0x1
	global_store_b64 v[0:1], v[26:27], off
	global_store_b64 v[6:7], v[28:29], off
	;; [unrolled: 4-line block ×4, first 2 shown]
	s_wait_dscnt 0x0
	global_store_b64 v[16:17], v[18:19], off
.LBB8_164:
	s_endpgm
	.section	.rodata,"a",@progbits
	.p2align	6, 0x0
	.amdhsa_kernel _ZN9rocsolver6v33100L18trti2_kernel_smallILi9E19rocblas_complex_numIfEPS3_EEv13rocblas_fill_17rocblas_diagonal_T1_iil
		.amdhsa_group_segment_fixed_size 4768
		.amdhsa_private_segment_fixed_size 0
		.amdhsa_kernarg_size 32
		.amdhsa_user_sgpr_count 4
		.amdhsa_user_sgpr_dispatch_ptr 1
		.amdhsa_user_sgpr_queue_ptr 0
		.amdhsa_user_sgpr_kernarg_segment_ptr 1
		.amdhsa_user_sgpr_dispatch_id 0
		.amdhsa_user_sgpr_kernarg_preload_length 0
		.amdhsa_user_sgpr_kernarg_preload_offset 0
		.amdhsa_user_sgpr_private_segment_size 0
		.amdhsa_wavefront_size32 1
		.amdhsa_uses_dynamic_stack 0
		.amdhsa_enable_private_segment 0
		.amdhsa_system_sgpr_workgroup_id_x 1
		.amdhsa_system_sgpr_workgroup_id_y 0
		.amdhsa_system_sgpr_workgroup_id_z 0
		.amdhsa_system_sgpr_workgroup_info 0
		.amdhsa_system_vgpr_workitem_id 2
		.amdhsa_next_free_vgpr 44
		.amdhsa_next_free_sgpr 14
		.amdhsa_named_barrier_count 0
		.amdhsa_reserve_vcc 1
		.amdhsa_float_round_mode_32 0
		.amdhsa_float_round_mode_16_64 0
		.amdhsa_float_denorm_mode_32 3
		.amdhsa_float_denorm_mode_16_64 3
		.amdhsa_fp16_overflow 0
		.amdhsa_memory_ordered 1
		.amdhsa_forward_progress 1
		.amdhsa_inst_pref_size 49
		.amdhsa_round_robin_scheduling 0
		.amdhsa_exception_fp_ieee_invalid_op 0
		.amdhsa_exception_fp_denorm_src 0
		.amdhsa_exception_fp_ieee_div_zero 0
		.amdhsa_exception_fp_ieee_overflow 0
		.amdhsa_exception_fp_ieee_underflow 0
		.amdhsa_exception_fp_ieee_inexact 0
		.amdhsa_exception_int_div_zero 0
	.end_amdhsa_kernel
	.section	.text._ZN9rocsolver6v33100L18trti2_kernel_smallILi9E19rocblas_complex_numIfEPS3_EEv13rocblas_fill_17rocblas_diagonal_T1_iil,"axG",@progbits,_ZN9rocsolver6v33100L18trti2_kernel_smallILi9E19rocblas_complex_numIfEPS3_EEv13rocblas_fill_17rocblas_diagonal_T1_iil,comdat
.Lfunc_end8:
	.size	_ZN9rocsolver6v33100L18trti2_kernel_smallILi9E19rocblas_complex_numIfEPS3_EEv13rocblas_fill_17rocblas_diagonal_T1_iil, .Lfunc_end8-_ZN9rocsolver6v33100L18trti2_kernel_smallILi9E19rocblas_complex_numIfEPS3_EEv13rocblas_fill_17rocblas_diagonal_T1_iil
                                        ; -- End function
	.set _ZN9rocsolver6v33100L18trti2_kernel_smallILi9E19rocblas_complex_numIfEPS3_EEv13rocblas_fill_17rocblas_diagonal_T1_iil.num_vgpr, 44
	.set _ZN9rocsolver6v33100L18trti2_kernel_smallILi9E19rocblas_complex_numIfEPS3_EEv13rocblas_fill_17rocblas_diagonal_T1_iil.num_agpr, 0
	.set _ZN9rocsolver6v33100L18trti2_kernel_smallILi9E19rocblas_complex_numIfEPS3_EEv13rocblas_fill_17rocblas_diagonal_T1_iil.numbered_sgpr, 14
	.set _ZN9rocsolver6v33100L18trti2_kernel_smallILi9E19rocblas_complex_numIfEPS3_EEv13rocblas_fill_17rocblas_diagonal_T1_iil.num_named_barrier, 0
	.set _ZN9rocsolver6v33100L18trti2_kernel_smallILi9E19rocblas_complex_numIfEPS3_EEv13rocblas_fill_17rocblas_diagonal_T1_iil.private_seg_size, 0
	.set _ZN9rocsolver6v33100L18trti2_kernel_smallILi9E19rocblas_complex_numIfEPS3_EEv13rocblas_fill_17rocblas_diagonal_T1_iil.uses_vcc, 1
	.set _ZN9rocsolver6v33100L18trti2_kernel_smallILi9E19rocblas_complex_numIfEPS3_EEv13rocblas_fill_17rocblas_diagonal_T1_iil.uses_flat_scratch, 0
	.set _ZN9rocsolver6v33100L18trti2_kernel_smallILi9E19rocblas_complex_numIfEPS3_EEv13rocblas_fill_17rocblas_diagonal_T1_iil.has_dyn_sized_stack, 0
	.set _ZN9rocsolver6v33100L18trti2_kernel_smallILi9E19rocblas_complex_numIfEPS3_EEv13rocblas_fill_17rocblas_diagonal_T1_iil.has_recursion, 0
	.set _ZN9rocsolver6v33100L18trti2_kernel_smallILi9E19rocblas_complex_numIfEPS3_EEv13rocblas_fill_17rocblas_diagonal_T1_iil.has_indirect_call, 0
	.section	.AMDGPU.csdata,"",@progbits
; Kernel info:
; codeLenInByte = 6268
; TotalNumSgprs: 16
; NumVgprs: 44
; ScratchSize: 0
; MemoryBound: 0
; FloatMode: 240
; IeeeMode: 1
; LDSByteSize: 4768 bytes/workgroup (compile time only)
; SGPRBlocks: 0
; VGPRBlocks: 2
; NumSGPRsForWavesPerEU: 16
; NumVGPRsForWavesPerEU: 44
; NamedBarCnt: 0
; Occupancy: 16
; WaveLimiterHint : 0
; COMPUTE_PGM_RSRC2:SCRATCH_EN: 0
; COMPUTE_PGM_RSRC2:USER_SGPR: 4
; COMPUTE_PGM_RSRC2:TRAP_HANDLER: 0
; COMPUTE_PGM_RSRC2:TGID_X_EN: 1
; COMPUTE_PGM_RSRC2:TGID_Y_EN: 0
; COMPUTE_PGM_RSRC2:TGID_Z_EN: 0
; COMPUTE_PGM_RSRC2:TIDIG_COMP_CNT: 2
	.section	.text._ZN9rocsolver6v33100L18trti2_kernel_smallILi10E19rocblas_complex_numIfEPS3_EEv13rocblas_fill_17rocblas_diagonal_T1_iil,"axG",@progbits,_ZN9rocsolver6v33100L18trti2_kernel_smallILi10E19rocblas_complex_numIfEPS3_EEv13rocblas_fill_17rocblas_diagonal_T1_iil,comdat
	.globl	_ZN9rocsolver6v33100L18trti2_kernel_smallILi10E19rocblas_complex_numIfEPS3_EEv13rocblas_fill_17rocblas_diagonal_T1_iil ; -- Begin function _ZN9rocsolver6v33100L18trti2_kernel_smallILi10E19rocblas_complex_numIfEPS3_EEv13rocblas_fill_17rocblas_diagonal_T1_iil
	.p2align	8
	.type	_ZN9rocsolver6v33100L18trti2_kernel_smallILi10E19rocblas_complex_numIfEPS3_EEv13rocblas_fill_17rocblas_diagonal_T1_iil,@function
_ZN9rocsolver6v33100L18trti2_kernel_smallILi10E19rocblas_complex_numIfEPS3_EEv13rocblas_fill_17rocblas_diagonal_T1_iil: ; @_ZN9rocsolver6v33100L18trti2_kernel_smallILi10E19rocblas_complex_numIfEPS3_EEv13rocblas_fill_17rocblas_diagonal_T1_iil
; %bb.0:
	v_and_b32_e32 v28, 0x3ff, v0
	s_mov_b32 s4, exec_lo
	s_delay_alu instid0(VALU_DEP_1)
	v_cmpx_gt_u32_e32 10, v28
	s_cbranch_execz .LBB9_184
; %bb.1:
	s_load_b64 s[12:13], s[0:1], 0x4
	s_load_b256 s[4:11], s[2:3], 0x0
	s_wait_xcnt 0x0
	s_bfe_u32 s0, ttmp6, 0x4000c
	s_and_b32 s1, ttmp6, 15
	s_add_co_i32 s0, s0, 1
	s_getreg_b32 s2, hwreg(HW_REG_IB_STS2, 6, 4)
	s_mul_i32 s0, ttmp9, s0
	v_bfe_u32 v1, v0, 10, 10
	s_add_co_i32 s0, s1, s0
	v_bfe_u32 v0, v0, 20, 10
	v_lshlrev_b32_e32 v22, 3, v28
	s_wait_kmcnt 0x0
	s_lshr_b32 s12, s12, 16
	v_add3_u32 v6, s9, s9, v28
	s_ashr_i32 s1, s8, 31
	s_cmp_eq_u32 s2, 0
	s_mul_i32 s12, s12, s13
	s_cselect_b32 s2, ttmp9, s0
	v_dual_mov_b32 v23, 0 :: v_dual_add_nc_u32 v8, s9, v6
	s_ashr_i32 s3, s2, 31
	s_mov_b32 s0, s8
	s_mul_u64 s[2:3], s[10:11], s[2:3]
	s_delay_alu instid0(VALU_DEP_1)
	v_add_nc_u32_e32 v10, s9, v8
	s_lshl_b64 s[2:3], s[2:3], 3
	s_lshl_b64 s[0:1], s[0:1], 3
	s_add_nc_u64 s[2:3], s[6:7], s[2:3]
	v_mul_u32_u24_e32 v1, s13, v1
	v_add_nc_u32_e32 v12, s9, v10
	s_add_nc_u64 s[6:7], s[2:3], s[0:1]
	s_mov_b32 s0, s9
	v_add_nc_u64_e32 v[2:3], s[6:7], v[22:23]
	s_ashr_i32 s1, s9, 31
	v_add_nc_u32_e32 v14, s9, v12
	v_mul_u32_u24_e32 v7, s12, v28
	s_cmp_lg_u32 s5, 0x84
	s_cselect_b32 s3, -1, 0
	s_delay_alu instid0(VALU_DEP_2)
	v_add_nc_u32_e32 v16, s9, v14
	v_lshl_add_u64 v[4:5], s[0:1], 3, v[2:3]
	s_clause 0x3
	global_load_b64 v[24:25], v28, s[6:7] scale_offset
	global_load_b64 v[26:27], v[4:5], off
	global_load_b64 v[32:33], v6, s[6:7] scale_offset
	global_load_b64 v[34:35], v8, s[6:7] scale_offset
	v_add_nc_u32_e32 v18, s9, v16
	v_add3_u32 v30, v7, v1, v0
	s_mov_b32 s0, -1
	s_and_b32 vcc_lo, exec_lo, s3
	s_delay_alu instid0(VALU_DEP_2)
	v_add_nc_u32_e32 v20, s9, v18
	s_clause 0x5
	global_load_b64 v[36:37], v10, s[6:7] scale_offset
	global_load_b64 v[38:39], v12, s[6:7] scale_offset
	;; [unrolled: 1-line block ×6, first 2 shown]
	v_mul_lo_u32 v23, 0x50, v30
	s_wait_loadcnt 0x8
	ds_store_b128 v23, v[24:27] offset:160
	s_wait_loadcnt 0x6
	ds_store_b128 v23, v[32:35] offset:176
	;; [unrolled: 2-line block ×5, first 2 shown]
	v_add_nc_u32_e32 v29, 0xa0, v23
	s_cbranch_vccz .LBB9_7
; %bb.2:
	s_delay_alu instid0(VALU_DEP_1) | instskip(SKIP_4) | instid1(SALU_CYCLE_1)
	v_lshl_add_u32 v7, v28, 3, v29
                                        ; implicit-def: $vgpr27
                                        ; implicit-def: $vgpr24
	ds_load_b64 v[0:1], v7
	s_wait_dscnt 0x0
	v_cmp_ngt_f32_e64 s0, |v0|, |v1|
	s_and_saveexec_b32 s1, s0
	s_xor_b32 s0, exec_lo, s1
	s_cbranch_execz .LBB9_4
; %bb.3:
	v_div_scale_f32 v9, null, v1, v1, v0
	v_div_scale_f32 v15, vcc_lo, v0, v1, v0
	s_delay_alu instid0(VALU_DEP_2) | instskip(SKIP_1) | instid1(TRANS32_DEP_1)
	v_rcp_f32_e32 v11, v9
	v_nop
	v_fma_f32 v13, -v9, v11, 1.0
	s_delay_alu instid0(VALU_DEP_1) | instskip(NEXT) | instid1(VALU_DEP_1)
	v_fmac_f32_e32 v11, v13, v11
	v_mul_f32_e32 v13, v15, v11
	s_delay_alu instid0(VALU_DEP_1) | instskip(NEXT) | instid1(VALU_DEP_1)
	v_fma_f32 v17, -v9, v13, v15
	v_fmac_f32_e32 v13, v17, v11
	s_delay_alu instid0(VALU_DEP_1) | instskip(NEXT) | instid1(VALU_DEP_1)
	v_fma_f32 v9, -v9, v13, v15
	v_div_fmas_f32 v9, v9, v11, v13
	s_delay_alu instid0(VALU_DEP_1) | instskip(NEXT) | instid1(VALU_DEP_1)
	v_div_fixup_f32 v9, v9, v1, v0
	v_fmac_f32_e32 v1, v0, v9
	s_delay_alu instid0(VALU_DEP_1) | instskip(NEXT) | instid1(VALU_DEP_1)
	v_div_scale_f32 v0, null, v1, v1, -1.0
	v_rcp_f32_e32 v11, v0
	v_nop
	s_delay_alu instid0(TRANS32_DEP_1) | instskip(NEXT) | instid1(VALU_DEP_1)
	v_fma_f32 v13, -v0, v11, 1.0
	v_fmac_f32_e32 v11, v13, v11
	v_div_scale_f32 v13, vcc_lo, -1.0, v1, -1.0
	s_delay_alu instid0(VALU_DEP_1) | instskip(NEXT) | instid1(VALU_DEP_1)
	v_mul_f32_e32 v15, v13, v11
	v_fma_f32 v17, -v0, v15, v13
	s_delay_alu instid0(VALU_DEP_1) | instskip(NEXT) | instid1(VALU_DEP_1)
	v_fmac_f32_e32 v15, v17, v11
	v_fma_f32 v0, -v0, v15, v13
	s_delay_alu instid0(VALU_DEP_1) | instskip(NEXT) | instid1(VALU_DEP_1)
	v_div_fmas_f32 v0, v0, v11, v15
	v_div_fixup_f32 v27, v0, v1, -1.0
                                        ; implicit-def: $vgpr0_vgpr1
	s_delay_alu instid0(VALU_DEP_1) | instskip(NEXT) | instid1(VALU_DEP_1)
	v_mul_f32_e32 v24, v9, v27
	v_xor_b32_e32 v26, 0x80000000, v24
.LBB9_4:
	s_and_not1_saveexec_b32 s0, s0
	s_cbranch_execz .LBB9_6
; %bb.5:
	v_div_scale_f32 v9, null, v0, v0, v1
	v_div_scale_f32 v15, vcc_lo, v1, v0, v1
	s_delay_alu instid0(VALU_DEP_2) | instskip(SKIP_1) | instid1(TRANS32_DEP_1)
	v_rcp_f32_e32 v11, v9
	v_nop
	v_fma_f32 v13, -v9, v11, 1.0
	s_delay_alu instid0(VALU_DEP_1) | instskip(NEXT) | instid1(VALU_DEP_1)
	v_fmac_f32_e32 v11, v13, v11
	v_mul_f32_e32 v13, v15, v11
	s_delay_alu instid0(VALU_DEP_1) | instskip(NEXT) | instid1(VALU_DEP_1)
	v_fma_f32 v17, -v9, v13, v15
	v_fmac_f32_e32 v13, v17, v11
	s_delay_alu instid0(VALU_DEP_1) | instskip(NEXT) | instid1(VALU_DEP_1)
	v_fma_f32 v9, -v9, v13, v15
	v_div_fmas_f32 v9, v9, v11, v13
	s_delay_alu instid0(VALU_DEP_1) | instskip(NEXT) | instid1(VALU_DEP_1)
	v_div_fixup_f32 v9, v9, v0, v1
	v_fmac_f32_e32 v0, v1, v9
	s_delay_alu instid0(VALU_DEP_1) | instskip(SKIP_1) | instid1(VALU_DEP_2)
	v_div_scale_f32 v1, null, v0, v0, 1.0
	v_div_scale_f32 v15, vcc_lo, 1.0, v0, 1.0
	v_rcp_f32_e32 v11, v1
	v_nop
	s_delay_alu instid0(TRANS32_DEP_1) | instskip(NEXT) | instid1(VALU_DEP_1)
	v_fma_f32 v13, -v1, v11, 1.0
	v_fmac_f32_e32 v11, v13, v11
	s_delay_alu instid0(VALU_DEP_1) | instskip(NEXT) | instid1(VALU_DEP_1)
	v_mul_f32_e32 v13, v15, v11
	v_fma_f32 v17, -v1, v13, v15
	s_delay_alu instid0(VALU_DEP_1) | instskip(NEXT) | instid1(VALU_DEP_1)
	v_fmac_f32_e32 v13, v17, v11
	v_fma_f32 v1, -v1, v13, v15
	s_delay_alu instid0(VALU_DEP_1) | instskip(NEXT) | instid1(VALU_DEP_1)
	v_div_fmas_f32 v1, v1, v11, v13
	v_div_fixup_f32 v26, v1, v0, 1.0
	s_delay_alu instid0(VALU_DEP_1)
	v_xor_b32_e32 v24, 0x80000000, v26
	v_mul_f32_e64 v27, v9, -v26
.LBB9_6:
	s_or_b32 exec_lo, exec_lo, s0
	s_delay_alu instid0(VALU_DEP_1)
	v_xor_b32_e32 v25, 0x80000000, v27
	s_mov_b32 s0, 0
	ds_store_b64 v7, v[26:27]
	ds_store_b64 v22, v[24:25]
.LBB9_7:
	s_and_b32 vcc_lo, exec_lo, s0
	s_cbranch_vccz .LBB9_9
; %bb.8:
	s_mov_b64 s[0:1], 0xbf800000
	s_delay_alu instid0(SALU_CYCLE_1)
	v_mov_b64_e32 v[0:1], s[0:1]
	ds_store_b64 v22, v[0:1]
.LBB9_9:
	v_dual_ashrrev_i32 v7, 31, v6 :: v_dual_ashrrev_i32 v9, 31, v8
	v_dual_ashrrev_i32 v11, 31, v10 :: v_dual_ashrrev_i32 v13, 31, v12
	;; [unrolled: 1-line block ×4, first 2 shown]
	v_add_nc_u32_e32 v24, 0x50, v22
	v_add_nc_u32_e32 v25, v29, v22
	s_cmp_eq_u32 s4, 0x79
	s_cbranch_scc1 .LBB9_13
; %bb.10:
	ds_load_b64 v[0:1], v29 offset:64
	v_cmp_eq_u32_e64 s0, 9, v28
	s_wait_dscnt 0x0
	ds_store_b64 v24, v[0:1]
	s_wait_dscnt 0x0
	s_barrier_signal -1
	s_barrier_wait -1
	s_and_saveexec_b32 s1, s0
	s_cbranch_execz .LBB9_17
; %bb.11:
	s_and_b32 vcc_lo, exec_lo, s3
	s_cbranch_vccz .LBB9_14
; %bb.12:
	ds_load_b64 v[0:1], v25
	ds_load_b64 v[26:27], v24
	s_wait_dscnt 0x0
	v_pk_mul_f32 v[32:33], v[26:27], v[0:1] op_sel:[1,1] op_sel_hi:[0,1]
	v_pk_mul_f32 v[34:35], v[26:27], v[0:1] op_sel_hi:[1,0]
	s_delay_alu instid0(VALU_DEP_2) | instskip(NEXT) | instid1(VALU_DEP_2)
	v_pk_fma_f32 v[0:1], v[26:27], v[0:1], v[32:33] op_sel_hi:[1,0,1]
	v_sub_f32_e32 v0, v34, v32
	s_cbranch_execz .LBB9_15
	s_branch .LBB9_16
.LBB9_13:
	s_mov_b32 s1, 0
                                        ; implicit-def: $vgpr27
                                        ; implicit-def: $vgpr31
	s_cbranch_execnz .LBB9_96
	s_branch .LBB9_181
.LBB9_14:
                                        ; implicit-def: $vgpr1
.LBB9_15:
	ds_load_b64 v[0:1], v24
.LBB9_16:
	s_wait_dscnt 0x0
	v_dual_mov_b32 v26, 0 :: v_dual_mov_b32 v32, v1
	v_mov_b32_e32 v33, v0
	ds_load_b64 v[26:27], v26 offset:64
	s_wait_dscnt 0x0
	v_pk_mul_f32 v[32:33], v[32:33], v[26:27] op_sel:[0,1]
	s_delay_alu instid0(VALU_DEP_1) | instskip(SKIP_1) | instid1(VALU_DEP_2)
	v_pk_fma_f32 v[34:35], v[0:1], v[26:27], v[32:33] op_sel_hi:[1,0,1]
	v_pk_fma_f32 v[0:1], v[0:1], v[26:27], v[32:33] neg_lo:[0,0,1] neg_hi:[0,0,1]
	v_mov_b32_e32 v1, v35
	ds_store_b64 v29, v[0:1] offset:64
.LBB9_17:
	s_or_b32 exec_lo, exec_lo, s1
	ds_load_b64 v[0:1], v29 offset:56
	v_cmp_lt_u32_e64 s1, 7, v28
	s_wait_dscnt 0x0
	ds_store_b64 v24, v[0:1]
	s_wait_dscnt 0x0
	s_barrier_signal -1
	s_barrier_wait -1
	s_and_saveexec_b32 s2, s1
	s_cbranch_execz .LBB9_25
; %bb.18:
	s_and_not1_b32 vcc_lo, exec_lo, s3
	s_cbranch_vccnz .LBB9_20
; %bb.19:
	ds_load_b64 v[0:1], v25
	ds_load_b64 v[26:27], v24
	s_wait_dscnt 0x0
	v_pk_mul_f32 v[32:33], v[26:27], v[0:1] op_sel:[1,1] op_sel_hi:[0,1]
	s_delay_alu instid0(VALU_DEP_1) | instskip(SKIP_1) | instid1(VALU_DEP_2)
	v_pk_fma_f32 v[34:35], v[26:27], v[0:1], v[32:33] op_sel_hi:[1,0,1]
	v_pk_fma_f32 v[0:1], v[26:27], v[0:1], v[32:33] neg_lo:[0,0,1] neg_hi:[0,0,1]
	v_mov_b32_e32 v1, v35
	s_cbranch_execz .LBB9_21
	s_branch .LBB9_22
.LBB9_20:
                                        ; implicit-def: $vgpr0_vgpr1
.LBB9_21:
	ds_load_b64 v[0:1], v24
.LBB9_22:
	s_and_saveexec_b32 s4, s0
	s_cbranch_execz .LBB9_24
; %bb.23:
	v_mov_b32_e32 v31, 0
	ds_load_b64 v[26:27], v29 offset:64
	ds_load_b64 v[32:33], v31 offset:144
	s_wait_dscnt 0x0
	v_pk_mul_f32 v[34:35], v[32:33], v[26:27] op_sel:[1,1] op_sel_hi:[0,1]
	s_delay_alu instid0(VALU_DEP_1) | instskip(SKIP_1) | instid1(VALU_DEP_2)
	v_pk_fma_f32 v[36:37], v[32:33], v[26:27], v[34:35] op_sel_hi:[1,0,1]
	v_pk_fma_f32 v[26:27], v[32:33], v[26:27], v[34:35] neg_lo:[0,0,1] neg_hi:[0,0,1]
	v_mov_b32_e32 v27, v37
	s_delay_alu instid0(VALU_DEP_1)
	v_pk_add_f32 v[0:1], v[0:1], v[26:27]
.LBB9_24:
	s_or_b32 exec_lo, exec_lo, s4
	v_mov_b32_e32 v26, 0
	ds_load_b64 v[26:27], v26 offset:56
	s_wait_dscnt 0x0
	v_pk_mul_f32 v[32:33], v[0:1], v[26:27] op_sel:[1,1] op_sel_hi:[0,1]
	s_delay_alu instid0(VALU_DEP_1) | instskip(SKIP_1) | instid1(VALU_DEP_2)
	v_pk_fma_f32 v[34:35], v[0:1], v[26:27], v[32:33] op_sel_hi:[1,0,1]
	v_pk_fma_f32 v[0:1], v[0:1], v[26:27], v[32:33] neg_lo:[0,0,1] neg_hi:[0,0,1]
	v_mov_b32_e32 v1, v35
	ds_store_b64 v29, v[0:1] offset:56
.LBB9_25:
	s_or_b32 exec_lo, exec_lo, s2
	ds_load_b64 v[0:1], v29 offset:48
	v_cmp_lt_u32_e64 s0, 6, v28
	s_wait_dscnt 0x0
	ds_store_b64 v24, v[0:1]
	s_wait_dscnt 0x0
	s_barrier_signal -1
	s_barrier_wait -1
	s_and_saveexec_b32 s2, s0
	s_cbranch_execz .LBB9_35
; %bb.26:
	s_and_not1_b32 vcc_lo, exec_lo, s3
	s_cbranch_vccnz .LBB9_28
; %bb.27:
	ds_load_b64 v[0:1], v25
	ds_load_b64 v[26:27], v24
	s_wait_dscnt 0x0
	v_pk_mul_f32 v[32:33], v[26:27], v[0:1] op_sel:[1,1] op_sel_hi:[0,1]
	s_delay_alu instid0(VALU_DEP_1) | instskip(SKIP_1) | instid1(VALU_DEP_2)
	v_pk_fma_f32 v[34:35], v[26:27], v[0:1], v[32:33] op_sel_hi:[1,0,1]
	v_pk_fma_f32 v[0:1], v[26:27], v[0:1], v[32:33] neg_lo:[0,0,1] neg_hi:[0,0,1]
	v_mov_b32_e32 v1, v35
	s_cbranch_execz .LBB9_29
	s_branch .LBB9_30
.LBB9_28:
                                        ; implicit-def: $vgpr0_vgpr1
.LBB9_29:
	ds_load_b64 v[0:1], v24
.LBB9_30:
	s_and_saveexec_b32 s4, s1
	s_cbranch_execz .LBB9_34
; %bb.31:
	s_movk_i32 s1, 0x50
	v_add_nc_u32_e32 v27, -7, v28
	v_mad_u32 v26, v30, s1, 0xd8
	s_movk_i32 s5, 0x88
	s_mov_b32 s1, 0
.LBB9_32:                               ; =>This Inner Loop Header: Depth=1
	s_delay_alu instid0(VALU_DEP_2)
	v_dual_mov_b32 v31, s5 :: v_dual_add_nc_u32 v27, -1, v27
	s_add_co_i32 s5, s5, 8
	ds_load_b64 v[32:33], v26
	ds_load_b64 v[34:35], v31
	v_add_nc_u32_e32 v26, 8, v26
	v_cmp_eq_u32_e32 vcc_lo, 0, v27
	s_or_b32 s1, vcc_lo, s1
	s_wait_dscnt 0x0
	v_pk_mul_f32 v[36:37], v[34:35], v[32:33] op_sel:[1,1] op_sel_hi:[0,1]
	s_delay_alu instid0(VALU_DEP_1) | instskip(SKIP_1) | instid1(VALU_DEP_2)
	v_pk_fma_f32 v[38:39], v[34:35], v[32:33], v[36:37] op_sel_hi:[1,0,1]
	v_pk_fma_f32 v[32:33], v[34:35], v[32:33], v[36:37] neg_lo:[0,0,1] neg_hi:[0,0,1]
	v_mov_b32_e32 v33, v39
	s_delay_alu instid0(VALU_DEP_1)
	v_pk_add_f32 v[0:1], v[0:1], v[32:33]
	s_and_not1_b32 exec_lo, exec_lo, s1
	s_cbranch_execnz .LBB9_32
; %bb.33:
	s_or_b32 exec_lo, exec_lo, s1
.LBB9_34:
	s_delay_alu instid0(SALU_CYCLE_1) | instskip(SKIP_4) | instid1(VALU_DEP_1)
	s_or_b32 exec_lo, exec_lo, s4
	v_mov_b32_e32 v26, 0
	ds_load_b64 v[26:27], v26 offset:48
	s_wait_dscnt 0x0
	v_pk_mul_f32 v[32:33], v[0:1], v[26:27] op_sel:[1,1] op_sel_hi:[0,1]
	v_pk_fma_f32 v[34:35], v[0:1], v[26:27], v[32:33] op_sel_hi:[1,0,1]
	v_pk_fma_f32 v[0:1], v[0:1], v[26:27], v[32:33] neg_lo:[0,0,1] neg_hi:[0,0,1]
	s_delay_alu instid0(VALU_DEP_2)
	v_mov_b32_e32 v1, v35
	ds_store_b64 v29, v[0:1] offset:48
.LBB9_35:
	s_or_b32 exec_lo, exec_lo, s2
	ds_load_b64 v[0:1], v29 offset:40
	v_cmp_lt_u32_e64 s1, 5, v28
	s_wait_dscnt 0x0
	ds_store_b64 v24, v[0:1]
	s_wait_dscnt 0x0
	s_barrier_signal -1
	s_barrier_wait -1
	s_and_saveexec_b32 s2, s1
	s_cbranch_execz .LBB9_45
; %bb.36:
	s_and_not1_b32 vcc_lo, exec_lo, s3
	s_cbranch_vccnz .LBB9_38
; %bb.37:
	ds_load_b64 v[0:1], v25
	ds_load_b64 v[26:27], v24
	s_wait_dscnt 0x0
	v_pk_mul_f32 v[32:33], v[26:27], v[0:1] op_sel:[1,1] op_sel_hi:[0,1]
	s_delay_alu instid0(VALU_DEP_1) | instskip(SKIP_1) | instid1(VALU_DEP_2)
	v_pk_fma_f32 v[34:35], v[26:27], v[0:1], v[32:33] op_sel_hi:[1,0,1]
	v_pk_fma_f32 v[0:1], v[26:27], v[0:1], v[32:33] neg_lo:[0,0,1] neg_hi:[0,0,1]
	v_mov_b32_e32 v1, v35
	s_cbranch_execz .LBB9_39
	s_branch .LBB9_40
.LBB9_38:
                                        ; implicit-def: $vgpr0_vgpr1
.LBB9_39:
	ds_load_b64 v[0:1], v24
.LBB9_40:
	s_and_saveexec_b32 s4, s0
	s_cbranch_execz .LBB9_44
; %bb.41:
	s_movk_i32 s0, 0x50
	v_add_nc_u32_e32 v27, -6, v28
	v_mad_u32 v26, v30, s0, 0xd0
	s_movk_i32 s5, 0x80
	s_mov_b32 s0, 0
.LBB9_42:                               ; =>This Inner Loop Header: Depth=1
	s_delay_alu instid0(VALU_DEP_2)
	v_dual_mov_b32 v31, s5 :: v_dual_add_nc_u32 v27, -1, v27
	s_add_co_i32 s5, s5, 8
	ds_load_b64 v[32:33], v26
	ds_load_b64 v[34:35], v31
	v_add_nc_u32_e32 v26, 8, v26
	v_cmp_eq_u32_e32 vcc_lo, 0, v27
	s_or_b32 s0, vcc_lo, s0
	s_wait_dscnt 0x0
	v_pk_mul_f32 v[36:37], v[34:35], v[32:33] op_sel:[1,1] op_sel_hi:[0,1]
	s_delay_alu instid0(VALU_DEP_1) | instskip(SKIP_1) | instid1(VALU_DEP_2)
	v_pk_fma_f32 v[38:39], v[34:35], v[32:33], v[36:37] op_sel_hi:[1,0,1]
	v_pk_fma_f32 v[32:33], v[34:35], v[32:33], v[36:37] neg_lo:[0,0,1] neg_hi:[0,0,1]
	v_mov_b32_e32 v33, v39
	s_delay_alu instid0(VALU_DEP_1)
	v_pk_add_f32 v[0:1], v[0:1], v[32:33]
	s_and_not1_b32 exec_lo, exec_lo, s0
	s_cbranch_execnz .LBB9_42
; %bb.43:
	s_or_b32 exec_lo, exec_lo, s0
.LBB9_44:
	s_delay_alu instid0(SALU_CYCLE_1) | instskip(SKIP_4) | instid1(VALU_DEP_1)
	s_or_b32 exec_lo, exec_lo, s4
	v_mov_b32_e32 v26, 0
	ds_load_b64 v[26:27], v26 offset:40
	s_wait_dscnt 0x0
	v_pk_mul_f32 v[32:33], v[0:1], v[26:27] op_sel:[1,1] op_sel_hi:[0,1]
	v_pk_fma_f32 v[34:35], v[0:1], v[26:27], v[32:33] op_sel_hi:[1,0,1]
	v_pk_fma_f32 v[0:1], v[0:1], v[26:27], v[32:33] neg_lo:[0,0,1] neg_hi:[0,0,1]
	s_delay_alu instid0(VALU_DEP_2)
	v_mov_b32_e32 v1, v35
	ds_store_b64 v29, v[0:1] offset:40
.LBB9_45:
	s_or_b32 exec_lo, exec_lo, s2
	ds_load_b64 v[0:1], v29 offset:32
	v_cmp_lt_u32_e64 s0, 4, v28
	s_wait_dscnt 0x0
	ds_store_b64 v24, v[0:1]
	s_wait_dscnt 0x0
	s_barrier_signal -1
	s_barrier_wait -1
	s_and_saveexec_b32 s2, s0
	s_cbranch_execz .LBB9_55
; %bb.46:
	s_and_not1_b32 vcc_lo, exec_lo, s3
	s_cbranch_vccnz .LBB9_48
; %bb.47:
	ds_load_b64 v[0:1], v25
	ds_load_b64 v[26:27], v24
	s_wait_dscnt 0x0
	v_pk_mul_f32 v[32:33], v[26:27], v[0:1] op_sel:[1,1] op_sel_hi:[0,1]
	s_delay_alu instid0(VALU_DEP_1) | instskip(SKIP_1) | instid1(VALU_DEP_2)
	v_pk_fma_f32 v[34:35], v[26:27], v[0:1], v[32:33] op_sel_hi:[1,0,1]
	v_pk_fma_f32 v[0:1], v[26:27], v[0:1], v[32:33] neg_lo:[0,0,1] neg_hi:[0,0,1]
	v_mov_b32_e32 v1, v35
	s_cbranch_execz .LBB9_49
	s_branch .LBB9_50
.LBB9_48:
                                        ; implicit-def: $vgpr0_vgpr1
.LBB9_49:
	ds_load_b64 v[0:1], v24
.LBB9_50:
	s_and_saveexec_b32 s4, s1
	s_cbranch_execz .LBB9_54
; %bb.51:
	s_movk_i32 s1, 0x50
	v_add_nc_u32_e32 v27, -5, v28
	v_mad_u32 v26, v30, s1, 0xc8
	s_movk_i32 s5, 0x78
	s_mov_b32 s1, 0
.LBB9_52:                               ; =>This Inner Loop Header: Depth=1
	s_delay_alu instid0(VALU_DEP_2)
	v_dual_mov_b32 v31, s5 :: v_dual_add_nc_u32 v27, -1, v27
	s_add_co_i32 s5, s5, 8
	ds_load_b64 v[32:33], v26
	ds_load_b64 v[34:35], v31
	v_add_nc_u32_e32 v26, 8, v26
	v_cmp_eq_u32_e32 vcc_lo, 0, v27
	s_or_b32 s1, vcc_lo, s1
	s_wait_dscnt 0x0
	v_pk_mul_f32 v[36:37], v[34:35], v[32:33] op_sel:[1,1] op_sel_hi:[0,1]
	s_delay_alu instid0(VALU_DEP_1) | instskip(SKIP_1) | instid1(VALU_DEP_2)
	v_pk_fma_f32 v[38:39], v[34:35], v[32:33], v[36:37] op_sel_hi:[1,0,1]
	v_pk_fma_f32 v[32:33], v[34:35], v[32:33], v[36:37] neg_lo:[0,0,1] neg_hi:[0,0,1]
	v_mov_b32_e32 v33, v39
	s_delay_alu instid0(VALU_DEP_1)
	v_pk_add_f32 v[0:1], v[0:1], v[32:33]
	s_and_not1_b32 exec_lo, exec_lo, s1
	s_cbranch_execnz .LBB9_52
; %bb.53:
	s_or_b32 exec_lo, exec_lo, s1
.LBB9_54:
	s_delay_alu instid0(SALU_CYCLE_1) | instskip(SKIP_4) | instid1(VALU_DEP_1)
	s_or_b32 exec_lo, exec_lo, s4
	v_mov_b32_e32 v26, 0
	ds_load_b64 v[26:27], v26 offset:32
	s_wait_dscnt 0x0
	v_pk_mul_f32 v[32:33], v[0:1], v[26:27] op_sel:[1,1] op_sel_hi:[0,1]
	v_pk_fma_f32 v[34:35], v[0:1], v[26:27], v[32:33] op_sel_hi:[1,0,1]
	v_pk_fma_f32 v[0:1], v[0:1], v[26:27], v[32:33] neg_lo:[0,0,1] neg_hi:[0,0,1]
	s_delay_alu instid0(VALU_DEP_2)
	v_mov_b32_e32 v1, v35
	ds_store_b64 v29, v[0:1] offset:32
.LBB9_55:
	s_or_b32 exec_lo, exec_lo, s2
	ds_load_b64 v[0:1], v29 offset:24
	v_cmp_lt_u32_e64 s1, 3, v28
	s_wait_dscnt 0x0
	ds_store_b64 v24, v[0:1]
	s_wait_dscnt 0x0
	s_barrier_signal -1
	s_barrier_wait -1
	s_and_saveexec_b32 s2, s1
	s_cbranch_execz .LBB9_65
; %bb.56:
	s_and_not1_b32 vcc_lo, exec_lo, s3
	s_cbranch_vccnz .LBB9_58
; %bb.57:
	ds_load_b64 v[0:1], v25
	ds_load_b64 v[26:27], v24
	s_wait_dscnt 0x0
	v_pk_mul_f32 v[32:33], v[26:27], v[0:1] op_sel:[1,1] op_sel_hi:[0,1]
	s_delay_alu instid0(VALU_DEP_1) | instskip(SKIP_1) | instid1(VALU_DEP_2)
	v_pk_fma_f32 v[34:35], v[26:27], v[0:1], v[32:33] op_sel_hi:[1,0,1]
	v_pk_fma_f32 v[0:1], v[26:27], v[0:1], v[32:33] neg_lo:[0,0,1] neg_hi:[0,0,1]
	v_mov_b32_e32 v1, v35
	s_cbranch_execz .LBB9_59
	s_branch .LBB9_60
.LBB9_58:
                                        ; implicit-def: $vgpr0_vgpr1
.LBB9_59:
	ds_load_b64 v[0:1], v24
.LBB9_60:
	s_and_saveexec_b32 s4, s0
	s_cbranch_execz .LBB9_64
; %bb.61:
	s_movk_i32 s0, 0x50
	v_add_nc_u32_e32 v27, -4, v28
	v_mad_u32 v26, v30, s0, 0xc0
	s_movk_i32 s5, 0x70
	s_mov_b32 s0, 0
.LBB9_62:                               ; =>This Inner Loop Header: Depth=1
	s_delay_alu instid0(VALU_DEP_2)
	v_dual_mov_b32 v31, s5 :: v_dual_add_nc_u32 v27, -1, v27
	s_add_co_i32 s5, s5, 8
	ds_load_b64 v[32:33], v26
	ds_load_b64 v[34:35], v31
	v_add_nc_u32_e32 v26, 8, v26
	v_cmp_eq_u32_e32 vcc_lo, 0, v27
	s_or_b32 s0, vcc_lo, s0
	s_wait_dscnt 0x0
	v_pk_mul_f32 v[36:37], v[34:35], v[32:33] op_sel:[1,1] op_sel_hi:[0,1]
	s_delay_alu instid0(VALU_DEP_1) | instskip(SKIP_1) | instid1(VALU_DEP_2)
	v_pk_fma_f32 v[38:39], v[34:35], v[32:33], v[36:37] op_sel_hi:[1,0,1]
	v_pk_fma_f32 v[32:33], v[34:35], v[32:33], v[36:37] neg_lo:[0,0,1] neg_hi:[0,0,1]
	v_mov_b32_e32 v33, v39
	s_delay_alu instid0(VALU_DEP_1)
	v_pk_add_f32 v[0:1], v[0:1], v[32:33]
	s_and_not1_b32 exec_lo, exec_lo, s0
	s_cbranch_execnz .LBB9_62
; %bb.63:
	s_or_b32 exec_lo, exec_lo, s0
.LBB9_64:
	s_delay_alu instid0(SALU_CYCLE_1) | instskip(SKIP_4) | instid1(VALU_DEP_1)
	s_or_b32 exec_lo, exec_lo, s4
	v_mov_b32_e32 v26, 0
	ds_load_b64 v[26:27], v26 offset:24
	s_wait_dscnt 0x0
	v_pk_mul_f32 v[32:33], v[0:1], v[26:27] op_sel:[1,1] op_sel_hi:[0,1]
	v_pk_fma_f32 v[34:35], v[0:1], v[26:27], v[32:33] op_sel_hi:[1,0,1]
	v_pk_fma_f32 v[0:1], v[0:1], v[26:27], v[32:33] neg_lo:[0,0,1] neg_hi:[0,0,1]
	s_delay_alu instid0(VALU_DEP_2)
	v_mov_b32_e32 v1, v35
	ds_store_b64 v29, v[0:1] offset:24
.LBB9_65:
	s_or_b32 exec_lo, exec_lo, s2
	ds_load_b64 v[0:1], v29 offset:16
	v_cmp_lt_u32_e64 s2, 2, v28
	s_wait_dscnt 0x0
	ds_store_b64 v24, v[0:1]
	s_wait_dscnt 0x0
	s_barrier_signal -1
	s_barrier_wait -1
	s_and_saveexec_b32 s0, s2
	s_cbranch_execz .LBB9_75
; %bb.66:
	s_and_not1_b32 vcc_lo, exec_lo, s3
	s_cbranch_vccnz .LBB9_68
; %bb.67:
	ds_load_b64 v[0:1], v25
	ds_load_b64 v[26:27], v24
	s_wait_dscnt 0x0
	v_pk_mul_f32 v[32:33], v[26:27], v[0:1] op_sel:[1,1] op_sel_hi:[0,1]
	s_delay_alu instid0(VALU_DEP_1) | instskip(SKIP_1) | instid1(VALU_DEP_2)
	v_pk_fma_f32 v[34:35], v[26:27], v[0:1], v[32:33] op_sel_hi:[1,0,1]
	v_pk_fma_f32 v[0:1], v[26:27], v[0:1], v[32:33] neg_lo:[0,0,1] neg_hi:[0,0,1]
	v_mov_b32_e32 v1, v35
	s_cbranch_execz .LBB9_69
	s_branch .LBB9_70
.LBB9_68:
                                        ; implicit-def: $vgpr0_vgpr1
.LBB9_69:
	ds_load_b64 v[0:1], v24
.LBB9_70:
	s_and_saveexec_b32 s4, s1
	s_cbranch_execz .LBB9_74
; %bb.71:
	s_movk_i32 s1, 0x50
	v_add_nc_u32_e32 v27, -3, v28
	v_mad_u32 v26, v30, s1, 0xb8
	s_movk_i32 s5, 0x68
	s_mov_b32 s1, 0
.LBB9_72:                               ; =>This Inner Loop Header: Depth=1
	s_delay_alu instid0(VALU_DEP_2)
	v_dual_mov_b32 v31, s5 :: v_dual_add_nc_u32 v27, -1, v27
	s_add_co_i32 s5, s5, 8
	ds_load_b64 v[32:33], v26
	ds_load_b64 v[34:35], v31
	v_add_nc_u32_e32 v26, 8, v26
	v_cmp_eq_u32_e32 vcc_lo, 0, v27
	s_or_b32 s1, vcc_lo, s1
	s_wait_dscnt 0x0
	v_pk_mul_f32 v[36:37], v[34:35], v[32:33] op_sel:[1,1] op_sel_hi:[0,1]
	s_delay_alu instid0(VALU_DEP_1) | instskip(SKIP_1) | instid1(VALU_DEP_2)
	v_pk_fma_f32 v[38:39], v[34:35], v[32:33], v[36:37] op_sel_hi:[1,0,1]
	v_pk_fma_f32 v[32:33], v[34:35], v[32:33], v[36:37] neg_lo:[0,0,1] neg_hi:[0,0,1]
	v_mov_b32_e32 v33, v39
	s_delay_alu instid0(VALU_DEP_1)
	v_pk_add_f32 v[0:1], v[0:1], v[32:33]
	s_and_not1_b32 exec_lo, exec_lo, s1
	s_cbranch_execnz .LBB9_72
; %bb.73:
	s_or_b32 exec_lo, exec_lo, s1
.LBB9_74:
	s_delay_alu instid0(SALU_CYCLE_1) | instskip(SKIP_4) | instid1(VALU_DEP_1)
	s_or_b32 exec_lo, exec_lo, s4
	v_mov_b32_e32 v26, 0
	ds_load_b64 v[26:27], v26 offset:16
	s_wait_dscnt 0x0
	v_pk_mul_f32 v[32:33], v[0:1], v[26:27] op_sel:[1,1] op_sel_hi:[0,1]
	v_pk_fma_f32 v[34:35], v[0:1], v[26:27], v[32:33] op_sel_hi:[1,0,1]
	v_pk_fma_f32 v[0:1], v[0:1], v[26:27], v[32:33] neg_lo:[0,0,1] neg_hi:[0,0,1]
	s_delay_alu instid0(VALU_DEP_2)
	v_mov_b32_e32 v1, v35
	ds_store_b64 v29, v[0:1] offset:16
.LBB9_75:
	s_or_b32 exec_lo, exec_lo, s0
	ds_load_b64 v[0:1], v29 offset:8
	v_cmp_lt_u32_e64 s0, 1, v28
	s_wait_dscnt 0x0
	ds_store_b64 v24, v[0:1]
	s_wait_dscnt 0x0
	s_barrier_signal -1
	s_barrier_wait -1
	s_and_saveexec_b32 s1, s0
	s_cbranch_execz .LBB9_85
; %bb.76:
	s_and_not1_b32 vcc_lo, exec_lo, s3
	s_cbranch_vccnz .LBB9_78
; %bb.77:
	ds_load_b64 v[0:1], v25
	ds_load_b64 v[26:27], v24
	s_wait_dscnt 0x0
	v_pk_mul_f32 v[32:33], v[26:27], v[0:1] op_sel:[1,1] op_sel_hi:[0,1]
	s_delay_alu instid0(VALU_DEP_1) | instskip(SKIP_1) | instid1(VALU_DEP_2)
	v_pk_fma_f32 v[34:35], v[26:27], v[0:1], v[32:33] op_sel_hi:[1,0,1]
	v_pk_fma_f32 v[0:1], v[26:27], v[0:1], v[32:33] neg_lo:[0,0,1] neg_hi:[0,0,1]
	v_mov_b32_e32 v1, v35
	s_cbranch_execz .LBB9_79
	s_branch .LBB9_80
.LBB9_78:
                                        ; implicit-def: $vgpr0_vgpr1
.LBB9_79:
	ds_load_b64 v[0:1], v24
.LBB9_80:
	s_and_saveexec_b32 s4, s2
	s_cbranch_execz .LBB9_84
; %bb.81:
	s_movk_i32 s2, 0x50
	v_add_nc_u32_e32 v27, -2, v28
	v_mad_u32 v26, v30, s2, 0xb0
	s_movk_i32 s5, 0x60
	s_mov_b32 s2, 0
.LBB9_82:                               ; =>This Inner Loop Header: Depth=1
	s_delay_alu instid0(VALU_DEP_2)
	v_dual_mov_b32 v31, s5 :: v_dual_add_nc_u32 v27, -1, v27
	s_add_co_i32 s5, s5, 8
	ds_load_b64 v[32:33], v26
	ds_load_b64 v[34:35], v31
	v_add_nc_u32_e32 v26, 8, v26
	v_cmp_eq_u32_e32 vcc_lo, 0, v27
	s_or_b32 s2, vcc_lo, s2
	s_wait_dscnt 0x0
	v_pk_mul_f32 v[36:37], v[34:35], v[32:33] op_sel:[1,1] op_sel_hi:[0,1]
	s_delay_alu instid0(VALU_DEP_1) | instskip(SKIP_1) | instid1(VALU_DEP_2)
	v_pk_fma_f32 v[38:39], v[34:35], v[32:33], v[36:37] op_sel_hi:[1,0,1]
	v_pk_fma_f32 v[32:33], v[34:35], v[32:33], v[36:37] neg_lo:[0,0,1] neg_hi:[0,0,1]
	v_mov_b32_e32 v33, v39
	s_delay_alu instid0(VALU_DEP_1)
	v_pk_add_f32 v[0:1], v[0:1], v[32:33]
	s_and_not1_b32 exec_lo, exec_lo, s2
	s_cbranch_execnz .LBB9_82
; %bb.83:
	s_or_b32 exec_lo, exec_lo, s2
.LBB9_84:
	s_delay_alu instid0(SALU_CYCLE_1) | instskip(SKIP_4) | instid1(VALU_DEP_1)
	s_or_b32 exec_lo, exec_lo, s4
	v_mov_b32_e32 v26, 0
	ds_load_b64 v[26:27], v26 offset:8
	s_wait_dscnt 0x0
	v_pk_mul_f32 v[32:33], v[0:1], v[26:27] op_sel:[1,1] op_sel_hi:[0,1]
	v_pk_fma_f32 v[34:35], v[0:1], v[26:27], v[32:33] op_sel_hi:[1,0,1]
	v_pk_fma_f32 v[0:1], v[0:1], v[26:27], v[32:33] neg_lo:[0,0,1] neg_hi:[0,0,1]
	s_delay_alu instid0(VALU_DEP_2)
	v_mov_b32_e32 v1, v35
	ds_store_b64 v29, v[0:1] offset:8
.LBB9_85:
	s_or_b32 exec_lo, exec_lo, s1
	ds_load_b64 v[0:1], v29
	s_mov_b32 s2, 0
	s_mov_b32 s1, 0
	s_mov_b32 s4, exec_lo
                                        ; implicit-def: $vgpr27
                                        ; implicit-def: $vgpr31
	s_wait_dscnt 0x0
	ds_store_b64 v24, v[0:1]
	s_wait_dscnt 0x0
	s_barrier_signal -1
	s_barrier_wait -1
	v_cmpx_ne_u32_e32 0, v28
	s_cbranch_execz .LBB9_95
; %bb.86:
	s_and_not1_b32 vcc_lo, exec_lo, s3
	s_cbranch_vccnz .LBB9_88
; %bb.87:
	ds_load_b64 v[26:27], v25
	ds_load_b64 v[32:33], v24
	s_wait_dscnt 0x0
	v_dual_mul_f32 v0, v33, v27 :: v_dual_mul_f32 v1, v32, v27
	s_delay_alu instid0(VALU_DEP_1)
	v_dual_fma_f32 v0, v32, v26, -v0 :: v_dual_fmac_f32 v1, v33, v26
	s_and_not1_b32 vcc_lo, exec_lo, s1
	s_cbranch_vccz .LBB9_89
	s_branch .LBB9_90
.LBB9_88:
                                        ; implicit-def: $vgpr0
.LBB9_89:
	ds_load_b64 v[0:1], v24
.LBB9_90:
	s_and_saveexec_b32 s1, s0
	s_cbranch_execz .LBB9_94
; %bb.91:
	s_movk_i32 s0, 0x50
	v_add_nc_u32_e32 v27, -1, v28
	v_mad_u32 v26, v30, s0, 0xa8
	s_movk_i32 s5, 0x58
	s_mov_b32 s0, 0
.LBB9_92:                               ; =>This Inner Loop Header: Depth=1
	v_mov_b32_e32 v32, s5
	s_add_co_i32 s5, s5, 8
	ds_load_b64 v[30:31], v26
	ds_load_b64 v[32:33], v32
	s_wait_dscnt 0x0
	v_dual_mul_f32 v34, v33, v31 :: v_dual_mul_f32 v31, v32, v31
	s_delay_alu instid0(VALU_DEP_1) | instskip(NEXT) | instid1(VALU_DEP_2)
	v_dual_fma_f32 v32, v32, v30, -v34 :: v_dual_add_nc_u32 v27, -1, v27
	v_fmac_f32_e32 v31, v33, v30
	s_delay_alu instid0(VALU_DEP_2) | instskip(NEXT) | instid1(VALU_DEP_3)
	v_dual_add_nc_u32 v26, 8, v26 :: v_dual_add_f32 v0, v0, v32
	v_cmp_eq_u32_e32 vcc_lo, 0, v27
	s_delay_alu instid0(VALU_DEP_3) | instskip(SKIP_1) | instid1(SALU_CYCLE_1)
	v_add_f32_e32 v1, v1, v31
	s_or_b32 s0, vcc_lo, s0
	s_and_not1_b32 exec_lo, exec_lo, s0
	s_cbranch_execnz .LBB9_92
; %bb.93:
	s_or_b32 exec_lo, exec_lo, s0
.LBB9_94:
	s_delay_alu instid0(SALU_CYCLE_1)
	s_or_b32 exec_lo, exec_lo, s1
	v_mov_b32_e32 v26, 0
	s_mov_b32 s1, exec_lo
	v_add_nc_u32_e32 v31, 4, v29
	ds_load_b64 v[26:27], v26
	s_wait_dscnt 0x0
	v_dual_mul_f32 v30, v1, v27 :: v_dual_mul_f32 v27, v0, v27
	s_delay_alu instid0(VALU_DEP_1)
	v_dual_fma_f32 v0, v0, v26, -v30 :: v_dual_fmac_f32 v27, v1, v26
	ds_store_b32 v29, v0
.LBB9_95:
	s_or_b32 exec_lo, exec_lo, s4
	s_delay_alu instid0(SALU_CYCLE_1)
	s_and_b32 vcc_lo, exec_lo, s2
	s_cbranch_vccz .LBB9_181
.LBB9_96:
	ds_load_b64 v[0:1], v29 offset:8
	v_cmp_eq_u32_e64 s0, 0, v28
	s_wait_dscnt 0x0
	ds_store_b64 v24, v[0:1]
	s_wait_dscnt 0x0
	s_barrier_signal -1
	s_barrier_wait -1
	s_and_saveexec_b32 s2, s0
	s_cbranch_execz .LBB9_102
; %bb.97:
	s_and_b32 vcc_lo, exec_lo, s3
	s_cbranch_vccz .LBB9_99
; %bb.98:
	ds_load_b64 v[0:1], v25
	ds_load_b64 v[26:27], v24
	s_wait_dscnt 0x0
	v_pk_mul_f32 v[30:31], v[26:27], v[0:1] op_sel:[1,1] op_sel_hi:[0,1]
	v_pk_mul_f32 v[32:33], v[26:27], v[0:1] op_sel_hi:[1,0]
	s_delay_alu instid0(VALU_DEP_2) | instskip(NEXT) | instid1(VALU_DEP_2)
	v_pk_fma_f32 v[0:1], v[26:27], v[0:1], v[30:31] op_sel_hi:[1,0,1]
	v_sub_f32_e32 v0, v32, v30
	s_cbranch_execz .LBB9_100
	s_branch .LBB9_101
.LBB9_99:
                                        ; implicit-def: $vgpr1
.LBB9_100:
	ds_load_b64 v[0:1], v24
.LBB9_101:
	s_wait_dscnt 0x0
	v_dual_mov_b32 v26, 0 :: v_dual_mov_b32 v30, v1
	v_mov_b32_e32 v31, v0
	ds_load_b64 v[26:27], v26 offset:8
	s_wait_dscnt 0x0
	v_pk_mul_f32 v[30:31], v[30:31], v[26:27] op_sel:[0,1]
	s_delay_alu instid0(VALU_DEP_1) | instskip(SKIP_1) | instid1(VALU_DEP_2)
	v_pk_fma_f32 v[32:33], v[0:1], v[26:27], v[30:31] op_sel_hi:[1,0,1]
	v_pk_fma_f32 v[0:1], v[0:1], v[26:27], v[30:31] neg_lo:[0,0,1] neg_hi:[0,0,1]
	v_mov_b32_e32 v1, v33
	ds_store_b64 v29, v[0:1] offset:8
.LBB9_102:
	s_or_b32 exec_lo, exec_lo, s2
	ds_load_b64 v[0:1], v29 offset:16
	v_cndmask_b32_e64 v26, 0, 1, s3
	s_mov_b32 s2, exec_lo
	s_wait_dscnt 0x0
	ds_store_b64 v24, v[0:1]
	s_wait_dscnt 0x0
	s_barrier_signal -1
	s_barrier_wait -1
	v_cmpx_gt_u32_e32 2, v28
	s_cbranch_execz .LBB9_110
; %bb.103:
	s_and_not1_b32 vcc_lo, exec_lo, s3
	s_cbranch_vccnz .LBB9_105
; %bb.104:
	ds_load_b64 v[0:1], v25
	ds_load_b64 v[30:31], v24
	s_wait_dscnt 0x0
	v_pk_mul_f32 v[32:33], v[30:31], v[0:1] op_sel:[1,1] op_sel_hi:[0,1]
	s_delay_alu instid0(VALU_DEP_1) | instskip(SKIP_1) | instid1(VALU_DEP_2)
	v_pk_fma_f32 v[34:35], v[30:31], v[0:1], v[32:33] op_sel_hi:[1,0,1]
	v_pk_fma_f32 v[0:1], v[30:31], v[0:1], v[32:33] neg_lo:[0,0,1] neg_hi:[0,0,1]
	v_mov_b32_e32 v1, v35
	s_cbranch_execz .LBB9_106
	s_branch .LBB9_107
.LBB9_105:
                                        ; implicit-def: $vgpr0_vgpr1
.LBB9_106:
	ds_load_b64 v[0:1], v24
.LBB9_107:
	s_and_saveexec_b32 s3, s0
	s_cbranch_execz .LBB9_109
; %bb.108:
	v_mov_b32_e32 v27, 0
	ds_load_b64 v[30:31], v29 offset:8
	ds_load_b64 v[32:33], v27 offset:88
	s_wait_dscnt 0x0
	v_pk_mul_f32 v[34:35], v[32:33], v[30:31] op_sel:[1,1] op_sel_hi:[0,1]
	s_delay_alu instid0(VALU_DEP_1) | instskip(SKIP_1) | instid1(VALU_DEP_2)
	v_pk_fma_f32 v[36:37], v[32:33], v[30:31], v[34:35] op_sel_hi:[1,0,1]
	v_pk_fma_f32 v[30:31], v[32:33], v[30:31], v[34:35] neg_lo:[0,0,1] neg_hi:[0,0,1]
	v_mov_b32_e32 v31, v37
	s_delay_alu instid0(VALU_DEP_1)
	v_pk_add_f32 v[0:1], v[0:1], v[30:31]
.LBB9_109:
	s_or_b32 exec_lo, exec_lo, s3
	v_mov_b32_e32 v27, 0
	ds_load_b64 v[30:31], v27 offset:16
	s_wait_dscnt 0x0
	v_pk_mul_f32 v[32:33], v[0:1], v[30:31] op_sel:[1,1] op_sel_hi:[0,1]
	s_delay_alu instid0(VALU_DEP_1) | instskip(SKIP_1) | instid1(VALU_DEP_2)
	v_pk_fma_f32 v[34:35], v[0:1], v[30:31], v[32:33] op_sel_hi:[1,0,1]
	v_pk_fma_f32 v[0:1], v[0:1], v[30:31], v[32:33] neg_lo:[0,0,1] neg_hi:[0,0,1]
	v_mov_b32_e32 v1, v35
	ds_store_b64 v29, v[0:1] offset:16
.LBB9_110:
	s_or_b32 exec_lo, exec_lo, s2
	ds_load_b64 v[0:1], v29 offset:24
	s_mov_b32 s2, exec_lo
	s_wait_dscnt 0x0
	ds_store_b64 v24, v[0:1]
	s_wait_dscnt 0x0
	s_barrier_signal -1
	s_barrier_wait -1
	v_cmpx_gt_u32_e32 3, v28
	s_cbranch_execz .LBB9_120
; %bb.111:
	v_cmp_ne_u32_e32 vcc_lo, 1, v26
	s_cbranch_vccnz .LBB9_113
; %bb.112:
	ds_load_b64 v[0:1], v25
	ds_load_b64 v[30:31], v24
	s_wait_dscnt 0x0
	v_pk_mul_f32 v[32:33], v[30:31], v[0:1] op_sel:[1,1] op_sel_hi:[0,1]
	s_delay_alu instid0(VALU_DEP_1) | instskip(SKIP_1) | instid1(VALU_DEP_2)
	v_pk_fma_f32 v[34:35], v[30:31], v[0:1], v[32:33] op_sel_hi:[1,0,1]
	v_pk_fma_f32 v[0:1], v[30:31], v[0:1], v[32:33] neg_lo:[0,0,1] neg_hi:[0,0,1]
	v_mov_b32_e32 v1, v35
	s_cbranch_execz .LBB9_114
	s_branch .LBB9_115
.LBB9_113:
                                        ; implicit-def: $vgpr0_vgpr1
.LBB9_114:
	ds_load_b64 v[0:1], v24
.LBB9_115:
	s_mov_b32 s3, exec_lo
	v_cmpx_ne_u32_e32 2, v28
	s_cbranch_execz .LBB9_119
; %bb.116:
	ds_load_b64 v[30:31], v25 offset:8
	ds_load_b64 v[32:33], v24 offset:8
	s_wait_dscnt 0x0
	v_pk_mul_f32 v[34:35], v[32:33], v[30:31] op_sel:[1,1] op_sel_hi:[0,1]
	s_delay_alu instid0(VALU_DEP_1) | instskip(SKIP_1) | instid1(VALU_DEP_2)
	v_pk_fma_f32 v[36:37], v[32:33], v[30:31], v[34:35] op_sel_hi:[1,0,1]
	v_pk_fma_f32 v[30:31], v[32:33], v[30:31], v[34:35] neg_lo:[0,0,1] neg_hi:[0,0,1]
	v_mov_b32_e32 v31, v37
	s_delay_alu instid0(VALU_DEP_1)
	v_pk_add_f32 v[0:1], v[0:1], v[30:31]
	s_and_saveexec_b32 s4, s0
	s_cbranch_execz .LBB9_118
; %bb.117:
	v_mov_b32_e32 v27, 0
	ds_load_b64 v[30:31], v27 offset:96
	ds_load_b64 v[32:33], v29 offset:16
	s_wait_dscnt 0x0
	v_pk_mul_f32 v[34:35], v[30:31], v[32:33] op_sel:[1,1] op_sel_hi:[0,1]
	s_delay_alu instid0(VALU_DEP_1) | instskip(SKIP_1) | instid1(VALU_DEP_2)
	v_pk_fma_f32 v[36:37], v[30:31], v[32:33], v[34:35] op_sel_hi:[1,0,1]
	v_pk_fma_f32 v[30:31], v[30:31], v[32:33], v[34:35] neg_lo:[0,0,1] neg_hi:[0,0,1]
	v_mov_b32_e32 v31, v37
	s_delay_alu instid0(VALU_DEP_1)
	v_pk_add_f32 v[0:1], v[0:1], v[30:31]
.LBB9_118:
	s_or_b32 exec_lo, exec_lo, s4
.LBB9_119:
	s_delay_alu instid0(SALU_CYCLE_1) | instskip(SKIP_4) | instid1(VALU_DEP_1)
	s_or_b32 exec_lo, exec_lo, s3
	v_mov_b32_e32 v27, 0
	ds_load_b64 v[30:31], v27 offset:24
	s_wait_dscnt 0x0
	v_pk_mul_f32 v[32:33], v[0:1], v[30:31] op_sel:[1,1] op_sel_hi:[0,1]
	v_pk_fma_f32 v[34:35], v[0:1], v[30:31], v[32:33] op_sel_hi:[1,0,1]
	v_pk_fma_f32 v[0:1], v[0:1], v[30:31], v[32:33] neg_lo:[0,0,1] neg_hi:[0,0,1]
	s_delay_alu instid0(VALU_DEP_2)
	v_mov_b32_e32 v1, v35
	ds_store_b64 v29, v[0:1] offset:24
.LBB9_120:
	s_or_b32 exec_lo, exec_lo, s2
	ds_load_b64 v[0:1], v29 offset:32
	s_mov_b32 s0, exec_lo
	s_wait_dscnt 0x0
	ds_store_b64 v24, v[0:1]
	s_wait_dscnt 0x0
	s_barrier_signal -1
	s_barrier_wait -1
	v_cmpx_gt_u32_e32 4, v28
	s_cbranch_execz .LBB9_130
; %bb.121:
	v_cmp_ne_u32_e32 vcc_lo, 1, v26
	s_cbranch_vccnz .LBB9_123
; %bb.122:
	ds_load_b64 v[0:1], v25
	ds_load_b64 v[30:31], v24
	s_wait_dscnt 0x0
	v_pk_mul_f32 v[32:33], v[30:31], v[0:1] op_sel:[1,1] op_sel_hi:[0,1]
	s_delay_alu instid0(VALU_DEP_1) | instskip(SKIP_1) | instid1(VALU_DEP_2)
	v_pk_fma_f32 v[34:35], v[30:31], v[0:1], v[32:33] op_sel_hi:[1,0,1]
	v_pk_fma_f32 v[0:1], v[30:31], v[0:1], v[32:33] neg_lo:[0,0,1] neg_hi:[0,0,1]
	v_mov_b32_e32 v1, v35
	s_cbranch_execz .LBB9_124
	s_branch .LBB9_125
.LBB9_123:
                                        ; implicit-def: $vgpr0_vgpr1
.LBB9_124:
	ds_load_b64 v[0:1], v24
.LBB9_125:
	s_mov_b32 s2, exec_lo
	v_cmpx_ne_u32_e32 3, v28
	s_cbranch_execz .LBB9_129
; %bb.126:
	v_add_nc_u32_e32 v27, 0x58, v22
	v_add3_u32 v30, v23, v22, 0xa8
	v_mov_b32_e32 v31, v28
	s_mov_b32 s3, 0
.LBB9_127:                              ; =>This Inner Loop Header: Depth=1
	ds_load_b64 v[32:33], v30
	ds_load_b64 v[34:35], v27
	v_dual_add_nc_u32 v27, 8, v27 :: v_dual_add_nc_u32 v30, 8, v30
	s_wait_dscnt 0x0
	v_pk_mul_f32 v[36:37], v[34:35], v[32:33] op_sel:[1,1] op_sel_hi:[0,1]
	s_delay_alu instid0(VALU_DEP_1) | instskip(SKIP_2) | instid1(VALU_DEP_3)
	v_pk_fma_f32 v[38:39], v[34:35], v[32:33], v[36:37] op_sel_hi:[1,0,1]
	v_add_nc_u32_e32 v31, 1, v31
	v_pk_fma_f32 v[32:33], v[34:35], v[32:33], v[36:37] neg_lo:[0,0,1] neg_hi:[0,0,1]
	v_mov_b32_e32 v33, v39
	s_delay_alu instid0(VALU_DEP_3) | instskip(NEXT) | instid1(VALU_DEP_2)
	v_cmp_lt_u32_e32 vcc_lo, 2, v31
	v_pk_add_f32 v[0:1], v[0:1], v[32:33]
	s_or_b32 s3, vcc_lo, s3
	s_delay_alu instid0(SALU_CYCLE_1)
	s_and_not1_b32 exec_lo, exec_lo, s3
	s_cbranch_execnz .LBB9_127
; %bb.128:
	s_or_b32 exec_lo, exec_lo, s3
.LBB9_129:
	s_delay_alu instid0(SALU_CYCLE_1) | instskip(SKIP_4) | instid1(VALU_DEP_1)
	s_or_b32 exec_lo, exec_lo, s2
	v_mov_b32_e32 v27, 0
	ds_load_b64 v[30:31], v27 offset:32
	s_wait_dscnt 0x0
	v_pk_mul_f32 v[32:33], v[0:1], v[30:31] op_sel:[1,1] op_sel_hi:[0,1]
	v_pk_fma_f32 v[34:35], v[0:1], v[30:31], v[32:33] op_sel_hi:[1,0,1]
	v_pk_fma_f32 v[0:1], v[0:1], v[30:31], v[32:33] neg_lo:[0,0,1] neg_hi:[0,0,1]
	s_delay_alu instid0(VALU_DEP_2)
	v_mov_b32_e32 v1, v35
	ds_store_b64 v29, v[0:1] offset:32
.LBB9_130:
	s_or_b32 exec_lo, exec_lo, s0
	ds_load_b64 v[0:1], v29 offset:40
	s_mov_b32 s0, exec_lo
	s_wait_dscnt 0x0
	ds_store_b64 v24, v[0:1]
	s_wait_dscnt 0x0
	s_barrier_signal -1
	s_barrier_wait -1
	v_cmpx_gt_u32_e32 5, v28
	s_cbranch_execz .LBB9_140
; %bb.131:
	v_cmp_ne_u32_e32 vcc_lo, 1, v26
	s_cbranch_vccnz .LBB9_133
; %bb.132:
	ds_load_b64 v[0:1], v25
	ds_load_b64 v[30:31], v24
	s_wait_dscnt 0x0
	v_pk_mul_f32 v[32:33], v[30:31], v[0:1] op_sel:[1,1] op_sel_hi:[0,1]
	s_delay_alu instid0(VALU_DEP_1) | instskip(SKIP_1) | instid1(VALU_DEP_2)
	v_pk_fma_f32 v[34:35], v[30:31], v[0:1], v[32:33] op_sel_hi:[1,0,1]
	v_pk_fma_f32 v[0:1], v[30:31], v[0:1], v[32:33] neg_lo:[0,0,1] neg_hi:[0,0,1]
	v_mov_b32_e32 v1, v35
	s_cbranch_execz .LBB9_134
	s_branch .LBB9_135
.LBB9_133:
                                        ; implicit-def: $vgpr0_vgpr1
.LBB9_134:
	ds_load_b64 v[0:1], v24
.LBB9_135:
	s_mov_b32 s2, exec_lo
	v_cmpx_ne_u32_e32 4, v28
	s_cbranch_execz .LBB9_139
; %bb.136:
	v_add_nc_u32_e32 v27, 0x58, v22
	v_add3_u32 v30, v23, v22, 0xa8
	v_mov_b32_e32 v31, v28
	s_mov_b32 s3, 0
.LBB9_137:                              ; =>This Inner Loop Header: Depth=1
	ds_load_b64 v[32:33], v30
	ds_load_b64 v[34:35], v27
	v_dual_add_nc_u32 v27, 8, v27 :: v_dual_add_nc_u32 v30, 8, v30
	s_wait_dscnt 0x0
	v_pk_mul_f32 v[36:37], v[34:35], v[32:33] op_sel:[1,1] op_sel_hi:[0,1]
	s_delay_alu instid0(VALU_DEP_1) | instskip(SKIP_2) | instid1(VALU_DEP_3)
	v_pk_fma_f32 v[38:39], v[34:35], v[32:33], v[36:37] op_sel_hi:[1,0,1]
	v_add_nc_u32_e32 v31, 1, v31
	v_pk_fma_f32 v[32:33], v[34:35], v[32:33], v[36:37] neg_lo:[0,0,1] neg_hi:[0,0,1]
	v_mov_b32_e32 v33, v39
	s_delay_alu instid0(VALU_DEP_3) | instskip(NEXT) | instid1(VALU_DEP_2)
	v_cmp_lt_u32_e32 vcc_lo, 3, v31
	v_pk_add_f32 v[0:1], v[0:1], v[32:33]
	s_or_b32 s3, vcc_lo, s3
	s_delay_alu instid0(SALU_CYCLE_1)
	s_and_not1_b32 exec_lo, exec_lo, s3
	s_cbranch_execnz .LBB9_137
; %bb.138:
	s_or_b32 exec_lo, exec_lo, s3
.LBB9_139:
	s_delay_alu instid0(SALU_CYCLE_1) | instskip(SKIP_4) | instid1(VALU_DEP_1)
	s_or_b32 exec_lo, exec_lo, s2
	v_mov_b32_e32 v27, 0
	ds_load_b64 v[30:31], v27 offset:40
	s_wait_dscnt 0x0
	v_pk_mul_f32 v[32:33], v[0:1], v[30:31] op_sel:[1,1] op_sel_hi:[0,1]
	v_pk_fma_f32 v[34:35], v[0:1], v[30:31], v[32:33] op_sel_hi:[1,0,1]
	v_pk_fma_f32 v[0:1], v[0:1], v[30:31], v[32:33] neg_lo:[0,0,1] neg_hi:[0,0,1]
	s_delay_alu instid0(VALU_DEP_2)
	v_mov_b32_e32 v1, v35
	ds_store_b64 v29, v[0:1] offset:40
.LBB9_140:
	s_or_b32 exec_lo, exec_lo, s0
	ds_load_b64 v[0:1], v29 offset:48
	s_mov_b32 s0, exec_lo
	s_wait_dscnt 0x0
	ds_store_b64 v24, v[0:1]
	s_wait_dscnt 0x0
	s_barrier_signal -1
	s_barrier_wait -1
	v_cmpx_gt_u32_e32 6, v28
	s_cbranch_execz .LBB9_150
; %bb.141:
	v_cmp_ne_u32_e32 vcc_lo, 1, v26
	s_cbranch_vccnz .LBB9_143
; %bb.142:
	ds_load_b64 v[0:1], v25
	ds_load_b64 v[30:31], v24
	s_wait_dscnt 0x0
	v_pk_mul_f32 v[32:33], v[30:31], v[0:1] op_sel:[1,1] op_sel_hi:[0,1]
	s_delay_alu instid0(VALU_DEP_1) | instskip(SKIP_1) | instid1(VALU_DEP_2)
	v_pk_fma_f32 v[34:35], v[30:31], v[0:1], v[32:33] op_sel_hi:[1,0,1]
	v_pk_fma_f32 v[0:1], v[30:31], v[0:1], v[32:33] neg_lo:[0,0,1] neg_hi:[0,0,1]
	v_mov_b32_e32 v1, v35
	s_cbranch_execz .LBB9_144
	s_branch .LBB9_145
.LBB9_143:
                                        ; implicit-def: $vgpr0_vgpr1
.LBB9_144:
	ds_load_b64 v[0:1], v24
.LBB9_145:
	s_mov_b32 s2, exec_lo
	v_cmpx_ne_u32_e32 5, v28
	s_cbranch_execz .LBB9_149
; %bb.146:
	v_add_nc_u32_e32 v27, 0x58, v22
	v_add3_u32 v30, v23, v22, 0xa8
	v_mov_b32_e32 v31, v28
	s_mov_b32 s3, 0
.LBB9_147:                              ; =>This Inner Loop Header: Depth=1
	ds_load_b64 v[32:33], v30
	ds_load_b64 v[34:35], v27
	v_dual_add_nc_u32 v27, 8, v27 :: v_dual_add_nc_u32 v30, 8, v30
	s_wait_dscnt 0x0
	v_pk_mul_f32 v[36:37], v[34:35], v[32:33] op_sel:[1,1] op_sel_hi:[0,1]
	s_delay_alu instid0(VALU_DEP_1) | instskip(SKIP_2) | instid1(VALU_DEP_3)
	v_pk_fma_f32 v[38:39], v[34:35], v[32:33], v[36:37] op_sel_hi:[1,0,1]
	v_add_nc_u32_e32 v31, 1, v31
	v_pk_fma_f32 v[32:33], v[34:35], v[32:33], v[36:37] neg_lo:[0,0,1] neg_hi:[0,0,1]
	v_mov_b32_e32 v33, v39
	s_delay_alu instid0(VALU_DEP_3) | instskip(NEXT) | instid1(VALU_DEP_2)
	v_cmp_lt_u32_e32 vcc_lo, 4, v31
	v_pk_add_f32 v[0:1], v[0:1], v[32:33]
	s_or_b32 s3, vcc_lo, s3
	s_delay_alu instid0(SALU_CYCLE_1)
	s_and_not1_b32 exec_lo, exec_lo, s3
	s_cbranch_execnz .LBB9_147
; %bb.148:
	s_or_b32 exec_lo, exec_lo, s3
.LBB9_149:
	s_delay_alu instid0(SALU_CYCLE_1) | instskip(SKIP_4) | instid1(VALU_DEP_1)
	s_or_b32 exec_lo, exec_lo, s2
	v_mov_b32_e32 v27, 0
	ds_load_b64 v[30:31], v27 offset:48
	s_wait_dscnt 0x0
	v_pk_mul_f32 v[32:33], v[0:1], v[30:31] op_sel:[1,1] op_sel_hi:[0,1]
	v_pk_fma_f32 v[34:35], v[0:1], v[30:31], v[32:33] op_sel_hi:[1,0,1]
	v_pk_fma_f32 v[0:1], v[0:1], v[30:31], v[32:33] neg_lo:[0,0,1] neg_hi:[0,0,1]
	s_delay_alu instid0(VALU_DEP_2)
	v_mov_b32_e32 v1, v35
	ds_store_b64 v29, v[0:1] offset:48
.LBB9_150:
	s_or_b32 exec_lo, exec_lo, s0
	ds_load_b64 v[0:1], v29 offset:56
	s_mov_b32 s0, exec_lo
	s_wait_dscnt 0x0
	ds_store_b64 v24, v[0:1]
	s_wait_dscnt 0x0
	s_barrier_signal -1
	s_barrier_wait -1
	v_cmpx_gt_u32_e32 7, v28
	s_cbranch_execz .LBB9_160
; %bb.151:
	v_cmp_ne_u32_e32 vcc_lo, 1, v26
	s_cbranch_vccnz .LBB9_153
; %bb.152:
	ds_load_b64 v[0:1], v25
	ds_load_b64 v[30:31], v24
	s_wait_dscnt 0x0
	v_pk_mul_f32 v[32:33], v[30:31], v[0:1] op_sel:[1,1] op_sel_hi:[0,1]
	s_delay_alu instid0(VALU_DEP_1) | instskip(SKIP_1) | instid1(VALU_DEP_2)
	v_pk_fma_f32 v[34:35], v[30:31], v[0:1], v[32:33] op_sel_hi:[1,0,1]
	v_pk_fma_f32 v[0:1], v[30:31], v[0:1], v[32:33] neg_lo:[0,0,1] neg_hi:[0,0,1]
	v_mov_b32_e32 v1, v35
	s_cbranch_execz .LBB9_154
	s_branch .LBB9_155
.LBB9_153:
                                        ; implicit-def: $vgpr0_vgpr1
.LBB9_154:
	ds_load_b64 v[0:1], v24
.LBB9_155:
	s_mov_b32 s2, exec_lo
	v_cmpx_ne_u32_e32 6, v28
	s_cbranch_execz .LBB9_159
; %bb.156:
	v_add_nc_u32_e32 v27, 0x58, v22
	v_add3_u32 v30, v23, v22, 0xa8
	v_mov_b32_e32 v31, v28
	s_mov_b32 s3, 0
.LBB9_157:                              ; =>This Inner Loop Header: Depth=1
	ds_load_b64 v[32:33], v30
	ds_load_b64 v[34:35], v27
	v_dual_add_nc_u32 v27, 8, v27 :: v_dual_add_nc_u32 v30, 8, v30
	s_wait_dscnt 0x0
	v_pk_mul_f32 v[36:37], v[34:35], v[32:33] op_sel:[1,1] op_sel_hi:[0,1]
	s_delay_alu instid0(VALU_DEP_1) | instskip(SKIP_2) | instid1(VALU_DEP_3)
	v_pk_fma_f32 v[38:39], v[34:35], v[32:33], v[36:37] op_sel_hi:[1,0,1]
	v_add_nc_u32_e32 v31, 1, v31
	v_pk_fma_f32 v[32:33], v[34:35], v[32:33], v[36:37] neg_lo:[0,0,1] neg_hi:[0,0,1]
	v_mov_b32_e32 v33, v39
	s_delay_alu instid0(VALU_DEP_3) | instskip(NEXT) | instid1(VALU_DEP_2)
	v_cmp_lt_u32_e32 vcc_lo, 5, v31
	v_pk_add_f32 v[0:1], v[0:1], v[32:33]
	s_or_b32 s3, vcc_lo, s3
	s_delay_alu instid0(SALU_CYCLE_1)
	s_and_not1_b32 exec_lo, exec_lo, s3
	s_cbranch_execnz .LBB9_157
; %bb.158:
	s_or_b32 exec_lo, exec_lo, s3
.LBB9_159:
	s_delay_alu instid0(SALU_CYCLE_1) | instskip(SKIP_4) | instid1(VALU_DEP_1)
	s_or_b32 exec_lo, exec_lo, s2
	v_mov_b32_e32 v27, 0
	ds_load_b64 v[30:31], v27 offset:56
	s_wait_dscnt 0x0
	v_pk_mul_f32 v[32:33], v[0:1], v[30:31] op_sel:[1,1] op_sel_hi:[0,1]
	v_pk_fma_f32 v[34:35], v[0:1], v[30:31], v[32:33] op_sel_hi:[1,0,1]
	v_pk_fma_f32 v[0:1], v[0:1], v[30:31], v[32:33] neg_lo:[0,0,1] neg_hi:[0,0,1]
	s_delay_alu instid0(VALU_DEP_2)
	v_mov_b32_e32 v1, v35
	ds_store_b64 v29, v[0:1] offset:56
.LBB9_160:
	s_or_b32 exec_lo, exec_lo, s0
	ds_load_b64 v[0:1], v29 offset:64
	v_cmp_gt_u32_e64 s0, 8, v28
	s_wait_dscnt 0x0
	ds_store_b64 v24, v[0:1]
	s_wait_dscnt 0x0
	s_barrier_signal -1
	s_barrier_wait -1
	s_and_saveexec_b32 s2, s0
	s_cbranch_execz .LBB9_170
; %bb.161:
	v_cmp_ne_u32_e32 vcc_lo, 1, v26
	s_cbranch_vccnz .LBB9_163
; %bb.162:
	ds_load_b64 v[0:1], v25
	ds_load_b64 v[30:31], v24
	s_wait_dscnt 0x0
	v_pk_mul_f32 v[32:33], v[30:31], v[0:1] op_sel:[1,1] op_sel_hi:[0,1]
	s_delay_alu instid0(VALU_DEP_1) | instskip(SKIP_1) | instid1(VALU_DEP_2)
	v_pk_fma_f32 v[34:35], v[30:31], v[0:1], v[32:33] op_sel_hi:[1,0,1]
	v_pk_fma_f32 v[0:1], v[30:31], v[0:1], v[32:33] neg_lo:[0,0,1] neg_hi:[0,0,1]
	v_mov_b32_e32 v1, v35
	s_cbranch_execz .LBB9_164
	s_branch .LBB9_165
.LBB9_163:
                                        ; implicit-def: $vgpr0_vgpr1
.LBB9_164:
	ds_load_b64 v[0:1], v24
.LBB9_165:
	s_mov_b32 s3, exec_lo
	v_cmpx_ne_u32_e32 7, v28
	s_cbranch_execz .LBB9_169
; %bb.166:
	v_add_nc_u32_e32 v27, 0x58, v22
	v_add3_u32 v30, v23, v22, 0xa8
	v_mov_b32_e32 v31, v28
	s_mov_b32 s4, 0
.LBB9_167:                              ; =>This Inner Loop Header: Depth=1
	ds_load_b64 v[32:33], v30
	ds_load_b64 v[34:35], v27
	v_dual_add_nc_u32 v27, 8, v27 :: v_dual_add_nc_u32 v30, 8, v30
	s_wait_dscnt 0x0
	v_pk_mul_f32 v[36:37], v[34:35], v[32:33] op_sel:[1,1] op_sel_hi:[0,1]
	s_delay_alu instid0(VALU_DEP_1) | instskip(SKIP_2) | instid1(VALU_DEP_3)
	v_pk_fma_f32 v[38:39], v[34:35], v[32:33], v[36:37] op_sel_hi:[1,0,1]
	v_add_nc_u32_e32 v31, 1, v31
	v_pk_fma_f32 v[32:33], v[34:35], v[32:33], v[36:37] neg_lo:[0,0,1] neg_hi:[0,0,1]
	v_mov_b32_e32 v33, v39
	s_delay_alu instid0(VALU_DEP_3) | instskip(NEXT) | instid1(VALU_DEP_2)
	v_cmp_lt_u32_e32 vcc_lo, 6, v31
	v_pk_add_f32 v[0:1], v[0:1], v[32:33]
	s_or_b32 s4, vcc_lo, s4
	s_delay_alu instid0(SALU_CYCLE_1)
	s_and_not1_b32 exec_lo, exec_lo, s4
	s_cbranch_execnz .LBB9_167
; %bb.168:
	s_or_b32 exec_lo, exec_lo, s4
.LBB9_169:
	s_delay_alu instid0(SALU_CYCLE_1) | instskip(SKIP_4) | instid1(VALU_DEP_1)
	s_or_b32 exec_lo, exec_lo, s3
	v_mov_b32_e32 v27, 0
	ds_load_b64 v[30:31], v27 offset:64
	s_wait_dscnt 0x0
	v_pk_mul_f32 v[32:33], v[0:1], v[30:31] op_sel:[1,1] op_sel_hi:[0,1]
	v_pk_fma_f32 v[34:35], v[0:1], v[30:31], v[32:33] op_sel_hi:[1,0,1]
	v_pk_fma_f32 v[0:1], v[0:1], v[30:31], v[32:33] neg_lo:[0,0,1] neg_hi:[0,0,1]
	s_delay_alu instid0(VALU_DEP_2)
	v_mov_b32_e32 v1, v35
	ds_store_b64 v29, v[0:1] offset:64
.LBB9_170:
	s_or_b32 exec_lo, exec_lo, s2
	ds_load_b64 v[0:1], v29 offset:72
	s_mov_b32 s2, exec_lo
                                        ; implicit-def: $vgpr27
                                        ; implicit-def: $vgpr31
	s_wait_dscnt 0x0
	ds_store_b64 v24, v[0:1]
	s_wait_dscnt 0x0
	s_barrier_signal -1
	s_barrier_wait -1
	v_cmpx_ne_u32_e32 9, v28
	s_cbranch_execz .LBB9_180
; %bb.171:
	v_cmp_ne_u32_e32 vcc_lo, 1, v26
	s_cbranch_vccnz .LBB9_173
; %bb.172:
	ds_load_b64 v[26:27], v25
	ds_load_b64 v[30:31], v24
	s_wait_dscnt 0x0
	v_dual_mul_f32 v0, v31, v27 :: v_dual_mul_f32 v1, v30, v27
	s_delay_alu instid0(VALU_DEP_1)
	v_dual_fma_f32 v0, v30, v26, -v0 :: v_dual_fmac_f32 v1, v31, v26
	s_cbranch_execz .LBB9_174
	s_branch .LBB9_175
.LBB9_173:
                                        ; implicit-def: $vgpr1
.LBB9_174:
	ds_load_b64 v[0:1], v24
.LBB9_175:
	s_and_saveexec_b32 s3, s0
	s_cbranch_execz .LBB9_179
; %bb.176:
	v_add_nc_u32_e32 v24, 0x58, v22
	v_add3_u32 v22, v23, v22, 0xa8
	s_mov_b32 s0, 0
.LBB9_177:                              ; =>This Inner Loop Header: Depth=1
	ds_load_b64 v[26:27], v22
	ds_load_b64 v[30:31], v24
	s_wait_dscnt 0x0
	v_dual_mul_f32 v23, v31, v27 :: v_dual_add_nc_u32 v24, 8, v24
	v_dual_mul_f32 v25, v30, v27 :: v_dual_add_nc_u32 v28, 1, v28
	s_delay_alu instid0(VALU_DEP_1) | instskip(NEXT) | instid1(VALU_DEP_2)
	v_dual_fma_f32 v23, v30, v26, -v23 :: v_dual_fmac_f32 v25, v31, v26
	v_cmp_lt_u32_e32 vcc_lo, 7, v28
	s_delay_alu instid0(VALU_DEP_2) | instskip(NEXT) | instid1(VALU_DEP_3)
	v_dual_add_nc_u32 v22, 8, v22 :: v_dual_add_f32 v0, v0, v23
	v_add_f32_e32 v1, v1, v25
	s_or_b32 s0, vcc_lo, s0
	s_delay_alu instid0(SALU_CYCLE_1)
	s_and_not1_b32 exec_lo, exec_lo, s0
	s_cbranch_execnz .LBB9_177
; %bb.178:
	s_or_b32 exec_lo, exec_lo, s0
.LBB9_179:
	s_delay_alu instid0(SALU_CYCLE_1)
	s_or_b32 exec_lo, exec_lo, s3
	v_dual_mov_b32 v22, 0 :: v_dual_add_nc_u32 v31, 0x4c, v29
	s_or_b32 s1, s1, exec_lo
	ds_load_b64 v[22:23], v22 offset:72
	s_wait_dscnt 0x0
	v_dual_mul_f32 v24, v1, v23 :: v_dual_mul_f32 v27, v0, v23
	s_delay_alu instid0(VALU_DEP_1)
	v_dual_fma_f32 v0, v0, v22, -v24 :: v_dual_fmac_f32 v27, v1, v22
	ds_store_b32 v29, v0 offset:72
.LBB9_180:
	s_or_b32 exec_lo, exec_lo, s2
.LBB9_181:
	v_lshl_add_u64 v[22:23], v[6:7], 3, s[6:7]
	v_lshl_add_u64 v[8:9], v[8:9], 3, s[6:7]
	;; [unrolled: 1-line block ×8, first 2 shown]
	s_and_saveexec_b32 s0, s1
; %bb.182:
	ds_store_b32 v31, v27
; %bb.183:
	s_or_b32 exec_lo, exec_lo, s0
	ds_load_b128 v[18:21], v29
	ds_load_b128 v[24:27], v29 offset:16
	ds_load_b128 v[30:33], v29 offset:32
	;; [unrolled: 1-line block ×4, first 2 shown]
	s_wait_dscnt 0x4
	s_clause 0x1
	global_store_b64 v[2:3], v[18:19], off
	global_store_b64 v[4:5], v[20:21], off
	s_wait_dscnt 0x3
	s_clause 0x1
	global_store_b64 v[22:23], v[24:25], off
	global_store_b64 v[8:9], v[26:27], off
	s_wait_dscnt 0x2
	s_clause 0x1
	global_store_b64 v[10:11], v[30:31], off
	global_store_b64 v[12:13], v[32:33], off
	s_wait_dscnt 0x1
	s_clause 0x1
	global_store_b64 v[14:15], v[34:35], off
	global_store_b64 v[16:17], v[36:37], off
	s_wait_dscnt 0x0
	s_clause 0x1
	global_store_b64 v[0:1], v[38:39], off
	global_store_b64 v[6:7], v[40:41], off
.LBB9_184:
	s_endpgm
	.section	.rodata,"a",@progbits
	.p2align	6, 0x0
	.amdhsa_kernel _ZN9rocsolver6v33100L18trti2_kernel_smallILi10E19rocblas_complex_numIfEPS3_EEv13rocblas_fill_17rocblas_diagonal_T1_iil
		.amdhsa_group_segment_fixed_size 5280
		.amdhsa_private_segment_fixed_size 0
		.amdhsa_kernarg_size 32
		.amdhsa_user_sgpr_count 4
		.amdhsa_user_sgpr_dispatch_ptr 1
		.amdhsa_user_sgpr_queue_ptr 0
		.amdhsa_user_sgpr_kernarg_segment_ptr 1
		.amdhsa_user_sgpr_dispatch_id 0
		.amdhsa_user_sgpr_kernarg_preload_length 0
		.amdhsa_user_sgpr_kernarg_preload_offset 0
		.amdhsa_user_sgpr_private_segment_size 0
		.amdhsa_wavefront_size32 1
		.amdhsa_uses_dynamic_stack 0
		.amdhsa_enable_private_segment 0
		.amdhsa_system_sgpr_workgroup_id_x 1
		.amdhsa_system_sgpr_workgroup_id_y 0
		.amdhsa_system_sgpr_workgroup_id_z 0
		.amdhsa_system_sgpr_workgroup_info 0
		.amdhsa_system_vgpr_workitem_id 2
		.amdhsa_next_free_vgpr 48
		.amdhsa_next_free_sgpr 14
		.amdhsa_named_barrier_count 0
		.amdhsa_reserve_vcc 1
		.amdhsa_float_round_mode_32 0
		.amdhsa_float_round_mode_16_64 0
		.amdhsa_float_denorm_mode_32 3
		.amdhsa_float_denorm_mode_16_64 3
		.amdhsa_fp16_overflow 0
		.amdhsa_memory_ordered 1
		.amdhsa_forward_progress 1
		.amdhsa_inst_pref_size 55
		.amdhsa_round_robin_scheduling 0
		.amdhsa_exception_fp_ieee_invalid_op 0
		.amdhsa_exception_fp_denorm_src 0
		.amdhsa_exception_fp_ieee_div_zero 0
		.amdhsa_exception_fp_ieee_overflow 0
		.amdhsa_exception_fp_ieee_underflow 0
		.amdhsa_exception_fp_ieee_inexact 0
		.amdhsa_exception_int_div_zero 0
	.end_amdhsa_kernel
	.section	.text._ZN9rocsolver6v33100L18trti2_kernel_smallILi10E19rocblas_complex_numIfEPS3_EEv13rocblas_fill_17rocblas_diagonal_T1_iil,"axG",@progbits,_ZN9rocsolver6v33100L18trti2_kernel_smallILi10E19rocblas_complex_numIfEPS3_EEv13rocblas_fill_17rocblas_diagonal_T1_iil,comdat
.Lfunc_end9:
	.size	_ZN9rocsolver6v33100L18trti2_kernel_smallILi10E19rocblas_complex_numIfEPS3_EEv13rocblas_fill_17rocblas_diagonal_T1_iil, .Lfunc_end9-_ZN9rocsolver6v33100L18trti2_kernel_smallILi10E19rocblas_complex_numIfEPS3_EEv13rocblas_fill_17rocblas_diagonal_T1_iil
                                        ; -- End function
	.set _ZN9rocsolver6v33100L18trti2_kernel_smallILi10E19rocblas_complex_numIfEPS3_EEv13rocblas_fill_17rocblas_diagonal_T1_iil.num_vgpr, 48
	.set _ZN9rocsolver6v33100L18trti2_kernel_smallILi10E19rocblas_complex_numIfEPS3_EEv13rocblas_fill_17rocblas_diagonal_T1_iil.num_agpr, 0
	.set _ZN9rocsolver6v33100L18trti2_kernel_smallILi10E19rocblas_complex_numIfEPS3_EEv13rocblas_fill_17rocblas_diagonal_T1_iil.numbered_sgpr, 14
	.set _ZN9rocsolver6v33100L18trti2_kernel_smallILi10E19rocblas_complex_numIfEPS3_EEv13rocblas_fill_17rocblas_diagonal_T1_iil.num_named_barrier, 0
	.set _ZN9rocsolver6v33100L18trti2_kernel_smallILi10E19rocblas_complex_numIfEPS3_EEv13rocblas_fill_17rocblas_diagonal_T1_iil.private_seg_size, 0
	.set _ZN9rocsolver6v33100L18trti2_kernel_smallILi10E19rocblas_complex_numIfEPS3_EEv13rocblas_fill_17rocblas_diagonal_T1_iil.uses_vcc, 1
	.set _ZN9rocsolver6v33100L18trti2_kernel_smallILi10E19rocblas_complex_numIfEPS3_EEv13rocblas_fill_17rocblas_diagonal_T1_iil.uses_flat_scratch, 0
	.set _ZN9rocsolver6v33100L18trti2_kernel_smallILi10E19rocblas_complex_numIfEPS3_EEv13rocblas_fill_17rocblas_diagonal_T1_iil.has_dyn_sized_stack, 0
	.set _ZN9rocsolver6v33100L18trti2_kernel_smallILi10E19rocblas_complex_numIfEPS3_EEv13rocblas_fill_17rocblas_diagonal_T1_iil.has_recursion, 0
	.set _ZN9rocsolver6v33100L18trti2_kernel_smallILi10E19rocblas_complex_numIfEPS3_EEv13rocblas_fill_17rocblas_diagonal_T1_iil.has_indirect_call, 0
	.section	.AMDGPU.csdata,"",@progbits
; Kernel info:
; codeLenInByte = 6988
; TotalNumSgprs: 16
; NumVgprs: 48
; ScratchSize: 0
; MemoryBound: 0
; FloatMode: 240
; IeeeMode: 1
; LDSByteSize: 5280 bytes/workgroup (compile time only)
; SGPRBlocks: 0
; VGPRBlocks: 2
; NumSGPRsForWavesPerEU: 16
; NumVGPRsForWavesPerEU: 48
; NamedBarCnt: 0
; Occupancy: 16
; WaveLimiterHint : 0
; COMPUTE_PGM_RSRC2:SCRATCH_EN: 0
; COMPUTE_PGM_RSRC2:USER_SGPR: 4
; COMPUTE_PGM_RSRC2:TRAP_HANDLER: 0
; COMPUTE_PGM_RSRC2:TGID_X_EN: 1
; COMPUTE_PGM_RSRC2:TGID_Y_EN: 0
; COMPUTE_PGM_RSRC2:TGID_Z_EN: 0
; COMPUTE_PGM_RSRC2:TIDIG_COMP_CNT: 2
	.section	.text._ZN9rocsolver6v33100L18trti2_kernel_smallILi11E19rocblas_complex_numIfEPS3_EEv13rocblas_fill_17rocblas_diagonal_T1_iil,"axG",@progbits,_ZN9rocsolver6v33100L18trti2_kernel_smallILi11E19rocblas_complex_numIfEPS3_EEv13rocblas_fill_17rocblas_diagonal_T1_iil,comdat
	.globl	_ZN9rocsolver6v33100L18trti2_kernel_smallILi11E19rocblas_complex_numIfEPS3_EEv13rocblas_fill_17rocblas_diagonal_T1_iil ; -- Begin function _ZN9rocsolver6v33100L18trti2_kernel_smallILi11E19rocblas_complex_numIfEPS3_EEv13rocblas_fill_17rocblas_diagonal_T1_iil
	.p2align	8
	.type	_ZN9rocsolver6v33100L18trti2_kernel_smallILi11E19rocblas_complex_numIfEPS3_EEv13rocblas_fill_17rocblas_diagonal_T1_iil,@function
_ZN9rocsolver6v33100L18trti2_kernel_smallILi11E19rocblas_complex_numIfEPS3_EEv13rocblas_fill_17rocblas_diagonal_T1_iil: ; @_ZN9rocsolver6v33100L18trti2_kernel_smallILi11E19rocblas_complex_numIfEPS3_EEv13rocblas_fill_17rocblas_diagonal_T1_iil
; %bb.0:
	v_and_b32_e32 v30, 0x3ff, v0
	s_mov_b32 s4, exec_lo
	s_delay_alu instid0(VALU_DEP_1)
	v_cmpx_gt_u32_e32 11, v30
	s_cbranch_execz .LBB10_204
; %bb.1:
	s_load_b256 s[4:11], s[2:3], 0x0
	s_load_b64 s[12:13], s[0:1], 0x4
	s_wait_xcnt 0x0
	s_bfe_u32 s0, ttmp6, 0x4000c
	s_and_b32 s1, ttmp6, 15
	s_add_co_i32 s0, s0, 1
	s_getreg_b32 s2, hwreg(HW_REG_IB_STS2, 6, 4)
	s_mul_i32 s0, ttmp9, s0
	v_bfe_u32 v1, v0, 10, 10
	s_add_co_i32 s0, s1, s0
	v_bfe_u32 v0, v0, 20, 10
	v_dual_mov_b32 v25, 0 :: v_dual_lshlrev_b32 v24, 3, v30
	s_wait_kmcnt 0x0
	v_add3_u32 v6, s9, s9, v30
	s_lshr_b32 s12, s12, 16
	s_ashr_i32 s1, s8, 31
	s_cmp_eq_u32 s2, 0
	s_mul_i32 s12, s12, s13
	v_add_nc_u32_e32 v8, s9, v6
	s_cselect_b32 s2, ttmp9, s0
	s_mov_b32 s0, s8
	s_ashr_i32 s3, s2, 31
	s_lshl_b64 s[0:1], s[0:1], 3
	v_add_nc_u32_e32 v10, s9, v8
	s_mul_u64 s[2:3], s[10:11], s[2:3]
	v_mul_u32_u24_e32 v1, s13, v1
	s_lshl_b64 s[2:3], s[2:3], 3
	v_mul_u32_u24_e32 v7, s12, v30
	v_add_nc_u32_e32 v12, s9, v10
	s_add_nc_u64 s[2:3], s[6:7], s[2:3]
	s_delay_alu instid0(SALU_CYCLE_1) | instskip(SKIP_1) | instid1(VALU_DEP_1)
	s_add_nc_u64 s[2:3], s[2:3], s[0:1]
	s_mov_b32 s0, s9
	v_add_nc_u32_e32 v14, s9, v12
	v_add_nc_u64_e32 v[2:3], s[2:3], v[24:25]
	s_ashr_i32 s1, s9, 31
	v_add3_u32 v32, v7, v1, v0
	s_cmp_lg_u32 s5, 0x84
	v_add_nc_u32_e32 v16, s9, v14
	s_cselect_b32 s5, -1, 0
	s_delay_alu instid0(VALU_DEP_3)
	v_lshl_add_u64 v[4:5], s[0:1], 3, v[2:3]
	s_clause 0x3
	global_load_b64 v[26:27], v30, s[2:3] scale_offset
	global_load_b64 v[28:29], v[4:5], off
	global_load_b64 v[34:35], v6, s[2:3] scale_offset
	global_load_b64 v[36:37], v8, s[2:3] scale_offset
	v_add_nc_u32_e32 v18, s9, v16
	v_mul_lo_u32 v31, 0x58, v32
	s_mov_b32 s0, -1
	s_and_b32 vcc_lo, exec_lo, s5
	s_delay_alu instid0(VALU_DEP_2) | instskip(NEXT) | instid1(VALU_DEP_1)
	v_add_nc_u32_e32 v20, s9, v18
	v_add_nc_u32_e32 v22, s9, v20
	s_clause 0x6
	global_load_b64 v[38:39], v10, s[2:3] scale_offset
	global_load_b64 v[40:41], v12, s[2:3] scale_offset
	;; [unrolled: 1-line block ×7, first 2 shown]
	v_add_nc_u32_e32 v25, 0xc0, v31
	s_wait_loadcnt 0x9
	ds_store_b128 v31, v[26:29] offset:192
	s_wait_loadcnt 0x7
	ds_store_b128 v31, v[34:37] offset:208
	;; [unrolled: 2-line block ×5, first 2 shown]
	s_wait_loadcnt 0x0
	ds_store_b64 v31, v[50:51] offset:272
	s_cbranch_vccz .LBB10_7
; %bb.2:
	v_lshl_add_u32 v7, v30, 3, v25
                                        ; implicit-def: $vgpr29
                                        ; implicit-def: $vgpr26
	ds_load_b64 v[0:1], v7
	s_wait_dscnt 0x0
	v_cmp_ngt_f32_e64 s0, |v0|, |v1|
	s_and_saveexec_b32 s1, s0
	s_delay_alu instid0(SALU_CYCLE_1)
	s_xor_b32 s0, exec_lo, s1
	s_cbranch_execz .LBB10_4
; %bb.3:
	v_div_scale_f32 v9, null, v1, v1, v0
	v_div_scale_f32 v15, vcc_lo, v0, v1, v0
	s_delay_alu instid0(VALU_DEP_2) | instskip(SKIP_1) | instid1(TRANS32_DEP_1)
	v_rcp_f32_e32 v11, v9
	v_nop
	v_fma_f32 v13, -v9, v11, 1.0
	s_delay_alu instid0(VALU_DEP_1) | instskip(NEXT) | instid1(VALU_DEP_1)
	v_fmac_f32_e32 v11, v13, v11
	v_mul_f32_e32 v13, v15, v11
	s_delay_alu instid0(VALU_DEP_1) | instskip(NEXT) | instid1(VALU_DEP_1)
	v_fma_f32 v17, -v9, v13, v15
	v_fmac_f32_e32 v13, v17, v11
	s_delay_alu instid0(VALU_DEP_1) | instskip(NEXT) | instid1(VALU_DEP_1)
	v_fma_f32 v9, -v9, v13, v15
	v_div_fmas_f32 v9, v9, v11, v13
	s_delay_alu instid0(VALU_DEP_1) | instskip(NEXT) | instid1(VALU_DEP_1)
	v_div_fixup_f32 v9, v9, v1, v0
	v_fmac_f32_e32 v1, v0, v9
	s_delay_alu instid0(VALU_DEP_1) | instskip(NEXT) | instid1(VALU_DEP_1)
	v_div_scale_f32 v0, null, v1, v1, -1.0
	v_rcp_f32_e32 v11, v0
	v_nop
	s_delay_alu instid0(TRANS32_DEP_1) | instskip(NEXT) | instid1(VALU_DEP_1)
	v_fma_f32 v13, -v0, v11, 1.0
	v_fmac_f32_e32 v11, v13, v11
	v_div_scale_f32 v13, vcc_lo, -1.0, v1, -1.0
	s_delay_alu instid0(VALU_DEP_1) | instskip(NEXT) | instid1(VALU_DEP_1)
	v_mul_f32_e32 v15, v13, v11
	v_fma_f32 v17, -v0, v15, v13
	s_delay_alu instid0(VALU_DEP_1) | instskip(NEXT) | instid1(VALU_DEP_1)
	v_fmac_f32_e32 v15, v17, v11
	v_fma_f32 v0, -v0, v15, v13
	s_delay_alu instid0(VALU_DEP_1) | instskip(NEXT) | instid1(VALU_DEP_1)
	v_div_fmas_f32 v0, v0, v11, v15
	v_div_fixup_f32 v29, v0, v1, -1.0
                                        ; implicit-def: $vgpr0_vgpr1
	s_delay_alu instid0(VALU_DEP_1) | instskip(NEXT) | instid1(VALU_DEP_1)
	v_mul_f32_e32 v26, v9, v29
	v_xor_b32_e32 v28, 0x80000000, v26
.LBB10_4:
	s_and_not1_saveexec_b32 s0, s0
	s_cbranch_execz .LBB10_6
; %bb.5:
	v_div_scale_f32 v9, null, v0, v0, v1
	v_div_scale_f32 v15, vcc_lo, v1, v0, v1
	s_delay_alu instid0(VALU_DEP_2) | instskip(SKIP_1) | instid1(TRANS32_DEP_1)
	v_rcp_f32_e32 v11, v9
	v_nop
	v_fma_f32 v13, -v9, v11, 1.0
	s_delay_alu instid0(VALU_DEP_1) | instskip(NEXT) | instid1(VALU_DEP_1)
	v_fmac_f32_e32 v11, v13, v11
	v_mul_f32_e32 v13, v15, v11
	s_delay_alu instid0(VALU_DEP_1) | instskip(NEXT) | instid1(VALU_DEP_1)
	v_fma_f32 v17, -v9, v13, v15
	v_fmac_f32_e32 v13, v17, v11
	s_delay_alu instid0(VALU_DEP_1) | instskip(NEXT) | instid1(VALU_DEP_1)
	v_fma_f32 v9, -v9, v13, v15
	v_div_fmas_f32 v9, v9, v11, v13
	s_delay_alu instid0(VALU_DEP_1) | instskip(NEXT) | instid1(VALU_DEP_1)
	v_div_fixup_f32 v9, v9, v0, v1
	v_fmac_f32_e32 v0, v1, v9
	s_delay_alu instid0(VALU_DEP_1) | instskip(SKIP_1) | instid1(VALU_DEP_2)
	v_div_scale_f32 v1, null, v0, v0, 1.0
	v_div_scale_f32 v15, vcc_lo, 1.0, v0, 1.0
	v_rcp_f32_e32 v11, v1
	v_nop
	s_delay_alu instid0(TRANS32_DEP_1) | instskip(NEXT) | instid1(VALU_DEP_1)
	v_fma_f32 v13, -v1, v11, 1.0
	v_fmac_f32_e32 v11, v13, v11
	s_delay_alu instid0(VALU_DEP_1) | instskip(NEXT) | instid1(VALU_DEP_1)
	v_mul_f32_e32 v13, v15, v11
	v_fma_f32 v17, -v1, v13, v15
	s_delay_alu instid0(VALU_DEP_1) | instskip(NEXT) | instid1(VALU_DEP_1)
	v_fmac_f32_e32 v13, v17, v11
	v_fma_f32 v1, -v1, v13, v15
	s_delay_alu instid0(VALU_DEP_1) | instskip(NEXT) | instid1(VALU_DEP_1)
	v_div_fmas_f32 v1, v1, v11, v13
	v_div_fixup_f32 v28, v1, v0, 1.0
	s_delay_alu instid0(VALU_DEP_1)
	v_xor_b32_e32 v26, 0x80000000, v28
	v_mul_f32_e64 v29, v9, -v28
.LBB10_6:
	s_or_b32 exec_lo, exec_lo, s0
	s_delay_alu instid0(VALU_DEP_1)
	v_xor_b32_e32 v27, 0x80000000, v29
	s_mov_b32 s0, 0
	ds_store_b64 v7, v[28:29]
	ds_store_b64 v24, v[26:27]
.LBB10_7:
	s_and_b32 vcc_lo, exec_lo, s0
	s_cbranch_vccz .LBB10_9
; %bb.8:
	s_mov_b64 s[0:1], 0xbf800000
	s_delay_alu instid0(SALU_CYCLE_1)
	v_mov_b64_e32 v[0:1], s[0:1]
	ds_store_b64 v24, v[0:1]
.LBB10_9:
	v_dual_ashrrev_i32 v7, 31, v6 :: v_dual_ashrrev_i32 v9, 31, v8
	v_dual_ashrrev_i32 v11, 31, v10 :: v_dual_ashrrev_i32 v13, 31, v12
	;; [unrolled: 1-line block ×4, first 2 shown]
	v_dual_ashrrev_i32 v23, 31, v22 :: v_dual_add_nc_u32 v27, v25, v24
	v_add_nc_u32_e32 v26, 0x60, v24
	s_cmp_eq_u32 s4, 0x79
	s_cbranch_scc1 .LBB10_13
; %bb.10:
	ds_load_b64 v[0:1], v25 offset:72
	v_cmp_eq_u32_e64 s0, 10, v30
	s_wait_dscnt 0x0
	ds_store_b64 v26, v[0:1]
	s_wait_dscnt 0x0
	s_barrier_signal -1
	s_barrier_wait -1
	s_and_saveexec_b32 s1, s0
	s_cbranch_execz .LBB10_17
; %bb.11:
	s_and_b32 vcc_lo, exec_lo, s5
	s_cbranch_vccz .LBB10_14
; %bb.12:
	ds_load_b64 v[0:1], v27
	ds_load_b64 v[28:29], v26
	s_wait_dscnt 0x0
	v_pk_mul_f32 v[34:35], v[28:29], v[0:1] op_sel:[1,1] op_sel_hi:[0,1]
	v_pk_mul_f32 v[36:37], v[28:29], v[0:1] op_sel_hi:[1,0]
	s_delay_alu instid0(VALU_DEP_2) | instskip(NEXT) | instid1(VALU_DEP_2)
	v_pk_fma_f32 v[0:1], v[28:29], v[0:1], v[34:35] op_sel_hi:[1,0,1]
	v_sub_f32_e32 v0, v36, v34
	s_cbranch_execz .LBB10_15
	s_branch .LBB10_16
.LBB10_13:
	s_mov_b32 s1, 0
                                        ; implicit-def: $vgpr29
                                        ; implicit-def: $vgpr33
	s_cbranch_execnz .LBB10_106
	s_branch .LBB10_201
.LBB10_14:
                                        ; implicit-def: $vgpr1
.LBB10_15:
	ds_load_b64 v[0:1], v26
.LBB10_16:
	s_wait_dscnt 0x0
	v_dual_mov_b32 v28, 0 :: v_dual_mov_b32 v34, v1
	v_mov_b32_e32 v35, v0
	ds_load_b64 v[28:29], v28 offset:72
	s_wait_dscnt 0x0
	v_pk_mul_f32 v[34:35], v[34:35], v[28:29] op_sel:[0,1]
	s_delay_alu instid0(VALU_DEP_1) | instskip(SKIP_1) | instid1(VALU_DEP_2)
	v_pk_fma_f32 v[36:37], v[0:1], v[28:29], v[34:35] op_sel_hi:[1,0,1]
	v_pk_fma_f32 v[0:1], v[0:1], v[28:29], v[34:35] neg_lo:[0,0,1] neg_hi:[0,0,1]
	v_mov_b32_e32 v1, v37
	ds_store_b64 v25, v[0:1] offset:72
.LBB10_17:
	s_or_b32 exec_lo, exec_lo, s1
	ds_load_b64 v[0:1], v25 offset:64
	v_cmp_lt_u32_e64 s1, 8, v30
	s_wait_dscnt 0x0
	ds_store_b64 v26, v[0:1]
	s_wait_dscnt 0x0
	s_barrier_signal -1
	s_barrier_wait -1
	s_and_saveexec_b32 s4, s1
	s_cbranch_execz .LBB10_25
; %bb.18:
	s_and_not1_b32 vcc_lo, exec_lo, s5
	s_cbranch_vccnz .LBB10_20
; %bb.19:
	ds_load_b64 v[0:1], v27
	ds_load_b64 v[28:29], v26
	s_wait_dscnt 0x0
	v_pk_mul_f32 v[34:35], v[28:29], v[0:1] op_sel:[1,1] op_sel_hi:[0,1]
	s_delay_alu instid0(VALU_DEP_1) | instskip(SKIP_1) | instid1(VALU_DEP_2)
	v_pk_fma_f32 v[36:37], v[28:29], v[0:1], v[34:35] op_sel_hi:[1,0,1]
	v_pk_fma_f32 v[0:1], v[28:29], v[0:1], v[34:35] neg_lo:[0,0,1] neg_hi:[0,0,1]
	v_mov_b32_e32 v1, v37
	s_cbranch_execz .LBB10_21
	s_branch .LBB10_22
.LBB10_20:
                                        ; implicit-def: $vgpr0_vgpr1
.LBB10_21:
	ds_load_b64 v[0:1], v26
.LBB10_22:
	s_and_saveexec_b32 s6, s0
	s_cbranch_execz .LBB10_24
; %bb.23:
	v_mov_b32_e32 v33, 0
	ds_load_b64 v[28:29], v25 offset:72
	ds_load_b64 v[34:35], v33 offset:168
	s_wait_dscnt 0x0
	v_pk_mul_f32 v[36:37], v[34:35], v[28:29] op_sel:[1,1] op_sel_hi:[0,1]
	s_delay_alu instid0(VALU_DEP_1) | instskip(SKIP_1) | instid1(VALU_DEP_2)
	v_pk_fma_f32 v[38:39], v[34:35], v[28:29], v[36:37] op_sel_hi:[1,0,1]
	v_pk_fma_f32 v[28:29], v[34:35], v[28:29], v[36:37] neg_lo:[0,0,1] neg_hi:[0,0,1]
	v_mov_b32_e32 v29, v39
	s_delay_alu instid0(VALU_DEP_1)
	v_pk_add_f32 v[0:1], v[0:1], v[28:29]
.LBB10_24:
	s_or_b32 exec_lo, exec_lo, s6
	v_mov_b32_e32 v28, 0
	ds_load_b64 v[28:29], v28 offset:64
	s_wait_dscnt 0x0
	v_pk_mul_f32 v[34:35], v[0:1], v[28:29] op_sel:[1,1] op_sel_hi:[0,1]
	s_delay_alu instid0(VALU_DEP_1) | instskip(SKIP_1) | instid1(VALU_DEP_2)
	v_pk_fma_f32 v[36:37], v[0:1], v[28:29], v[34:35] op_sel_hi:[1,0,1]
	v_pk_fma_f32 v[0:1], v[0:1], v[28:29], v[34:35] neg_lo:[0,0,1] neg_hi:[0,0,1]
	v_mov_b32_e32 v1, v37
	ds_store_b64 v25, v[0:1] offset:64
.LBB10_25:
	s_or_b32 exec_lo, exec_lo, s4
	ds_load_b64 v[0:1], v25 offset:56
	v_cmp_lt_u32_e64 s0, 7, v30
	s_wait_dscnt 0x0
	ds_store_b64 v26, v[0:1]
	s_wait_dscnt 0x0
	s_barrier_signal -1
	s_barrier_wait -1
	s_and_saveexec_b32 s4, s0
	s_cbranch_execz .LBB10_35
; %bb.26:
	s_and_not1_b32 vcc_lo, exec_lo, s5
	s_cbranch_vccnz .LBB10_28
; %bb.27:
	ds_load_b64 v[0:1], v27
	ds_load_b64 v[28:29], v26
	s_wait_dscnt 0x0
	v_pk_mul_f32 v[34:35], v[28:29], v[0:1] op_sel:[1,1] op_sel_hi:[0,1]
	s_delay_alu instid0(VALU_DEP_1) | instskip(SKIP_1) | instid1(VALU_DEP_2)
	v_pk_fma_f32 v[36:37], v[28:29], v[0:1], v[34:35] op_sel_hi:[1,0,1]
	v_pk_fma_f32 v[0:1], v[28:29], v[0:1], v[34:35] neg_lo:[0,0,1] neg_hi:[0,0,1]
	v_mov_b32_e32 v1, v37
	s_cbranch_execz .LBB10_29
	s_branch .LBB10_30
.LBB10_28:
                                        ; implicit-def: $vgpr0_vgpr1
.LBB10_29:
	ds_load_b64 v[0:1], v26
.LBB10_30:
	s_and_saveexec_b32 s6, s1
	s_cbranch_execz .LBB10_34
; %bb.31:
	s_movk_i32 s1, 0x58
	v_add_nc_u32_e32 v29, -8, v30
	v_mad_u32 v28, v32, s1, 0x100
	s_movk_i32 s7, 0xa0
	s_mov_b32 s1, 0
.LBB10_32:                              ; =>This Inner Loop Header: Depth=1
	s_delay_alu instid0(VALU_DEP_2)
	v_dual_mov_b32 v33, s7 :: v_dual_add_nc_u32 v29, -1, v29
	s_add_co_i32 s7, s7, 8
	ds_load_b64 v[34:35], v28
	ds_load_b64 v[36:37], v33
	v_add_nc_u32_e32 v28, 8, v28
	v_cmp_eq_u32_e32 vcc_lo, 0, v29
	s_or_b32 s1, vcc_lo, s1
	s_wait_dscnt 0x0
	v_pk_mul_f32 v[38:39], v[36:37], v[34:35] op_sel:[1,1] op_sel_hi:[0,1]
	s_delay_alu instid0(VALU_DEP_1) | instskip(SKIP_1) | instid1(VALU_DEP_2)
	v_pk_fma_f32 v[40:41], v[36:37], v[34:35], v[38:39] op_sel_hi:[1,0,1]
	v_pk_fma_f32 v[34:35], v[36:37], v[34:35], v[38:39] neg_lo:[0,0,1] neg_hi:[0,0,1]
	v_mov_b32_e32 v35, v41
	s_delay_alu instid0(VALU_DEP_1)
	v_pk_add_f32 v[0:1], v[0:1], v[34:35]
	s_and_not1_b32 exec_lo, exec_lo, s1
	s_cbranch_execnz .LBB10_32
; %bb.33:
	s_or_b32 exec_lo, exec_lo, s1
.LBB10_34:
	s_delay_alu instid0(SALU_CYCLE_1) | instskip(SKIP_4) | instid1(VALU_DEP_1)
	s_or_b32 exec_lo, exec_lo, s6
	v_mov_b32_e32 v28, 0
	ds_load_b64 v[28:29], v28 offset:56
	s_wait_dscnt 0x0
	v_pk_mul_f32 v[34:35], v[0:1], v[28:29] op_sel:[1,1] op_sel_hi:[0,1]
	v_pk_fma_f32 v[36:37], v[0:1], v[28:29], v[34:35] op_sel_hi:[1,0,1]
	v_pk_fma_f32 v[0:1], v[0:1], v[28:29], v[34:35] neg_lo:[0,0,1] neg_hi:[0,0,1]
	s_delay_alu instid0(VALU_DEP_2)
	v_mov_b32_e32 v1, v37
	ds_store_b64 v25, v[0:1] offset:56
.LBB10_35:
	s_or_b32 exec_lo, exec_lo, s4
	ds_load_b64 v[0:1], v25 offset:48
	v_cmp_lt_u32_e64 s1, 6, v30
	s_wait_dscnt 0x0
	ds_store_b64 v26, v[0:1]
	s_wait_dscnt 0x0
	s_barrier_signal -1
	s_barrier_wait -1
	s_and_saveexec_b32 s4, s1
	s_cbranch_execz .LBB10_45
; %bb.36:
	s_and_not1_b32 vcc_lo, exec_lo, s5
	s_cbranch_vccnz .LBB10_38
; %bb.37:
	ds_load_b64 v[0:1], v27
	ds_load_b64 v[28:29], v26
	s_wait_dscnt 0x0
	v_pk_mul_f32 v[34:35], v[28:29], v[0:1] op_sel:[1,1] op_sel_hi:[0,1]
	s_delay_alu instid0(VALU_DEP_1) | instskip(SKIP_1) | instid1(VALU_DEP_2)
	v_pk_fma_f32 v[36:37], v[28:29], v[0:1], v[34:35] op_sel_hi:[1,0,1]
	v_pk_fma_f32 v[0:1], v[28:29], v[0:1], v[34:35] neg_lo:[0,0,1] neg_hi:[0,0,1]
	v_mov_b32_e32 v1, v37
	s_cbranch_execz .LBB10_39
	s_branch .LBB10_40
.LBB10_38:
                                        ; implicit-def: $vgpr0_vgpr1
.LBB10_39:
	ds_load_b64 v[0:1], v26
.LBB10_40:
	s_and_saveexec_b32 s6, s0
	s_cbranch_execz .LBB10_44
; %bb.41:
	s_movk_i32 s0, 0x58
	v_add_nc_u32_e32 v29, -7, v30
	v_mad_u32 v28, v32, s0, 0xf8
	s_movk_i32 s7, 0x98
	s_mov_b32 s0, 0
.LBB10_42:                              ; =>This Inner Loop Header: Depth=1
	s_delay_alu instid0(VALU_DEP_2)
	v_dual_mov_b32 v33, s7 :: v_dual_add_nc_u32 v29, -1, v29
	s_add_co_i32 s7, s7, 8
	ds_load_b64 v[34:35], v28
	ds_load_b64 v[36:37], v33
	v_add_nc_u32_e32 v28, 8, v28
	v_cmp_eq_u32_e32 vcc_lo, 0, v29
	s_or_b32 s0, vcc_lo, s0
	s_wait_dscnt 0x0
	v_pk_mul_f32 v[38:39], v[36:37], v[34:35] op_sel:[1,1] op_sel_hi:[0,1]
	s_delay_alu instid0(VALU_DEP_1) | instskip(SKIP_1) | instid1(VALU_DEP_2)
	v_pk_fma_f32 v[40:41], v[36:37], v[34:35], v[38:39] op_sel_hi:[1,0,1]
	v_pk_fma_f32 v[34:35], v[36:37], v[34:35], v[38:39] neg_lo:[0,0,1] neg_hi:[0,0,1]
	v_mov_b32_e32 v35, v41
	s_delay_alu instid0(VALU_DEP_1)
	v_pk_add_f32 v[0:1], v[0:1], v[34:35]
	s_and_not1_b32 exec_lo, exec_lo, s0
	s_cbranch_execnz .LBB10_42
; %bb.43:
	s_or_b32 exec_lo, exec_lo, s0
.LBB10_44:
	s_delay_alu instid0(SALU_CYCLE_1) | instskip(SKIP_4) | instid1(VALU_DEP_1)
	s_or_b32 exec_lo, exec_lo, s6
	v_mov_b32_e32 v28, 0
	ds_load_b64 v[28:29], v28 offset:48
	s_wait_dscnt 0x0
	v_pk_mul_f32 v[34:35], v[0:1], v[28:29] op_sel:[1,1] op_sel_hi:[0,1]
	v_pk_fma_f32 v[36:37], v[0:1], v[28:29], v[34:35] op_sel_hi:[1,0,1]
	v_pk_fma_f32 v[0:1], v[0:1], v[28:29], v[34:35] neg_lo:[0,0,1] neg_hi:[0,0,1]
	s_delay_alu instid0(VALU_DEP_2)
	v_mov_b32_e32 v1, v37
	ds_store_b64 v25, v[0:1] offset:48
.LBB10_45:
	s_or_b32 exec_lo, exec_lo, s4
	ds_load_b64 v[0:1], v25 offset:40
	v_cmp_lt_u32_e64 s0, 5, v30
	s_wait_dscnt 0x0
	ds_store_b64 v26, v[0:1]
	s_wait_dscnt 0x0
	s_barrier_signal -1
	s_barrier_wait -1
	s_and_saveexec_b32 s4, s0
	s_cbranch_execz .LBB10_55
; %bb.46:
	s_and_not1_b32 vcc_lo, exec_lo, s5
	s_cbranch_vccnz .LBB10_48
; %bb.47:
	ds_load_b64 v[0:1], v27
	ds_load_b64 v[28:29], v26
	s_wait_dscnt 0x0
	v_pk_mul_f32 v[34:35], v[28:29], v[0:1] op_sel:[1,1] op_sel_hi:[0,1]
	s_delay_alu instid0(VALU_DEP_1) | instskip(SKIP_1) | instid1(VALU_DEP_2)
	v_pk_fma_f32 v[36:37], v[28:29], v[0:1], v[34:35] op_sel_hi:[1,0,1]
	v_pk_fma_f32 v[0:1], v[28:29], v[0:1], v[34:35] neg_lo:[0,0,1] neg_hi:[0,0,1]
	v_mov_b32_e32 v1, v37
	s_cbranch_execz .LBB10_49
	s_branch .LBB10_50
.LBB10_48:
                                        ; implicit-def: $vgpr0_vgpr1
.LBB10_49:
	ds_load_b64 v[0:1], v26
.LBB10_50:
	s_and_saveexec_b32 s6, s1
	s_cbranch_execz .LBB10_54
; %bb.51:
	s_movk_i32 s1, 0x58
	v_add_nc_u32_e32 v29, -6, v30
	v_mad_u32 v28, v32, s1, 0xf0
	s_movk_i32 s7, 0x90
	s_mov_b32 s1, 0
.LBB10_52:                              ; =>This Inner Loop Header: Depth=1
	s_delay_alu instid0(VALU_DEP_2)
	v_dual_mov_b32 v33, s7 :: v_dual_add_nc_u32 v29, -1, v29
	s_add_co_i32 s7, s7, 8
	ds_load_b64 v[34:35], v28
	ds_load_b64 v[36:37], v33
	v_add_nc_u32_e32 v28, 8, v28
	v_cmp_eq_u32_e32 vcc_lo, 0, v29
	s_or_b32 s1, vcc_lo, s1
	s_wait_dscnt 0x0
	v_pk_mul_f32 v[38:39], v[36:37], v[34:35] op_sel:[1,1] op_sel_hi:[0,1]
	s_delay_alu instid0(VALU_DEP_1) | instskip(SKIP_1) | instid1(VALU_DEP_2)
	v_pk_fma_f32 v[40:41], v[36:37], v[34:35], v[38:39] op_sel_hi:[1,0,1]
	v_pk_fma_f32 v[34:35], v[36:37], v[34:35], v[38:39] neg_lo:[0,0,1] neg_hi:[0,0,1]
	v_mov_b32_e32 v35, v41
	s_delay_alu instid0(VALU_DEP_1)
	v_pk_add_f32 v[0:1], v[0:1], v[34:35]
	s_and_not1_b32 exec_lo, exec_lo, s1
	s_cbranch_execnz .LBB10_52
; %bb.53:
	s_or_b32 exec_lo, exec_lo, s1
.LBB10_54:
	s_delay_alu instid0(SALU_CYCLE_1) | instskip(SKIP_4) | instid1(VALU_DEP_1)
	s_or_b32 exec_lo, exec_lo, s6
	v_mov_b32_e32 v28, 0
	ds_load_b64 v[28:29], v28 offset:40
	s_wait_dscnt 0x0
	v_pk_mul_f32 v[34:35], v[0:1], v[28:29] op_sel:[1,1] op_sel_hi:[0,1]
	v_pk_fma_f32 v[36:37], v[0:1], v[28:29], v[34:35] op_sel_hi:[1,0,1]
	v_pk_fma_f32 v[0:1], v[0:1], v[28:29], v[34:35] neg_lo:[0,0,1] neg_hi:[0,0,1]
	s_delay_alu instid0(VALU_DEP_2)
	v_mov_b32_e32 v1, v37
	ds_store_b64 v25, v[0:1] offset:40
.LBB10_55:
	s_or_b32 exec_lo, exec_lo, s4
	ds_load_b64 v[0:1], v25 offset:32
	v_cmp_lt_u32_e64 s1, 4, v30
	s_wait_dscnt 0x0
	ds_store_b64 v26, v[0:1]
	s_wait_dscnt 0x0
	s_barrier_signal -1
	s_barrier_wait -1
	s_and_saveexec_b32 s4, s1
	s_cbranch_execz .LBB10_65
; %bb.56:
	s_and_not1_b32 vcc_lo, exec_lo, s5
	s_cbranch_vccnz .LBB10_58
; %bb.57:
	ds_load_b64 v[0:1], v27
	ds_load_b64 v[28:29], v26
	s_wait_dscnt 0x0
	v_pk_mul_f32 v[34:35], v[28:29], v[0:1] op_sel:[1,1] op_sel_hi:[0,1]
	s_delay_alu instid0(VALU_DEP_1) | instskip(SKIP_1) | instid1(VALU_DEP_2)
	v_pk_fma_f32 v[36:37], v[28:29], v[0:1], v[34:35] op_sel_hi:[1,0,1]
	v_pk_fma_f32 v[0:1], v[28:29], v[0:1], v[34:35] neg_lo:[0,0,1] neg_hi:[0,0,1]
	v_mov_b32_e32 v1, v37
	s_cbranch_execz .LBB10_59
	s_branch .LBB10_60
.LBB10_58:
                                        ; implicit-def: $vgpr0_vgpr1
.LBB10_59:
	ds_load_b64 v[0:1], v26
.LBB10_60:
	s_and_saveexec_b32 s6, s0
	s_cbranch_execz .LBB10_64
; %bb.61:
	s_movk_i32 s0, 0x58
	v_add_nc_u32_e32 v29, -5, v30
	v_mad_u32 v28, v32, s0, 0xe8
	s_movk_i32 s7, 0x88
	s_mov_b32 s0, 0
.LBB10_62:                              ; =>This Inner Loop Header: Depth=1
	s_delay_alu instid0(VALU_DEP_2)
	v_dual_mov_b32 v33, s7 :: v_dual_add_nc_u32 v29, -1, v29
	s_add_co_i32 s7, s7, 8
	ds_load_b64 v[34:35], v28
	ds_load_b64 v[36:37], v33
	v_add_nc_u32_e32 v28, 8, v28
	v_cmp_eq_u32_e32 vcc_lo, 0, v29
	s_or_b32 s0, vcc_lo, s0
	s_wait_dscnt 0x0
	v_pk_mul_f32 v[38:39], v[36:37], v[34:35] op_sel:[1,1] op_sel_hi:[0,1]
	s_delay_alu instid0(VALU_DEP_1) | instskip(SKIP_1) | instid1(VALU_DEP_2)
	v_pk_fma_f32 v[40:41], v[36:37], v[34:35], v[38:39] op_sel_hi:[1,0,1]
	v_pk_fma_f32 v[34:35], v[36:37], v[34:35], v[38:39] neg_lo:[0,0,1] neg_hi:[0,0,1]
	v_mov_b32_e32 v35, v41
	s_delay_alu instid0(VALU_DEP_1)
	v_pk_add_f32 v[0:1], v[0:1], v[34:35]
	s_and_not1_b32 exec_lo, exec_lo, s0
	s_cbranch_execnz .LBB10_62
; %bb.63:
	s_or_b32 exec_lo, exec_lo, s0
.LBB10_64:
	s_delay_alu instid0(SALU_CYCLE_1) | instskip(SKIP_4) | instid1(VALU_DEP_1)
	s_or_b32 exec_lo, exec_lo, s6
	v_mov_b32_e32 v28, 0
	ds_load_b64 v[28:29], v28 offset:32
	s_wait_dscnt 0x0
	v_pk_mul_f32 v[34:35], v[0:1], v[28:29] op_sel:[1,1] op_sel_hi:[0,1]
	v_pk_fma_f32 v[36:37], v[0:1], v[28:29], v[34:35] op_sel_hi:[1,0,1]
	v_pk_fma_f32 v[0:1], v[0:1], v[28:29], v[34:35] neg_lo:[0,0,1] neg_hi:[0,0,1]
	s_delay_alu instid0(VALU_DEP_2)
	v_mov_b32_e32 v1, v37
	ds_store_b64 v25, v[0:1] offset:32
.LBB10_65:
	s_or_b32 exec_lo, exec_lo, s4
	ds_load_b64 v[0:1], v25 offset:24
	v_cmp_lt_u32_e64 s0, 3, v30
	s_wait_dscnt 0x0
	ds_store_b64 v26, v[0:1]
	s_wait_dscnt 0x0
	s_barrier_signal -1
	s_barrier_wait -1
	s_and_saveexec_b32 s4, s0
	s_cbranch_execz .LBB10_75
; %bb.66:
	s_and_not1_b32 vcc_lo, exec_lo, s5
	s_cbranch_vccnz .LBB10_68
; %bb.67:
	ds_load_b64 v[0:1], v27
	ds_load_b64 v[28:29], v26
	s_wait_dscnt 0x0
	v_pk_mul_f32 v[34:35], v[28:29], v[0:1] op_sel:[1,1] op_sel_hi:[0,1]
	s_delay_alu instid0(VALU_DEP_1) | instskip(SKIP_1) | instid1(VALU_DEP_2)
	v_pk_fma_f32 v[36:37], v[28:29], v[0:1], v[34:35] op_sel_hi:[1,0,1]
	v_pk_fma_f32 v[0:1], v[28:29], v[0:1], v[34:35] neg_lo:[0,0,1] neg_hi:[0,0,1]
	v_mov_b32_e32 v1, v37
	s_cbranch_execz .LBB10_69
	s_branch .LBB10_70
.LBB10_68:
                                        ; implicit-def: $vgpr0_vgpr1
.LBB10_69:
	ds_load_b64 v[0:1], v26
.LBB10_70:
	s_and_saveexec_b32 s6, s1
	s_cbranch_execz .LBB10_74
; %bb.71:
	s_movk_i32 s1, 0x58
	v_add_nc_u32_e32 v29, -4, v30
	v_mad_u32 v28, v32, s1, 0xe0
	s_movk_i32 s7, 0x80
	s_mov_b32 s1, 0
.LBB10_72:                              ; =>This Inner Loop Header: Depth=1
	s_delay_alu instid0(VALU_DEP_2)
	v_dual_mov_b32 v33, s7 :: v_dual_add_nc_u32 v29, -1, v29
	s_add_co_i32 s7, s7, 8
	ds_load_b64 v[34:35], v28
	ds_load_b64 v[36:37], v33
	v_add_nc_u32_e32 v28, 8, v28
	v_cmp_eq_u32_e32 vcc_lo, 0, v29
	s_or_b32 s1, vcc_lo, s1
	s_wait_dscnt 0x0
	v_pk_mul_f32 v[38:39], v[36:37], v[34:35] op_sel:[1,1] op_sel_hi:[0,1]
	s_delay_alu instid0(VALU_DEP_1) | instskip(SKIP_1) | instid1(VALU_DEP_2)
	v_pk_fma_f32 v[40:41], v[36:37], v[34:35], v[38:39] op_sel_hi:[1,0,1]
	v_pk_fma_f32 v[34:35], v[36:37], v[34:35], v[38:39] neg_lo:[0,0,1] neg_hi:[0,0,1]
	v_mov_b32_e32 v35, v41
	s_delay_alu instid0(VALU_DEP_1)
	v_pk_add_f32 v[0:1], v[0:1], v[34:35]
	s_and_not1_b32 exec_lo, exec_lo, s1
	s_cbranch_execnz .LBB10_72
; %bb.73:
	s_or_b32 exec_lo, exec_lo, s1
.LBB10_74:
	s_delay_alu instid0(SALU_CYCLE_1) | instskip(SKIP_4) | instid1(VALU_DEP_1)
	s_or_b32 exec_lo, exec_lo, s6
	v_mov_b32_e32 v28, 0
	ds_load_b64 v[28:29], v28 offset:24
	s_wait_dscnt 0x0
	v_pk_mul_f32 v[34:35], v[0:1], v[28:29] op_sel:[1,1] op_sel_hi:[0,1]
	v_pk_fma_f32 v[36:37], v[0:1], v[28:29], v[34:35] op_sel_hi:[1,0,1]
	v_pk_fma_f32 v[0:1], v[0:1], v[28:29], v[34:35] neg_lo:[0,0,1] neg_hi:[0,0,1]
	s_delay_alu instid0(VALU_DEP_2)
	v_mov_b32_e32 v1, v37
	ds_store_b64 v25, v[0:1] offset:24
.LBB10_75:
	s_or_b32 exec_lo, exec_lo, s4
	ds_load_b64 v[0:1], v25 offset:16
	v_cmp_lt_u32_e64 s1, 2, v30
	s_wait_dscnt 0x0
	ds_store_b64 v26, v[0:1]
	s_wait_dscnt 0x0
	s_barrier_signal -1
	s_barrier_wait -1
	s_and_saveexec_b32 s4, s1
	s_cbranch_execz .LBB10_85
; %bb.76:
	s_and_not1_b32 vcc_lo, exec_lo, s5
	s_cbranch_vccnz .LBB10_78
; %bb.77:
	ds_load_b64 v[0:1], v27
	ds_load_b64 v[28:29], v26
	s_wait_dscnt 0x0
	v_pk_mul_f32 v[34:35], v[28:29], v[0:1] op_sel:[1,1] op_sel_hi:[0,1]
	s_delay_alu instid0(VALU_DEP_1) | instskip(SKIP_1) | instid1(VALU_DEP_2)
	v_pk_fma_f32 v[36:37], v[28:29], v[0:1], v[34:35] op_sel_hi:[1,0,1]
	v_pk_fma_f32 v[0:1], v[28:29], v[0:1], v[34:35] neg_lo:[0,0,1] neg_hi:[0,0,1]
	v_mov_b32_e32 v1, v37
	s_cbranch_execz .LBB10_79
	s_branch .LBB10_80
.LBB10_78:
                                        ; implicit-def: $vgpr0_vgpr1
.LBB10_79:
	ds_load_b64 v[0:1], v26
.LBB10_80:
	s_and_saveexec_b32 s6, s0
	s_cbranch_execz .LBB10_84
; %bb.81:
	s_movk_i32 s0, 0x58
	v_add_nc_u32_e32 v29, -3, v30
	v_mad_u32 v28, v32, s0, 0xd8
	s_movk_i32 s7, 0x78
	s_mov_b32 s0, 0
.LBB10_82:                              ; =>This Inner Loop Header: Depth=1
	s_delay_alu instid0(VALU_DEP_2)
	v_dual_mov_b32 v33, s7 :: v_dual_add_nc_u32 v29, -1, v29
	s_add_co_i32 s7, s7, 8
	ds_load_b64 v[34:35], v28
	ds_load_b64 v[36:37], v33
	v_add_nc_u32_e32 v28, 8, v28
	v_cmp_eq_u32_e32 vcc_lo, 0, v29
	s_or_b32 s0, vcc_lo, s0
	s_wait_dscnt 0x0
	v_pk_mul_f32 v[38:39], v[36:37], v[34:35] op_sel:[1,1] op_sel_hi:[0,1]
	s_delay_alu instid0(VALU_DEP_1) | instskip(SKIP_1) | instid1(VALU_DEP_2)
	v_pk_fma_f32 v[40:41], v[36:37], v[34:35], v[38:39] op_sel_hi:[1,0,1]
	v_pk_fma_f32 v[34:35], v[36:37], v[34:35], v[38:39] neg_lo:[0,0,1] neg_hi:[0,0,1]
	v_mov_b32_e32 v35, v41
	s_delay_alu instid0(VALU_DEP_1)
	v_pk_add_f32 v[0:1], v[0:1], v[34:35]
	s_and_not1_b32 exec_lo, exec_lo, s0
	s_cbranch_execnz .LBB10_82
; %bb.83:
	s_or_b32 exec_lo, exec_lo, s0
.LBB10_84:
	s_delay_alu instid0(SALU_CYCLE_1) | instskip(SKIP_4) | instid1(VALU_DEP_1)
	s_or_b32 exec_lo, exec_lo, s6
	v_mov_b32_e32 v28, 0
	ds_load_b64 v[28:29], v28 offset:16
	s_wait_dscnt 0x0
	v_pk_mul_f32 v[34:35], v[0:1], v[28:29] op_sel:[1,1] op_sel_hi:[0,1]
	v_pk_fma_f32 v[36:37], v[0:1], v[28:29], v[34:35] op_sel_hi:[1,0,1]
	v_pk_fma_f32 v[0:1], v[0:1], v[28:29], v[34:35] neg_lo:[0,0,1] neg_hi:[0,0,1]
	s_delay_alu instid0(VALU_DEP_2)
	v_mov_b32_e32 v1, v37
	ds_store_b64 v25, v[0:1] offset:16
.LBB10_85:
	s_or_b32 exec_lo, exec_lo, s4
	ds_load_b64 v[0:1], v25 offset:8
	v_cmp_lt_u32_e64 s0, 1, v30
	s_wait_dscnt 0x0
	ds_store_b64 v26, v[0:1]
	s_wait_dscnt 0x0
	s_barrier_signal -1
	s_barrier_wait -1
	s_and_saveexec_b32 s4, s0
	s_cbranch_execz .LBB10_95
; %bb.86:
	s_and_not1_b32 vcc_lo, exec_lo, s5
	s_cbranch_vccnz .LBB10_88
; %bb.87:
	ds_load_b64 v[0:1], v27
	ds_load_b64 v[28:29], v26
	s_wait_dscnt 0x0
	v_pk_mul_f32 v[34:35], v[28:29], v[0:1] op_sel:[1,1] op_sel_hi:[0,1]
	s_delay_alu instid0(VALU_DEP_1) | instskip(SKIP_1) | instid1(VALU_DEP_2)
	v_pk_fma_f32 v[36:37], v[28:29], v[0:1], v[34:35] op_sel_hi:[1,0,1]
	v_pk_fma_f32 v[0:1], v[28:29], v[0:1], v[34:35] neg_lo:[0,0,1] neg_hi:[0,0,1]
	v_mov_b32_e32 v1, v37
	s_cbranch_execz .LBB10_89
	s_branch .LBB10_90
.LBB10_88:
                                        ; implicit-def: $vgpr0_vgpr1
.LBB10_89:
	ds_load_b64 v[0:1], v26
.LBB10_90:
	s_and_saveexec_b32 s6, s1
	s_cbranch_execz .LBB10_94
; %bb.91:
	s_movk_i32 s1, 0x58
	v_add_nc_u32_e32 v29, -2, v30
	v_mad_u32 v28, v32, s1, 0xd0
	s_movk_i32 s7, 0x70
	s_mov_b32 s1, 0
.LBB10_92:                              ; =>This Inner Loop Header: Depth=1
	s_delay_alu instid0(VALU_DEP_2)
	v_dual_mov_b32 v33, s7 :: v_dual_add_nc_u32 v29, -1, v29
	s_add_co_i32 s7, s7, 8
	ds_load_b64 v[34:35], v28
	ds_load_b64 v[36:37], v33
	v_add_nc_u32_e32 v28, 8, v28
	v_cmp_eq_u32_e32 vcc_lo, 0, v29
	s_or_b32 s1, vcc_lo, s1
	s_wait_dscnt 0x0
	v_pk_mul_f32 v[38:39], v[36:37], v[34:35] op_sel:[1,1] op_sel_hi:[0,1]
	s_delay_alu instid0(VALU_DEP_1) | instskip(SKIP_1) | instid1(VALU_DEP_2)
	v_pk_fma_f32 v[40:41], v[36:37], v[34:35], v[38:39] op_sel_hi:[1,0,1]
	v_pk_fma_f32 v[34:35], v[36:37], v[34:35], v[38:39] neg_lo:[0,0,1] neg_hi:[0,0,1]
	v_mov_b32_e32 v35, v41
	s_delay_alu instid0(VALU_DEP_1)
	v_pk_add_f32 v[0:1], v[0:1], v[34:35]
	s_and_not1_b32 exec_lo, exec_lo, s1
	s_cbranch_execnz .LBB10_92
; %bb.93:
	s_or_b32 exec_lo, exec_lo, s1
.LBB10_94:
	s_delay_alu instid0(SALU_CYCLE_1) | instskip(SKIP_4) | instid1(VALU_DEP_1)
	s_or_b32 exec_lo, exec_lo, s6
	v_mov_b32_e32 v28, 0
	ds_load_b64 v[28:29], v28 offset:8
	s_wait_dscnt 0x0
	v_pk_mul_f32 v[34:35], v[0:1], v[28:29] op_sel:[1,1] op_sel_hi:[0,1]
	v_pk_fma_f32 v[36:37], v[0:1], v[28:29], v[34:35] op_sel_hi:[1,0,1]
	v_pk_fma_f32 v[0:1], v[0:1], v[28:29], v[34:35] neg_lo:[0,0,1] neg_hi:[0,0,1]
	s_delay_alu instid0(VALU_DEP_2)
	v_mov_b32_e32 v1, v37
	ds_store_b64 v25, v[0:1] offset:8
.LBB10_95:
	s_or_b32 exec_lo, exec_lo, s4
	ds_load_b64 v[0:1], v25
	s_mov_b32 s4, 0
	s_mov_b32 s1, 0
	s_mov_b32 s6, exec_lo
                                        ; implicit-def: $vgpr29
                                        ; implicit-def: $vgpr33
	s_wait_dscnt 0x0
	ds_store_b64 v26, v[0:1]
	s_wait_dscnt 0x0
	s_barrier_signal -1
	s_barrier_wait -1
	v_cmpx_ne_u32_e32 0, v30
	s_cbranch_execz .LBB10_105
; %bb.96:
	s_and_not1_b32 vcc_lo, exec_lo, s5
	s_cbranch_vccnz .LBB10_98
; %bb.97:
	ds_load_b64 v[28:29], v27
	ds_load_b64 v[34:35], v26
	s_wait_dscnt 0x0
	v_dual_mul_f32 v0, v35, v29 :: v_dual_mul_f32 v1, v34, v29
	s_delay_alu instid0(VALU_DEP_1)
	v_dual_fma_f32 v0, v34, v28, -v0 :: v_dual_fmac_f32 v1, v35, v28
	s_and_not1_b32 vcc_lo, exec_lo, s1
	s_cbranch_vccz .LBB10_99
	s_branch .LBB10_100
.LBB10_98:
                                        ; implicit-def: $vgpr0
.LBB10_99:
	ds_load_b64 v[0:1], v26
.LBB10_100:
	s_and_saveexec_b32 s1, s0
	s_cbranch_execz .LBB10_104
; %bb.101:
	s_movk_i32 s0, 0x58
	v_add_nc_u32_e32 v29, -1, v30
	v_mad_u32 v28, v32, s0, 0xc8
	s_movk_i32 s7, 0x68
	s_mov_b32 s0, 0
.LBB10_102:                             ; =>This Inner Loop Header: Depth=1
	v_mov_b32_e32 v34, s7
	s_add_co_i32 s7, s7, 8
	ds_load_b64 v[32:33], v28
	ds_load_b64 v[34:35], v34
	s_wait_dscnt 0x0
	v_dual_mul_f32 v36, v35, v33 :: v_dual_mul_f32 v33, v34, v33
	s_delay_alu instid0(VALU_DEP_1) | instskip(NEXT) | instid1(VALU_DEP_2)
	v_dual_fma_f32 v34, v34, v32, -v36 :: v_dual_add_nc_u32 v29, -1, v29
	v_fmac_f32_e32 v33, v35, v32
	s_delay_alu instid0(VALU_DEP_2) | instskip(NEXT) | instid1(VALU_DEP_3)
	v_dual_add_nc_u32 v28, 8, v28 :: v_dual_add_f32 v0, v0, v34
	v_cmp_eq_u32_e32 vcc_lo, 0, v29
	s_delay_alu instid0(VALU_DEP_3) | instskip(SKIP_1) | instid1(SALU_CYCLE_1)
	v_add_f32_e32 v1, v1, v33
	s_or_b32 s0, vcc_lo, s0
	s_and_not1_b32 exec_lo, exec_lo, s0
	s_cbranch_execnz .LBB10_102
; %bb.103:
	s_or_b32 exec_lo, exec_lo, s0
.LBB10_104:
	s_delay_alu instid0(SALU_CYCLE_1)
	s_or_b32 exec_lo, exec_lo, s1
	v_mov_b32_e32 v28, 0
	s_mov_b32 s1, exec_lo
	ds_load_b64 v[28:29], v28
	s_wait_dscnt 0x0
	v_dual_mul_f32 v32, v1, v29 :: v_dual_mul_f32 v29, v0, v29
	s_delay_alu instid0(VALU_DEP_1) | instskip(NEXT) | instid1(VALU_DEP_2)
	v_dual_fma_f32 v0, v0, v28, -v32 :: v_dual_add_nc_u32 v33, 4, v25
	v_fmac_f32_e32 v29, v1, v28
	ds_store_b32 v25, v0
.LBB10_105:
	s_or_b32 exec_lo, exec_lo, s6
	s_delay_alu instid0(SALU_CYCLE_1)
	s_and_b32 vcc_lo, exec_lo, s4
	s_cbranch_vccz .LBB10_201
.LBB10_106:
	ds_load_b64 v[0:1], v25 offset:8
	v_cmp_eq_u32_e64 s0, 0, v30
	s_wait_dscnt 0x0
	ds_store_b64 v26, v[0:1]
	s_wait_dscnt 0x0
	s_barrier_signal -1
	s_barrier_wait -1
	s_and_saveexec_b32 s4, s0
	s_cbranch_execz .LBB10_112
; %bb.107:
	s_and_b32 vcc_lo, exec_lo, s5
	s_cbranch_vccz .LBB10_109
; %bb.108:
	ds_load_b64 v[0:1], v27
	ds_load_b64 v[28:29], v26
	s_wait_dscnt 0x0
	v_pk_mul_f32 v[32:33], v[28:29], v[0:1] op_sel:[1,1] op_sel_hi:[0,1]
	v_pk_mul_f32 v[34:35], v[28:29], v[0:1] op_sel_hi:[1,0]
	s_delay_alu instid0(VALU_DEP_2) | instskip(NEXT) | instid1(VALU_DEP_2)
	v_pk_fma_f32 v[0:1], v[28:29], v[0:1], v[32:33] op_sel_hi:[1,0,1]
	v_sub_f32_e32 v0, v34, v32
	s_cbranch_execz .LBB10_110
	s_branch .LBB10_111
.LBB10_109:
                                        ; implicit-def: $vgpr1
.LBB10_110:
	ds_load_b64 v[0:1], v26
.LBB10_111:
	s_wait_dscnt 0x0
	v_dual_mov_b32 v28, 0 :: v_dual_mov_b32 v32, v1
	v_mov_b32_e32 v33, v0
	ds_load_b64 v[28:29], v28 offset:8
	s_wait_dscnt 0x0
	v_pk_mul_f32 v[32:33], v[32:33], v[28:29] op_sel:[0,1]
	s_delay_alu instid0(VALU_DEP_1) | instskip(SKIP_1) | instid1(VALU_DEP_2)
	v_pk_fma_f32 v[34:35], v[0:1], v[28:29], v[32:33] op_sel_hi:[1,0,1]
	v_pk_fma_f32 v[0:1], v[0:1], v[28:29], v[32:33] neg_lo:[0,0,1] neg_hi:[0,0,1]
	v_mov_b32_e32 v1, v35
	ds_store_b64 v25, v[0:1] offset:8
.LBB10_112:
	s_or_b32 exec_lo, exec_lo, s4
	ds_load_b64 v[0:1], v25 offset:16
	v_cndmask_b32_e64 v28, 0, 1, s5
	s_mov_b32 s4, exec_lo
	s_wait_dscnt 0x0
	ds_store_b64 v26, v[0:1]
	s_wait_dscnt 0x0
	s_barrier_signal -1
	s_barrier_wait -1
	v_cmpx_gt_u32_e32 2, v30
	s_cbranch_execz .LBB10_120
; %bb.113:
	s_and_not1_b32 vcc_lo, exec_lo, s5
	s_cbranch_vccnz .LBB10_115
; %bb.114:
	ds_load_b64 v[0:1], v27
	ds_load_b64 v[32:33], v26
	s_wait_dscnt 0x0
	v_pk_mul_f32 v[34:35], v[32:33], v[0:1] op_sel:[1,1] op_sel_hi:[0,1]
	s_delay_alu instid0(VALU_DEP_1) | instskip(SKIP_1) | instid1(VALU_DEP_2)
	v_pk_fma_f32 v[36:37], v[32:33], v[0:1], v[34:35] op_sel_hi:[1,0,1]
	v_pk_fma_f32 v[0:1], v[32:33], v[0:1], v[34:35] neg_lo:[0,0,1] neg_hi:[0,0,1]
	v_mov_b32_e32 v1, v37
	s_cbranch_execz .LBB10_116
	s_branch .LBB10_117
.LBB10_115:
                                        ; implicit-def: $vgpr0_vgpr1
.LBB10_116:
	ds_load_b64 v[0:1], v26
.LBB10_117:
	s_and_saveexec_b32 s5, s0
	s_cbranch_execz .LBB10_119
; %bb.118:
	v_mov_b32_e32 v29, 0
	ds_load_b64 v[32:33], v25 offset:8
	ds_load_b64 v[34:35], v29 offset:104
	s_wait_dscnt 0x0
	v_pk_mul_f32 v[36:37], v[34:35], v[32:33] op_sel:[1,1] op_sel_hi:[0,1]
	s_delay_alu instid0(VALU_DEP_1) | instskip(SKIP_1) | instid1(VALU_DEP_2)
	v_pk_fma_f32 v[38:39], v[34:35], v[32:33], v[36:37] op_sel_hi:[1,0,1]
	v_pk_fma_f32 v[32:33], v[34:35], v[32:33], v[36:37] neg_lo:[0,0,1] neg_hi:[0,0,1]
	v_mov_b32_e32 v33, v39
	s_delay_alu instid0(VALU_DEP_1)
	v_pk_add_f32 v[0:1], v[0:1], v[32:33]
.LBB10_119:
	s_or_b32 exec_lo, exec_lo, s5
	v_mov_b32_e32 v29, 0
	ds_load_b64 v[32:33], v29 offset:16
	s_wait_dscnt 0x0
	v_pk_mul_f32 v[34:35], v[0:1], v[32:33] op_sel:[1,1] op_sel_hi:[0,1]
	s_delay_alu instid0(VALU_DEP_1) | instskip(SKIP_1) | instid1(VALU_DEP_2)
	v_pk_fma_f32 v[36:37], v[0:1], v[32:33], v[34:35] op_sel_hi:[1,0,1]
	v_pk_fma_f32 v[0:1], v[0:1], v[32:33], v[34:35] neg_lo:[0,0,1] neg_hi:[0,0,1]
	v_mov_b32_e32 v1, v37
	ds_store_b64 v25, v[0:1] offset:16
.LBB10_120:
	s_or_b32 exec_lo, exec_lo, s4
	ds_load_b64 v[0:1], v25 offset:24
	s_mov_b32 s4, exec_lo
	s_wait_dscnt 0x0
	ds_store_b64 v26, v[0:1]
	s_wait_dscnt 0x0
	s_barrier_signal -1
	s_barrier_wait -1
	v_cmpx_gt_u32_e32 3, v30
	s_cbranch_execz .LBB10_130
; %bb.121:
	v_cmp_ne_u32_e32 vcc_lo, 1, v28
	s_cbranch_vccnz .LBB10_123
; %bb.122:
	ds_load_b64 v[0:1], v27
	ds_load_b64 v[32:33], v26
	s_wait_dscnt 0x0
	v_pk_mul_f32 v[34:35], v[32:33], v[0:1] op_sel:[1,1] op_sel_hi:[0,1]
	s_delay_alu instid0(VALU_DEP_1) | instskip(SKIP_1) | instid1(VALU_DEP_2)
	v_pk_fma_f32 v[36:37], v[32:33], v[0:1], v[34:35] op_sel_hi:[1,0,1]
	v_pk_fma_f32 v[0:1], v[32:33], v[0:1], v[34:35] neg_lo:[0,0,1] neg_hi:[0,0,1]
	v_mov_b32_e32 v1, v37
	s_cbranch_execz .LBB10_124
	s_branch .LBB10_125
.LBB10_123:
                                        ; implicit-def: $vgpr0_vgpr1
.LBB10_124:
	ds_load_b64 v[0:1], v26
.LBB10_125:
	s_mov_b32 s5, exec_lo
	v_cmpx_ne_u32_e32 2, v30
	s_cbranch_execz .LBB10_129
; %bb.126:
	ds_load_b64 v[32:33], v27 offset:8
	ds_load_b64 v[34:35], v26 offset:8
	s_wait_dscnt 0x0
	v_pk_mul_f32 v[36:37], v[34:35], v[32:33] op_sel:[1,1] op_sel_hi:[0,1]
	s_delay_alu instid0(VALU_DEP_1) | instskip(SKIP_1) | instid1(VALU_DEP_2)
	v_pk_fma_f32 v[38:39], v[34:35], v[32:33], v[36:37] op_sel_hi:[1,0,1]
	v_pk_fma_f32 v[32:33], v[34:35], v[32:33], v[36:37] neg_lo:[0,0,1] neg_hi:[0,0,1]
	v_mov_b32_e32 v33, v39
	s_delay_alu instid0(VALU_DEP_1)
	v_pk_add_f32 v[0:1], v[0:1], v[32:33]
	s_and_saveexec_b32 s6, s0
	s_cbranch_execz .LBB10_128
; %bb.127:
	v_mov_b32_e32 v29, 0
	ds_load_b64 v[32:33], v29 offset:112
	ds_load_b64 v[34:35], v25 offset:16
	s_wait_dscnt 0x0
	v_pk_mul_f32 v[36:37], v[32:33], v[34:35] op_sel:[1,1] op_sel_hi:[0,1]
	s_delay_alu instid0(VALU_DEP_1) | instskip(SKIP_1) | instid1(VALU_DEP_2)
	v_pk_fma_f32 v[38:39], v[32:33], v[34:35], v[36:37] op_sel_hi:[1,0,1]
	v_pk_fma_f32 v[32:33], v[32:33], v[34:35], v[36:37] neg_lo:[0,0,1] neg_hi:[0,0,1]
	v_mov_b32_e32 v33, v39
	s_delay_alu instid0(VALU_DEP_1)
	v_pk_add_f32 v[0:1], v[0:1], v[32:33]
.LBB10_128:
	s_or_b32 exec_lo, exec_lo, s6
.LBB10_129:
	s_delay_alu instid0(SALU_CYCLE_1) | instskip(SKIP_4) | instid1(VALU_DEP_1)
	s_or_b32 exec_lo, exec_lo, s5
	v_mov_b32_e32 v29, 0
	ds_load_b64 v[32:33], v29 offset:24
	s_wait_dscnt 0x0
	v_pk_mul_f32 v[34:35], v[0:1], v[32:33] op_sel:[1,1] op_sel_hi:[0,1]
	v_pk_fma_f32 v[36:37], v[0:1], v[32:33], v[34:35] op_sel_hi:[1,0,1]
	v_pk_fma_f32 v[0:1], v[0:1], v[32:33], v[34:35] neg_lo:[0,0,1] neg_hi:[0,0,1]
	s_delay_alu instid0(VALU_DEP_2)
	v_mov_b32_e32 v1, v37
	ds_store_b64 v25, v[0:1] offset:24
.LBB10_130:
	s_or_b32 exec_lo, exec_lo, s4
	ds_load_b64 v[0:1], v25 offset:32
	s_mov_b32 s0, exec_lo
	s_wait_dscnt 0x0
	ds_store_b64 v26, v[0:1]
	s_wait_dscnt 0x0
	s_barrier_signal -1
	s_barrier_wait -1
	v_cmpx_gt_u32_e32 4, v30
	s_cbranch_execz .LBB10_140
; %bb.131:
	v_cmp_ne_u32_e32 vcc_lo, 1, v28
	s_cbranch_vccnz .LBB10_133
; %bb.132:
	ds_load_b64 v[0:1], v27
	ds_load_b64 v[32:33], v26
	s_wait_dscnt 0x0
	v_pk_mul_f32 v[34:35], v[32:33], v[0:1] op_sel:[1,1] op_sel_hi:[0,1]
	s_delay_alu instid0(VALU_DEP_1) | instskip(SKIP_1) | instid1(VALU_DEP_2)
	v_pk_fma_f32 v[36:37], v[32:33], v[0:1], v[34:35] op_sel_hi:[1,0,1]
	v_pk_fma_f32 v[0:1], v[32:33], v[0:1], v[34:35] neg_lo:[0,0,1] neg_hi:[0,0,1]
	v_mov_b32_e32 v1, v37
	s_cbranch_execz .LBB10_134
	s_branch .LBB10_135
.LBB10_133:
                                        ; implicit-def: $vgpr0_vgpr1
.LBB10_134:
	ds_load_b64 v[0:1], v26
.LBB10_135:
	s_mov_b32 s4, exec_lo
	v_cmpx_ne_u32_e32 3, v30
	s_cbranch_execz .LBB10_139
; %bb.136:
	v_add_nc_u32_e32 v29, 0x68, v24
	v_add3_u32 v32, v31, v24, 0xc8
	v_mov_b32_e32 v33, v30
	s_mov_b32 s5, 0
.LBB10_137:                             ; =>This Inner Loop Header: Depth=1
	ds_load_b64 v[34:35], v32
	ds_load_b64 v[36:37], v29
	v_dual_add_nc_u32 v29, 8, v29 :: v_dual_add_nc_u32 v32, 8, v32
	s_wait_dscnt 0x0
	v_pk_mul_f32 v[38:39], v[36:37], v[34:35] op_sel:[1,1] op_sel_hi:[0,1]
	s_delay_alu instid0(VALU_DEP_1) | instskip(SKIP_2) | instid1(VALU_DEP_3)
	v_pk_fma_f32 v[40:41], v[36:37], v[34:35], v[38:39] op_sel_hi:[1,0,1]
	v_add_nc_u32_e32 v33, 1, v33
	v_pk_fma_f32 v[34:35], v[36:37], v[34:35], v[38:39] neg_lo:[0,0,1] neg_hi:[0,0,1]
	v_mov_b32_e32 v35, v41
	s_delay_alu instid0(VALU_DEP_3) | instskip(NEXT) | instid1(VALU_DEP_2)
	v_cmp_lt_u32_e32 vcc_lo, 2, v33
	v_pk_add_f32 v[0:1], v[0:1], v[34:35]
	s_or_b32 s5, vcc_lo, s5
	s_delay_alu instid0(SALU_CYCLE_1)
	s_and_not1_b32 exec_lo, exec_lo, s5
	s_cbranch_execnz .LBB10_137
; %bb.138:
	s_or_b32 exec_lo, exec_lo, s5
.LBB10_139:
	s_delay_alu instid0(SALU_CYCLE_1) | instskip(SKIP_4) | instid1(VALU_DEP_1)
	s_or_b32 exec_lo, exec_lo, s4
	v_mov_b32_e32 v29, 0
	ds_load_b64 v[32:33], v29 offset:32
	s_wait_dscnt 0x0
	v_pk_mul_f32 v[34:35], v[0:1], v[32:33] op_sel:[1,1] op_sel_hi:[0,1]
	v_pk_fma_f32 v[36:37], v[0:1], v[32:33], v[34:35] op_sel_hi:[1,0,1]
	v_pk_fma_f32 v[0:1], v[0:1], v[32:33], v[34:35] neg_lo:[0,0,1] neg_hi:[0,0,1]
	s_delay_alu instid0(VALU_DEP_2)
	v_mov_b32_e32 v1, v37
	ds_store_b64 v25, v[0:1] offset:32
.LBB10_140:
	s_or_b32 exec_lo, exec_lo, s0
	ds_load_b64 v[0:1], v25 offset:40
	s_mov_b32 s0, exec_lo
	s_wait_dscnt 0x0
	ds_store_b64 v26, v[0:1]
	s_wait_dscnt 0x0
	s_barrier_signal -1
	s_barrier_wait -1
	v_cmpx_gt_u32_e32 5, v30
	s_cbranch_execz .LBB10_150
; %bb.141:
	v_cmp_ne_u32_e32 vcc_lo, 1, v28
	s_cbranch_vccnz .LBB10_143
; %bb.142:
	ds_load_b64 v[0:1], v27
	ds_load_b64 v[32:33], v26
	s_wait_dscnt 0x0
	v_pk_mul_f32 v[34:35], v[32:33], v[0:1] op_sel:[1,1] op_sel_hi:[0,1]
	s_delay_alu instid0(VALU_DEP_1) | instskip(SKIP_1) | instid1(VALU_DEP_2)
	v_pk_fma_f32 v[36:37], v[32:33], v[0:1], v[34:35] op_sel_hi:[1,0,1]
	v_pk_fma_f32 v[0:1], v[32:33], v[0:1], v[34:35] neg_lo:[0,0,1] neg_hi:[0,0,1]
	v_mov_b32_e32 v1, v37
	s_cbranch_execz .LBB10_144
	s_branch .LBB10_145
.LBB10_143:
                                        ; implicit-def: $vgpr0_vgpr1
.LBB10_144:
	ds_load_b64 v[0:1], v26
.LBB10_145:
	s_mov_b32 s4, exec_lo
	v_cmpx_ne_u32_e32 4, v30
	s_cbranch_execz .LBB10_149
; %bb.146:
	v_add_nc_u32_e32 v29, 0x68, v24
	v_add3_u32 v32, v31, v24, 0xc8
	v_mov_b32_e32 v33, v30
	s_mov_b32 s5, 0
.LBB10_147:                             ; =>This Inner Loop Header: Depth=1
	ds_load_b64 v[34:35], v32
	ds_load_b64 v[36:37], v29
	v_dual_add_nc_u32 v29, 8, v29 :: v_dual_add_nc_u32 v32, 8, v32
	s_wait_dscnt 0x0
	v_pk_mul_f32 v[38:39], v[36:37], v[34:35] op_sel:[1,1] op_sel_hi:[0,1]
	s_delay_alu instid0(VALU_DEP_1) | instskip(SKIP_2) | instid1(VALU_DEP_3)
	v_pk_fma_f32 v[40:41], v[36:37], v[34:35], v[38:39] op_sel_hi:[1,0,1]
	v_add_nc_u32_e32 v33, 1, v33
	v_pk_fma_f32 v[34:35], v[36:37], v[34:35], v[38:39] neg_lo:[0,0,1] neg_hi:[0,0,1]
	v_mov_b32_e32 v35, v41
	s_delay_alu instid0(VALU_DEP_3) | instskip(NEXT) | instid1(VALU_DEP_2)
	v_cmp_lt_u32_e32 vcc_lo, 3, v33
	v_pk_add_f32 v[0:1], v[0:1], v[34:35]
	s_or_b32 s5, vcc_lo, s5
	s_delay_alu instid0(SALU_CYCLE_1)
	s_and_not1_b32 exec_lo, exec_lo, s5
	s_cbranch_execnz .LBB10_147
; %bb.148:
	s_or_b32 exec_lo, exec_lo, s5
.LBB10_149:
	s_delay_alu instid0(SALU_CYCLE_1) | instskip(SKIP_4) | instid1(VALU_DEP_1)
	s_or_b32 exec_lo, exec_lo, s4
	v_mov_b32_e32 v29, 0
	ds_load_b64 v[32:33], v29 offset:40
	s_wait_dscnt 0x0
	v_pk_mul_f32 v[34:35], v[0:1], v[32:33] op_sel:[1,1] op_sel_hi:[0,1]
	v_pk_fma_f32 v[36:37], v[0:1], v[32:33], v[34:35] op_sel_hi:[1,0,1]
	v_pk_fma_f32 v[0:1], v[0:1], v[32:33], v[34:35] neg_lo:[0,0,1] neg_hi:[0,0,1]
	s_delay_alu instid0(VALU_DEP_2)
	v_mov_b32_e32 v1, v37
	ds_store_b64 v25, v[0:1] offset:40
.LBB10_150:
	s_or_b32 exec_lo, exec_lo, s0
	ds_load_b64 v[0:1], v25 offset:48
	s_mov_b32 s0, exec_lo
	s_wait_dscnt 0x0
	ds_store_b64 v26, v[0:1]
	s_wait_dscnt 0x0
	s_barrier_signal -1
	s_barrier_wait -1
	v_cmpx_gt_u32_e32 6, v30
	s_cbranch_execz .LBB10_160
; %bb.151:
	v_cmp_ne_u32_e32 vcc_lo, 1, v28
	s_cbranch_vccnz .LBB10_153
; %bb.152:
	ds_load_b64 v[0:1], v27
	ds_load_b64 v[32:33], v26
	s_wait_dscnt 0x0
	v_pk_mul_f32 v[34:35], v[32:33], v[0:1] op_sel:[1,1] op_sel_hi:[0,1]
	s_delay_alu instid0(VALU_DEP_1) | instskip(SKIP_1) | instid1(VALU_DEP_2)
	v_pk_fma_f32 v[36:37], v[32:33], v[0:1], v[34:35] op_sel_hi:[1,0,1]
	v_pk_fma_f32 v[0:1], v[32:33], v[0:1], v[34:35] neg_lo:[0,0,1] neg_hi:[0,0,1]
	v_mov_b32_e32 v1, v37
	s_cbranch_execz .LBB10_154
	s_branch .LBB10_155
.LBB10_153:
                                        ; implicit-def: $vgpr0_vgpr1
.LBB10_154:
	ds_load_b64 v[0:1], v26
.LBB10_155:
	s_mov_b32 s4, exec_lo
	v_cmpx_ne_u32_e32 5, v30
	s_cbranch_execz .LBB10_159
; %bb.156:
	v_add_nc_u32_e32 v29, 0x68, v24
	v_add3_u32 v32, v31, v24, 0xc8
	v_mov_b32_e32 v33, v30
	s_mov_b32 s5, 0
.LBB10_157:                             ; =>This Inner Loop Header: Depth=1
	ds_load_b64 v[34:35], v32
	ds_load_b64 v[36:37], v29
	v_dual_add_nc_u32 v29, 8, v29 :: v_dual_add_nc_u32 v32, 8, v32
	s_wait_dscnt 0x0
	v_pk_mul_f32 v[38:39], v[36:37], v[34:35] op_sel:[1,1] op_sel_hi:[0,1]
	s_delay_alu instid0(VALU_DEP_1) | instskip(SKIP_2) | instid1(VALU_DEP_3)
	v_pk_fma_f32 v[40:41], v[36:37], v[34:35], v[38:39] op_sel_hi:[1,0,1]
	v_add_nc_u32_e32 v33, 1, v33
	v_pk_fma_f32 v[34:35], v[36:37], v[34:35], v[38:39] neg_lo:[0,0,1] neg_hi:[0,0,1]
	v_mov_b32_e32 v35, v41
	s_delay_alu instid0(VALU_DEP_3) | instskip(NEXT) | instid1(VALU_DEP_2)
	v_cmp_lt_u32_e32 vcc_lo, 4, v33
	v_pk_add_f32 v[0:1], v[0:1], v[34:35]
	s_or_b32 s5, vcc_lo, s5
	s_delay_alu instid0(SALU_CYCLE_1)
	s_and_not1_b32 exec_lo, exec_lo, s5
	s_cbranch_execnz .LBB10_157
; %bb.158:
	s_or_b32 exec_lo, exec_lo, s5
.LBB10_159:
	s_delay_alu instid0(SALU_CYCLE_1) | instskip(SKIP_4) | instid1(VALU_DEP_1)
	s_or_b32 exec_lo, exec_lo, s4
	v_mov_b32_e32 v29, 0
	ds_load_b64 v[32:33], v29 offset:48
	s_wait_dscnt 0x0
	v_pk_mul_f32 v[34:35], v[0:1], v[32:33] op_sel:[1,1] op_sel_hi:[0,1]
	v_pk_fma_f32 v[36:37], v[0:1], v[32:33], v[34:35] op_sel_hi:[1,0,1]
	v_pk_fma_f32 v[0:1], v[0:1], v[32:33], v[34:35] neg_lo:[0,0,1] neg_hi:[0,0,1]
	s_delay_alu instid0(VALU_DEP_2)
	v_mov_b32_e32 v1, v37
	ds_store_b64 v25, v[0:1] offset:48
.LBB10_160:
	s_or_b32 exec_lo, exec_lo, s0
	ds_load_b64 v[0:1], v25 offset:56
	s_mov_b32 s0, exec_lo
	s_wait_dscnt 0x0
	ds_store_b64 v26, v[0:1]
	s_wait_dscnt 0x0
	s_barrier_signal -1
	s_barrier_wait -1
	v_cmpx_gt_u32_e32 7, v30
	s_cbranch_execz .LBB10_170
; %bb.161:
	v_cmp_ne_u32_e32 vcc_lo, 1, v28
	s_cbranch_vccnz .LBB10_163
; %bb.162:
	ds_load_b64 v[0:1], v27
	ds_load_b64 v[32:33], v26
	s_wait_dscnt 0x0
	v_pk_mul_f32 v[34:35], v[32:33], v[0:1] op_sel:[1,1] op_sel_hi:[0,1]
	s_delay_alu instid0(VALU_DEP_1) | instskip(SKIP_1) | instid1(VALU_DEP_2)
	v_pk_fma_f32 v[36:37], v[32:33], v[0:1], v[34:35] op_sel_hi:[1,0,1]
	v_pk_fma_f32 v[0:1], v[32:33], v[0:1], v[34:35] neg_lo:[0,0,1] neg_hi:[0,0,1]
	v_mov_b32_e32 v1, v37
	s_cbranch_execz .LBB10_164
	s_branch .LBB10_165
.LBB10_163:
                                        ; implicit-def: $vgpr0_vgpr1
.LBB10_164:
	ds_load_b64 v[0:1], v26
.LBB10_165:
	s_mov_b32 s4, exec_lo
	v_cmpx_ne_u32_e32 6, v30
	s_cbranch_execz .LBB10_169
; %bb.166:
	v_add_nc_u32_e32 v29, 0x68, v24
	v_add3_u32 v32, v31, v24, 0xc8
	v_mov_b32_e32 v33, v30
	s_mov_b32 s5, 0
.LBB10_167:                             ; =>This Inner Loop Header: Depth=1
	ds_load_b64 v[34:35], v32
	ds_load_b64 v[36:37], v29
	v_dual_add_nc_u32 v29, 8, v29 :: v_dual_add_nc_u32 v32, 8, v32
	s_wait_dscnt 0x0
	v_pk_mul_f32 v[38:39], v[36:37], v[34:35] op_sel:[1,1] op_sel_hi:[0,1]
	s_delay_alu instid0(VALU_DEP_1) | instskip(SKIP_2) | instid1(VALU_DEP_3)
	v_pk_fma_f32 v[40:41], v[36:37], v[34:35], v[38:39] op_sel_hi:[1,0,1]
	v_add_nc_u32_e32 v33, 1, v33
	v_pk_fma_f32 v[34:35], v[36:37], v[34:35], v[38:39] neg_lo:[0,0,1] neg_hi:[0,0,1]
	v_mov_b32_e32 v35, v41
	s_delay_alu instid0(VALU_DEP_3) | instskip(NEXT) | instid1(VALU_DEP_2)
	v_cmp_lt_u32_e32 vcc_lo, 5, v33
	v_pk_add_f32 v[0:1], v[0:1], v[34:35]
	s_or_b32 s5, vcc_lo, s5
	s_delay_alu instid0(SALU_CYCLE_1)
	s_and_not1_b32 exec_lo, exec_lo, s5
	s_cbranch_execnz .LBB10_167
; %bb.168:
	s_or_b32 exec_lo, exec_lo, s5
.LBB10_169:
	s_delay_alu instid0(SALU_CYCLE_1) | instskip(SKIP_4) | instid1(VALU_DEP_1)
	s_or_b32 exec_lo, exec_lo, s4
	v_mov_b32_e32 v29, 0
	ds_load_b64 v[32:33], v29 offset:56
	s_wait_dscnt 0x0
	v_pk_mul_f32 v[34:35], v[0:1], v[32:33] op_sel:[1,1] op_sel_hi:[0,1]
	v_pk_fma_f32 v[36:37], v[0:1], v[32:33], v[34:35] op_sel_hi:[1,0,1]
	v_pk_fma_f32 v[0:1], v[0:1], v[32:33], v[34:35] neg_lo:[0,0,1] neg_hi:[0,0,1]
	s_delay_alu instid0(VALU_DEP_2)
	v_mov_b32_e32 v1, v37
	ds_store_b64 v25, v[0:1] offset:56
.LBB10_170:
	s_or_b32 exec_lo, exec_lo, s0
	ds_load_b64 v[0:1], v25 offset:64
	s_mov_b32 s0, exec_lo
	s_wait_dscnt 0x0
	ds_store_b64 v26, v[0:1]
	s_wait_dscnt 0x0
	s_barrier_signal -1
	s_barrier_wait -1
	v_cmpx_gt_u32_e32 8, v30
	s_cbranch_execz .LBB10_180
; %bb.171:
	v_cmp_ne_u32_e32 vcc_lo, 1, v28
	s_cbranch_vccnz .LBB10_173
; %bb.172:
	ds_load_b64 v[0:1], v27
	ds_load_b64 v[32:33], v26
	s_wait_dscnt 0x0
	v_pk_mul_f32 v[34:35], v[32:33], v[0:1] op_sel:[1,1] op_sel_hi:[0,1]
	s_delay_alu instid0(VALU_DEP_1) | instskip(SKIP_1) | instid1(VALU_DEP_2)
	v_pk_fma_f32 v[36:37], v[32:33], v[0:1], v[34:35] op_sel_hi:[1,0,1]
	v_pk_fma_f32 v[0:1], v[32:33], v[0:1], v[34:35] neg_lo:[0,0,1] neg_hi:[0,0,1]
	v_mov_b32_e32 v1, v37
	s_cbranch_execz .LBB10_174
	s_branch .LBB10_175
.LBB10_173:
                                        ; implicit-def: $vgpr0_vgpr1
.LBB10_174:
	ds_load_b64 v[0:1], v26
.LBB10_175:
	s_mov_b32 s4, exec_lo
	v_cmpx_ne_u32_e32 7, v30
	s_cbranch_execz .LBB10_179
; %bb.176:
	v_add_nc_u32_e32 v29, 0x68, v24
	v_add3_u32 v32, v31, v24, 0xc8
	v_mov_b32_e32 v33, v30
	s_mov_b32 s5, 0
.LBB10_177:                             ; =>This Inner Loop Header: Depth=1
	ds_load_b64 v[34:35], v32
	ds_load_b64 v[36:37], v29
	v_dual_add_nc_u32 v29, 8, v29 :: v_dual_add_nc_u32 v32, 8, v32
	s_wait_dscnt 0x0
	v_pk_mul_f32 v[38:39], v[36:37], v[34:35] op_sel:[1,1] op_sel_hi:[0,1]
	s_delay_alu instid0(VALU_DEP_1) | instskip(SKIP_2) | instid1(VALU_DEP_3)
	v_pk_fma_f32 v[40:41], v[36:37], v[34:35], v[38:39] op_sel_hi:[1,0,1]
	v_add_nc_u32_e32 v33, 1, v33
	v_pk_fma_f32 v[34:35], v[36:37], v[34:35], v[38:39] neg_lo:[0,0,1] neg_hi:[0,0,1]
	v_mov_b32_e32 v35, v41
	s_delay_alu instid0(VALU_DEP_3) | instskip(NEXT) | instid1(VALU_DEP_2)
	v_cmp_lt_u32_e32 vcc_lo, 6, v33
	v_pk_add_f32 v[0:1], v[0:1], v[34:35]
	s_or_b32 s5, vcc_lo, s5
	s_delay_alu instid0(SALU_CYCLE_1)
	s_and_not1_b32 exec_lo, exec_lo, s5
	s_cbranch_execnz .LBB10_177
; %bb.178:
	s_or_b32 exec_lo, exec_lo, s5
.LBB10_179:
	s_delay_alu instid0(SALU_CYCLE_1) | instskip(SKIP_4) | instid1(VALU_DEP_1)
	s_or_b32 exec_lo, exec_lo, s4
	v_mov_b32_e32 v29, 0
	ds_load_b64 v[32:33], v29 offset:64
	s_wait_dscnt 0x0
	v_pk_mul_f32 v[34:35], v[0:1], v[32:33] op_sel:[1,1] op_sel_hi:[0,1]
	v_pk_fma_f32 v[36:37], v[0:1], v[32:33], v[34:35] op_sel_hi:[1,0,1]
	v_pk_fma_f32 v[0:1], v[0:1], v[32:33], v[34:35] neg_lo:[0,0,1] neg_hi:[0,0,1]
	s_delay_alu instid0(VALU_DEP_2)
	v_mov_b32_e32 v1, v37
	ds_store_b64 v25, v[0:1] offset:64
.LBB10_180:
	s_or_b32 exec_lo, exec_lo, s0
	ds_load_b64 v[0:1], v25 offset:72
	v_cmp_gt_u32_e64 s0, 9, v30
	s_wait_dscnt 0x0
	ds_store_b64 v26, v[0:1]
	s_wait_dscnt 0x0
	s_barrier_signal -1
	s_barrier_wait -1
	s_and_saveexec_b32 s4, s0
	s_cbranch_execz .LBB10_190
; %bb.181:
	v_cmp_ne_u32_e32 vcc_lo, 1, v28
	s_cbranch_vccnz .LBB10_183
; %bb.182:
	ds_load_b64 v[0:1], v27
	ds_load_b64 v[32:33], v26
	s_wait_dscnt 0x0
	v_pk_mul_f32 v[34:35], v[32:33], v[0:1] op_sel:[1,1] op_sel_hi:[0,1]
	s_delay_alu instid0(VALU_DEP_1) | instskip(SKIP_1) | instid1(VALU_DEP_2)
	v_pk_fma_f32 v[36:37], v[32:33], v[0:1], v[34:35] op_sel_hi:[1,0,1]
	v_pk_fma_f32 v[0:1], v[32:33], v[0:1], v[34:35] neg_lo:[0,0,1] neg_hi:[0,0,1]
	v_mov_b32_e32 v1, v37
	s_cbranch_execz .LBB10_184
	s_branch .LBB10_185
.LBB10_183:
                                        ; implicit-def: $vgpr0_vgpr1
.LBB10_184:
	ds_load_b64 v[0:1], v26
.LBB10_185:
	s_mov_b32 s5, exec_lo
	v_cmpx_ne_u32_e32 8, v30
	s_cbranch_execz .LBB10_189
; %bb.186:
	v_add_nc_u32_e32 v29, 0x68, v24
	v_add3_u32 v32, v31, v24, 0xc8
	v_mov_b32_e32 v33, v30
	s_mov_b32 s6, 0
.LBB10_187:                             ; =>This Inner Loop Header: Depth=1
	ds_load_b64 v[34:35], v32
	ds_load_b64 v[36:37], v29
	v_dual_add_nc_u32 v29, 8, v29 :: v_dual_add_nc_u32 v32, 8, v32
	s_wait_dscnt 0x0
	v_pk_mul_f32 v[38:39], v[36:37], v[34:35] op_sel:[1,1] op_sel_hi:[0,1]
	s_delay_alu instid0(VALU_DEP_1) | instskip(SKIP_2) | instid1(VALU_DEP_3)
	v_pk_fma_f32 v[40:41], v[36:37], v[34:35], v[38:39] op_sel_hi:[1,0,1]
	v_add_nc_u32_e32 v33, 1, v33
	v_pk_fma_f32 v[34:35], v[36:37], v[34:35], v[38:39] neg_lo:[0,0,1] neg_hi:[0,0,1]
	v_mov_b32_e32 v35, v41
	s_delay_alu instid0(VALU_DEP_3) | instskip(NEXT) | instid1(VALU_DEP_2)
	v_cmp_lt_u32_e32 vcc_lo, 7, v33
	v_pk_add_f32 v[0:1], v[0:1], v[34:35]
	s_or_b32 s6, vcc_lo, s6
	s_delay_alu instid0(SALU_CYCLE_1)
	s_and_not1_b32 exec_lo, exec_lo, s6
	s_cbranch_execnz .LBB10_187
; %bb.188:
	s_or_b32 exec_lo, exec_lo, s6
.LBB10_189:
	s_delay_alu instid0(SALU_CYCLE_1) | instskip(SKIP_4) | instid1(VALU_DEP_1)
	s_or_b32 exec_lo, exec_lo, s5
	v_mov_b32_e32 v29, 0
	ds_load_b64 v[32:33], v29 offset:72
	s_wait_dscnt 0x0
	v_pk_mul_f32 v[34:35], v[0:1], v[32:33] op_sel:[1,1] op_sel_hi:[0,1]
	v_pk_fma_f32 v[36:37], v[0:1], v[32:33], v[34:35] op_sel_hi:[1,0,1]
	v_pk_fma_f32 v[0:1], v[0:1], v[32:33], v[34:35] neg_lo:[0,0,1] neg_hi:[0,0,1]
	s_delay_alu instid0(VALU_DEP_2)
	v_mov_b32_e32 v1, v37
	ds_store_b64 v25, v[0:1] offset:72
.LBB10_190:
	s_or_b32 exec_lo, exec_lo, s4
	ds_load_b64 v[0:1], v25 offset:80
	s_mov_b32 s4, exec_lo
                                        ; implicit-def: $vgpr29
                                        ; implicit-def: $vgpr33
	s_wait_dscnt 0x0
	ds_store_b64 v26, v[0:1]
	s_wait_dscnt 0x0
	s_barrier_signal -1
	s_barrier_wait -1
	v_cmpx_ne_u32_e32 10, v30
	s_cbranch_execz .LBB10_200
; %bb.191:
	v_cmp_ne_u32_e32 vcc_lo, 1, v28
	s_cbranch_vccnz .LBB10_193
; %bb.192:
	ds_load_b64 v[28:29], v27
	ds_load_b64 v[32:33], v26
	s_wait_dscnt 0x0
	v_dual_mul_f32 v0, v33, v29 :: v_dual_mul_f32 v1, v32, v29
	s_delay_alu instid0(VALU_DEP_1)
	v_dual_fma_f32 v0, v32, v28, -v0 :: v_dual_fmac_f32 v1, v33, v28
	s_cbranch_execz .LBB10_194
	s_branch .LBB10_195
.LBB10_193:
                                        ; implicit-def: $vgpr1
.LBB10_194:
	ds_load_b64 v[0:1], v26
.LBB10_195:
	s_and_saveexec_b32 s5, s0
	s_cbranch_execz .LBB10_199
; %bb.196:
	v_add_nc_u32_e32 v26, 0x68, v24
	v_add3_u32 v24, v31, v24, 0xc8
	s_mov_b32 s0, 0
.LBB10_197:                             ; =>This Inner Loop Header: Depth=1
	ds_load_b64 v[28:29], v24
	ds_load_b64 v[32:33], v26
	s_wait_dscnt 0x0
	v_dual_mul_f32 v27, v33, v29 :: v_dual_add_nc_u32 v26, 8, v26
	v_dual_mul_f32 v29, v32, v29 :: v_dual_add_nc_u32 v30, 1, v30
	s_delay_alu instid0(VALU_DEP_1) | instskip(NEXT) | instid1(VALU_DEP_2)
	v_dual_fma_f32 v27, v32, v28, -v27 :: v_dual_fmac_f32 v29, v33, v28
	v_cmp_lt_u32_e32 vcc_lo, 8, v30
	s_delay_alu instid0(VALU_DEP_2) | instskip(NEXT) | instid1(VALU_DEP_3)
	v_dual_add_nc_u32 v24, 8, v24 :: v_dual_add_f32 v0, v0, v27
	v_add_f32_e32 v1, v1, v29
	s_or_b32 s0, vcc_lo, s0
	s_delay_alu instid0(SALU_CYCLE_1)
	s_and_not1_b32 exec_lo, exec_lo, s0
	s_cbranch_execnz .LBB10_197
; %bb.198:
	s_or_b32 exec_lo, exec_lo, s0
.LBB10_199:
	s_delay_alu instid0(SALU_CYCLE_1)
	s_or_b32 exec_lo, exec_lo, s5
	v_mov_b32_e32 v24, 0
	s_or_b32 s1, s1, exec_lo
	v_add_nc_u32_e32 v33, 0x54, v25
	ds_load_b64 v[26:27], v24 offset:80
	s_wait_dscnt 0x0
	v_dual_mul_f32 v24, v1, v27 :: v_dual_mul_f32 v29, v0, v27
	s_delay_alu instid0(VALU_DEP_1)
	v_dual_fma_f32 v0, v0, v26, -v24 :: v_dual_fmac_f32 v29, v1, v26
	ds_store_b32 v25, v0 offset:80
.LBB10_200:
	s_or_b32 exec_lo, exec_lo, s4
.LBB10_201:
	v_lshl_add_u64 v[0:1], v[6:7], 3, s[2:3]
	v_lshl_add_u64 v[6:7], v[8:9], 3, s[2:3]
	v_lshl_add_u64 v[8:9], v[10:11], 3, s[2:3]
	v_lshl_add_u64 v[10:11], v[12:13], 3, s[2:3]
	v_lshl_add_u64 v[12:13], v[14:15], 3, s[2:3]
	v_lshl_add_u64 v[14:15], v[16:17], 3, s[2:3]
	v_lshl_add_u64 v[16:17], v[18:19], 3, s[2:3]
	v_lshl_add_u64 v[18:19], v[20:21], 3, s[2:3]
	v_lshl_add_u64 v[20:21], v[22:23], 3, s[2:3]
	s_and_saveexec_b32 s0, s1
; %bb.202:
	ds_store_b32 v33, v29
; %bb.203:
	s_or_b32 exec_lo, exec_lo, s0
	ds_load_b128 v[26:29], v25
	ds_load_b128 v[30:33], v25 offset:16
	ds_load_b128 v[34:37], v25 offset:32
	;; [unrolled: 1-line block ×4, first 2 shown]
	ds_load_b64 v[22:23], v25 offset:80
	s_wait_dscnt 0x5
	s_clause 0x1
	global_store_b64 v[2:3], v[26:27], off
	global_store_b64 v[4:5], v[28:29], off
	s_wait_dscnt 0x4
	s_clause 0x1
	global_store_b64 v[0:1], v[30:31], off
	global_store_b64 v[6:7], v[32:33], off
	s_wait_dscnt 0x3
	s_clause 0x1
	global_store_b64 v[8:9], v[34:35], off
	global_store_b64 v[10:11], v[36:37], off
	s_wait_dscnt 0x2
	s_clause 0x1
	global_store_b64 v[12:13], v[38:39], off
	global_store_b64 v[14:15], v[40:41], off
	s_wait_dscnt 0x1
	s_clause 0x1
	global_store_b64 v[16:17], v[42:43], off
	global_store_b64 v[18:19], v[44:45], off
	s_wait_dscnt 0x0
	global_store_b64 v[20:21], v[22:23], off
.LBB10_204:
	s_endpgm
	.section	.rodata,"a",@progbits
	.p2align	6, 0x0
	.amdhsa_kernel _ZN9rocsolver6v33100L18trti2_kernel_smallILi11E19rocblas_complex_numIfEPS3_EEv13rocblas_fill_17rocblas_diagonal_T1_iil
		.amdhsa_group_segment_fixed_size 5824
		.amdhsa_private_segment_fixed_size 0
		.amdhsa_kernarg_size 32
		.amdhsa_user_sgpr_count 4
		.amdhsa_user_sgpr_dispatch_ptr 1
		.amdhsa_user_sgpr_queue_ptr 0
		.amdhsa_user_sgpr_kernarg_segment_ptr 1
		.amdhsa_user_sgpr_dispatch_id 0
		.amdhsa_user_sgpr_kernarg_preload_length 0
		.amdhsa_user_sgpr_kernarg_preload_offset 0
		.amdhsa_user_sgpr_private_segment_size 0
		.amdhsa_wavefront_size32 1
		.amdhsa_uses_dynamic_stack 0
		.amdhsa_enable_private_segment 0
		.amdhsa_system_sgpr_workgroup_id_x 1
		.amdhsa_system_sgpr_workgroup_id_y 0
		.amdhsa_system_sgpr_workgroup_id_z 0
		.amdhsa_system_sgpr_workgroup_info 0
		.amdhsa_system_vgpr_workitem_id 2
		.amdhsa_next_free_vgpr 52
		.amdhsa_next_free_sgpr 14
		.amdhsa_named_barrier_count 0
		.amdhsa_reserve_vcc 1
		.amdhsa_float_round_mode_32 0
		.amdhsa_float_round_mode_16_64 0
		.amdhsa_float_denorm_mode_32 3
		.amdhsa_float_denorm_mode_16_64 3
		.amdhsa_fp16_overflow 0
		.amdhsa_memory_ordered 1
		.amdhsa_forward_progress 1
		.amdhsa_inst_pref_size 61
		.amdhsa_round_robin_scheduling 0
		.amdhsa_exception_fp_ieee_invalid_op 0
		.amdhsa_exception_fp_denorm_src 0
		.amdhsa_exception_fp_ieee_div_zero 0
		.amdhsa_exception_fp_ieee_overflow 0
		.amdhsa_exception_fp_ieee_underflow 0
		.amdhsa_exception_fp_ieee_inexact 0
		.amdhsa_exception_int_div_zero 0
	.end_amdhsa_kernel
	.section	.text._ZN9rocsolver6v33100L18trti2_kernel_smallILi11E19rocblas_complex_numIfEPS3_EEv13rocblas_fill_17rocblas_diagonal_T1_iil,"axG",@progbits,_ZN9rocsolver6v33100L18trti2_kernel_smallILi11E19rocblas_complex_numIfEPS3_EEv13rocblas_fill_17rocblas_diagonal_T1_iil,comdat
.Lfunc_end10:
	.size	_ZN9rocsolver6v33100L18trti2_kernel_smallILi11E19rocblas_complex_numIfEPS3_EEv13rocblas_fill_17rocblas_diagonal_T1_iil, .Lfunc_end10-_ZN9rocsolver6v33100L18trti2_kernel_smallILi11E19rocblas_complex_numIfEPS3_EEv13rocblas_fill_17rocblas_diagonal_T1_iil
                                        ; -- End function
	.set _ZN9rocsolver6v33100L18trti2_kernel_smallILi11E19rocblas_complex_numIfEPS3_EEv13rocblas_fill_17rocblas_diagonal_T1_iil.num_vgpr, 52
	.set _ZN9rocsolver6v33100L18trti2_kernel_smallILi11E19rocblas_complex_numIfEPS3_EEv13rocblas_fill_17rocblas_diagonal_T1_iil.num_agpr, 0
	.set _ZN9rocsolver6v33100L18trti2_kernel_smallILi11E19rocblas_complex_numIfEPS3_EEv13rocblas_fill_17rocblas_diagonal_T1_iil.numbered_sgpr, 14
	.set _ZN9rocsolver6v33100L18trti2_kernel_smallILi11E19rocblas_complex_numIfEPS3_EEv13rocblas_fill_17rocblas_diagonal_T1_iil.num_named_barrier, 0
	.set _ZN9rocsolver6v33100L18trti2_kernel_smallILi11E19rocblas_complex_numIfEPS3_EEv13rocblas_fill_17rocblas_diagonal_T1_iil.private_seg_size, 0
	.set _ZN9rocsolver6v33100L18trti2_kernel_smallILi11E19rocblas_complex_numIfEPS3_EEv13rocblas_fill_17rocblas_diagonal_T1_iil.uses_vcc, 1
	.set _ZN9rocsolver6v33100L18trti2_kernel_smallILi11E19rocblas_complex_numIfEPS3_EEv13rocblas_fill_17rocblas_diagonal_T1_iil.uses_flat_scratch, 0
	.set _ZN9rocsolver6v33100L18trti2_kernel_smallILi11E19rocblas_complex_numIfEPS3_EEv13rocblas_fill_17rocblas_diagonal_T1_iil.has_dyn_sized_stack, 0
	.set _ZN9rocsolver6v33100L18trti2_kernel_smallILi11E19rocblas_complex_numIfEPS3_EEv13rocblas_fill_17rocblas_diagonal_T1_iil.has_recursion, 0
	.set _ZN9rocsolver6v33100L18trti2_kernel_smallILi11E19rocblas_complex_numIfEPS3_EEv13rocblas_fill_17rocblas_diagonal_T1_iil.has_indirect_call, 0
	.section	.AMDGPU.csdata,"",@progbits
; Kernel info:
; codeLenInByte = 7724
; TotalNumSgprs: 16
; NumVgprs: 52
; ScratchSize: 0
; MemoryBound: 0
; FloatMode: 240
; IeeeMode: 1
; LDSByteSize: 5824 bytes/workgroup (compile time only)
; SGPRBlocks: 0
; VGPRBlocks: 3
; NumSGPRsForWavesPerEU: 16
; NumVGPRsForWavesPerEU: 52
; NamedBarCnt: 0
; Occupancy: 14
; WaveLimiterHint : 0
; COMPUTE_PGM_RSRC2:SCRATCH_EN: 0
; COMPUTE_PGM_RSRC2:USER_SGPR: 4
; COMPUTE_PGM_RSRC2:TRAP_HANDLER: 0
; COMPUTE_PGM_RSRC2:TGID_X_EN: 1
; COMPUTE_PGM_RSRC2:TGID_Y_EN: 0
; COMPUTE_PGM_RSRC2:TGID_Z_EN: 0
; COMPUTE_PGM_RSRC2:TIDIG_COMP_CNT: 2
	.section	.text._ZN9rocsolver6v33100L18trti2_kernel_smallILi12E19rocblas_complex_numIfEPS3_EEv13rocblas_fill_17rocblas_diagonal_T1_iil,"axG",@progbits,_ZN9rocsolver6v33100L18trti2_kernel_smallILi12E19rocblas_complex_numIfEPS3_EEv13rocblas_fill_17rocblas_diagonal_T1_iil,comdat
	.globl	_ZN9rocsolver6v33100L18trti2_kernel_smallILi12E19rocblas_complex_numIfEPS3_EEv13rocblas_fill_17rocblas_diagonal_T1_iil ; -- Begin function _ZN9rocsolver6v33100L18trti2_kernel_smallILi12E19rocblas_complex_numIfEPS3_EEv13rocblas_fill_17rocblas_diagonal_T1_iil
	.p2align	8
	.type	_ZN9rocsolver6v33100L18trti2_kernel_smallILi12E19rocblas_complex_numIfEPS3_EEv13rocblas_fill_17rocblas_diagonal_T1_iil,@function
_ZN9rocsolver6v33100L18trti2_kernel_smallILi12E19rocblas_complex_numIfEPS3_EEv13rocblas_fill_17rocblas_diagonal_T1_iil: ; @_ZN9rocsolver6v33100L18trti2_kernel_smallILi12E19rocblas_complex_numIfEPS3_EEv13rocblas_fill_17rocblas_diagonal_T1_iil
; %bb.0:
	v_and_b32_e32 v32, 0x3ff, v0
	s_mov_b32 s4, exec_lo
	s_delay_alu instid0(VALU_DEP_1)
	v_cmpx_gt_u32_e32 12, v32
	s_cbranch_execz .LBB11_224
; %bb.1:
	s_load_b256 s[4:11], s[2:3], 0x0
	s_load_b64 s[12:13], s[0:1], 0x4
	s_wait_xcnt 0x0
	s_bfe_u32 s0, ttmp6, 0x4000c
	s_and_b32 s1, ttmp6, 15
	s_add_co_i32 s0, s0, 1
	s_getreg_b32 s2, hwreg(HW_REG_IB_STS2, 6, 4)
	s_mul_i32 s0, ttmp9, s0
	v_bfe_u32 v1, v0, 10, 10
	s_add_co_i32 s0, s1, s0
	v_bfe_u32 v0, v0, 20, 10
	v_dual_mov_b32 v27, 0 :: v_dual_lshlrev_b32 v26, 3, v32
	s_wait_kmcnt 0x0
	v_add3_u32 v6, s9, s9, v32
	s_lshr_b32 s12, s12, 16
	s_ashr_i32 s1, s8, 31
	s_cmp_eq_u32 s2, 0
	s_mul_i32 s12, s12, s13
	v_add_nc_u32_e32 v8, s9, v6
	s_cselect_b32 s2, ttmp9, s0
	s_mov_b32 s0, s8
	s_ashr_i32 s3, s2, 31
	s_lshl_b64 s[0:1], s[0:1], 3
	v_add_nc_u32_e32 v10, s9, v8
	s_mul_u64 s[2:3], s[10:11], s[2:3]
	v_mul_u32_u24_e32 v1, s13, v1
	s_lshl_b64 s[2:3], s[2:3], 3
	v_mul_u32_u24_e32 v7, s12, v32
	v_add_nc_u32_e32 v12, s9, v10
	s_add_nc_u64 s[2:3], s[6:7], s[2:3]
	s_delay_alu instid0(SALU_CYCLE_1) | instskip(SKIP_1) | instid1(VALU_DEP_1)
	s_add_nc_u64 s[6:7], s[2:3], s[0:1]
	s_mov_b32 s0, s9
	v_add_nc_u32_e32 v14, s9, v12
	v_add_nc_u64_e32 v[2:3], s[6:7], v[26:27]
	s_ashr_i32 s1, s9, 31
	v_add3_u32 v34, v7, v1, v0
	s_cmp_lg_u32 s5, 0x84
	v_add_nc_u32_e32 v16, s9, v14
	s_cselect_b32 s3, -1, 0
	s_delay_alu instid0(VALU_DEP_3)
	v_lshl_add_u64 v[4:5], s[0:1], 3, v[2:3]
	s_clause 0x3
	global_load_b64 v[28:29], v32, s[6:7] scale_offset
	global_load_b64 v[30:31], v[4:5], off
	global_load_b64 v[36:37], v6, s[6:7] scale_offset
	global_load_b64 v[38:39], v8, s[6:7] scale_offset
	v_add_nc_u32_e32 v18, s9, v16
	v_mul_lo_u32 v27, 0x60, v34
	s_mov_b32 s0, -1
	s_and_b32 vcc_lo, exec_lo, s3
	s_delay_alu instid0(VALU_DEP_2) | instskip(NEXT) | instid1(VALU_DEP_1)
	v_add_nc_u32_e32 v20, s9, v18
	v_add_nc_u32_e32 v22, s9, v20
	s_delay_alu instid0(VALU_DEP_3) | instskip(NEXT) | instid1(VALU_DEP_2)
	v_add_nc_u32_e32 v33, 0xc0, v27
	v_add_nc_u32_e32 v24, s9, v22
	s_clause 0x7
	global_load_b64 v[40:41], v10, s[6:7] scale_offset
	global_load_b64 v[42:43], v12, s[6:7] scale_offset
	;; [unrolled: 1-line block ×8, first 2 shown]
	s_wait_loadcnt 0xa
	ds_store_b128 v27, v[28:31] offset:192
	s_wait_loadcnt 0x8
	ds_store_b128 v27, v[36:39] offset:208
	s_wait_loadcnt 0x6
	ds_store_b128 v27, v[40:43] offset:224
	s_wait_loadcnt 0x4
	ds_store_b128 v27, v[44:47] offset:240
	s_wait_loadcnt 0x2
	ds_store_b128 v27, v[48:51] offset:256
	s_wait_loadcnt 0x0
	ds_store_b128 v27, v[52:55] offset:272
	s_cbranch_vccz .LBB11_7
; %bb.2:
	v_lshl_add_u32 v7, v32, 3, v33
                                        ; implicit-def: $vgpr31
                                        ; implicit-def: $vgpr28
	ds_load_b64 v[0:1], v7
	s_wait_dscnt 0x0
	v_cmp_ngt_f32_e64 s0, |v0|, |v1|
	s_and_saveexec_b32 s1, s0
	s_delay_alu instid0(SALU_CYCLE_1)
	s_xor_b32 s0, exec_lo, s1
	s_cbranch_execz .LBB11_4
; %bb.3:
	v_div_scale_f32 v9, null, v1, v1, v0
	v_div_scale_f32 v15, vcc_lo, v0, v1, v0
	s_delay_alu instid0(VALU_DEP_2) | instskip(SKIP_1) | instid1(TRANS32_DEP_1)
	v_rcp_f32_e32 v11, v9
	v_nop
	v_fma_f32 v13, -v9, v11, 1.0
	s_delay_alu instid0(VALU_DEP_1) | instskip(NEXT) | instid1(VALU_DEP_1)
	v_fmac_f32_e32 v11, v13, v11
	v_mul_f32_e32 v13, v15, v11
	s_delay_alu instid0(VALU_DEP_1) | instskip(NEXT) | instid1(VALU_DEP_1)
	v_fma_f32 v17, -v9, v13, v15
	v_fmac_f32_e32 v13, v17, v11
	s_delay_alu instid0(VALU_DEP_1) | instskip(NEXT) | instid1(VALU_DEP_1)
	v_fma_f32 v9, -v9, v13, v15
	v_div_fmas_f32 v9, v9, v11, v13
	s_delay_alu instid0(VALU_DEP_1) | instskip(NEXT) | instid1(VALU_DEP_1)
	v_div_fixup_f32 v9, v9, v1, v0
	v_fmac_f32_e32 v1, v0, v9
	s_delay_alu instid0(VALU_DEP_1) | instskip(NEXT) | instid1(VALU_DEP_1)
	v_div_scale_f32 v0, null, v1, v1, -1.0
	v_rcp_f32_e32 v11, v0
	v_nop
	s_delay_alu instid0(TRANS32_DEP_1) | instskip(NEXT) | instid1(VALU_DEP_1)
	v_fma_f32 v13, -v0, v11, 1.0
	v_fmac_f32_e32 v11, v13, v11
	v_div_scale_f32 v13, vcc_lo, -1.0, v1, -1.0
	s_delay_alu instid0(VALU_DEP_1) | instskip(NEXT) | instid1(VALU_DEP_1)
	v_mul_f32_e32 v15, v13, v11
	v_fma_f32 v17, -v0, v15, v13
	s_delay_alu instid0(VALU_DEP_1) | instskip(NEXT) | instid1(VALU_DEP_1)
	v_fmac_f32_e32 v15, v17, v11
	v_fma_f32 v0, -v0, v15, v13
	s_delay_alu instid0(VALU_DEP_1) | instskip(NEXT) | instid1(VALU_DEP_1)
	v_div_fmas_f32 v0, v0, v11, v15
	v_div_fixup_f32 v31, v0, v1, -1.0
                                        ; implicit-def: $vgpr0_vgpr1
	s_delay_alu instid0(VALU_DEP_1) | instskip(NEXT) | instid1(VALU_DEP_1)
	v_mul_f32_e32 v28, v9, v31
	v_xor_b32_e32 v30, 0x80000000, v28
.LBB11_4:
	s_and_not1_saveexec_b32 s0, s0
	s_cbranch_execz .LBB11_6
; %bb.5:
	v_div_scale_f32 v9, null, v0, v0, v1
	v_div_scale_f32 v15, vcc_lo, v1, v0, v1
	s_delay_alu instid0(VALU_DEP_2) | instskip(SKIP_1) | instid1(TRANS32_DEP_1)
	v_rcp_f32_e32 v11, v9
	v_nop
	v_fma_f32 v13, -v9, v11, 1.0
	s_delay_alu instid0(VALU_DEP_1) | instskip(NEXT) | instid1(VALU_DEP_1)
	v_fmac_f32_e32 v11, v13, v11
	v_mul_f32_e32 v13, v15, v11
	s_delay_alu instid0(VALU_DEP_1) | instskip(NEXT) | instid1(VALU_DEP_1)
	v_fma_f32 v17, -v9, v13, v15
	v_fmac_f32_e32 v13, v17, v11
	s_delay_alu instid0(VALU_DEP_1) | instskip(NEXT) | instid1(VALU_DEP_1)
	v_fma_f32 v9, -v9, v13, v15
	v_div_fmas_f32 v9, v9, v11, v13
	s_delay_alu instid0(VALU_DEP_1) | instskip(NEXT) | instid1(VALU_DEP_1)
	v_div_fixup_f32 v9, v9, v0, v1
	v_fmac_f32_e32 v0, v1, v9
	s_delay_alu instid0(VALU_DEP_1) | instskip(SKIP_1) | instid1(VALU_DEP_2)
	v_div_scale_f32 v1, null, v0, v0, 1.0
	v_div_scale_f32 v15, vcc_lo, 1.0, v0, 1.0
	v_rcp_f32_e32 v11, v1
	v_nop
	s_delay_alu instid0(TRANS32_DEP_1) | instskip(NEXT) | instid1(VALU_DEP_1)
	v_fma_f32 v13, -v1, v11, 1.0
	v_fmac_f32_e32 v11, v13, v11
	s_delay_alu instid0(VALU_DEP_1) | instskip(NEXT) | instid1(VALU_DEP_1)
	v_mul_f32_e32 v13, v15, v11
	v_fma_f32 v17, -v1, v13, v15
	s_delay_alu instid0(VALU_DEP_1) | instskip(NEXT) | instid1(VALU_DEP_1)
	v_fmac_f32_e32 v13, v17, v11
	v_fma_f32 v1, -v1, v13, v15
	s_delay_alu instid0(VALU_DEP_1) | instskip(NEXT) | instid1(VALU_DEP_1)
	v_div_fmas_f32 v1, v1, v11, v13
	v_div_fixup_f32 v30, v1, v0, 1.0
	s_delay_alu instid0(VALU_DEP_1)
	v_xor_b32_e32 v28, 0x80000000, v30
	v_mul_f32_e64 v31, v9, -v30
.LBB11_6:
	s_or_b32 exec_lo, exec_lo, s0
	s_delay_alu instid0(VALU_DEP_1)
	v_xor_b32_e32 v29, 0x80000000, v31
	s_mov_b32 s0, 0
	ds_store_b64 v7, v[30:31]
	ds_store_b64 v26, v[28:29]
.LBB11_7:
	s_and_b32 vcc_lo, exec_lo, s0
	s_cbranch_vccz .LBB11_9
; %bb.8:
	s_mov_b64 s[0:1], 0xbf800000
	s_delay_alu instid0(SALU_CYCLE_1)
	v_mov_b64_e32 v[0:1], s[0:1]
	ds_store_b64 v26, v[0:1]
.LBB11_9:
	v_dual_ashrrev_i32 v7, 31, v6 :: v_dual_ashrrev_i32 v9, 31, v8
	v_dual_ashrrev_i32 v11, 31, v10 :: v_dual_ashrrev_i32 v13, 31, v12
	;; [unrolled: 1-line block ×5, first 2 shown]
	v_add_nc_u32_e32 v28, 0x60, v26
	v_add_nc_u32_e32 v29, v33, v26
	s_cmp_eq_u32 s4, 0x79
	s_cbranch_scc1 .LBB11_13
; %bb.10:
	ds_load_b64 v[0:1], v33 offset:80
	v_cmp_eq_u32_e64 s0, 11, v32
	s_wait_dscnt 0x0
	ds_store_b64 v28, v[0:1]
	s_wait_dscnt 0x0
	s_barrier_signal -1
	s_barrier_wait -1
	s_and_saveexec_b32 s1, s0
	s_cbranch_execz .LBB11_17
; %bb.11:
	s_and_b32 vcc_lo, exec_lo, s3
	s_cbranch_vccz .LBB11_14
; %bb.12:
	ds_load_b64 v[0:1], v29
	ds_load_b64 v[30:31], v28
	s_wait_dscnt 0x0
	v_pk_mul_f32 v[36:37], v[30:31], v[0:1] op_sel:[1,1] op_sel_hi:[0,1]
	v_pk_mul_f32 v[38:39], v[30:31], v[0:1] op_sel_hi:[1,0]
	s_delay_alu instid0(VALU_DEP_2) | instskip(NEXT) | instid1(VALU_DEP_2)
	v_pk_fma_f32 v[0:1], v[30:31], v[0:1], v[36:37] op_sel_hi:[1,0,1]
	v_sub_f32_e32 v0, v38, v36
	s_cbranch_execz .LBB11_15
	s_branch .LBB11_16
.LBB11_13:
	s_mov_b32 s1, 0
                                        ; implicit-def: $vgpr31
                                        ; implicit-def: $vgpr35
	s_cbranch_execnz .LBB11_116
	s_branch .LBB11_221
.LBB11_14:
                                        ; implicit-def: $vgpr1
.LBB11_15:
	ds_load_b64 v[0:1], v28
.LBB11_16:
	s_wait_dscnt 0x0
	v_dual_mov_b32 v30, 0 :: v_dual_mov_b32 v36, v1
	v_mov_b32_e32 v37, v0
	ds_load_b64 v[30:31], v30 offset:80
	s_wait_dscnt 0x0
	v_pk_mul_f32 v[36:37], v[36:37], v[30:31] op_sel:[0,1]
	s_delay_alu instid0(VALU_DEP_1) | instskip(SKIP_1) | instid1(VALU_DEP_2)
	v_pk_fma_f32 v[38:39], v[0:1], v[30:31], v[36:37] op_sel_hi:[1,0,1]
	v_pk_fma_f32 v[0:1], v[0:1], v[30:31], v[36:37] neg_lo:[0,0,1] neg_hi:[0,0,1]
	v_mov_b32_e32 v1, v39
	ds_store_b64 v33, v[0:1] offset:80
.LBB11_17:
	s_or_b32 exec_lo, exec_lo, s1
	ds_load_b64 v[0:1], v33 offset:72
	v_cmp_lt_u32_e64 s1, 9, v32
	s_wait_dscnt 0x0
	ds_store_b64 v28, v[0:1]
	s_wait_dscnt 0x0
	s_barrier_signal -1
	s_barrier_wait -1
	s_and_saveexec_b32 s2, s1
	s_cbranch_execz .LBB11_25
; %bb.18:
	s_and_not1_b32 vcc_lo, exec_lo, s3
	s_cbranch_vccnz .LBB11_20
; %bb.19:
	ds_load_b64 v[0:1], v29
	ds_load_b64 v[30:31], v28
	s_wait_dscnt 0x0
	v_pk_mul_f32 v[36:37], v[30:31], v[0:1] op_sel:[1,1] op_sel_hi:[0,1]
	s_delay_alu instid0(VALU_DEP_1) | instskip(SKIP_1) | instid1(VALU_DEP_2)
	v_pk_fma_f32 v[38:39], v[30:31], v[0:1], v[36:37] op_sel_hi:[1,0,1]
	v_pk_fma_f32 v[0:1], v[30:31], v[0:1], v[36:37] neg_lo:[0,0,1] neg_hi:[0,0,1]
	v_mov_b32_e32 v1, v39
	s_cbranch_execz .LBB11_21
	s_branch .LBB11_22
.LBB11_20:
                                        ; implicit-def: $vgpr0_vgpr1
.LBB11_21:
	ds_load_b64 v[0:1], v28
.LBB11_22:
	s_and_saveexec_b32 s4, s0
	s_cbranch_execz .LBB11_24
; %bb.23:
	v_mov_b32_e32 v35, 0
	ds_load_b64 v[30:31], v33 offset:80
	ds_load_b64 v[36:37], v35 offset:176
	s_wait_dscnt 0x0
	v_pk_mul_f32 v[38:39], v[36:37], v[30:31] op_sel:[1,1] op_sel_hi:[0,1]
	s_delay_alu instid0(VALU_DEP_1) | instskip(SKIP_1) | instid1(VALU_DEP_2)
	v_pk_fma_f32 v[40:41], v[36:37], v[30:31], v[38:39] op_sel_hi:[1,0,1]
	v_pk_fma_f32 v[30:31], v[36:37], v[30:31], v[38:39] neg_lo:[0,0,1] neg_hi:[0,0,1]
	v_mov_b32_e32 v31, v41
	s_delay_alu instid0(VALU_DEP_1)
	v_pk_add_f32 v[0:1], v[0:1], v[30:31]
.LBB11_24:
	s_or_b32 exec_lo, exec_lo, s4
	v_mov_b32_e32 v30, 0
	ds_load_b64 v[30:31], v30 offset:72
	s_wait_dscnt 0x0
	v_pk_mul_f32 v[36:37], v[0:1], v[30:31] op_sel:[1,1] op_sel_hi:[0,1]
	s_delay_alu instid0(VALU_DEP_1) | instskip(SKIP_1) | instid1(VALU_DEP_2)
	v_pk_fma_f32 v[38:39], v[0:1], v[30:31], v[36:37] op_sel_hi:[1,0,1]
	v_pk_fma_f32 v[0:1], v[0:1], v[30:31], v[36:37] neg_lo:[0,0,1] neg_hi:[0,0,1]
	v_mov_b32_e32 v1, v39
	ds_store_b64 v33, v[0:1] offset:72
.LBB11_25:
	s_or_b32 exec_lo, exec_lo, s2
	ds_load_b64 v[0:1], v33 offset:64
	v_cmp_lt_u32_e64 s0, 8, v32
	s_wait_dscnt 0x0
	ds_store_b64 v28, v[0:1]
	s_wait_dscnt 0x0
	s_barrier_signal -1
	s_barrier_wait -1
	s_and_saveexec_b32 s2, s0
	s_cbranch_execz .LBB11_35
; %bb.26:
	s_and_not1_b32 vcc_lo, exec_lo, s3
	s_cbranch_vccnz .LBB11_28
; %bb.27:
	ds_load_b64 v[0:1], v29
	ds_load_b64 v[30:31], v28
	s_wait_dscnt 0x0
	v_pk_mul_f32 v[36:37], v[30:31], v[0:1] op_sel:[1,1] op_sel_hi:[0,1]
	s_delay_alu instid0(VALU_DEP_1) | instskip(SKIP_1) | instid1(VALU_DEP_2)
	v_pk_fma_f32 v[38:39], v[30:31], v[0:1], v[36:37] op_sel_hi:[1,0,1]
	v_pk_fma_f32 v[0:1], v[30:31], v[0:1], v[36:37] neg_lo:[0,0,1] neg_hi:[0,0,1]
	v_mov_b32_e32 v1, v39
	s_cbranch_execz .LBB11_29
	s_branch .LBB11_30
.LBB11_28:
                                        ; implicit-def: $vgpr0_vgpr1
.LBB11_29:
	ds_load_b64 v[0:1], v28
.LBB11_30:
	s_and_saveexec_b32 s4, s1
	s_cbranch_execz .LBB11_34
; %bb.31:
	s_movk_i32 s1, 0x60
	v_add_nc_u32_e32 v31, -9, v32
	v_mad_u32 v30, v34, s1, 0x108
	s_movk_i32 s5, 0xa8
	s_mov_b32 s1, 0
.LBB11_32:                              ; =>This Inner Loop Header: Depth=1
	s_delay_alu instid0(VALU_DEP_2)
	v_dual_mov_b32 v35, s5 :: v_dual_add_nc_u32 v31, -1, v31
	s_add_co_i32 s5, s5, 8
	ds_load_b64 v[36:37], v30
	ds_load_b64 v[38:39], v35
	v_add_nc_u32_e32 v30, 8, v30
	v_cmp_eq_u32_e32 vcc_lo, 0, v31
	s_or_b32 s1, vcc_lo, s1
	s_wait_dscnt 0x0
	v_pk_mul_f32 v[40:41], v[38:39], v[36:37] op_sel:[1,1] op_sel_hi:[0,1]
	s_delay_alu instid0(VALU_DEP_1) | instskip(SKIP_1) | instid1(VALU_DEP_2)
	v_pk_fma_f32 v[42:43], v[38:39], v[36:37], v[40:41] op_sel_hi:[1,0,1]
	v_pk_fma_f32 v[36:37], v[38:39], v[36:37], v[40:41] neg_lo:[0,0,1] neg_hi:[0,0,1]
	v_mov_b32_e32 v37, v43
	s_delay_alu instid0(VALU_DEP_1)
	v_pk_add_f32 v[0:1], v[0:1], v[36:37]
	s_and_not1_b32 exec_lo, exec_lo, s1
	s_cbranch_execnz .LBB11_32
; %bb.33:
	s_or_b32 exec_lo, exec_lo, s1
.LBB11_34:
	s_delay_alu instid0(SALU_CYCLE_1) | instskip(SKIP_4) | instid1(VALU_DEP_1)
	s_or_b32 exec_lo, exec_lo, s4
	v_mov_b32_e32 v30, 0
	ds_load_b64 v[30:31], v30 offset:64
	s_wait_dscnt 0x0
	v_pk_mul_f32 v[36:37], v[0:1], v[30:31] op_sel:[1,1] op_sel_hi:[0,1]
	v_pk_fma_f32 v[38:39], v[0:1], v[30:31], v[36:37] op_sel_hi:[1,0,1]
	v_pk_fma_f32 v[0:1], v[0:1], v[30:31], v[36:37] neg_lo:[0,0,1] neg_hi:[0,0,1]
	s_delay_alu instid0(VALU_DEP_2)
	v_mov_b32_e32 v1, v39
	ds_store_b64 v33, v[0:1] offset:64
.LBB11_35:
	s_or_b32 exec_lo, exec_lo, s2
	ds_load_b64 v[0:1], v33 offset:56
	v_cmp_lt_u32_e64 s1, 7, v32
	s_wait_dscnt 0x0
	ds_store_b64 v28, v[0:1]
	s_wait_dscnt 0x0
	s_barrier_signal -1
	s_barrier_wait -1
	s_and_saveexec_b32 s2, s1
	s_cbranch_execz .LBB11_45
; %bb.36:
	s_and_not1_b32 vcc_lo, exec_lo, s3
	s_cbranch_vccnz .LBB11_38
; %bb.37:
	ds_load_b64 v[0:1], v29
	ds_load_b64 v[30:31], v28
	s_wait_dscnt 0x0
	v_pk_mul_f32 v[36:37], v[30:31], v[0:1] op_sel:[1,1] op_sel_hi:[0,1]
	s_delay_alu instid0(VALU_DEP_1) | instskip(SKIP_1) | instid1(VALU_DEP_2)
	v_pk_fma_f32 v[38:39], v[30:31], v[0:1], v[36:37] op_sel_hi:[1,0,1]
	v_pk_fma_f32 v[0:1], v[30:31], v[0:1], v[36:37] neg_lo:[0,0,1] neg_hi:[0,0,1]
	v_mov_b32_e32 v1, v39
	s_cbranch_execz .LBB11_39
	s_branch .LBB11_40
.LBB11_38:
                                        ; implicit-def: $vgpr0_vgpr1
.LBB11_39:
	ds_load_b64 v[0:1], v28
.LBB11_40:
	s_and_saveexec_b32 s4, s0
	s_cbranch_execz .LBB11_44
; %bb.41:
	s_movk_i32 s0, 0x60
	v_add_nc_u32_e32 v31, -8, v32
	v_mad_u32 v30, v34, s0, 0x100
	s_movk_i32 s5, 0xa0
	s_mov_b32 s0, 0
.LBB11_42:                              ; =>This Inner Loop Header: Depth=1
	s_delay_alu instid0(VALU_DEP_2)
	v_dual_mov_b32 v35, s5 :: v_dual_add_nc_u32 v31, -1, v31
	s_add_co_i32 s5, s5, 8
	ds_load_b64 v[36:37], v30
	ds_load_b64 v[38:39], v35
	v_add_nc_u32_e32 v30, 8, v30
	v_cmp_eq_u32_e32 vcc_lo, 0, v31
	s_or_b32 s0, vcc_lo, s0
	s_wait_dscnt 0x0
	v_pk_mul_f32 v[40:41], v[38:39], v[36:37] op_sel:[1,1] op_sel_hi:[0,1]
	s_delay_alu instid0(VALU_DEP_1) | instskip(SKIP_1) | instid1(VALU_DEP_2)
	v_pk_fma_f32 v[42:43], v[38:39], v[36:37], v[40:41] op_sel_hi:[1,0,1]
	v_pk_fma_f32 v[36:37], v[38:39], v[36:37], v[40:41] neg_lo:[0,0,1] neg_hi:[0,0,1]
	v_mov_b32_e32 v37, v43
	s_delay_alu instid0(VALU_DEP_1)
	v_pk_add_f32 v[0:1], v[0:1], v[36:37]
	s_and_not1_b32 exec_lo, exec_lo, s0
	s_cbranch_execnz .LBB11_42
; %bb.43:
	s_or_b32 exec_lo, exec_lo, s0
.LBB11_44:
	s_delay_alu instid0(SALU_CYCLE_1) | instskip(SKIP_4) | instid1(VALU_DEP_1)
	s_or_b32 exec_lo, exec_lo, s4
	v_mov_b32_e32 v30, 0
	ds_load_b64 v[30:31], v30 offset:56
	s_wait_dscnt 0x0
	v_pk_mul_f32 v[36:37], v[0:1], v[30:31] op_sel:[1,1] op_sel_hi:[0,1]
	v_pk_fma_f32 v[38:39], v[0:1], v[30:31], v[36:37] op_sel_hi:[1,0,1]
	v_pk_fma_f32 v[0:1], v[0:1], v[30:31], v[36:37] neg_lo:[0,0,1] neg_hi:[0,0,1]
	s_delay_alu instid0(VALU_DEP_2)
	v_mov_b32_e32 v1, v39
	ds_store_b64 v33, v[0:1] offset:56
.LBB11_45:
	s_or_b32 exec_lo, exec_lo, s2
	ds_load_b64 v[0:1], v33 offset:48
	v_cmp_lt_u32_e64 s0, 6, v32
	s_wait_dscnt 0x0
	ds_store_b64 v28, v[0:1]
	s_wait_dscnt 0x0
	s_barrier_signal -1
	s_barrier_wait -1
	s_and_saveexec_b32 s2, s0
	s_cbranch_execz .LBB11_55
; %bb.46:
	s_and_not1_b32 vcc_lo, exec_lo, s3
	s_cbranch_vccnz .LBB11_48
; %bb.47:
	ds_load_b64 v[0:1], v29
	ds_load_b64 v[30:31], v28
	s_wait_dscnt 0x0
	v_pk_mul_f32 v[36:37], v[30:31], v[0:1] op_sel:[1,1] op_sel_hi:[0,1]
	s_delay_alu instid0(VALU_DEP_1) | instskip(SKIP_1) | instid1(VALU_DEP_2)
	v_pk_fma_f32 v[38:39], v[30:31], v[0:1], v[36:37] op_sel_hi:[1,0,1]
	v_pk_fma_f32 v[0:1], v[30:31], v[0:1], v[36:37] neg_lo:[0,0,1] neg_hi:[0,0,1]
	v_mov_b32_e32 v1, v39
	s_cbranch_execz .LBB11_49
	s_branch .LBB11_50
.LBB11_48:
                                        ; implicit-def: $vgpr0_vgpr1
.LBB11_49:
	ds_load_b64 v[0:1], v28
.LBB11_50:
	s_and_saveexec_b32 s4, s1
	s_cbranch_execz .LBB11_54
; %bb.51:
	s_movk_i32 s1, 0x60
	v_add_nc_u32_e32 v31, -7, v32
	v_mad_u32 v30, v34, s1, 0xf8
	s_movk_i32 s5, 0x98
	s_mov_b32 s1, 0
.LBB11_52:                              ; =>This Inner Loop Header: Depth=1
	s_delay_alu instid0(VALU_DEP_2)
	v_dual_mov_b32 v35, s5 :: v_dual_add_nc_u32 v31, -1, v31
	s_add_co_i32 s5, s5, 8
	ds_load_b64 v[36:37], v30
	ds_load_b64 v[38:39], v35
	v_add_nc_u32_e32 v30, 8, v30
	v_cmp_eq_u32_e32 vcc_lo, 0, v31
	s_or_b32 s1, vcc_lo, s1
	s_wait_dscnt 0x0
	v_pk_mul_f32 v[40:41], v[38:39], v[36:37] op_sel:[1,1] op_sel_hi:[0,1]
	s_delay_alu instid0(VALU_DEP_1) | instskip(SKIP_1) | instid1(VALU_DEP_2)
	v_pk_fma_f32 v[42:43], v[38:39], v[36:37], v[40:41] op_sel_hi:[1,0,1]
	v_pk_fma_f32 v[36:37], v[38:39], v[36:37], v[40:41] neg_lo:[0,0,1] neg_hi:[0,0,1]
	v_mov_b32_e32 v37, v43
	s_delay_alu instid0(VALU_DEP_1)
	v_pk_add_f32 v[0:1], v[0:1], v[36:37]
	s_and_not1_b32 exec_lo, exec_lo, s1
	s_cbranch_execnz .LBB11_52
; %bb.53:
	s_or_b32 exec_lo, exec_lo, s1
.LBB11_54:
	s_delay_alu instid0(SALU_CYCLE_1) | instskip(SKIP_4) | instid1(VALU_DEP_1)
	s_or_b32 exec_lo, exec_lo, s4
	v_mov_b32_e32 v30, 0
	ds_load_b64 v[30:31], v30 offset:48
	s_wait_dscnt 0x0
	v_pk_mul_f32 v[36:37], v[0:1], v[30:31] op_sel:[1,1] op_sel_hi:[0,1]
	v_pk_fma_f32 v[38:39], v[0:1], v[30:31], v[36:37] op_sel_hi:[1,0,1]
	v_pk_fma_f32 v[0:1], v[0:1], v[30:31], v[36:37] neg_lo:[0,0,1] neg_hi:[0,0,1]
	s_delay_alu instid0(VALU_DEP_2)
	v_mov_b32_e32 v1, v39
	ds_store_b64 v33, v[0:1] offset:48
.LBB11_55:
	s_or_b32 exec_lo, exec_lo, s2
	ds_load_b64 v[0:1], v33 offset:40
	v_cmp_lt_u32_e64 s1, 5, v32
	s_wait_dscnt 0x0
	ds_store_b64 v28, v[0:1]
	s_wait_dscnt 0x0
	s_barrier_signal -1
	s_barrier_wait -1
	s_and_saveexec_b32 s2, s1
	s_cbranch_execz .LBB11_65
; %bb.56:
	s_and_not1_b32 vcc_lo, exec_lo, s3
	s_cbranch_vccnz .LBB11_58
; %bb.57:
	ds_load_b64 v[0:1], v29
	ds_load_b64 v[30:31], v28
	s_wait_dscnt 0x0
	v_pk_mul_f32 v[36:37], v[30:31], v[0:1] op_sel:[1,1] op_sel_hi:[0,1]
	s_delay_alu instid0(VALU_DEP_1) | instskip(SKIP_1) | instid1(VALU_DEP_2)
	v_pk_fma_f32 v[38:39], v[30:31], v[0:1], v[36:37] op_sel_hi:[1,0,1]
	v_pk_fma_f32 v[0:1], v[30:31], v[0:1], v[36:37] neg_lo:[0,0,1] neg_hi:[0,0,1]
	v_mov_b32_e32 v1, v39
	s_cbranch_execz .LBB11_59
	s_branch .LBB11_60
.LBB11_58:
                                        ; implicit-def: $vgpr0_vgpr1
.LBB11_59:
	ds_load_b64 v[0:1], v28
.LBB11_60:
	s_and_saveexec_b32 s4, s0
	s_cbranch_execz .LBB11_64
; %bb.61:
	s_movk_i32 s0, 0x60
	v_add_nc_u32_e32 v31, -6, v32
	v_mad_u32 v30, v34, s0, 0xf0
	s_movk_i32 s5, 0x90
	s_mov_b32 s0, 0
.LBB11_62:                              ; =>This Inner Loop Header: Depth=1
	s_delay_alu instid0(VALU_DEP_2)
	v_dual_mov_b32 v35, s5 :: v_dual_add_nc_u32 v31, -1, v31
	s_add_co_i32 s5, s5, 8
	ds_load_b64 v[36:37], v30
	ds_load_b64 v[38:39], v35
	v_add_nc_u32_e32 v30, 8, v30
	v_cmp_eq_u32_e32 vcc_lo, 0, v31
	s_or_b32 s0, vcc_lo, s0
	s_wait_dscnt 0x0
	v_pk_mul_f32 v[40:41], v[38:39], v[36:37] op_sel:[1,1] op_sel_hi:[0,1]
	s_delay_alu instid0(VALU_DEP_1) | instskip(SKIP_1) | instid1(VALU_DEP_2)
	v_pk_fma_f32 v[42:43], v[38:39], v[36:37], v[40:41] op_sel_hi:[1,0,1]
	v_pk_fma_f32 v[36:37], v[38:39], v[36:37], v[40:41] neg_lo:[0,0,1] neg_hi:[0,0,1]
	v_mov_b32_e32 v37, v43
	s_delay_alu instid0(VALU_DEP_1)
	v_pk_add_f32 v[0:1], v[0:1], v[36:37]
	s_and_not1_b32 exec_lo, exec_lo, s0
	s_cbranch_execnz .LBB11_62
; %bb.63:
	s_or_b32 exec_lo, exec_lo, s0
.LBB11_64:
	s_delay_alu instid0(SALU_CYCLE_1) | instskip(SKIP_4) | instid1(VALU_DEP_1)
	s_or_b32 exec_lo, exec_lo, s4
	v_mov_b32_e32 v30, 0
	ds_load_b64 v[30:31], v30 offset:40
	s_wait_dscnt 0x0
	v_pk_mul_f32 v[36:37], v[0:1], v[30:31] op_sel:[1,1] op_sel_hi:[0,1]
	v_pk_fma_f32 v[38:39], v[0:1], v[30:31], v[36:37] op_sel_hi:[1,0,1]
	v_pk_fma_f32 v[0:1], v[0:1], v[30:31], v[36:37] neg_lo:[0,0,1] neg_hi:[0,0,1]
	s_delay_alu instid0(VALU_DEP_2)
	v_mov_b32_e32 v1, v39
	ds_store_b64 v33, v[0:1] offset:40
.LBB11_65:
	s_or_b32 exec_lo, exec_lo, s2
	ds_load_b64 v[0:1], v33 offset:32
	v_cmp_lt_u32_e64 s0, 4, v32
	s_wait_dscnt 0x0
	ds_store_b64 v28, v[0:1]
	s_wait_dscnt 0x0
	s_barrier_signal -1
	s_barrier_wait -1
	s_and_saveexec_b32 s2, s0
	s_cbranch_execz .LBB11_75
; %bb.66:
	s_and_not1_b32 vcc_lo, exec_lo, s3
	s_cbranch_vccnz .LBB11_68
; %bb.67:
	ds_load_b64 v[0:1], v29
	ds_load_b64 v[30:31], v28
	s_wait_dscnt 0x0
	v_pk_mul_f32 v[36:37], v[30:31], v[0:1] op_sel:[1,1] op_sel_hi:[0,1]
	s_delay_alu instid0(VALU_DEP_1) | instskip(SKIP_1) | instid1(VALU_DEP_2)
	v_pk_fma_f32 v[38:39], v[30:31], v[0:1], v[36:37] op_sel_hi:[1,0,1]
	v_pk_fma_f32 v[0:1], v[30:31], v[0:1], v[36:37] neg_lo:[0,0,1] neg_hi:[0,0,1]
	v_mov_b32_e32 v1, v39
	s_cbranch_execz .LBB11_69
	s_branch .LBB11_70
.LBB11_68:
                                        ; implicit-def: $vgpr0_vgpr1
.LBB11_69:
	ds_load_b64 v[0:1], v28
.LBB11_70:
	s_and_saveexec_b32 s4, s1
	s_cbranch_execz .LBB11_74
; %bb.71:
	s_movk_i32 s1, 0x60
	v_add_nc_u32_e32 v31, -5, v32
	v_mad_u32 v30, v34, s1, 0xe8
	s_movk_i32 s5, 0x88
	s_mov_b32 s1, 0
.LBB11_72:                              ; =>This Inner Loop Header: Depth=1
	s_delay_alu instid0(VALU_DEP_2)
	v_dual_mov_b32 v35, s5 :: v_dual_add_nc_u32 v31, -1, v31
	s_add_co_i32 s5, s5, 8
	ds_load_b64 v[36:37], v30
	ds_load_b64 v[38:39], v35
	v_add_nc_u32_e32 v30, 8, v30
	v_cmp_eq_u32_e32 vcc_lo, 0, v31
	s_or_b32 s1, vcc_lo, s1
	s_wait_dscnt 0x0
	v_pk_mul_f32 v[40:41], v[38:39], v[36:37] op_sel:[1,1] op_sel_hi:[0,1]
	s_delay_alu instid0(VALU_DEP_1) | instskip(SKIP_1) | instid1(VALU_DEP_2)
	v_pk_fma_f32 v[42:43], v[38:39], v[36:37], v[40:41] op_sel_hi:[1,0,1]
	v_pk_fma_f32 v[36:37], v[38:39], v[36:37], v[40:41] neg_lo:[0,0,1] neg_hi:[0,0,1]
	v_mov_b32_e32 v37, v43
	s_delay_alu instid0(VALU_DEP_1)
	v_pk_add_f32 v[0:1], v[0:1], v[36:37]
	s_and_not1_b32 exec_lo, exec_lo, s1
	s_cbranch_execnz .LBB11_72
; %bb.73:
	s_or_b32 exec_lo, exec_lo, s1
.LBB11_74:
	s_delay_alu instid0(SALU_CYCLE_1) | instskip(SKIP_4) | instid1(VALU_DEP_1)
	s_or_b32 exec_lo, exec_lo, s4
	v_mov_b32_e32 v30, 0
	ds_load_b64 v[30:31], v30 offset:32
	s_wait_dscnt 0x0
	v_pk_mul_f32 v[36:37], v[0:1], v[30:31] op_sel:[1,1] op_sel_hi:[0,1]
	v_pk_fma_f32 v[38:39], v[0:1], v[30:31], v[36:37] op_sel_hi:[1,0,1]
	v_pk_fma_f32 v[0:1], v[0:1], v[30:31], v[36:37] neg_lo:[0,0,1] neg_hi:[0,0,1]
	s_delay_alu instid0(VALU_DEP_2)
	v_mov_b32_e32 v1, v39
	ds_store_b64 v33, v[0:1] offset:32
.LBB11_75:
	s_or_b32 exec_lo, exec_lo, s2
	ds_load_b64 v[0:1], v33 offset:24
	v_cmp_lt_u32_e64 s1, 3, v32
	s_wait_dscnt 0x0
	ds_store_b64 v28, v[0:1]
	s_wait_dscnt 0x0
	s_barrier_signal -1
	s_barrier_wait -1
	s_and_saveexec_b32 s2, s1
	s_cbranch_execz .LBB11_85
; %bb.76:
	s_and_not1_b32 vcc_lo, exec_lo, s3
	s_cbranch_vccnz .LBB11_78
; %bb.77:
	ds_load_b64 v[0:1], v29
	ds_load_b64 v[30:31], v28
	s_wait_dscnt 0x0
	v_pk_mul_f32 v[36:37], v[30:31], v[0:1] op_sel:[1,1] op_sel_hi:[0,1]
	s_delay_alu instid0(VALU_DEP_1) | instskip(SKIP_1) | instid1(VALU_DEP_2)
	v_pk_fma_f32 v[38:39], v[30:31], v[0:1], v[36:37] op_sel_hi:[1,0,1]
	v_pk_fma_f32 v[0:1], v[30:31], v[0:1], v[36:37] neg_lo:[0,0,1] neg_hi:[0,0,1]
	v_mov_b32_e32 v1, v39
	s_cbranch_execz .LBB11_79
	s_branch .LBB11_80
.LBB11_78:
                                        ; implicit-def: $vgpr0_vgpr1
.LBB11_79:
	ds_load_b64 v[0:1], v28
.LBB11_80:
	s_and_saveexec_b32 s4, s0
	s_cbranch_execz .LBB11_84
; %bb.81:
	s_movk_i32 s0, 0x60
	v_add_nc_u32_e32 v31, -4, v32
	v_mad_u32 v30, v34, s0, 0xe0
	s_movk_i32 s5, 0x80
	s_mov_b32 s0, 0
.LBB11_82:                              ; =>This Inner Loop Header: Depth=1
	s_delay_alu instid0(VALU_DEP_2)
	v_dual_mov_b32 v35, s5 :: v_dual_add_nc_u32 v31, -1, v31
	s_add_co_i32 s5, s5, 8
	ds_load_b64 v[36:37], v30
	ds_load_b64 v[38:39], v35
	v_add_nc_u32_e32 v30, 8, v30
	v_cmp_eq_u32_e32 vcc_lo, 0, v31
	s_or_b32 s0, vcc_lo, s0
	s_wait_dscnt 0x0
	v_pk_mul_f32 v[40:41], v[38:39], v[36:37] op_sel:[1,1] op_sel_hi:[0,1]
	s_delay_alu instid0(VALU_DEP_1) | instskip(SKIP_1) | instid1(VALU_DEP_2)
	v_pk_fma_f32 v[42:43], v[38:39], v[36:37], v[40:41] op_sel_hi:[1,0,1]
	v_pk_fma_f32 v[36:37], v[38:39], v[36:37], v[40:41] neg_lo:[0,0,1] neg_hi:[0,0,1]
	v_mov_b32_e32 v37, v43
	s_delay_alu instid0(VALU_DEP_1)
	v_pk_add_f32 v[0:1], v[0:1], v[36:37]
	s_and_not1_b32 exec_lo, exec_lo, s0
	s_cbranch_execnz .LBB11_82
; %bb.83:
	s_or_b32 exec_lo, exec_lo, s0
.LBB11_84:
	s_delay_alu instid0(SALU_CYCLE_1) | instskip(SKIP_4) | instid1(VALU_DEP_1)
	s_or_b32 exec_lo, exec_lo, s4
	v_mov_b32_e32 v30, 0
	ds_load_b64 v[30:31], v30 offset:24
	s_wait_dscnt 0x0
	v_pk_mul_f32 v[36:37], v[0:1], v[30:31] op_sel:[1,1] op_sel_hi:[0,1]
	v_pk_fma_f32 v[38:39], v[0:1], v[30:31], v[36:37] op_sel_hi:[1,0,1]
	v_pk_fma_f32 v[0:1], v[0:1], v[30:31], v[36:37] neg_lo:[0,0,1] neg_hi:[0,0,1]
	s_delay_alu instid0(VALU_DEP_2)
	v_mov_b32_e32 v1, v39
	ds_store_b64 v33, v[0:1] offset:24
.LBB11_85:
	s_or_b32 exec_lo, exec_lo, s2
	ds_load_b64 v[0:1], v33 offset:16
	v_cmp_lt_u32_e64 s2, 2, v32
	s_wait_dscnt 0x0
	ds_store_b64 v28, v[0:1]
	s_wait_dscnt 0x0
	s_barrier_signal -1
	s_barrier_wait -1
	s_and_saveexec_b32 s0, s2
	s_cbranch_execz .LBB11_95
; %bb.86:
	s_and_not1_b32 vcc_lo, exec_lo, s3
	s_cbranch_vccnz .LBB11_88
; %bb.87:
	ds_load_b64 v[0:1], v29
	ds_load_b64 v[30:31], v28
	s_wait_dscnt 0x0
	v_pk_mul_f32 v[36:37], v[30:31], v[0:1] op_sel:[1,1] op_sel_hi:[0,1]
	s_delay_alu instid0(VALU_DEP_1) | instskip(SKIP_1) | instid1(VALU_DEP_2)
	v_pk_fma_f32 v[38:39], v[30:31], v[0:1], v[36:37] op_sel_hi:[1,0,1]
	v_pk_fma_f32 v[0:1], v[30:31], v[0:1], v[36:37] neg_lo:[0,0,1] neg_hi:[0,0,1]
	v_mov_b32_e32 v1, v39
	s_cbranch_execz .LBB11_89
	s_branch .LBB11_90
.LBB11_88:
                                        ; implicit-def: $vgpr0_vgpr1
.LBB11_89:
	ds_load_b64 v[0:1], v28
.LBB11_90:
	s_and_saveexec_b32 s4, s1
	s_cbranch_execz .LBB11_94
; %bb.91:
	s_movk_i32 s1, 0x60
	v_add_nc_u32_e32 v31, -3, v32
	v_mad_u32 v30, v34, s1, 0xd8
	s_movk_i32 s5, 0x78
	s_mov_b32 s1, 0
.LBB11_92:                              ; =>This Inner Loop Header: Depth=1
	s_delay_alu instid0(VALU_DEP_2)
	v_dual_mov_b32 v35, s5 :: v_dual_add_nc_u32 v31, -1, v31
	s_add_co_i32 s5, s5, 8
	ds_load_b64 v[36:37], v30
	ds_load_b64 v[38:39], v35
	v_add_nc_u32_e32 v30, 8, v30
	v_cmp_eq_u32_e32 vcc_lo, 0, v31
	s_or_b32 s1, vcc_lo, s1
	s_wait_dscnt 0x0
	v_pk_mul_f32 v[40:41], v[38:39], v[36:37] op_sel:[1,1] op_sel_hi:[0,1]
	s_delay_alu instid0(VALU_DEP_1) | instskip(SKIP_1) | instid1(VALU_DEP_2)
	v_pk_fma_f32 v[42:43], v[38:39], v[36:37], v[40:41] op_sel_hi:[1,0,1]
	v_pk_fma_f32 v[36:37], v[38:39], v[36:37], v[40:41] neg_lo:[0,0,1] neg_hi:[0,0,1]
	v_mov_b32_e32 v37, v43
	s_delay_alu instid0(VALU_DEP_1)
	v_pk_add_f32 v[0:1], v[0:1], v[36:37]
	s_and_not1_b32 exec_lo, exec_lo, s1
	s_cbranch_execnz .LBB11_92
; %bb.93:
	s_or_b32 exec_lo, exec_lo, s1
.LBB11_94:
	s_delay_alu instid0(SALU_CYCLE_1) | instskip(SKIP_4) | instid1(VALU_DEP_1)
	s_or_b32 exec_lo, exec_lo, s4
	v_mov_b32_e32 v30, 0
	ds_load_b64 v[30:31], v30 offset:16
	s_wait_dscnt 0x0
	v_pk_mul_f32 v[36:37], v[0:1], v[30:31] op_sel:[1,1] op_sel_hi:[0,1]
	v_pk_fma_f32 v[38:39], v[0:1], v[30:31], v[36:37] op_sel_hi:[1,0,1]
	v_pk_fma_f32 v[0:1], v[0:1], v[30:31], v[36:37] neg_lo:[0,0,1] neg_hi:[0,0,1]
	s_delay_alu instid0(VALU_DEP_2)
	v_mov_b32_e32 v1, v39
	ds_store_b64 v33, v[0:1] offset:16
.LBB11_95:
	s_or_b32 exec_lo, exec_lo, s0
	ds_load_b64 v[0:1], v33 offset:8
	v_cmp_lt_u32_e64 s0, 1, v32
	s_wait_dscnt 0x0
	ds_store_b64 v28, v[0:1]
	s_wait_dscnt 0x0
	s_barrier_signal -1
	s_barrier_wait -1
	s_and_saveexec_b32 s1, s0
	s_cbranch_execz .LBB11_105
; %bb.96:
	s_and_not1_b32 vcc_lo, exec_lo, s3
	s_cbranch_vccnz .LBB11_98
; %bb.97:
	ds_load_b64 v[0:1], v29
	ds_load_b64 v[30:31], v28
	s_wait_dscnt 0x0
	v_pk_mul_f32 v[36:37], v[30:31], v[0:1] op_sel:[1,1] op_sel_hi:[0,1]
	s_delay_alu instid0(VALU_DEP_1) | instskip(SKIP_1) | instid1(VALU_DEP_2)
	v_pk_fma_f32 v[38:39], v[30:31], v[0:1], v[36:37] op_sel_hi:[1,0,1]
	v_pk_fma_f32 v[0:1], v[30:31], v[0:1], v[36:37] neg_lo:[0,0,1] neg_hi:[0,0,1]
	v_mov_b32_e32 v1, v39
	s_cbranch_execz .LBB11_99
	s_branch .LBB11_100
.LBB11_98:
                                        ; implicit-def: $vgpr0_vgpr1
.LBB11_99:
	ds_load_b64 v[0:1], v28
.LBB11_100:
	s_and_saveexec_b32 s4, s2
	s_cbranch_execz .LBB11_104
; %bb.101:
	s_movk_i32 s2, 0x60
	v_add_nc_u32_e32 v31, -2, v32
	v_mad_u32 v30, v34, s2, 0xd0
	s_movk_i32 s5, 0x70
	s_mov_b32 s2, 0
.LBB11_102:                             ; =>This Inner Loop Header: Depth=1
	s_delay_alu instid0(VALU_DEP_2)
	v_dual_mov_b32 v35, s5 :: v_dual_add_nc_u32 v31, -1, v31
	s_add_co_i32 s5, s5, 8
	ds_load_b64 v[36:37], v30
	ds_load_b64 v[38:39], v35
	v_add_nc_u32_e32 v30, 8, v30
	v_cmp_eq_u32_e32 vcc_lo, 0, v31
	s_or_b32 s2, vcc_lo, s2
	s_wait_dscnt 0x0
	v_pk_mul_f32 v[40:41], v[38:39], v[36:37] op_sel:[1,1] op_sel_hi:[0,1]
	s_delay_alu instid0(VALU_DEP_1) | instskip(SKIP_1) | instid1(VALU_DEP_2)
	v_pk_fma_f32 v[42:43], v[38:39], v[36:37], v[40:41] op_sel_hi:[1,0,1]
	v_pk_fma_f32 v[36:37], v[38:39], v[36:37], v[40:41] neg_lo:[0,0,1] neg_hi:[0,0,1]
	v_mov_b32_e32 v37, v43
	s_delay_alu instid0(VALU_DEP_1)
	v_pk_add_f32 v[0:1], v[0:1], v[36:37]
	s_and_not1_b32 exec_lo, exec_lo, s2
	s_cbranch_execnz .LBB11_102
; %bb.103:
	s_or_b32 exec_lo, exec_lo, s2
.LBB11_104:
	s_delay_alu instid0(SALU_CYCLE_1) | instskip(SKIP_4) | instid1(VALU_DEP_1)
	s_or_b32 exec_lo, exec_lo, s4
	v_mov_b32_e32 v30, 0
	ds_load_b64 v[30:31], v30 offset:8
	s_wait_dscnt 0x0
	v_pk_mul_f32 v[36:37], v[0:1], v[30:31] op_sel:[1,1] op_sel_hi:[0,1]
	v_pk_fma_f32 v[38:39], v[0:1], v[30:31], v[36:37] op_sel_hi:[1,0,1]
	v_pk_fma_f32 v[0:1], v[0:1], v[30:31], v[36:37] neg_lo:[0,0,1] neg_hi:[0,0,1]
	s_delay_alu instid0(VALU_DEP_2)
	v_mov_b32_e32 v1, v39
	ds_store_b64 v33, v[0:1] offset:8
.LBB11_105:
	s_or_b32 exec_lo, exec_lo, s1
	ds_load_b64 v[0:1], v33
	s_mov_b32 s2, 0
	s_mov_b32 s1, 0
	s_mov_b32 s4, exec_lo
                                        ; implicit-def: $vgpr31
                                        ; implicit-def: $vgpr35
	s_wait_dscnt 0x0
	ds_store_b64 v28, v[0:1]
	s_wait_dscnt 0x0
	s_barrier_signal -1
	s_barrier_wait -1
	v_cmpx_ne_u32_e32 0, v32
	s_cbranch_execz .LBB11_115
; %bb.106:
	s_and_not1_b32 vcc_lo, exec_lo, s3
	s_cbranch_vccnz .LBB11_108
; %bb.107:
	ds_load_b64 v[30:31], v29
	ds_load_b64 v[36:37], v28
	s_wait_dscnt 0x0
	v_dual_mul_f32 v0, v37, v31 :: v_dual_mul_f32 v1, v36, v31
	s_delay_alu instid0(VALU_DEP_1)
	v_dual_fma_f32 v0, v36, v30, -v0 :: v_dual_fmac_f32 v1, v37, v30
	s_and_not1_b32 vcc_lo, exec_lo, s1
	s_cbranch_vccz .LBB11_109
	s_branch .LBB11_110
.LBB11_108:
                                        ; implicit-def: $vgpr0
.LBB11_109:
	ds_load_b64 v[0:1], v28
.LBB11_110:
	s_and_saveexec_b32 s1, s0
	s_cbranch_execz .LBB11_114
; %bb.111:
	s_movk_i32 s0, 0x60
	v_add_nc_u32_e32 v31, -1, v32
	v_mad_u32 v30, v34, s0, 0xc8
	s_movk_i32 s5, 0x68
	s_mov_b32 s0, 0
.LBB11_112:                             ; =>This Inner Loop Header: Depth=1
	v_mov_b32_e32 v36, s5
	s_add_co_i32 s5, s5, 8
	ds_load_b64 v[34:35], v30
	ds_load_b64 v[36:37], v36
	s_wait_dscnt 0x0
	v_dual_mul_f32 v38, v37, v35 :: v_dual_mul_f32 v35, v36, v35
	s_delay_alu instid0(VALU_DEP_1) | instskip(NEXT) | instid1(VALU_DEP_2)
	v_dual_fma_f32 v36, v36, v34, -v38 :: v_dual_add_nc_u32 v31, -1, v31
	v_fmac_f32_e32 v35, v37, v34
	s_delay_alu instid0(VALU_DEP_2) | instskip(NEXT) | instid1(VALU_DEP_3)
	v_dual_add_nc_u32 v30, 8, v30 :: v_dual_add_f32 v0, v0, v36
	v_cmp_eq_u32_e32 vcc_lo, 0, v31
	s_delay_alu instid0(VALU_DEP_3) | instskip(SKIP_1) | instid1(SALU_CYCLE_1)
	v_add_f32_e32 v1, v1, v35
	s_or_b32 s0, vcc_lo, s0
	s_and_not1_b32 exec_lo, exec_lo, s0
	s_cbranch_execnz .LBB11_112
; %bb.113:
	s_or_b32 exec_lo, exec_lo, s0
.LBB11_114:
	s_delay_alu instid0(SALU_CYCLE_1)
	s_or_b32 exec_lo, exec_lo, s1
	v_mov_b32_e32 v30, 0
	s_mov_b32 s1, exec_lo
	v_add_nc_u32_e32 v35, 4, v33
	ds_load_b64 v[30:31], v30
	s_wait_dscnt 0x0
	v_dual_mul_f32 v34, v1, v31 :: v_dual_mul_f32 v31, v0, v31
	s_delay_alu instid0(VALU_DEP_1)
	v_dual_fma_f32 v0, v0, v30, -v34 :: v_dual_fmac_f32 v31, v1, v30
	ds_store_b32 v33, v0
.LBB11_115:
	s_or_b32 exec_lo, exec_lo, s4
	s_delay_alu instid0(SALU_CYCLE_1)
	s_and_b32 vcc_lo, exec_lo, s2
	s_cbranch_vccz .LBB11_221
.LBB11_116:
	ds_load_b64 v[0:1], v33 offset:8
	v_cmp_eq_u32_e64 s0, 0, v32
	s_wait_dscnt 0x0
	ds_store_b64 v28, v[0:1]
	s_wait_dscnt 0x0
	s_barrier_signal -1
	s_barrier_wait -1
	s_and_saveexec_b32 s2, s0
	s_cbranch_execz .LBB11_122
; %bb.117:
	s_and_b32 vcc_lo, exec_lo, s3
	s_cbranch_vccz .LBB11_119
; %bb.118:
	ds_load_b64 v[0:1], v29
	ds_load_b64 v[30:31], v28
	s_wait_dscnt 0x0
	v_pk_mul_f32 v[34:35], v[30:31], v[0:1] op_sel:[1,1] op_sel_hi:[0,1]
	v_pk_mul_f32 v[36:37], v[30:31], v[0:1] op_sel_hi:[1,0]
	s_delay_alu instid0(VALU_DEP_2) | instskip(NEXT) | instid1(VALU_DEP_2)
	v_pk_fma_f32 v[0:1], v[30:31], v[0:1], v[34:35] op_sel_hi:[1,0,1]
	v_sub_f32_e32 v0, v36, v34
	s_cbranch_execz .LBB11_120
	s_branch .LBB11_121
.LBB11_119:
                                        ; implicit-def: $vgpr1
.LBB11_120:
	ds_load_b64 v[0:1], v28
.LBB11_121:
	s_wait_dscnt 0x0
	v_dual_mov_b32 v30, 0 :: v_dual_mov_b32 v34, v1
	v_mov_b32_e32 v35, v0
	ds_load_b64 v[30:31], v30 offset:8
	s_wait_dscnt 0x0
	v_pk_mul_f32 v[34:35], v[34:35], v[30:31] op_sel:[0,1]
	s_delay_alu instid0(VALU_DEP_1) | instskip(SKIP_1) | instid1(VALU_DEP_2)
	v_pk_fma_f32 v[36:37], v[0:1], v[30:31], v[34:35] op_sel_hi:[1,0,1]
	v_pk_fma_f32 v[0:1], v[0:1], v[30:31], v[34:35] neg_lo:[0,0,1] neg_hi:[0,0,1]
	v_mov_b32_e32 v1, v37
	ds_store_b64 v33, v[0:1] offset:8
.LBB11_122:
	s_or_b32 exec_lo, exec_lo, s2
	ds_load_b64 v[0:1], v33 offset:16
	v_cndmask_b32_e64 v30, 0, 1, s3
	s_mov_b32 s2, exec_lo
	s_wait_dscnt 0x0
	ds_store_b64 v28, v[0:1]
	s_wait_dscnt 0x0
	s_barrier_signal -1
	s_barrier_wait -1
	v_cmpx_gt_u32_e32 2, v32
	s_cbranch_execz .LBB11_130
; %bb.123:
	s_and_not1_b32 vcc_lo, exec_lo, s3
	s_cbranch_vccnz .LBB11_125
; %bb.124:
	ds_load_b64 v[0:1], v29
	ds_load_b64 v[34:35], v28
	s_wait_dscnt 0x0
	v_pk_mul_f32 v[36:37], v[34:35], v[0:1] op_sel:[1,1] op_sel_hi:[0,1]
	s_delay_alu instid0(VALU_DEP_1) | instskip(SKIP_1) | instid1(VALU_DEP_2)
	v_pk_fma_f32 v[38:39], v[34:35], v[0:1], v[36:37] op_sel_hi:[1,0,1]
	v_pk_fma_f32 v[0:1], v[34:35], v[0:1], v[36:37] neg_lo:[0,0,1] neg_hi:[0,0,1]
	v_mov_b32_e32 v1, v39
	s_cbranch_execz .LBB11_126
	s_branch .LBB11_127
.LBB11_125:
                                        ; implicit-def: $vgpr0_vgpr1
.LBB11_126:
	ds_load_b64 v[0:1], v28
.LBB11_127:
	s_and_saveexec_b32 s3, s0
	s_cbranch_execz .LBB11_129
; %bb.128:
	v_mov_b32_e32 v31, 0
	ds_load_b64 v[34:35], v33 offset:8
	ds_load_b64 v[36:37], v31 offset:104
	s_wait_dscnt 0x0
	v_pk_mul_f32 v[38:39], v[36:37], v[34:35] op_sel:[1,1] op_sel_hi:[0,1]
	s_delay_alu instid0(VALU_DEP_1) | instskip(SKIP_1) | instid1(VALU_DEP_2)
	v_pk_fma_f32 v[40:41], v[36:37], v[34:35], v[38:39] op_sel_hi:[1,0,1]
	v_pk_fma_f32 v[34:35], v[36:37], v[34:35], v[38:39] neg_lo:[0,0,1] neg_hi:[0,0,1]
	v_mov_b32_e32 v35, v41
	s_delay_alu instid0(VALU_DEP_1)
	v_pk_add_f32 v[0:1], v[0:1], v[34:35]
.LBB11_129:
	s_or_b32 exec_lo, exec_lo, s3
	v_mov_b32_e32 v31, 0
	ds_load_b64 v[34:35], v31 offset:16
	s_wait_dscnt 0x0
	v_pk_mul_f32 v[36:37], v[0:1], v[34:35] op_sel:[1,1] op_sel_hi:[0,1]
	s_delay_alu instid0(VALU_DEP_1) | instskip(SKIP_1) | instid1(VALU_DEP_2)
	v_pk_fma_f32 v[38:39], v[0:1], v[34:35], v[36:37] op_sel_hi:[1,0,1]
	v_pk_fma_f32 v[0:1], v[0:1], v[34:35], v[36:37] neg_lo:[0,0,1] neg_hi:[0,0,1]
	v_mov_b32_e32 v1, v39
	ds_store_b64 v33, v[0:1] offset:16
.LBB11_130:
	s_or_b32 exec_lo, exec_lo, s2
	ds_load_b64 v[0:1], v33 offset:24
	s_mov_b32 s2, exec_lo
	s_wait_dscnt 0x0
	ds_store_b64 v28, v[0:1]
	s_wait_dscnt 0x0
	s_barrier_signal -1
	s_barrier_wait -1
	v_cmpx_gt_u32_e32 3, v32
	s_cbranch_execz .LBB11_140
; %bb.131:
	v_cmp_ne_u32_e32 vcc_lo, 1, v30
	s_cbranch_vccnz .LBB11_133
; %bb.132:
	ds_load_b64 v[0:1], v29
	ds_load_b64 v[34:35], v28
	s_wait_dscnt 0x0
	v_pk_mul_f32 v[36:37], v[34:35], v[0:1] op_sel:[1,1] op_sel_hi:[0,1]
	s_delay_alu instid0(VALU_DEP_1) | instskip(SKIP_1) | instid1(VALU_DEP_2)
	v_pk_fma_f32 v[38:39], v[34:35], v[0:1], v[36:37] op_sel_hi:[1,0,1]
	v_pk_fma_f32 v[0:1], v[34:35], v[0:1], v[36:37] neg_lo:[0,0,1] neg_hi:[0,0,1]
	v_mov_b32_e32 v1, v39
	s_cbranch_execz .LBB11_134
	s_branch .LBB11_135
.LBB11_133:
                                        ; implicit-def: $vgpr0_vgpr1
.LBB11_134:
	ds_load_b64 v[0:1], v28
.LBB11_135:
	s_mov_b32 s3, exec_lo
	v_cmpx_ne_u32_e32 2, v32
	s_cbranch_execz .LBB11_139
; %bb.136:
	ds_load_b64 v[34:35], v29 offset:8
	ds_load_b64 v[36:37], v28 offset:8
	s_wait_dscnt 0x0
	v_pk_mul_f32 v[38:39], v[36:37], v[34:35] op_sel:[1,1] op_sel_hi:[0,1]
	s_delay_alu instid0(VALU_DEP_1) | instskip(SKIP_1) | instid1(VALU_DEP_2)
	v_pk_fma_f32 v[40:41], v[36:37], v[34:35], v[38:39] op_sel_hi:[1,0,1]
	v_pk_fma_f32 v[34:35], v[36:37], v[34:35], v[38:39] neg_lo:[0,0,1] neg_hi:[0,0,1]
	v_mov_b32_e32 v35, v41
	s_delay_alu instid0(VALU_DEP_1)
	v_pk_add_f32 v[0:1], v[0:1], v[34:35]
	s_and_saveexec_b32 s4, s0
	s_cbranch_execz .LBB11_138
; %bb.137:
	v_mov_b32_e32 v31, 0
	ds_load_b64 v[34:35], v31 offset:112
	ds_load_b64 v[36:37], v33 offset:16
	s_wait_dscnt 0x0
	v_pk_mul_f32 v[38:39], v[34:35], v[36:37] op_sel:[1,1] op_sel_hi:[0,1]
	s_delay_alu instid0(VALU_DEP_1) | instskip(SKIP_1) | instid1(VALU_DEP_2)
	v_pk_fma_f32 v[40:41], v[34:35], v[36:37], v[38:39] op_sel_hi:[1,0,1]
	v_pk_fma_f32 v[34:35], v[34:35], v[36:37], v[38:39] neg_lo:[0,0,1] neg_hi:[0,0,1]
	v_mov_b32_e32 v35, v41
	s_delay_alu instid0(VALU_DEP_1)
	v_pk_add_f32 v[0:1], v[0:1], v[34:35]
.LBB11_138:
	s_or_b32 exec_lo, exec_lo, s4
.LBB11_139:
	s_delay_alu instid0(SALU_CYCLE_1) | instskip(SKIP_4) | instid1(VALU_DEP_1)
	s_or_b32 exec_lo, exec_lo, s3
	v_mov_b32_e32 v31, 0
	ds_load_b64 v[34:35], v31 offset:24
	s_wait_dscnt 0x0
	v_pk_mul_f32 v[36:37], v[0:1], v[34:35] op_sel:[1,1] op_sel_hi:[0,1]
	v_pk_fma_f32 v[38:39], v[0:1], v[34:35], v[36:37] op_sel_hi:[1,0,1]
	v_pk_fma_f32 v[0:1], v[0:1], v[34:35], v[36:37] neg_lo:[0,0,1] neg_hi:[0,0,1]
	s_delay_alu instid0(VALU_DEP_2)
	v_mov_b32_e32 v1, v39
	ds_store_b64 v33, v[0:1] offset:24
.LBB11_140:
	s_or_b32 exec_lo, exec_lo, s2
	ds_load_b64 v[0:1], v33 offset:32
	s_mov_b32 s0, exec_lo
	s_wait_dscnt 0x0
	ds_store_b64 v28, v[0:1]
	s_wait_dscnt 0x0
	s_barrier_signal -1
	s_barrier_wait -1
	v_cmpx_gt_u32_e32 4, v32
	s_cbranch_execz .LBB11_150
; %bb.141:
	v_cmp_ne_u32_e32 vcc_lo, 1, v30
	s_cbranch_vccnz .LBB11_143
; %bb.142:
	ds_load_b64 v[0:1], v29
	ds_load_b64 v[34:35], v28
	s_wait_dscnt 0x0
	v_pk_mul_f32 v[36:37], v[34:35], v[0:1] op_sel:[1,1] op_sel_hi:[0,1]
	s_delay_alu instid0(VALU_DEP_1) | instskip(SKIP_1) | instid1(VALU_DEP_2)
	v_pk_fma_f32 v[38:39], v[34:35], v[0:1], v[36:37] op_sel_hi:[1,0,1]
	v_pk_fma_f32 v[0:1], v[34:35], v[0:1], v[36:37] neg_lo:[0,0,1] neg_hi:[0,0,1]
	v_mov_b32_e32 v1, v39
	s_cbranch_execz .LBB11_144
	s_branch .LBB11_145
.LBB11_143:
                                        ; implicit-def: $vgpr0_vgpr1
.LBB11_144:
	ds_load_b64 v[0:1], v28
.LBB11_145:
	s_mov_b32 s2, exec_lo
	v_cmpx_ne_u32_e32 3, v32
	s_cbranch_execz .LBB11_149
; %bb.146:
	v_add_nc_u32_e32 v31, 0x68, v26
	v_add3_u32 v34, v27, v26, 0xc8
	v_mov_b32_e32 v35, v32
	s_mov_b32 s3, 0
.LBB11_147:                             ; =>This Inner Loop Header: Depth=1
	ds_load_b64 v[36:37], v34
	ds_load_b64 v[38:39], v31
	v_dual_add_nc_u32 v31, 8, v31 :: v_dual_add_nc_u32 v34, 8, v34
	s_wait_dscnt 0x0
	v_pk_mul_f32 v[40:41], v[38:39], v[36:37] op_sel:[1,1] op_sel_hi:[0,1]
	s_delay_alu instid0(VALU_DEP_1) | instskip(SKIP_2) | instid1(VALU_DEP_3)
	v_pk_fma_f32 v[42:43], v[38:39], v[36:37], v[40:41] op_sel_hi:[1,0,1]
	v_add_nc_u32_e32 v35, 1, v35
	v_pk_fma_f32 v[36:37], v[38:39], v[36:37], v[40:41] neg_lo:[0,0,1] neg_hi:[0,0,1]
	v_mov_b32_e32 v37, v43
	s_delay_alu instid0(VALU_DEP_3) | instskip(NEXT) | instid1(VALU_DEP_2)
	v_cmp_lt_u32_e32 vcc_lo, 2, v35
	v_pk_add_f32 v[0:1], v[0:1], v[36:37]
	s_or_b32 s3, vcc_lo, s3
	s_delay_alu instid0(SALU_CYCLE_1)
	s_and_not1_b32 exec_lo, exec_lo, s3
	s_cbranch_execnz .LBB11_147
; %bb.148:
	s_or_b32 exec_lo, exec_lo, s3
.LBB11_149:
	s_delay_alu instid0(SALU_CYCLE_1) | instskip(SKIP_4) | instid1(VALU_DEP_1)
	s_or_b32 exec_lo, exec_lo, s2
	v_mov_b32_e32 v31, 0
	ds_load_b64 v[34:35], v31 offset:32
	s_wait_dscnt 0x0
	v_pk_mul_f32 v[36:37], v[0:1], v[34:35] op_sel:[1,1] op_sel_hi:[0,1]
	v_pk_fma_f32 v[38:39], v[0:1], v[34:35], v[36:37] op_sel_hi:[1,0,1]
	v_pk_fma_f32 v[0:1], v[0:1], v[34:35], v[36:37] neg_lo:[0,0,1] neg_hi:[0,0,1]
	s_delay_alu instid0(VALU_DEP_2)
	v_mov_b32_e32 v1, v39
	ds_store_b64 v33, v[0:1] offset:32
.LBB11_150:
	s_or_b32 exec_lo, exec_lo, s0
	ds_load_b64 v[0:1], v33 offset:40
	s_mov_b32 s0, exec_lo
	s_wait_dscnt 0x0
	ds_store_b64 v28, v[0:1]
	s_wait_dscnt 0x0
	s_barrier_signal -1
	s_barrier_wait -1
	v_cmpx_gt_u32_e32 5, v32
	s_cbranch_execz .LBB11_160
; %bb.151:
	v_cmp_ne_u32_e32 vcc_lo, 1, v30
	s_cbranch_vccnz .LBB11_153
; %bb.152:
	ds_load_b64 v[0:1], v29
	ds_load_b64 v[34:35], v28
	s_wait_dscnt 0x0
	v_pk_mul_f32 v[36:37], v[34:35], v[0:1] op_sel:[1,1] op_sel_hi:[0,1]
	s_delay_alu instid0(VALU_DEP_1) | instskip(SKIP_1) | instid1(VALU_DEP_2)
	v_pk_fma_f32 v[38:39], v[34:35], v[0:1], v[36:37] op_sel_hi:[1,0,1]
	v_pk_fma_f32 v[0:1], v[34:35], v[0:1], v[36:37] neg_lo:[0,0,1] neg_hi:[0,0,1]
	v_mov_b32_e32 v1, v39
	s_cbranch_execz .LBB11_154
	s_branch .LBB11_155
.LBB11_153:
                                        ; implicit-def: $vgpr0_vgpr1
.LBB11_154:
	ds_load_b64 v[0:1], v28
.LBB11_155:
	s_mov_b32 s2, exec_lo
	v_cmpx_ne_u32_e32 4, v32
	s_cbranch_execz .LBB11_159
; %bb.156:
	v_add_nc_u32_e32 v31, 0x68, v26
	v_add3_u32 v34, v27, v26, 0xc8
	v_mov_b32_e32 v35, v32
	s_mov_b32 s3, 0
.LBB11_157:                             ; =>This Inner Loop Header: Depth=1
	ds_load_b64 v[36:37], v34
	ds_load_b64 v[38:39], v31
	v_dual_add_nc_u32 v31, 8, v31 :: v_dual_add_nc_u32 v34, 8, v34
	s_wait_dscnt 0x0
	v_pk_mul_f32 v[40:41], v[38:39], v[36:37] op_sel:[1,1] op_sel_hi:[0,1]
	s_delay_alu instid0(VALU_DEP_1) | instskip(SKIP_2) | instid1(VALU_DEP_3)
	v_pk_fma_f32 v[42:43], v[38:39], v[36:37], v[40:41] op_sel_hi:[1,0,1]
	v_add_nc_u32_e32 v35, 1, v35
	v_pk_fma_f32 v[36:37], v[38:39], v[36:37], v[40:41] neg_lo:[0,0,1] neg_hi:[0,0,1]
	v_mov_b32_e32 v37, v43
	s_delay_alu instid0(VALU_DEP_3) | instskip(NEXT) | instid1(VALU_DEP_2)
	v_cmp_lt_u32_e32 vcc_lo, 3, v35
	v_pk_add_f32 v[0:1], v[0:1], v[36:37]
	s_or_b32 s3, vcc_lo, s3
	s_delay_alu instid0(SALU_CYCLE_1)
	s_and_not1_b32 exec_lo, exec_lo, s3
	s_cbranch_execnz .LBB11_157
; %bb.158:
	s_or_b32 exec_lo, exec_lo, s3
.LBB11_159:
	s_delay_alu instid0(SALU_CYCLE_1) | instskip(SKIP_4) | instid1(VALU_DEP_1)
	s_or_b32 exec_lo, exec_lo, s2
	v_mov_b32_e32 v31, 0
	ds_load_b64 v[34:35], v31 offset:40
	s_wait_dscnt 0x0
	v_pk_mul_f32 v[36:37], v[0:1], v[34:35] op_sel:[1,1] op_sel_hi:[0,1]
	v_pk_fma_f32 v[38:39], v[0:1], v[34:35], v[36:37] op_sel_hi:[1,0,1]
	v_pk_fma_f32 v[0:1], v[0:1], v[34:35], v[36:37] neg_lo:[0,0,1] neg_hi:[0,0,1]
	s_delay_alu instid0(VALU_DEP_2)
	v_mov_b32_e32 v1, v39
	ds_store_b64 v33, v[0:1] offset:40
.LBB11_160:
	s_or_b32 exec_lo, exec_lo, s0
	ds_load_b64 v[0:1], v33 offset:48
	s_mov_b32 s0, exec_lo
	s_wait_dscnt 0x0
	ds_store_b64 v28, v[0:1]
	s_wait_dscnt 0x0
	s_barrier_signal -1
	s_barrier_wait -1
	v_cmpx_gt_u32_e32 6, v32
	s_cbranch_execz .LBB11_170
; %bb.161:
	v_cmp_ne_u32_e32 vcc_lo, 1, v30
	s_cbranch_vccnz .LBB11_163
; %bb.162:
	ds_load_b64 v[0:1], v29
	ds_load_b64 v[34:35], v28
	s_wait_dscnt 0x0
	v_pk_mul_f32 v[36:37], v[34:35], v[0:1] op_sel:[1,1] op_sel_hi:[0,1]
	s_delay_alu instid0(VALU_DEP_1) | instskip(SKIP_1) | instid1(VALU_DEP_2)
	v_pk_fma_f32 v[38:39], v[34:35], v[0:1], v[36:37] op_sel_hi:[1,0,1]
	v_pk_fma_f32 v[0:1], v[34:35], v[0:1], v[36:37] neg_lo:[0,0,1] neg_hi:[0,0,1]
	v_mov_b32_e32 v1, v39
	s_cbranch_execz .LBB11_164
	s_branch .LBB11_165
.LBB11_163:
                                        ; implicit-def: $vgpr0_vgpr1
.LBB11_164:
	ds_load_b64 v[0:1], v28
.LBB11_165:
	s_mov_b32 s2, exec_lo
	v_cmpx_ne_u32_e32 5, v32
	s_cbranch_execz .LBB11_169
; %bb.166:
	v_add_nc_u32_e32 v31, 0x68, v26
	v_add3_u32 v34, v27, v26, 0xc8
	v_mov_b32_e32 v35, v32
	s_mov_b32 s3, 0
.LBB11_167:                             ; =>This Inner Loop Header: Depth=1
	ds_load_b64 v[36:37], v34
	ds_load_b64 v[38:39], v31
	v_dual_add_nc_u32 v31, 8, v31 :: v_dual_add_nc_u32 v34, 8, v34
	s_wait_dscnt 0x0
	v_pk_mul_f32 v[40:41], v[38:39], v[36:37] op_sel:[1,1] op_sel_hi:[0,1]
	s_delay_alu instid0(VALU_DEP_1) | instskip(SKIP_2) | instid1(VALU_DEP_3)
	v_pk_fma_f32 v[42:43], v[38:39], v[36:37], v[40:41] op_sel_hi:[1,0,1]
	v_add_nc_u32_e32 v35, 1, v35
	v_pk_fma_f32 v[36:37], v[38:39], v[36:37], v[40:41] neg_lo:[0,0,1] neg_hi:[0,0,1]
	v_mov_b32_e32 v37, v43
	s_delay_alu instid0(VALU_DEP_3) | instskip(NEXT) | instid1(VALU_DEP_2)
	v_cmp_lt_u32_e32 vcc_lo, 4, v35
	v_pk_add_f32 v[0:1], v[0:1], v[36:37]
	s_or_b32 s3, vcc_lo, s3
	s_delay_alu instid0(SALU_CYCLE_1)
	s_and_not1_b32 exec_lo, exec_lo, s3
	s_cbranch_execnz .LBB11_167
; %bb.168:
	s_or_b32 exec_lo, exec_lo, s3
.LBB11_169:
	s_delay_alu instid0(SALU_CYCLE_1) | instskip(SKIP_4) | instid1(VALU_DEP_1)
	s_or_b32 exec_lo, exec_lo, s2
	v_mov_b32_e32 v31, 0
	ds_load_b64 v[34:35], v31 offset:48
	s_wait_dscnt 0x0
	v_pk_mul_f32 v[36:37], v[0:1], v[34:35] op_sel:[1,1] op_sel_hi:[0,1]
	v_pk_fma_f32 v[38:39], v[0:1], v[34:35], v[36:37] op_sel_hi:[1,0,1]
	v_pk_fma_f32 v[0:1], v[0:1], v[34:35], v[36:37] neg_lo:[0,0,1] neg_hi:[0,0,1]
	s_delay_alu instid0(VALU_DEP_2)
	v_mov_b32_e32 v1, v39
	ds_store_b64 v33, v[0:1] offset:48
.LBB11_170:
	s_or_b32 exec_lo, exec_lo, s0
	ds_load_b64 v[0:1], v33 offset:56
	s_mov_b32 s0, exec_lo
	s_wait_dscnt 0x0
	ds_store_b64 v28, v[0:1]
	s_wait_dscnt 0x0
	s_barrier_signal -1
	s_barrier_wait -1
	v_cmpx_gt_u32_e32 7, v32
	s_cbranch_execz .LBB11_180
; %bb.171:
	v_cmp_ne_u32_e32 vcc_lo, 1, v30
	s_cbranch_vccnz .LBB11_173
; %bb.172:
	ds_load_b64 v[0:1], v29
	ds_load_b64 v[34:35], v28
	s_wait_dscnt 0x0
	v_pk_mul_f32 v[36:37], v[34:35], v[0:1] op_sel:[1,1] op_sel_hi:[0,1]
	s_delay_alu instid0(VALU_DEP_1) | instskip(SKIP_1) | instid1(VALU_DEP_2)
	v_pk_fma_f32 v[38:39], v[34:35], v[0:1], v[36:37] op_sel_hi:[1,0,1]
	v_pk_fma_f32 v[0:1], v[34:35], v[0:1], v[36:37] neg_lo:[0,0,1] neg_hi:[0,0,1]
	v_mov_b32_e32 v1, v39
	s_cbranch_execz .LBB11_174
	s_branch .LBB11_175
.LBB11_173:
                                        ; implicit-def: $vgpr0_vgpr1
.LBB11_174:
	ds_load_b64 v[0:1], v28
.LBB11_175:
	s_mov_b32 s2, exec_lo
	v_cmpx_ne_u32_e32 6, v32
	s_cbranch_execz .LBB11_179
; %bb.176:
	v_add_nc_u32_e32 v31, 0x68, v26
	v_add3_u32 v34, v27, v26, 0xc8
	v_mov_b32_e32 v35, v32
	s_mov_b32 s3, 0
.LBB11_177:                             ; =>This Inner Loop Header: Depth=1
	ds_load_b64 v[36:37], v34
	ds_load_b64 v[38:39], v31
	v_dual_add_nc_u32 v31, 8, v31 :: v_dual_add_nc_u32 v34, 8, v34
	s_wait_dscnt 0x0
	v_pk_mul_f32 v[40:41], v[38:39], v[36:37] op_sel:[1,1] op_sel_hi:[0,1]
	s_delay_alu instid0(VALU_DEP_1) | instskip(SKIP_2) | instid1(VALU_DEP_3)
	v_pk_fma_f32 v[42:43], v[38:39], v[36:37], v[40:41] op_sel_hi:[1,0,1]
	v_add_nc_u32_e32 v35, 1, v35
	v_pk_fma_f32 v[36:37], v[38:39], v[36:37], v[40:41] neg_lo:[0,0,1] neg_hi:[0,0,1]
	v_mov_b32_e32 v37, v43
	s_delay_alu instid0(VALU_DEP_3) | instskip(NEXT) | instid1(VALU_DEP_2)
	v_cmp_lt_u32_e32 vcc_lo, 5, v35
	v_pk_add_f32 v[0:1], v[0:1], v[36:37]
	s_or_b32 s3, vcc_lo, s3
	s_delay_alu instid0(SALU_CYCLE_1)
	s_and_not1_b32 exec_lo, exec_lo, s3
	s_cbranch_execnz .LBB11_177
; %bb.178:
	s_or_b32 exec_lo, exec_lo, s3
.LBB11_179:
	s_delay_alu instid0(SALU_CYCLE_1) | instskip(SKIP_4) | instid1(VALU_DEP_1)
	s_or_b32 exec_lo, exec_lo, s2
	v_mov_b32_e32 v31, 0
	ds_load_b64 v[34:35], v31 offset:56
	s_wait_dscnt 0x0
	v_pk_mul_f32 v[36:37], v[0:1], v[34:35] op_sel:[1,1] op_sel_hi:[0,1]
	v_pk_fma_f32 v[38:39], v[0:1], v[34:35], v[36:37] op_sel_hi:[1,0,1]
	v_pk_fma_f32 v[0:1], v[0:1], v[34:35], v[36:37] neg_lo:[0,0,1] neg_hi:[0,0,1]
	s_delay_alu instid0(VALU_DEP_2)
	v_mov_b32_e32 v1, v39
	ds_store_b64 v33, v[0:1] offset:56
.LBB11_180:
	s_or_b32 exec_lo, exec_lo, s0
	ds_load_b64 v[0:1], v33 offset:64
	s_mov_b32 s0, exec_lo
	s_wait_dscnt 0x0
	ds_store_b64 v28, v[0:1]
	s_wait_dscnt 0x0
	s_barrier_signal -1
	s_barrier_wait -1
	v_cmpx_gt_u32_e32 8, v32
	s_cbranch_execz .LBB11_190
; %bb.181:
	v_cmp_ne_u32_e32 vcc_lo, 1, v30
	s_cbranch_vccnz .LBB11_183
; %bb.182:
	ds_load_b64 v[0:1], v29
	ds_load_b64 v[34:35], v28
	s_wait_dscnt 0x0
	v_pk_mul_f32 v[36:37], v[34:35], v[0:1] op_sel:[1,1] op_sel_hi:[0,1]
	s_delay_alu instid0(VALU_DEP_1) | instskip(SKIP_1) | instid1(VALU_DEP_2)
	v_pk_fma_f32 v[38:39], v[34:35], v[0:1], v[36:37] op_sel_hi:[1,0,1]
	v_pk_fma_f32 v[0:1], v[34:35], v[0:1], v[36:37] neg_lo:[0,0,1] neg_hi:[0,0,1]
	v_mov_b32_e32 v1, v39
	s_cbranch_execz .LBB11_184
	s_branch .LBB11_185
.LBB11_183:
                                        ; implicit-def: $vgpr0_vgpr1
.LBB11_184:
	ds_load_b64 v[0:1], v28
.LBB11_185:
	s_mov_b32 s2, exec_lo
	v_cmpx_ne_u32_e32 7, v32
	s_cbranch_execz .LBB11_189
; %bb.186:
	v_add_nc_u32_e32 v31, 0x68, v26
	v_add3_u32 v34, v27, v26, 0xc8
	v_mov_b32_e32 v35, v32
	s_mov_b32 s3, 0
.LBB11_187:                             ; =>This Inner Loop Header: Depth=1
	ds_load_b64 v[36:37], v34
	ds_load_b64 v[38:39], v31
	v_dual_add_nc_u32 v31, 8, v31 :: v_dual_add_nc_u32 v34, 8, v34
	s_wait_dscnt 0x0
	v_pk_mul_f32 v[40:41], v[38:39], v[36:37] op_sel:[1,1] op_sel_hi:[0,1]
	s_delay_alu instid0(VALU_DEP_1) | instskip(SKIP_2) | instid1(VALU_DEP_3)
	v_pk_fma_f32 v[42:43], v[38:39], v[36:37], v[40:41] op_sel_hi:[1,0,1]
	v_add_nc_u32_e32 v35, 1, v35
	v_pk_fma_f32 v[36:37], v[38:39], v[36:37], v[40:41] neg_lo:[0,0,1] neg_hi:[0,0,1]
	v_mov_b32_e32 v37, v43
	s_delay_alu instid0(VALU_DEP_3) | instskip(NEXT) | instid1(VALU_DEP_2)
	v_cmp_lt_u32_e32 vcc_lo, 6, v35
	v_pk_add_f32 v[0:1], v[0:1], v[36:37]
	s_or_b32 s3, vcc_lo, s3
	s_delay_alu instid0(SALU_CYCLE_1)
	s_and_not1_b32 exec_lo, exec_lo, s3
	s_cbranch_execnz .LBB11_187
; %bb.188:
	s_or_b32 exec_lo, exec_lo, s3
.LBB11_189:
	s_delay_alu instid0(SALU_CYCLE_1) | instskip(SKIP_4) | instid1(VALU_DEP_1)
	s_or_b32 exec_lo, exec_lo, s2
	v_mov_b32_e32 v31, 0
	ds_load_b64 v[34:35], v31 offset:64
	s_wait_dscnt 0x0
	v_pk_mul_f32 v[36:37], v[0:1], v[34:35] op_sel:[1,1] op_sel_hi:[0,1]
	v_pk_fma_f32 v[38:39], v[0:1], v[34:35], v[36:37] op_sel_hi:[1,0,1]
	v_pk_fma_f32 v[0:1], v[0:1], v[34:35], v[36:37] neg_lo:[0,0,1] neg_hi:[0,0,1]
	s_delay_alu instid0(VALU_DEP_2)
	v_mov_b32_e32 v1, v39
	ds_store_b64 v33, v[0:1] offset:64
.LBB11_190:
	s_or_b32 exec_lo, exec_lo, s0
	ds_load_b64 v[0:1], v33 offset:72
	s_mov_b32 s0, exec_lo
	s_wait_dscnt 0x0
	ds_store_b64 v28, v[0:1]
	s_wait_dscnt 0x0
	s_barrier_signal -1
	s_barrier_wait -1
	v_cmpx_gt_u32_e32 9, v32
	s_cbranch_execz .LBB11_200
; %bb.191:
	v_cmp_ne_u32_e32 vcc_lo, 1, v30
	s_cbranch_vccnz .LBB11_193
; %bb.192:
	ds_load_b64 v[0:1], v29
	ds_load_b64 v[34:35], v28
	s_wait_dscnt 0x0
	v_pk_mul_f32 v[36:37], v[34:35], v[0:1] op_sel:[1,1] op_sel_hi:[0,1]
	s_delay_alu instid0(VALU_DEP_1) | instskip(SKIP_1) | instid1(VALU_DEP_2)
	v_pk_fma_f32 v[38:39], v[34:35], v[0:1], v[36:37] op_sel_hi:[1,0,1]
	v_pk_fma_f32 v[0:1], v[34:35], v[0:1], v[36:37] neg_lo:[0,0,1] neg_hi:[0,0,1]
	v_mov_b32_e32 v1, v39
	s_cbranch_execz .LBB11_194
	s_branch .LBB11_195
.LBB11_193:
                                        ; implicit-def: $vgpr0_vgpr1
.LBB11_194:
	ds_load_b64 v[0:1], v28
.LBB11_195:
	s_mov_b32 s2, exec_lo
	v_cmpx_ne_u32_e32 8, v32
	s_cbranch_execz .LBB11_199
; %bb.196:
	v_add_nc_u32_e32 v31, 0x68, v26
	v_add3_u32 v34, v27, v26, 0xc8
	v_mov_b32_e32 v35, v32
	s_mov_b32 s3, 0
.LBB11_197:                             ; =>This Inner Loop Header: Depth=1
	ds_load_b64 v[36:37], v34
	ds_load_b64 v[38:39], v31
	v_dual_add_nc_u32 v31, 8, v31 :: v_dual_add_nc_u32 v34, 8, v34
	s_wait_dscnt 0x0
	v_pk_mul_f32 v[40:41], v[38:39], v[36:37] op_sel:[1,1] op_sel_hi:[0,1]
	s_delay_alu instid0(VALU_DEP_1) | instskip(SKIP_2) | instid1(VALU_DEP_3)
	v_pk_fma_f32 v[42:43], v[38:39], v[36:37], v[40:41] op_sel_hi:[1,0,1]
	v_add_nc_u32_e32 v35, 1, v35
	v_pk_fma_f32 v[36:37], v[38:39], v[36:37], v[40:41] neg_lo:[0,0,1] neg_hi:[0,0,1]
	v_mov_b32_e32 v37, v43
	s_delay_alu instid0(VALU_DEP_3) | instskip(NEXT) | instid1(VALU_DEP_2)
	v_cmp_lt_u32_e32 vcc_lo, 7, v35
	v_pk_add_f32 v[0:1], v[0:1], v[36:37]
	s_or_b32 s3, vcc_lo, s3
	s_delay_alu instid0(SALU_CYCLE_1)
	s_and_not1_b32 exec_lo, exec_lo, s3
	s_cbranch_execnz .LBB11_197
; %bb.198:
	s_or_b32 exec_lo, exec_lo, s3
.LBB11_199:
	s_delay_alu instid0(SALU_CYCLE_1) | instskip(SKIP_4) | instid1(VALU_DEP_1)
	s_or_b32 exec_lo, exec_lo, s2
	v_mov_b32_e32 v31, 0
	ds_load_b64 v[34:35], v31 offset:72
	s_wait_dscnt 0x0
	v_pk_mul_f32 v[36:37], v[0:1], v[34:35] op_sel:[1,1] op_sel_hi:[0,1]
	v_pk_fma_f32 v[38:39], v[0:1], v[34:35], v[36:37] op_sel_hi:[1,0,1]
	v_pk_fma_f32 v[0:1], v[0:1], v[34:35], v[36:37] neg_lo:[0,0,1] neg_hi:[0,0,1]
	s_delay_alu instid0(VALU_DEP_2)
	v_mov_b32_e32 v1, v39
	ds_store_b64 v33, v[0:1] offset:72
.LBB11_200:
	s_or_b32 exec_lo, exec_lo, s0
	ds_load_b64 v[0:1], v33 offset:80
	v_cmp_gt_u32_e64 s0, 10, v32
	s_wait_dscnt 0x0
	ds_store_b64 v28, v[0:1]
	s_wait_dscnt 0x0
	s_barrier_signal -1
	s_barrier_wait -1
	s_and_saveexec_b32 s2, s0
	s_cbranch_execz .LBB11_210
; %bb.201:
	v_cmp_ne_u32_e32 vcc_lo, 1, v30
	s_cbranch_vccnz .LBB11_203
; %bb.202:
	ds_load_b64 v[0:1], v29
	ds_load_b64 v[34:35], v28
	s_wait_dscnt 0x0
	v_pk_mul_f32 v[36:37], v[34:35], v[0:1] op_sel:[1,1] op_sel_hi:[0,1]
	s_delay_alu instid0(VALU_DEP_1) | instskip(SKIP_1) | instid1(VALU_DEP_2)
	v_pk_fma_f32 v[38:39], v[34:35], v[0:1], v[36:37] op_sel_hi:[1,0,1]
	v_pk_fma_f32 v[0:1], v[34:35], v[0:1], v[36:37] neg_lo:[0,0,1] neg_hi:[0,0,1]
	v_mov_b32_e32 v1, v39
	s_cbranch_execz .LBB11_204
	s_branch .LBB11_205
.LBB11_203:
                                        ; implicit-def: $vgpr0_vgpr1
.LBB11_204:
	ds_load_b64 v[0:1], v28
.LBB11_205:
	s_mov_b32 s3, exec_lo
	v_cmpx_ne_u32_e32 9, v32
	s_cbranch_execz .LBB11_209
; %bb.206:
	v_add_nc_u32_e32 v31, 0x68, v26
	v_add3_u32 v34, v27, v26, 0xc8
	v_mov_b32_e32 v35, v32
	s_mov_b32 s4, 0
.LBB11_207:                             ; =>This Inner Loop Header: Depth=1
	ds_load_b64 v[36:37], v34
	ds_load_b64 v[38:39], v31
	v_dual_add_nc_u32 v31, 8, v31 :: v_dual_add_nc_u32 v34, 8, v34
	s_wait_dscnt 0x0
	v_pk_mul_f32 v[40:41], v[38:39], v[36:37] op_sel:[1,1] op_sel_hi:[0,1]
	s_delay_alu instid0(VALU_DEP_1) | instskip(SKIP_2) | instid1(VALU_DEP_3)
	v_pk_fma_f32 v[42:43], v[38:39], v[36:37], v[40:41] op_sel_hi:[1,0,1]
	v_add_nc_u32_e32 v35, 1, v35
	v_pk_fma_f32 v[36:37], v[38:39], v[36:37], v[40:41] neg_lo:[0,0,1] neg_hi:[0,0,1]
	v_mov_b32_e32 v37, v43
	s_delay_alu instid0(VALU_DEP_3) | instskip(NEXT) | instid1(VALU_DEP_2)
	v_cmp_lt_u32_e32 vcc_lo, 8, v35
	v_pk_add_f32 v[0:1], v[0:1], v[36:37]
	s_or_b32 s4, vcc_lo, s4
	s_delay_alu instid0(SALU_CYCLE_1)
	s_and_not1_b32 exec_lo, exec_lo, s4
	s_cbranch_execnz .LBB11_207
; %bb.208:
	s_or_b32 exec_lo, exec_lo, s4
.LBB11_209:
	s_delay_alu instid0(SALU_CYCLE_1) | instskip(SKIP_4) | instid1(VALU_DEP_1)
	s_or_b32 exec_lo, exec_lo, s3
	v_mov_b32_e32 v31, 0
	ds_load_b64 v[34:35], v31 offset:80
	s_wait_dscnt 0x0
	v_pk_mul_f32 v[36:37], v[0:1], v[34:35] op_sel:[1,1] op_sel_hi:[0,1]
	v_pk_fma_f32 v[38:39], v[0:1], v[34:35], v[36:37] op_sel_hi:[1,0,1]
	v_pk_fma_f32 v[0:1], v[0:1], v[34:35], v[36:37] neg_lo:[0,0,1] neg_hi:[0,0,1]
	s_delay_alu instid0(VALU_DEP_2)
	v_mov_b32_e32 v1, v39
	ds_store_b64 v33, v[0:1] offset:80
.LBB11_210:
	s_or_b32 exec_lo, exec_lo, s2
	ds_load_b64 v[0:1], v33 offset:88
	s_mov_b32 s2, exec_lo
                                        ; implicit-def: $vgpr31
                                        ; implicit-def: $vgpr35
	s_wait_dscnt 0x0
	ds_store_b64 v28, v[0:1]
	s_wait_dscnt 0x0
	s_barrier_signal -1
	s_barrier_wait -1
	v_cmpx_ne_u32_e32 11, v32
	s_cbranch_execz .LBB11_220
; %bb.211:
	v_cmp_ne_u32_e32 vcc_lo, 1, v30
	s_cbranch_vccnz .LBB11_213
; %bb.212:
	ds_load_b64 v[30:31], v29
	ds_load_b64 v[34:35], v28
	s_wait_dscnt 0x0
	v_dual_mul_f32 v0, v35, v31 :: v_dual_mul_f32 v1, v34, v31
	s_delay_alu instid0(VALU_DEP_1)
	v_dual_fma_f32 v0, v34, v30, -v0 :: v_dual_fmac_f32 v1, v35, v30
	s_cbranch_execz .LBB11_214
	s_branch .LBB11_215
.LBB11_213:
                                        ; implicit-def: $vgpr1
.LBB11_214:
	ds_load_b64 v[0:1], v28
.LBB11_215:
	s_and_saveexec_b32 s3, s0
	s_cbranch_execz .LBB11_219
; %bb.216:
	v_add_nc_u32_e32 v28, 0x68, v26
	v_add3_u32 v26, v27, v26, 0xc8
	s_mov_b32 s0, 0
.LBB11_217:                             ; =>This Inner Loop Header: Depth=1
	ds_load_b64 v[30:31], v26
	ds_load_b64 v[34:35], v28
	s_wait_dscnt 0x0
	v_dual_mul_f32 v27, v35, v31 :: v_dual_add_nc_u32 v28, 8, v28
	v_dual_mul_f32 v29, v34, v31 :: v_dual_add_nc_u32 v32, 1, v32
	s_delay_alu instid0(VALU_DEP_1) | instskip(NEXT) | instid1(VALU_DEP_2)
	v_dual_fma_f32 v27, v34, v30, -v27 :: v_dual_fmac_f32 v29, v35, v30
	v_cmp_lt_u32_e32 vcc_lo, 9, v32
	s_delay_alu instid0(VALU_DEP_2) | instskip(NEXT) | instid1(VALU_DEP_3)
	v_dual_add_nc_u32 v26, 8, v26 :: v_dual_add_f32 v0, v0, v27
	v_add_f32_e32 v1, v1, v29
	s_or_b32 s0, vcc_lo, s0
	s_delay_alu instid0(SALU_CYCLE_1)
	s_and_not1_b32 exec_lo, exec_lo, s0
	s_cbranch_execnz .LBB11_217
; %bb.218:
	s_or_b32 exec_lo, exec_lo, s0
.LBB11_219:
	s_delay_alu instid0(SALU_CYCLE_1)
	s_or_b32 exec_lo, exec_lo, s3
	v_dual_mov_b32 v26, 0 :: v_dual_add_nc_u32 v35, 0x5c, v33
	s_or_b32 s1, s1, exec_lo
	ds_load_b64 v[26:27], v26 offset:88
	s_wait_dscnt 0x0
	v_dual_mul_f32 v28, v1, v27 :: v_dual_mul_f32 v31, v0, v27
	s_delay_alu instid0(VALU_DEP_1)
	v_dual_fma_f32 v0, v0, v26, -v28 :: v_dual_fmac_f32 v31, v1, v26
	ds_store_b32 v33, v0 offset:88
.LBB11_220:
	s_or_b32 exec_lo, exec_lo, s2
.LBB11_221:
	v_lshl_add_u64 v[26:27], v[6:7], 3, s[6:7]
	v_lshl_add_u64 v[8:9], v[8:9], 3, s[6:7]
	;; [unrolled: 1-line block ×10, first 2 shown]
	s_and_saveexec_b32 s0, s1
; %bb.222:
	ds_store_b32 v35, v31
; %bb.223:
	s_or_b32 exec_lo, exec_lo, s0
	ds_load_b128 v[22:25], v33
	ds_load_b128 v[28:31], v33 offset:16
	ds_load_b128 v[34:37], v33 offset:32
	;; [unrolled: 1-line block ×5, first 2 shown]
	s_wait_dscnt 0x5
	s_clause 0x1
	global_store_b64 v[2:3], v[22:23], off
	global_store_b64 v[4:5], v[24:25], off
	s_wait_dscnt 0x4
	s_clause 0x1
	global_store_b64 v[26:27], v[28:29], off
	global_store_b64 v[8:9], v[30:31], off
	;; [unrolled: 4-line block ×6, first 2 shown]
.LBB11_224:
	s_endpgm
	.section	.rodata,"a",@progbits
	.p2align	6, 0x0
	.amdhsa_kernel _ZN9rocsolver6v33100L18trti2_kernel_smallILi12E19rocblas_complex_numIfEPS3_EEv13rocblas_fill_17rocblas_diagonal_T1_iil
		.amdhsa_group_segment_fixed_size 6336
		.amdhsa_private_segment_fixed_size 0
		.amdhsa_kernarg_size 32
		.amdhsa_user_sgpr_count 4
		.amdhsa_user_sgpr_dispatch_ptr 1
		.amdhsa_user_sgpr_queue_ptr 0
		.amdhsa_user_sgpr_kernarg_segment_ptr 1
		.amdhsa_user_sgpr_dispatch_id 0
		.amdhsa_user_sgpr_kernarg_preload_length 0
		.amdhsa_user_sgpr_kernarg_preload_offset 0
		.amdhsa_user_sgpr_private_segment_size 0
		.amdhsa_wavefront_size32 1
		.amdhsa_uses_dynamic_stack 0
		.amdhsa_enable_private_segment 0
		.amdhsa_system_sgpr_workgroup_id_x 1
		.amdhsa_system_sgpr_workgroup_id_y 0
		.amdhsa_system_sgpr_workgroup_id_z 0
		.amdhsa_system_sgpr_workgroup_info 0
		.amdhsa_system_vgpr_workitem_id 2
		.amdhsa_next_free_vgpr 56
		.amdhsa_next_free_sgpr 14
		.amdhsa_named_barrier_count 0
		.amdhsa_reserve_vcc 1
		.amdhsa_float_round_mode_32 0
		.amdhsa_float_round_mode_16_64 0
		.amdhsa_float_denorm_mode_32 3
		.amdhsa_float_denorm_mode_16_64 3
		.amdhsa_fp16_overflow 0
		.amdhsa_memory_ordered 1
		.amdhsa_forward_progress 1
		.amdhsa_inst_pref_size 66
		.amdhsa_round_robin_scheduling 0
		.amdhsa_exception_fp_ieee_invalid_op 0
		.amdhsa_exception_fp_denorm_src 0
		.amdhsa_exception_fp_ieee_div_zero 0
		.amdhsa_exception_fp_ieee_overflow 0
		.amdhsa_exception_fp_ieee_underflow 0
		.amdhsa_exception_fp_ieee_inexact 0
		.amdhsa_exception_int_div_zero 0
	.end_amdhsa_kernel
	.section	.text._ZN9rocsolver6v33100L18trti2_kernel_smallILi12E19rocblas_complex_numIfEPS3_EEv13rocblas_fill_17rocblas_diagonal_T1_iil,"axG",@progbits,_ZN9rocsolver6v33100L18trti2_kernel_smallILi12E19rocblas_complex_numIfEPS3_EEv13rocblas_fill_17rocblas_diagonal_T1_iil,comdat
.Lfunc_end11:
	.size	_ZN9rocsolver6v33100L18trti2_kernel_smallILi12E19rocblas_complex_numIfEPS3_EEv13rocblas_fill_17rocblas_diagonal_T1_iil, .Lfunc_end11-_ZN9rocsolver6v33100L18trti2_kernel_smallILi12E19rocblas_complex_numIfEPS3_EEv13rocblas_fill_17rocblas_diagonal_T1_iil
                                        ; -- End function
	.set _ZN9rocsolver6v33100L18trti2_kernel_smallILi12E19rocblas_complex_numIfEPS3_EEv13rocblas_fill_17rocblas_diagonal_T1_iil.num_vgpr, 56
	.set _ZN9rocsolver6v33100L18trti2_kernel_smallILi12E19rocblas_complex_numIfEPS3_EEv13rocblas_fill_17rocblas_diagonal_T1_iil.num_agpr, 0
	.set _ZN9rocsolver6v33100L18trti2_kernel_smallILi12E19rocblas_complex_numIfEPS3_EEv13rocblas_fill_17rocblas_diagonal_T1_iil.numbered_sgpr, 14
	.set _ZN9rocsolver6v33100L18trti2_kernel_smallILi12E19rocblas_complex_numIfEPS3_EEv13rocblas_fill_17rocblas_diagonal_T1_iil.num_named_barrier, 0
	.set _ZN9rocsolver6v33100L18trti2_kernel_smallILi12E19rocblas_complex_numIfEPS3_EEv13rocblas_fill_17rocblas_diagonal_T1_iil.private_seg_size, 0
	.set _ZN9rocsolver6v33100L18trti2_kernel_smallILi12E19rocblas_complex_numIfEPS3_EEv13rocblas_fill_17rocblas_diagonal_T1_iil.uses_vcc, 1
	.set _ZN9rocsolver6v33100L18trti2_kernel_smallILi12E19rocblas_complex_numIfEPS3_EEv13rocblas_fill_17rocblas_diagonal_T1_iil.uses_flat_scratch, 0
	.set _ZN9rocsolver6v33100L18trti2_kernel_smallILi12E19rocblas_complex_numIfEPS3_EEv13rocblas_fill_17rocblas_diagonal_T1_iil.has_dyn_sized_stack, 0
	.set _ZN9rocsolver6v33100L18trti2_kernel_smallILi12E19rocblas_complex_numIfEPS3_EEv13rocblas_fill_17rocblas_diagonal_T1_iil.has_recursion, 0
	.set _ZN9rocsolver6v33100L18trti2_kernel_smallILi12E19rocblas_complex_numIfEPS3_EEv13rocblas_fill_17rocblas_diagonal_T1_iil.has_indirect_call, 0
	.section	.AMDGPU.csdata,"",@progbits
; Kernel info:
; codeLenInByte = 8440
; TotalNumSgprs: 16
; NumVgprs: 56
; ScratchSize: 0
; MemoryBound: 0
; FloatMode: 240
; IeeeMode: 1
; LDSByteSize: 6336 bytes/workgroup (compile time only)
; SGPRBlocks: 0
; VGPRBlocks: 3
; NumSGPRsForWavesPerEU: 16
; NumVGPRsForWavesPerEU: 56
; NamedBarCnt: 0
; Occupancy: 13
; WaveLimiterHint : 0
; COMPUTE_PGM_RSRC2:SCRATCH_EN: 0
; COMPUTE_PGM_RSRC2:USER_SGPR: 4
; COMPUTE_PGM_RSRC2:TRAP_HANDLER: 0
; COMPUTE_PGM_RSRC2:TGID_X_EN: 1
; COMPUTE_PGM_RSRC2:TGID_Y_EN: 0
; COMPUTE_PGM_RSRC2:TGID_Z_EN: 0
; COMPUTE_PGM_RSRC2:TIDIG_COMP_CNT: 2
	.section	.text._ZN9rocsolver6v33100L18trti2_kernel_smallILi13E19rocblas_complex_numIfEPS3_EEv13rocblas_fill_17rocblas_diagonal_T1_iil,"axG",@progbits,_ZN9rocsolver6v33100L18trti2_kernel_smallILi13E19rocblas_complex_numIfEPS3_EEv13rocblas_fill_17rocblas_diagonal_T1_iil,comdat
	.globl	_ZN9rocsolver6v33100L18trti2_kernel_smallILi13E19rocblas_complex_numIfEPS3_EEv13rocblas_fill_17rocblas_diagonal_T1_iil ; -- Begin function _ZN9rocsolver6v33100L18trti2_kernel_smallILi13E19rocblas_complex_numIfEPS3_EEv13rocblas_fill_17rocblas_diagonal_T1_iil
	.p2align	8
	.type	_ZN9rocsolver6v33100L18trti2_kernel_smallILi13E19rocblas_complex_numIfEPS3_EEv13rocblas_fill_17rocblas_diagonal_T1_iil,@function
_ZN9rocsolver6v33100L18trti2_kernel_smallILi13E19rocblas_complex_numIfEPS3_EEv13rocblas_fill_17rocblas_diagonal_T1_iil: ; @_ZN9rocsolver6v33100L18trti2_kernel_smallILi13E19rocblas_complex_numIfEPS3_EEv13rocblas_fill_17rocblas_diagonal_T1_iil
; %bb.0:
	v_and_b32_e32 v34, 0x3ff, v0
	s_mov_b32 s4, exec_lo
	s_delay_alu instid0(VALU_DEP_1)
	v_cmpx_gt_u32_e32 13, v34
	s_cbranch_execz .LBB12_244
; %bb.1:
	s_load_b256 s[4:11], s[2:3], 0x0
	s_load_b64 s[12:13], s[0:1], 0x4
	s_wait_xcnt 0x0
	s_bfe_u32 s0, ttmp6, 0x4000c
	s_and_b32 s1, ttmp6, 15
	s_add_co_i32 s0, s0, 1
	s_getreg_b32 s2, hwreg(HW_REG_IB_STS2, 6, 4)
	s_mul_i32 s0, ttmp9, s0
	v_bfe_u32 v1, v0, 10, 10
	s_add_co_i32 s0, s1, s0
	v_bfe_u32 v0, v0, 20, 10
	v_dual_mov_b32 v29, 0 :: v_dual_lshlrev_b32 v28, 3, v34
	s_wait_kmcnt 0x0
	v_add3_u32 v6, s9, s9, v34
	s_lshr_b32 s12, s12, 16
	s_ashr_i32 s1, s8, 31
	s_cmp_eq_u32 s2, 0
	s_mul_i32 s12, s12, s13
	v_add_nc_u32_e32 v8, s9, v6
	s_cselect_b32 s2, ttmp9, s0
	s_mov_b32 s0, s8
	s_ashr_i32 s3, s2, 31
	s_lshl_b64 s[0:1], s[0:1], 3
	v_add_nc_u32_e32 v10, s9, v8
	s_mul_u64 s[2:3], s[10:11], s[2:3]
	v_mul_u32_u24_e32 v1, s13, v1
	s_lshl_b64 s[2:3], s[2:3], 3
	v_mul_u32_u24_e32 v7, s12, v34
	v_add_nc_u32_e32 v12, s9, v10
	s_add_nc_u64 s[2:3], s[6:7], s[2:3]
	s_delay_alu instid0(SALU_CYCLE_1) | instskip(SKIP_1) | instid1(VALU_DEP_1)
	s_add_nc_u64 s[2:3], s[2:3], s[0:1]
	s_mov_b32 s0, s9
	v_add_nc_u32_e32 v14, s9, v12
	v_add_nc_u64_e32 v[2:3], s[2:3], v[28:29]
	s_ashr_i32 s1, s9, 31
	v_add3_u32 v36, v7, v1, v0
	s_cmp_lg_u32 s5, 0x84
	v_add_nc_u32_e32 v16, s9, v14
	s_cselect_b32 s5, -1, 0
	s_delay_alu instid0(VALU_DEP_3)
	v_lshl_add_u64 v[4:5], s[0:1], 3, v[2:3]
	s_clause 0x3
	global_load_b64 v[30:31], v34, s[2:3] scale_offset
	global_load_b64 v[32:33], v[4:5], off
	global_load_b64 v[38:39], v6, s[2:3] scale_offset
	global_load_b64 v[40:41], v8, s[2:3] scale_offset
	v_add_nc_u32_e32 v18, s9, v16
	v_mul_lo_u32 v35, 0x68, v36
	s_mov_b32 s0, -1
	s_and_b32 vcc_lo, exec_lo, s5
	s_delay_alu instid0(VALU_DEP_2) | instskip(NEXT) | instid1(VALU_DEP_1)
	v_add_nc_u32_e32 v20, s9, v18
	v_add_nc_u32_e32 v22, s9, v20
	s_clause 0x3
	global_load_b64 v[42:43], v10, s[2:3] scale_offset
	global_load_b64 v[44:45], v12, s[2:3] scale_offset
	;; [unrolled: 1-line block ×4, first 2 shown]
	v_add_nc_u32_e32 v29, 0xe0, v35
	v_add_nc_u32_e32 v24, s9, v22
	s_delay_alu instid0(VALU_DEP_1)
	v_add_nc_u32_e32 v26, s9, v24
	s_clause 0x4
	global_load_b64 v[50:51], v18, s[2:3] scale_offset
	global_load_b64 v[52:53], v20, s[2:3] scale_offset
	;; [unrolled: 1-line block ×5, first 2 shown]
	s_wait_loadcnt 0xb
	ds_store_b128 v35, v[30:33] offset:224
	s_wait_loadcnt 0x9
	ds_store_b128 v35, v[38:41] offset:240
	;; [unrolled: 2-line block ×6, first 2 shown]
	s_wait_loadcnt 0x0
	ds_store_b64 v35, v[58:59] offset:320
	s_cbranch_vccz .LBB12_7
; %bb.2:
	v_lshl_add_u32 v7, v34, 3, v29
                                        ; implicit-def: $vgpr33
                                        ; implicit-def: $vgpr30
	ds_load_b64 v[0:1], v7
	s_wait_dscnt 0x0
	v_cmp_ngt_f32_e64 s0, |v0|, |v1|
	s_and_saveexec_b32 s1, s0
	s_delay_alu instid0(SALU_CYCLE_1)
	s_xor_b32 s0, exec_lo, s1
	s_cbranch_execz .LBB12_4
; %bb.3:
	v_div_scale_f32 v9, null, v1, v1, v0
	v_div_scale_f32 v15, vcc_lo, v0, v1, v0
	s_delay_alu instid0(VALU_DEP_2) | instskip(SKIP_1) | instid1(TRANS32_DEP_1)
	v_rcp_f32_e32 v11, v9
	v_nop
	v_fma_f32 v13, -v9, v11, 1.0
	s_delay_alu instid0(VALU_DEP_1) | instskip(NEXT) | instid1(VALU_DEP_1)
	v_fmac_f32_e32 v11, v13, v11
	v_mul_f32_e32 v13, v15, v11
	s_delay_alu instid0(VALU_DEP_1) | instskip(NEXT) | instid1(VALU_DEP_1)
	v_fma_f32 v17, -v9, v13, v15
	v_fmac_f32_e32 v13, v17, v11
	s_delay_alu instid0(VALU_DEP_1) | instskip(NEXT) | instid1(VALU_DEP_1)
	v_fma_f32 v9, -v9, v13, v15
	v_div_fmas_f32 v9, v9, v11, v13
	s_delay_alu instid0(VALU_DEP_1) | instskip(NEXT) | instid1(VALU_DEP_1)
	v_div_fixup_f32 v9, v9, v1, v0
	v_fmac_f32_e32 v1, v0, v9
	s_delay_alu instid0(VALU_DEP_1) | instskip(NEXT) | instid1(VALU_DEP_1)
	v_div_scale_f32 v0, null, v1, v1, -1.0
	v_rcp_f32_e32 v11, v0
	v_nop
	s_delay_alu instid0(TRANS32_DEP_1) | instskip(NEXT) | instid1(VALU_DEP_1)
	v_fma_f32 v13, -v0, v11, 1.0
	v_fmac_f32_e32 v11, v13, v11
	v_div_scale_f32 v13, vcc_lo, -1.0, v1, -1.0
	s_delay_alu instid0(VALU_DEP_1) | instskip(NEXT) | instid1(VALU_DEP_1)
	v_mul_f32_e32 v15, v13, v11
	v_fma_f32 v17, -v0, v15, v13
	s_delay_alu instid0(VALU_DEP_1) | instskip(NEXT) | instid1(VALU_DEP_1)
	v_fmac_f32_e32 v15, v17, v11
	v_fma_f32 v0, -v0, v15, v13
	s_delay_alu instid0(VALU_DEP_1) | instskip(NEXT) | instid1(VALU_DEP_1)
	v_div_fmas_f32 v0, v0, v11, v15
	v_div_fixup_f32 v33, v0, v1, -1.0
                                        ; implicit-def: $vgpr0_vgpr1
	s_delay_alu instid0(VALU_DEP_1) | instskip(NEXT) | instid1(VALU_DEP_1)
	v_mul_f32_e32 v30, v9, v33
	v_xor_b32_e32 v32, 0x80000000, v30
.LBB12_4:
	s_and_not1_saveexec_b32 s0, s0
	s_cbranch_execz .LBB12_6
; %bb.5:
	v_div_scale_f32 v9, null, v0, v0, v1
	v_div_scale_f32 v15, vcc_lo, v1, v0, v1
	s_delay_alu instid0(VALU_DEP_2) | instskip(SKIP_1) | instid1(TRANS32_DEP_1)
	v_rcp_f32_e32 v11, v9
	v_nop
	v_fma_f32 v13, -v9, v11, 1.0
	s_delay_alu instid0(VALU_DEP_1) | instskip(NEXT) | instid1(VALU_DEP_1)
	v_fmac_f32_e32 v11, v13, v11
	v_mul_f32_e32 v13, v15, v11
	s_delay_alu instid0(VALU_DEP_1) | instskip(NEXT) | instid1(VALU_DEP_1)
	v_fma_f32 v17, -v9, v13, v15
	v_fmac_f32_e32 v13, v17, v11
	s_delay_alu instid0(VALU_DEP_1) | instskip(NEXT) | instid1(VALU_DEP_1)
	v_fma_f32 v9, -v9, v13, v15
	v_div_fmas_f32 v9, v9, v11, v13
	s_delay_alu instid0(VALU_DEP_1) | instskip(NEXT) | instid1(VALU_DEP_1)
	v_div_fixup_f32 v9, v9, v0, v1
	v_fmac_f32_e32 v0, v1, v9
	s_delay_alu instid0(VALU_DEP_1) | instskip(SKIP_1) | instid1(VALU_DEP_2)
	v_div_scale_f32 v1, null, v0, v0, 1.0
	v_div_scale_f32 v15, vcc_lo, 1.0, v0, 1.0
	v_rcp_f32_e32 v11, v1
	v_nop
	s_delay_alu instid0(TRANS32_DEP_1) | instskip(NEXT) | instid1(VALU_DEP_1)
	v_fma_f32 v13, -v1, v11, 1.0
	v_fmac_f32_e32 v11, v13, v11
	s_delay_alu instid0(VALU_DEP_1) | instskip(NEXT) | instid1(VALU_DEP_1)
	v_mul_f32_e32 v13, v15, v11
	v_fma_f32 v17, -v1, v13, v15
	s_delay_alu instid0(VALU_DEP_1) | instskip(NEXT) | instid1(VALU_DEP_1)
	v_fmac_f32_e32 v13, v17, v11
	v_fma_f32 v1, -v1, v13, v15
	s_delay_alu instid0(VALU_DEP_1) | instskip(NEXT) | instid1(VALU_DEP_1)
	v_div_fmas_f32 v1, v1, v11, v13
	v_div_fixup_f32 v32, v1, v0, 1.0
	s_delay_alu instid0(VALU_DEP_1)
	v_xor_b32_e32 v30, 0x80000000, v32
	v_mul_f32_e64 v33, v9, -v32
.LBB12_6:
	s_or_b32 exec_lo, exec_lo, s0
	s_delay_alu instid0(VALU_DEP_1)
	v_xor_b32_e32 v31, 0x80000000, v33
	s_mov_b32 s0, 0
	ds_store_b64 v7, v[32:33]
	ds_store_b64 v28, v[30:31]
.LBB12_7:
	s_and_b32 vcc_lo, exec_lo, s0
	s_cbranch_vccz .LBB12_9
; %bb.8:
	s_mov_b64 s[0:1], 0xbf800000
	s_delay_alu instid0(SALU_CYCLE_1)
	v_mov_b64_e32 v[0:1], s[0:1]
	ds_store_b64 v28, v[0:1]
.LBB12_9:
	v_dual_ashrrev_i32 v7, 31, v6 :: v_dual_ashrrev_i32 v9, 31, v8
	v_dual_ashrrev_i32 v11, 31, v10 :: v_dual_ashrrev_i32 v13, 31, v12
	;; [unrolled: 1-line block ×5, first 2 shown]
	v_dual_ashrrev_i32 v27, 31, v26 :: v_dual_add_nc_u32 v31, v29, v28
	v_add_nc_u32_e32 v30, 0x70, v28
	s_cmp_eq_u32 s4, 0x79
	s_cbranch_scc1 .LBB12_13
; %bb.10:
	ds_load_b64 v[0:1], v29 offset:88
	v_cmp_eq_u32_e64 s0, 12, v34
	s_wait_dscnt 0x0
	ds_store_b64 v30, v[0:1]
	s_wait_dscnt 0x0
	s_barrier_signal -1
	s_barrier_wait -1
	s_and_saveexec_b32 s1, s0
	s_cbranch_execz .LBB12_17
; %bb.11:
	s_and_b32 vcc_lo, exec_lo, s5
	s_cbranch_vccz .LBB12_14
; %bb.12:
	ds_load_b64 v[0:1], v31
	ds_load_b64 v[32:33], v30
	s_wait_dscnt 0x0
	v_pk_mul_f32 v[38:39], v[32:33], v[0:1] op_sel:[1,1] op_sel_hi:[0,1]
	v_pk_mul_f32 v[40:41], v[32:33], v[0:1] op_sel_hi:[1,0]
	s_delay_alu instid0(VALU_DEP_2) | instskip(NEXT) | instid1(VALU_DEP_2)
	v_pk_fma_f32 v[0:1], v[32:33], v[0:1], v[38:39] op_sel_hi:[1,0,1]
	v_sub_f32_e32 v0, v40, v38
	s_cbranch_execz .LBB12_15
	s_branch .LBB12_16
.LBB12_13:
	s_mov_b32 s1, 0
                                        ; implicit-def: $vgpr33
                                        ; implicit-def: $vgpr37
	s_cbranch_execnz .LBB12_126
	s_branch .LBB12_241
.LBB12_14:
                                        ; implicit-def: $vgpr1
.LBB12_15:
	ds_load_b64 v[0:1], v30
.LBB12_16:
	s_wait_dscnt 0x0
	v_dual_mov_b32 v32, 0 :: v_dual_mov_b32 v38, v1
	v_mov_b32_e32 v39, v0
	ds_load_b64 v[32:33], v32 offset:88
	s_wait_dscnt 0x0
	v_pk_mul_f32 v[38:39], v[38:39], v[32:33] op_sel:[0,1]
	s_delay_alu instid0(VALU_DEP_1) | instskip(SKIP_1) | instid1(VALU_DEP_2)
	v_pk_fma_f32 v[40:41], v[0:1], v[32:33], v[38:39] op_sel_hi:[1,0,1]
	v_pk_fma_f32 v[0:1], v[0:1], v[32:33], v[38:39] neg_lo:[0,0,1] neg_hi:[0,0,1]
	v_mov_b32_e32 v1, v41
	ds_store_b64 v29, v[0:1] offset:88
.LBB12_17:
	s_or_b32 exec_lo, exec_lo, s1
	ds_load_b64 v[0:1], v29 offset:80
	v_cmp_lt_u32_e64 s1, 10, v34
	s_wait_dscnt 0x0
	ds_store_b64 v30, v[0:1]
	s_wait_dscnt 0x0
	s_barrier_signal -1
	s_barrier_wait -1
	s_and_saveexec_b32 s4, s1
	s_cbranch_execz .LBB12_25
; %bb.18:
	s_and_not1_b32 vcc_lo, exec_lo, s5
	s_cbranch_vccnz .LBB12_20
; %bb.19:
	ds_load_b64 v[0:1], v31
	ds_load_b64 v[32:33], v30
	s_wait_dscnt 0x0
	v_pk_mul_f32 v[38:39], v[32:33], v[0:1] op_sel:[1,1] op_sel_hi:[0,1]
	s_delay_alu instid0(VALU_DEP_1) | instskip(SKIP_1) | instid1(VALU_DEP_2)
	v_pk_fma_f32 v[40:41], v[32:33], v[0:1], v[38:39] op_sel_hi:[1,0,1]
	v_pk_fma_f32 v[0:1], v[32:33], v[0:1], v[38:39] neg_lo:[0,0,1] neg_hi:[0,0,1]
	v_mov_b32_e32 v1, v41
	s_cbranch_execz .LBB12_21
	s_branch .LBB12_22
.LBB12_20:
                                        ; implicit-def: $vgpr0_vgpr1
.LBB12_21:
	ds_load_b64 v[0:1], v30
.LBB12_22:
	s_and_saveexec_b32 s6, s0
	s_cbranch_execz .LBB12_24
; %bb.23:
	v_mov_b32_e32 v37, 0
	ds_load_b64 v[32:33], v29 offset:88
	ds_load_b64 v[38:39], v37 offset:200
	s_wait_dscnt 0x0
	v_pk_mul_f32 v[40:41], v[38:39], v[32:33] op_sel:[1,1] op_sel_hi:[0,1]
	s_delay_alu instid0(VALU_DEP_1) | instskip(SKIP_1) | instid1(VALU_DEP_2)
	v_pk_fma_f32 v[42:43], v[38:39], v[32:33], v[40:41] op_sel_hi:[1,0,1]
	v_pk_fma_f32 v[32:33], v[38:39], v[32:33], v[40:41] neg_lo:[0,0,1] neg_hi:[0,0,1]
	v_mov_b32_e32 v33, v43
	s_delay_alu instid0(VALU_DEP_1)
	v_pk_add_f32 v[0:1], v[0:1], v[32:33]
.LBB12_24:
	s_or_b32 exec_lo, exec_lo, s6
	v_mov_b32_e32 v32, 0
	ds_load_b64 v[32:33], v32 offset:80
	s_wait_dscnt 0x0
	v_pk_mul_f32 v[38:39], v[0:1], v[32:33] op_sel:[1,1] op_sel_hi:[0,1]
	s_delay_alu instid0(VALU_DEP_1) | instskip(SKIP_1) | instid1(VALU_DEP_2)
	v_pk_fma_f32 v[40:41], v[0:1], v[32:33], v[38:39] op_sel_hi:[1,0,1]
	v_pk_fma_f32 v[0:1], v[0:1], v[32:33], v[38:39] neg_lo:[0,0,1] neg_hi:[0,0,1]
	v_mov_b32_e32 v1, v41
	ds_store_b64 v29, v[0:1] offset:80
.LBB12_25:
	s_or_b32 exec_lo, exec_lo, s4
	ds_load_b64 v[0:1], v29 offset:72
	v_cmp_lt_u32_e64 s0, 9, v34
	s_wait_dscnt 0x0
	ds_store_b64 v30, v[0:1]
	s_wait_dscnt 0x0
	s_barrier_signal -1
	s_barrier_wait -1
	s_and_saveexec_b32 s4, s0
	s_cbranch_execz .LBB12_35
; %bb.26:
	s_and_not1_b32 vcc_lo, exec_lo, s5
	s_cbranch_vccnz .LBB12_28
; %bb.27:
	ds_load_b64 v[0:1], v31
	ds_load_b64 v[32:33], v30
	s_wait_dscnt 0x0
	v_pk_mul_f32 v[38:39], v[32:33], v[0:1] op_sel:[1,1] op_sel_hi:[0,1]
	s_delay_alu instid0(VALU_DEP_1) | instskip(SKIP_1) | instid1(VALU_DEP_2)
	v_pk_fma_f32 v[40:41], v[32:33], v[0:1], v[38:39] op_sel_hi:[1,0,1]
	v_pk_fma_f32 v[0:1], v[32:33], v[0:1], v[38:39] neg_lo:[0,0,1] neg_hi:[0,0,1]
	v_mov_b32_e32 v1, v41
	s_cbranch_execz .LBB12_29
	s_branch .LBB12_30
.LBB12_28:
                                        ; implicit-def: $vgpr0_vgpr1
.LBB12_29:
	ds_load_b64 v[0:1], v30
.LBB12_30:
	s_and_saveexec_b32 s6, s1
	s_cbranch_execz .LBB12_34
; %bb.31:
	s_movk_i32 s1, 0x68
	v_add_nc_u32_e32 v33, -10, v34
	v_mad_u32 v32, v36, s1, 0x130
	s_movk_i32 s7, 0xc0
	s_mov_b32 s1, 0
.LBB12_32:                              ; =>This Inner Loop Header: Depth=1
	s_delay_alu instid0(VALU_DEP_2)
	v_dual_mov_b32 v37, s7 :: v_dual_add_nc_u32 v33, -1, v33
	s_add_co_i32 s7, s7, 8
	ds_load_b64 v[38:39], v32
	ds_load_b64 v[40:41], v37
	v_add_nc_u32_e32 v32, 8, v32
	v_cmp_eq_u32_e32 vcc_lo, 0, v33
	s_or_b32 s1, vcc_lo, s1
	s_wait_dscnt 0x0
	v_pk_mul_f32 v[42:43], v[40:41], v[38:39] op_sel:[1,1] op_sel_hi:[0,1]
	s_delay_alu instid0(VALU_DEP_1) | instskip(SKIP_1) | instid1(VALU_DEP_2)
	v_pk_fma_f32 v[44:45], v[40:41], v[38:39], v[42:43] op_sel_hi:[1,0,1]
	v_pk_fma_f32 v[38:39], v[40:41], v[38:39], v[42:43] neg_lo:[0,0,1] neg_hi:[0,0,1]
	v_mov_b32_e32 v39, v45
	s_delay_alu instid0(VALU_DEP_1)
	v_pk_add_f32 v[0:1], v[0:1], v[38:39]
	s_and_not1_b32 exec_lo, exec_lo, s1
	s_cbranch_execnz .LBB12_32
; %bb.33:
	s_or_b32 exec_lo, exec_lo, s1
.LBB12_34:
	s_delay_alu instid0(SALU_CYCLE_1) | instskip(SKIP_4) | instid1(VALU_DEP_1)
	s_or_b32 exec_lo, exec_lo, s6
	v_mov_b32_e32 v32, 0
	ds_load_b64 v[32:33], v32 offset:72
	s_wait_dscnt 0x0
	v_pk_mul_f32 v[38:39], v[0:1], v[32:33] op_sel:[1,1] op_sel_hi:[0,1]
	v_pk_fma_f32 v[40:41], v[0:1], v[32:33], v[38:39] op_sel_hi:[1,0,1]
	v_pk_fma_f32 v[0:1], v[0:1], v[32:33], v[38:39] neg_lo:[0,0,1] neg_hi:[0,0,1]
	s_delay_alu instid0(VALU_DEP_2)
	v_mov_b32_e32 v1, v41
	ds_store_b64 v29, v[0:1] offset:72
.LBB12_35:
	s_or_b32 exec_lo, exec_lo, s4
	ds_load_b64 v[0:1], v29 offset:64
	v_cmp_lt_u32_e64 s1, 8, v34
	s_wait_dscnt 0x0
	ds_store_b64 v30, v[0:1]
	s_wait_dscnt 0x0
	s_barrier_signal -1
	s_barrier_wait -1
	s_and_saveexec_b32 s4, s1
	s_cbranch_execz .LBB12_45
; %bb.36:
	s_and_not1_b32 vcc_lo, exec_lo, s5
	s_cbranch_vccnz .LBB12_38
; %bb.37:
	ds_load_b64 v[0:1], v31
	ds_load_b64 v[32:33], v30
	s_wait_dscnt 0x0
	v_pk_mul_f32 v[38:39], v[32:33], v[0:1] op_sel:[1,1] op_sel_hi:[0,1]
	s_delay_alu instid0(VALU_DEP_1) | instskip(SKIP_1) | instid1(VALU_DEP_2)
	v_pk_fma_f32 v[40:41], v[32:33], v[0:1], v[38:39] op_sel_hi:[1,0,1]
	v_pk_fma_f32 v[0:1], v[32:33], v[0:1], v[38:39] neg_lo:[0,0,1] neg_hi:[0,0,1]
	v_mov_b32_e32 v1, v41
	s_cbranch_execz .LBB12_39
	s_branch .LBB12_40
.LBB12_38:
                                        ; implicit-def: $vgpr0_vgpr1
.LBB12_39:
	ds_load_b64 v[0:1], v30
.LBB12_40:
	s_and_saveexec_b32 s6, s0
	s_cbranch_execz .LBB12_44
; %bb.41:
	s_movk_i32 s0, 0x68
	v_add_nc_u32_e32 v33, -9, v34
	v_mad_u32 v32, v36, s0, 0x128
	s_movk_i32 s7, 0xb8
	s_mov_b32 s0, 0
.LBB12_42:                              ; =>This Inner Loop Header: Depth=1
	s_delay_alu instid0(VALU_DEP_2)
	v_dual_mov_b32 v37, s7 :: v_dual_add_nc_u32 v33, -1, v33
	s_add_co_i32 s7, s7, 8
	ds_load_b64 v[38:39], v32
	ds_load_b64 v[40:41], v37
	v_add_nc_u32_e32 v32, 8, v32
	v_cmp_eq_u32_e32 vcc_lo, 0, v33
	s_or_b32 s0, vcc_lo, s0
	s_wait_dscnt 0x0
	v_pk_mul_f32 v[42:43], v[40:41], v[38:39] op_sel:[1,1] op_sel_hi:[0,1]
	s_delay_alu instid0(VALU_DEP_1) | instskip(SKIP_1) | instid1(VALU_DEP_2)
	v_pk_fma_f32 v[44:45], v[40:41], v[38:39], v[42:43] op_sel_hi:[1,0,1]
	v_pk_fma_f32 v[38:39], v[40:41], v[38:39], v[42:43] neg_lo:[0,0,1] neg_hi:[0,0,1]
	v_mov_b32_e32 v39, v45
	s_delay_alu instid0(VALU_DEP_1)
	v_pk_add_f32 v[0:1], v[0:1], v[38:39]
	s_and_not1_b32 exec_lo, exec_lo, s0
	s_cbranch_execnz .LBB12_42
; %bb.43:
	s_or_b32 exec_lo, exec_lo, s0
.LBB12_44:
	s_delay_alu instid0(SALU_CYCLE_1) | instskip(SKIP_4) | instid1(VALU_DEP_1)
	s_or_b32 exec_lo, exec_lo, s6
	v_mov_b32_e32 v32, 0
	ds_load_b64 v[32:33], v32 offset:64
	s_wait_dscnt 0x0
	v_pk_mul_f32 v[38:39], v[0:1], v[32:33] op_sel:[1,1] op_sel_hi:[0,1]
	v_pk_fma_f32 v[40:41], v[0:1], v[32:33], v[38:39] op_sel_hi:[1,0,1]
	v_pk_fma_f32 v[0:1], v[0:1], v[32:33], v[38:39] neg_lo:[0,0,1] neg_hi:[0,0,1]
	s_delay_alu instid0(VALU_DEP_2)
	v_mov_b32_e32 v1, v41
	ds_store_b64 v29, v[0:1] offset:64
.LBB12_45:
	s_or_b32 exec_lo, exec_lo, s4
	ds_load_b64 v[0:1], v29 offset:56
	v_cmp_lt_u32_e64 s0, 7, v34
	s_wait_dscnt 0x0
	ds_store_b64 v30, v[0:1]
	s_wait_dscnt 0x0
	s_barrier_signal -1
	s_barrier_wait -1
	s_and_saveexec_b32 s4, s0
	s_cbranch_execz .LBB12_55
; %bb.46:
	s_and_not1_b32 vcc_lo, exec_lo, s5
	s_cbranch_vccnz .LBB12_48
; %bb.47:
	ds_load_b64 v[0:1], v31
	ds_load_b64 v[32:33], v30
	s_wait_dscnt 0x0
	v_pk_mul_f32 v[38:39], v[32:33], v[0:1] op_sel:[1,1] op_sel_hi:[0,1]
	s_delay_alu instid0(VALU_DEP_1) | instskip(SKIP_1) | instid1(VALU_DEP_2)
	v_pk_fma_f32 v[40:41], v[32:33], v[0:1], v[38:39] op_sel_hi:[1,0,1]
	v_pk_fma_f32 v[0:1], v[32:33], v[0:1], v[38:39] neg_lo:[0,0,1] neg_hi:[0,0,1]
	v_mov_b32_e32 v1, v41
	s_cbranch_execz .LBB12_49
	s_branch .LBB12_50
.LBB12_48:
                                        ; implicit-def: $vgpr0_vgpr1
.LBB12_49:
	ds_load_b64 v[0:1], v30
.LBB12_50:
	s_and_saveexec_b32 s6, s1
	s_cbranch_execz .LBB12_54
; %bb.51:
	s_movk_i32 s1, 0x68
	v_add_nc_u32_e32 v33, -8, v34
	v_mad_u32 v32, v36, s1, 0x120
	s_movk_i32 s7, 0xb0
	s_mov_b32 s1, 0
.LBB12_52:                              ; =>This Inner Loop Header: Depth=1
	s_delay_alu instid0(VALU_DEP_2)
	v_dual_mov_b32 v37, s7 :: v_dual_add_nc_u32 v33, -1, v33
	s_add_co_i32 s7, s7, 8
	ds_load_b64 v[38:39], v32
	ds_load_b64 v[40:41], v37
	v_add_nc_u32_e32 v32, 8, v32
	v_cmp_eq_u32_e32 vcc_lo, 0, v33
	s_or_b32 s1, vcc_lo, s1
	s_wait_dscnt 0x0
	v_pk_mul_f32 v[42:43], v[40:41], v[38:39] op_sel:[1,1] op_sel_hi:[0,1]
	s_delay_alu instid0(VALU_DEP_1) | instskip(SKIP_1) | instid1(VALU_DEP_2)
	v_pk_fma_f32 v[44:45], v[40:41], v[38:39], v[42:43] op_sel_hi:[1,0,1]
	v_pk_fma_f32 v[38:39], v[40:41], v[38:39], v[42:43] neg_lo:[0,0,1] neg_hi:[0,0,1]
	v_mov_b32_e32 v39, v45
	s_delay_alu instid0(VALU_DEP_1)
	v_pk_add_f32 v[0:1], v[0:1], v[38:39]
	s_and_not1_b32 exec_lo, exec_lo, s1
	s_cbranch_execnz .LBB12_52
; %bb.53:
	s_or_b32 exec_lo, exec_lo, s1
.LBB12_54:
	s_delay_alu instid0(SALU_CYCLE_1) | instskip(SKIP_4) | instid1(VALU_DEP_1)
	s_or_b32 exec_lo, exec_lo, s6
	v_mov_b32_e32 v32, 0
	ds_load_b64 v[32:33], v32 offset:56
	s_wait_dscnt 0x0
	v_pk_mul_f32 v[38:39], v[0:1], v[32:33] op_sel:[1,1] op_sel_hi:[0,1]
	v_pk_fma_f32 v[40:41], v[0:1], v[32:33], v[38:39] op_sel_hi:[1,0,1]
	v_pk_fma_f32 v[0:1], v[0:1], v[32:33], v[38:39] neg_lo:[0,0,1] neg_hi:[0,0,1]
	s_delay_alu instid0(VALU_DEP_2)
	v_mov_b32_e32 v1, v41
	ds_store_b64 v29, v[0:1] offset:56
.LBB12_55:
	s_or_b32 exec_lo, exec_lo, s4
	ds_load_b64 v[0:1], v29 offset:48
	v_cmp_lt_u32_e64 s1, 6, v34
	s_wait_dscnt 0x0
	ds_store_b64 v30, v[0:1]
	s_wait_dscnt 0x0
	s_barrier_signal -1
	s_barrier_wait -1
	s_and_saveexec_b32 s4, s1
	s_cbranch_execz .LBB12_65
; %bb.56:
	s_and_not1_b32 vcc_lo, exec_lo, s5
	s_cbranch_vccnz .LBB12_58
; %bb.57:
	ds_load_b64 v[0:1], v31
	ds_load_b64 v[32:33], v30
	s_wait_dscnt 0x0
	v_pk_mul_f32 v[38:39], v[32:33], v[0:1] op_sel:[1,1] op_sel_hi:[0,1]
	s_delay_alu instid0(VALU_DEP_1) | instskip(SKIP_1) | instid1(VALU_DEP_2)
	v_pk_fma_f32 v[40:41], v[32:33], v[0:1], v[38:39] op_sel_hi:[1,0,1]
	v_pk_fma_f32 v[0:1], v[32:33], v[0:1], v[38:39] neg_lo:[0,0,1] neg_hi:[0,0,1]
	v_mov_b32_e32 v1, v41
	s_cbranch_execz .LBB12_59
	s_branch .LBB12_60
.LBB12_58:
                                        ; implicit-def: $vgpr0_vgpr1
.LBB12_59:
	ds_load_b64 v[0:1], v30
.LBB12_60:
	s_and_saveexec_b32 s6, s0
	s_cbranch_execz .LBB12_64
; %bb.61:
	s_movk_i32 s0, 0x68
	v_add_nc_u32_e32 v33, -7, v34
	v_mad_u32 v32, v36, s0, 0x118
	s_movk_i32 s7, 0xa8
	s_mov_b32 s0, 0
.LBB12_62:                              ; =>This Inner Loop Header: Depth=1
	s_delay_alu instid0(VALU_DEP_2)
	v_dual_mov_b32 v37, s7 :: v_dual_add_nc_u32 v33, -1, v33
	s_add_co_i32 s7, s7, 8
	ds_load_b64 v[38:39], v32
	ds_load_b64 v[40:41], v37
	v_add_nc_u32_e32 v32, 8, v32
	v_cmp_eq_u32_e32 vcc_lo, 0, v33
	s_or_b32 s0, vcc_lo, s0
	s_wait_dscnt 0x0
	v_pk_mul_f32 v[42:43], v[40:41], v[38:39] op_sel:[1,1] op_sel_hi:[0,1]
	s_delay_alu instid0(VALU_DEP_1) | instskip(SKIP_1) | instid1(VALU_DEP_2)
	v_pk_fma_f32 v[44:45], v[40:41], v[38:39], v[42:43] op_sel_hi:[1,0,1]
	v_pk_fma_f32 v[38:39], v[40:41], v[38:39], v[42:43] neg_lo:[0,0,1] neg_hi:[0,0,1]
	v_mov_b32_e32 v39, v45
	s_delay_alu instid0(VALU_DEP_1)
	v_pk_add_f32 v[0:1], v[0:1], v[38:39]
	s_and_not1_b32 exec_lo, exec_lo, s0
	s_cbranch_execnz .LBB12_62
; %bb.63:
	s_or_b32 exec_lo, exec_lo, s0
.LBB12_64:
	s_delay_alu instid0(SALU_CYCLE_1) | instskip(SKIP_4) | instid1(VALU_DEP_1)
	s_or_b32 exec_lo, exec_lo, s6
	v_mov_b32_e32 v32, 0
	ds_load_b64 v[32:33], v32 offset:48
	s_wait_dscnt 0x0
	v_pk_mul_f32 v[38:39], v[0:1], v[32:33] op_sel:[1,1] op_sel_hi:[0,1]
	v_pk_fma_f32 v[40:41], v[0:1], v[32:33], v[38:39] op_sel_hi:[1,0,1]
	v_pk_fma_f32 v[0:1], v[0:1], v[32:33], v[38:39] neg_lo:[0,0,1] neg_hi:[0,0,1]
	s_delay_alu instid0(VALU_DEP_2)
	v_mov_b32_e32 v1, v41
	ds_store_b64 v29, v[0:1] offset:48
.LBB12_65:
	s_or_b32 exec_lo, exec_lo, s4
	ds_load_b64 v[0:1], v29 offset:40
	v_cmp_lt_u32_e64 s0, 5, v34
	s_wait_dscnt 0x0
	ds_store_b64 v30, v[0:1]
	s_wait_dscnt 0x0
	s_barrier_signal -1
	s_barrier_wait -1
	s_and_saveexec_b32 s4, s0
	s_cbranch_execz .LBB12_75
; %bb.66:
	s_and_not1_b32 vcc_lo, exec_lo, s5
	s_cbranch_vccnz .LBB12_68
; %bb.67:
	ds_load_b64 v[0:1], v31
	ds_load_b64 v[32:33], v30
	s_wait_dscnt 0x0
	v_pk_mul_f32 v[38:39], v[32:33], v[0:1] op_sel:[1,1] op_sel_hi:[0,1]
	s_delay_alu instid0(VALU_DEP_1) | instskip(SKIP_1) | instid1(VALU_DEP_2)
	v_pk_fma_f32 v[40:41], v[32:33], v[0:1], v[38:39] op_sel_hi:[1,0,1]
	v_pk_fma_f32 v[0:1], v[32:33], v[0:1], v[38:39] neg_lo:[0,0,1] neg_hi:[0,0,1]
	v_mov_b32_e32 v1, v41
	s_cbranch_execz .LBB12_69
	s_branch .LBB12_70
.LBB12_68:
                                        ; implicit-def: $vgpr0_vgpr1
.LBB12_69:
	ds_load_b64 v[0:1], v30
.LBB12_70:
	s_and_saveexec_b32 s6, s1
	s_cbranch_execz .LBB12_74
; %bb.71:
	s_movk_i32 s1, 0x68
	v_add_nc_u32_e32 v33, -6, v34
	v_mad_u32 v32, v36, s1, 0x110
	s_movk_i32 s7, 0xa0
	s_mov_b32 s1, 0
.LBB12_72:                              ; =>This Inner Loop Header: Depth=1
	s_delay_alu instid0(VALU_DEP_2)
	v_dual_mov_b32 v37, s7 :: v_dual_add_nc_u32 v33, -1, v33
	s_add_co_i32 s7, s7, 8
	ds_load_b64 v[38:39], v32
	ds_load_b64 v[40:41], v37
	v_add_nc_u32_e32 v32, 8, v32
	v_cmp_eq_u32_e32 vcc_lo, 0, v33
	s_or_b32 s1, vcc_lo, s1
	s_wait_dscnt 0x0
	v_pk_mul_f32 v[42:43], v[40:41], v[38:39] op_sel:[1,1] op_sel_hi:[0,1]
	s_delay_alu instid0(VALU_DEP_1) | instskip(SKIP_1) | instid1(VALU_DEP_2)
	v_pk_fma_f32 v[44:45], v[40:41], v[38:39], v[42:43] op_sel_hi:[1,0,1]
	v_pk_fma_f32 v[38:39], v[40:41], v[38:39], v[42:43] neg_lo:[0,0,1] neg_hi:[0,0,1]
	v_mov_b32_e32 v39, v45
	s_delay_alu instid0(VALU_DEP_1)
	v_pk_add_f32 v[0:1], v[0:1], v[38:39]
	s_and_not1_b32 exec_lo, exec_lo, s1
	s_cbranch_execnz .LBB12_72
; %bb.73:
	s_or_b32 exec_lo, exec_lo, s1
.LBB12_74:
	s_delay_alu instid0(SALU_CYCLE_1) | instskip(SKIP_4) | instid1(VALU_DEP_1)
	s_or_b32 exec_lo, exec_lo, s6
	v_mov_b32_e32 v32, 0
	ds_load_b64 v[32:33], v32 offset:40
	s_wait_dscnt 0x0
	v_pk_mul_f32 v[38:39], v[0:1], v[32:33] op_sel:[1,1] op_sel_hi:[0,1]
	v_pk_fma_f32 v[40:41], v[0:1], v[32:33], v[38:39] op_sel_hi:[1,0,1]
	v_pk_fma_f32 v[0:1], v[0:1], v[32:33], v[38:39] neg_lo:[0,0,1] neg_hi:[0,0,1]
	s_delay_alu instid0(VALU_DEP_2)
	v_mov_b32_e32 v1, v41
	ds_store_b64 v29, v[0:1] offset:40
.LBB12_75:
	s_or_b32 exec_lo, exec_lo, s4
	ds_load_b64 v[0:1], v29 offset:32
	v_cmp_lt_u32_e64 s1, 4, v34
	s_wait_dscnt 0x0
	ds_store_b64 v30, v[0:1]
	s_wait_dscnt 0x0
	s_barrier_signal -1
	s_barrier_wait -1
	s_and_saveexec_b32 s4, s1
	s_cbranch_execz .LBB12_85
; %bb.76:
	s_and_not1_b32 vcc_lo, exec_lo, s5
	s_cbranch_vccnz .LBB12_78
; %bb.77:
	ds_load_b64 v[0:1], v31
	ds_load_b64 v[32:33], v30
	s_wait_dscnt 0x0
	v_pk_mul_f32 v[38:39], v[32:33], v[0:1] op_sel:[1,1] op_sel_hi:[0,1]
	s_delay_alu instid0(VALU_DEP_1) | instskip(SKIP_1) | instid1(VALU_DEP_2)
	v_pk_fma_f32 v[40:41], v[32:33], v[0:1], v[38:39] op_sel_hi:[1,0,1]
	v_pk_fma_f32 v[0:1], v[32:33], v[0:1], v[38:39] neg_lo:[0,0,1] neg_hi:[0,0,1]
	v_mov_b32_e32 v1, v41
	s_cbranch_execz .LBB12_79
	s_branch .LBB12_80
.LBB12_78:
                                        ; implicit-def: $vgpr0_vgpr1
.LBB12_79:
	ds_load_b64 v[0:1], v30
.LBB12_80:
	s_and_saveexec_b32 s6, s0
	s_cbranch_execz .LBB12_84
; %bb.81:
	s_movk_i32 s0, 0x68
	v_add_nc_u32_e32 v33, -5, v34
	v_mad_u32 v32, v36, s0, 0x108
	s_movk_i32 s7, 0x98
	s_mov_b32 s0, 0
.LBB12_82:                              ; =>This Inner Loop Header: Depth=1
	s_delay_alu instid0(VALU_DEP_2)
	v_dual_mov_b32 v37, s7 :: v_dual_add_nc_u32 v33, -1, v33
	s_add_co_i32 s7, s7, 8
	ds_load_b64 v[38:39], v32
	ds_load_b64 v[40:41], v37
	v_add_nc_u32_e32 v32, 8, v32
	v_cmp_eq_u32_e32 vcc_lo, 0, v33
	s_or_b32 s0, vcc_lo, s0
	s_wait_dscnt 0x0
	v_pk_mul_f32 v[42:43], v[40:41], v[38:39] op_sel:[1,1] op_sel_hi:[0,1]
	s_delay_alu instid0(VALU_DEP_1) | instskip(SKIP_1) | instid1(VALU_DEP_2)
	v_pk_fma_f32 v[44:45], v[40:41], v[38:39], v[42:43] op_sel_hi:[1,0,1]
	v_pk_fma_f32 v[38:39], v[40:41], v[38:39], v[42:43] neg_lo:[0,0,1] neg_hi:[0,0,1]
	v_mov_b32_e32 v39, v45
	s_delay_alu instid0(VALU_DEP_1)
	v_pk_add_f32 v[0:1], v[0:1], v[38:39]
	s_and_not1_b32 exec_lo, exec_lo, s0
	s_cbranch_execnz .LBB12_82
; %bb.83:
	s_or_b32 exec_lo, exec_lo, s0
.LBB12_84:
	s_delay_alu instid0(SALU_CYCLE_1) | instskip(SKIP_4) | instid1(VALU_DEP_1)
	s_or_b32 exec_lo, exec_lo, s6
	v_mov_b32_e32 v32, 0
	ds_load_b64 v[32:33], v32 offset:32
	s_wait_dscnt 0x0
	v_pk_mul_f32 v[38:39], v[0:1], v[32:33] op_sel:[1,1] op_sel_hi:[0,1]
	v_pk_fma_f32 v[40:41], v[0:1], v[32:33], v[38:39] op_sel_hi:[1,0,1]
	v_pk_fma_f32 v[0:1], v[0:1], v[32:33], v[38:39] neg_lo:[0,0,1] neg_hi:[0,0,1]
	s_delay_alu instid0(VALU_DEP_2)
	v_mov_b32_e32 v1, v41
	ds_store_b64 v29, v[0:1] offset:32
.LBB12_85:
	s_or_b32 exec_lo, exec_lo, s4
	ds_load_b64 v[0:1], v29 offset:24
	v_cmp_lt_u32_e64 s0, 3, v34
	s_wait_dscnt 0x0
	ds_store_b64 v30, v[0:1]
	s_wait_dscnt 0x0
	s_barrier_signal -1
	s_barrier_wait -1
	s_and_saveexec_b32 s4, s0
	s_cbranch_execz .LBB12_95
; %bb.86:
	s_and_not1_b32 vcc_lo, exec_lo, s5
	s_cbranch_vccnz .LBB12_88
; %bb.87:
	ds_load_b64 v[0:1], v31
	ds_load_b64 v[32:33], v30
	s_wait_dscnt 0x0
	v_pk_mul_f32 v[38:39], v[32:33], v[0:1] op_sel:[1,1] op_sel_hi:[0,1]
	s_delay_alu instid0(VALU_DEP_1) | instskip(SKIP_1) | instid1(VALU_DEP_2)
	v_pk_fma_f32 v[40:41], v[32:33], v[0:1], v[38:39] op_sel_hi:[1,0,1]
	v_pk_fma_f32 v[0:1], v[32:33], v[0:1], v[38:39] neg_lo:[0,0,1] neg_hi:[0,0,1]
	v_mov_b32_e32 v1, v41
	s_cbranch_execz .LBB12_89
	s_branch .LBB12_90
.LBB12_88:
                                        ; implicit-def: $vgpr0_vgpr1
.LBB12_89:
	ds_load_b64 v[0:1], v30
.LBB12_90:
	s_and_saveexec_b32 s6, s1
	s_cbranch_execz .LBB12_94
; %bb.91:
	s_movk_i32 s1, 0x68
	v_add_nc_u32_e32 v33, -4, v34
	v_mad_u32 v32, v36, s1, 0x100
	s_movk_i32 s7, 0x90
	s_mov_b32 s1, 0
.LBB12_92:                              ; =>This Inner Loop Header: Depth=1
	s_delay_alu instid0(VALU_DEP_2)
	v_dual_mov_b32 v37, s7 :: v_dual_add_nc_u32 v33, -1, v33
	s_add_co_i32 s7, s7, 8
	ds_load_b64 v[38:39], v32
	ds_load_b64 v[40:41], v37
	v_add_nc_u32_e32 v32, 8, v32
	v_cmp_eq_u32_e32 vcc_lo, 0, v33
	s_or_b32 s1, vcc_lo, s1
	s_wait_dscnt 0x0
	v_pk_mul_f32 v[42:43], v[40:41], v[38:39] op_sel:[1,1] op_sel_hi:[0,1]
	s_delay_alu instid0(VALU_DEP_1) | instskip(SKIP_1) | instid1(VALU_DEP_2)
	v_pk_fma_f32 v[44:45], v[40:41], v[38:39], v[42:43] op_sel_hi:[1,0,1]
	v_pk_fma_f32 v[38:39], v[40:41], v[38:39], v[42:43] neg_lo:[0,0,1] neg_hi:[0,0,1]
	v_mov_b32_e32 v39, v45
	s_delay_alu instid0(VALU_DEP_1)
	v_pk_add_f32 v[0:1], v[0:1], v[38:39]
	s_and_not1_b32 exec_lo, exec_lo, s1
	s_cbranch_execnz .LBB12_92
; %bb.93:
	s_or_b32 exec_lo, exec_lo, s1
.LBB12_94:
	s_delay_alu instid0(SALU_CYCLE_1) | instskip(SKIP_4) | instid1(VALU_DEP_1)
	s_or_b32 exec_lo, exec_lo, s6
	v_mov_b32_e32 v32, 0
	ds_load_b64 v[32:33], v32 offset:24
	s_wait_dscnt 0x0
	v_pk_mul_f32 v[38:39], v[0:1], v[32:33] op_sel:[1,1] op_sel_hi:[0,1]
	v_pk_fma_f32 v[40:41], v[0:1], v[32:33], v[38:39] op_sel_hi:[1,0,1]
	v_pk_fma_f32 v[0:1], v[0:1], v[32:33], v[38:39] neg_lo:[0,0,1] neg_hi:[0,0,1]
	s_delay_alu instid0(VALU_DEP_2)
	v_mov_b32_e32 v1, v41
	ds_store_b64 v29, v[0:1] offset:24
.LBB12_95:
	s_or_b32 exec_lo, exec_lo, s4
	ds_load_b64 v[0:1], v29 offset:16
	v_cmp_lt_u32_e64 s1, 2, v34
	s_wait_dscnt 0x0
	ds_store_b64 v30, v[0:1]
	s_wait_dscnt 0x0
	s_barrier_signal -1
	s_barrier_wait -1
	s_and_saveexec_b32 s4, s1
	s_cbranch_execz .LBB12_105
; %bb.96:
	s_and_not1_b32 vcc_lo, exec_lo, s5
	s_cbranch_vccnz .LBB12_98
; %bb.97:
	ds_load_b64 v[0:1], v31
	ds_load_b64 v[32:33], v30
	s_wait_dscnt 0x0
	v_pk_mul_f32 v[38:39], v[32:33], v[0:1] op_sel:[1,1] op_sel_hi:[0,1]
	s_delay_alu instid0(VALU_DEP_1) | instskip(SKIP_1) | instid1(VALU_DEP_2)
	v_pk_fma_f32 v[40:41], v[32:33], v[0:1], v[38:39] op_sel_hi:[1,0,1]
	v_pk_fma_f32 v[0:1], v[32:33], v[0:1], v[38:39] neg_lo:[0,0,1] neg_hi:[0,0,1]
	v_mov_b32_e32 v1, v41
	s_cbranch_execz .LBB12_99
	s_branch .LBB12_100
.LBB12_98:
                                        ; implicit-def: $vgpr0_vgpr1
.LBB12_99:
	ds_load_b64 v[0:1], v30
.LBB12_100:
	s_and_saveexec_b32 s6, s0
	s_cbranch_execz .LBB12_104
; %bb.101:
	s_movk_i32 s0, 0x68
	v_add_nc_u32_e32 v33, -3, v34
	v_mad_u32 v32, v36, s0, 0xf8
	s_movk_i32 s7, 0x88
	s_mov_b32 s0, 0
.LBB12_102:                             ; =>This Inner Loop Header: Depth=1
	s_delay_alu instid0(VALU_DEP_2)
	v_dual_mov_b32 v37, s7 :: v_dual_add_nc_u32 v33, -1, v33
	s_add_co_i32 s7, s7, 8
	ds_load_b64 v[38:39], v32
	ds_load_b64 v[40:41], v37
	v_add_nc_u32_e32 v32, 8, v32
	v_cmp_eq_u32_e32 vcc_lo, 0, v33
	s_or_b32 s0, vcc_lo, s0
	s_wait_dscnt 0x0
	v_pk_mul_f32 v[42:43], v[40:41], v[38:39] op_sel:[1,1] op_sel_hi:[0,1]
	s_delay_alu instid0(VALU_DEP_1) | instskip(SKIP_1) | instid1(VALU_DEP_2)
	v_pk_fma_f32 v[44:45], v[40:41], v[38:39], v[42:43] op_sel_hi:[1,0,1]
	v_pk_fma_f32 v[38:39], v[40:41], v[38:39], v[42:43] neg_lo:[0,0,1] neg_hi:[0,0,1]
	v_mov_b32_e32 v39, v45
	s_delay_alu instid0(VALU_DEP_1)
	v_pk_add_f32 v[0:1], v[0:1], v[38:39]
	s_and_not1_b32 exec_lo, exec_lo, s0
	s_cbranch_execnz .LBB12_102
; %bb.103:
	s_or_b32 exec_lo, exec_lo, s0
.LBB12_104:
	s_delay_alu instid0(SALU_CYCLE_1) | instskip(SKIP_4) | instid1(VALU_DEP_1)
	s_or_b32 exec_lo, exec_lo, s6
	v_mov_b32_e32 v32, 0
	ds_load_b64 v[32:33], v32 offset:16
	s_wait_dscnt 0x0
	v_pk_mul_f32 v[38:39], v[0:1], v[32:33] op_sel:[1,1] op_sel_hi:[0,1]
	v_pk_fma_f32 v[40:41], v[0:1], v[32:33], v[38:39] op_sel_hi:[1,0,1]
	v_pk_fma_f32 v[0:1], v[0:1], v[32:33], v[38:39] neg_lo:[0,0,1] neg_hi:[0,0,1]
	s_delay_alu instid0(VALU_DEP_2)
	v_mov_b32_e32 v1, v41
	ds_store_b64 v29, v[0:1] offset:16
.LBB12_105:
	s_or_b32 exec_lo, exec_lo, s4
	ds_load_b64 v[0:1], v29 offset:8
	v_cmp_lt_u32_e64 s0, 1, v34
	s_wait_dscnt 0x0
	ds_store_b64 v30, v[0:1]
	s_wait_dscnt 0x0
	s_barrier_signal -1
	s_barrier_wait -1
	s_and_saveexec_b32 s4, s0
	s_cbranch_execz .LBB12_115
; %bb.106:
	s_and_not1_b32 vcc_lo, exec_lo, s5
	s_cbranch_vccnz .LBB12_108
; %bb.107:
	ds_load_b64 v[0:1], v31
	ds_load_b64 v[32:33], v30
	s_wait_dscnt 0x0
	v_pk_mul_f32 v[38:39], v[32:33], v[0:1] op_sel:[1,1] op_sel_hi:[0,1]
	s_delay_alu instid0(VALU_DEP_1) | instskip(SKIP_1) | instid1(VALU_DEP_2)
	v_pk_fma_f32 v[40:41], v[32:33], v[0:1], v[38:39] op_sel_hi:[1,0,1]
	v_pk_fma_f32 v[0:1], v[32:33], v[0:1], v[38:39] neg_lo:[0,0,1] neg_hi:[0,0,1]
	v_mov_b32_e32 v1, v41
	s_cbranch_execz .LBB12_109
	s_branch .LBB12_110
.LBB12_108:
                                        ; implicit-def: $vgpr0_vgpr1
.LBB12_109:
	ds_load_b64 v[0:1], v30
.LBB12_110:
	s_and_saveexec_b32 s6, s1
	s_cbranch_execz .LBB12_114
; %bb.111:
	s_movk_i32 s1, 0x68
	v_add_nc_u32_e32 v33, -2, v34
	v_mad_u32 v32, v36, s1, 0xf0
	s_movk_i32 s7, 0x80
	s_mov_b32 s1, 0
.LBB12_112:                             ; =>This Inner Loop Header: Depth=1
	s_delay_alu instid0(VALU_DEP_2)
	v_dual_mov_b32 v37, s7 :: v_dual_add_nc_u32 v33, -1, v33
	s_add_co_i32 s7, s7, 8
	ds_load_b64 v[38:39], v32
	ds_load_b64 v[40:41], v37
	v_add_nc_u32_e32 v32, 8, v32
	v_cmp_eq_u32_e32 vcc_lo, 0, v33
	s_or_b32 s1, vcc_lo, s1
	s_wait_dscnt 0x0
	v_pk_mul_f32 v[42:43], v[40:41], v[38:39] op_sel:[1,1] op_sel_hi:[0,1]
	s_delay_alu instid0(VALU_DEP_1) | instskip(SKIP_1) | instid1(VALU_DEP_2)
	v_pk_fma_f32 v[44:45], v[40:41], v[38:39], v[42:43] op_sel_hi:[1,0,1]
	v_pk_fma_f32 v[38:39], v[40:41], v[38:39], v[42:43] neg_lo:[0,0,1] neg_hi:[0,0,1]
	v_mov_b32_e32 v39, v45
	s_delay_alu instid0(VALU_DEP_1)
	v_pk_add_f32 v[0:1], v[0:1], v[38:39]
	s_and_not1_b32 exec_lo, exec_lo, s1
	s_cbranch_execnz .LBB12_112
; %bb.113:
	s_or_b32 exec_lo, exec_lo, s1
.LBB12_114:
	s_delay_alu instid0(SALU_CYCLE_1) | instskip(SKIP_4) | instid1(VALU_DEP_1)
	s_or_b32 exec_lo, exec_lo, s6
	v_mov_b32_e32 v32, 0
	ds_load_b64 v[32:33], v32 offset:8
	s_wait_dscnt 0x0
	v_pk_mul_f32 v[38:39], v[0:1], v[32:33] op_sel:[1,1] op_sel_hi:[0,1]
	v_pk_fma_f32 v[40:41], v[0:1], v[32:33], v[38:39] op_sel_hi:[1,0,1]
	v_pk_fma_f32 v[0:1], v[0:1], v[32:33], v[38:39] neg_lo:[0,0,1] neg_hi:[0,0,1]
	s_delay_alu instid0(VALU_DEP_2)
	v_mov_b32_e32 v1, v41
	ds_store_b64 v29, v[0:1] offset:8
.LBB12_115:
	s_or_b32 exec_lo, exec_lo, s4
	ds_load_b64 v[0:1], v29
	s_mov_b32 s4, 0
	s_mov_b32 s1, 0
	s_mov_b32 s6, exec_lo
                                        ; implicit-def: $vgpr33
                                        ; implicit-def: $vgpr37
	s_wait_dscnt 0x0
	ds_store_b64 v30, v[0:1]
	s_wait_dscnt 0x0
	s_barrier_signal -1
	s_barrier_wait -1
	v_cmpx_ne_u32_e32 0, v34
	s_cbranch_execz .LBB12_125
; %bb.116:
	s_and_not1_b32 vcc_lo, exec_lo, s5
	s_cbranch_vccnz .LBB12_118
; %bb.117:
	ds_load_b64 v[32:33], v31
	ds_load_b64 v[38:39], v30
	s_wait_dscnt 0x0
	v_dual_mul_f32 v0, v39, v33 :: v_dual_mul_f32 v1, v38, v33
	s_delay_alu instid0(VALU_DEP_1)
	v_dual_fma_f32 v0, v38, v32, -v0 :: v_dual_fmac_f32 v1, v39, v32
	s_and_not1_b32 vcc_lo, exec_lo, s1
	s_cbranch_vccz .LBB12_119
	s_branch .LBB12_120
.LBB12_118:
                                        ; implicit-def: $vgpr0
.LBB12_119:
	ds_load_b64 v[0:1], v30
.LBB12_120:
	s_and_saveexec_b32 s1, s0
	s_cbranch_execz .LBB12_124
; %bb.121:
	s_movk_i32 s0, 0x68
	v_add_nc_u32_e32 v33, -1, v34
	v_mad_u32 v32, v36, s0, 0xe8
	s_movk_i32 s7, 0x78
	s_mov_b32 s0, 0
.LBB12_122:                             ; =>This Inner Loop Header: Depth=1
	v_mov_b32_e32 v38, s7
	s_add_co_i32 s7, s7, 8
	ds_load_b64 v[36:37], v32
	ds_load_b64 v[38:39], v38
	s_wait_dscnt 0x0
	v_dual_mul_f32 v40, v39, v37 :: v_dual_mul_f32 v37, v38, v37
	s_delay_alu instid0(VALU_DEP_1) | instskip(NEXT) | instid1(VALU_DEP_2)
	v_dual_fma_f32 v38, v38, v36, -v40 :: v_dual_add_nc_u32 v33, -1, v33
	v_fmac_f32_e32 v37, v39, v36
	s_delay_alu instid0(VALU_DEP_2) | instskip(NEXT) | instid1(VALU_DEP_3)
	v_dual_add_nc_u32 v32, 8, v32 :: v_dual_add_f32 v0, v0, v38
	v_cmp_eq_u32_e32 vcc_lo, 0, v33
	s_delay_alu instid0(VALU_DEP_3) | instskip(SKIP_1) | instid1(SALU_CYCLE_1)
	v_add_f32_e32 v1, v1, v37
	s_or_b32 s0, vcc_lo, s0
	s_and_not1_b32 exec_lo, exec_lo, s0
	s_cbranch_execnz .LBB12_122
; %bb.123:
	s_or_b32 exec_lo, exec_lo, s0
.LBB12_124:
	s_delay_alu instid0(SALU_CYCLE_1)
	s_or_b32 exec_lo, exec_lo, s1
	v_mov_b32_e32 v32, 0
	s_mov_b32 s1, exec_lo
	ds_load_b64 v[32:33], v32
	s_wait_dscnt 0x0
	v_dual_mul_f32 v36, v1, v33 :: v_dual_mul_f32 v33, v0, v33
	s_delay_alu instid0(VALU_DEP_1) | instskip(NEXT) | instid1(VALU_DEP_2)
	v_dual_fma_f32 v0, v0, v32, -v36 :: v_dual_add_nc_u32 v37, 4, v29
	v_fmac_f32_e32 v33, v1, v32
	ds_store_b32 v29, v0
.LBB12_125:
	s_or_b32 exec_lo, exec_lo, s6
	s_delay_alu instid0(SALU_CYCLE_1)
	s_and_b32 vcc_lo, exec_lo, s4
	s_cbranch_vccz .LBB12_241
.LBB12_126:
	ds_load_b64 v[0:1], v29 offset:8
	v_cmp_eq_u32_e64 s0, 0, v34
	s_wait_dscnt 0x0
	ds_store_b64 v30, v[0:1]
	s_wait_dscnt 0x0
	s_barrier_signal -1
	s_barrier_wait -1
	s_and_saveexec_b32 s4, s0
	s_cbranch_execz .LBB12_132
; %bb.127:
	s_and_b32 vcc_lo, exec_lo, s5
	s_cbranch_vccz .LBB12_129
; %bb.128:
	ds_load_b64 v[0:1], v31
	ds_load_b64 v[32:33], v30
	s_wait_dscnt 0x0
	v_pk_mul_f32 v[36:37], v[32:33], v[0:1] op_sel:[1,1] op_sel_hi:[0,1]
	v_pk_mul_f32 v[38:39], v[32:33], v[0:1] op_sel_hi:[1,0]
	s_delay_alu instid0(VALU_DEP_2) | instskip(NEXT) | instid1(VALU_DEP_2)
	v_pk_fma_f32 v[0:1], v[32:33], v[0:1], v[36:37] op_sel_hi:[1,0,1]
	v_sub_f32_e32 v0, v38, v36
	s_cbranch_execz .LBB12_130
	s_branch .LBB12_131
.LBB12_129:
                                        ; implicit-def: $vgpr1
.LBB12_130:
	ds_load_b64 v[0:1], v30
.LBB12_131:
	s_wait_dscnt 0x0
	v_dual_mov_b32 v32, 0 :: v_dual_mov_b32 v36, v1
	v_mov_b32_e32 v37, v0
	ds_load_b64 v[32:33], v32 offset:8
	s_wait_dscnt 0x0
	v_pk_mul_f32 v[36:37], v[36:37], v[32:33] op_sel:[0,1]
	s_delay_alu instid0(VALU_DEP_1) | instskip(SKIP_1) | instid1(VALU_DEP_2)
	v_pk_fma_f32 v[38:39], v[0:1], v[32:33], v[36:37] op_sel_hi:[1,0,1]
	v_pk_fma_f32 v[0:1], v[0:1], v[32:33], v[36:37] neg_lo:[0,0,1] neg_hi:[0,0,1]
	v_mov_b32_e32 v1, v39
	ds_store_b64 v29, v[0:1] offset:8
.LBB12_132:
	s_or_b32 exec_lo, exec_lo, s4
	ds_load_b64 v[0:1], v29 offset:16
	v_cndmask_b32_e64 v32, 0, 1, s5
	s_mov_b32 s4, exec_lo
	s_wait_dscnt 0x0
	ds_store_b64 v30, v[0:1]
	s_wait_dscnt 0x0
	s_barrier_signal -1
	s_barrier_wait -1
	v_cmpx_gt_u32_e32 2, v34
	s_cbranch_execz .LBB12_140
; %bb.133:
	s_and_not1_b32 vcc_lo, exec_lo, s5
	s_cbranch_vccnz .LBB12_135
; %bb.134:
	ds_load_b64 v[0:1], v31
	ds_load_b64 v[36:37], v30
	s_wait_dscnt 0x0
	v_pk_mul_f32 v[38:39], v[36:37], v[0:1] op_sel:[1,1] op_sel_hi:[0,1]
	s_delay_alu instid0(VALU_DEP_1) | instskip(SKIP_1) | instid1(VALU_DEP_2)
	v_pk_fma_f32 v[40:41], v[36:37], v[0:1], v[38:39] op_sel_hi:[1,0,1]
	v_pk_fma_f32 v[0:1], v[36:37], v[0:1], v[38:39] neg_lo:[0,0,1] neg_hi:[0,0,1]
	v_mov_b32_e32 v1, v41
	s_cbranch_execz .LBB12_136
	s_branch .LBB12_137
.LBB12_135:
                                        ; implicit-def: $vgpr0_vgpr1
.LBB12_136:
	ds_load_b64 v[0:1], v30
.LBB12_137:
	s_and_saveexec_b32 s5, s0
	s_cbranch_execz .LBB12_139
; %bb.138:
	v_mov_b32_e32 v33, 0
	ds_load_b64 v[36:37], v29 offset:8
	ds_load_b64 v[38:39], v33 offset:120
	s_wait_dscnt 0x0
	v_pk_mul_f32 v[40:41], v[38:39], v[36:37] op_sel:[1,1] op_sel_hi:[0,1]
	s_delay_alu instid0(VALU_DEP_1) | instskip(SKIP_1) | instid1(VALU_DEP_2)
	v_pk_fma_f32 v[42:43], v[38:39], v[36:37], v[40:41] op_sel_hi:[1,0,1]
	v_pk_fma_f32 v[36:37], v[38:39], v[36:37], v[40:41] neg_lo:[0,0,1] neg_hi:[0,0,1]
	v_mov_b32_e32 v37, v43
	s_delay_alu instid0(VALU_DEP_1)
	v_pk_add_f32 v[0:1], v[0:1], v[36:37]
.LBB12_139:
	s_or_b32 exec_lo, exec_lo, s5
	v_mov_b32_e32 v33, 0
	ds_load_b64 v[36:37], v33 offset:16
	s_wait_dscnt 0x0
	v_pk_mul_f32 v[38:39], v[0:1], v[36:37] op_sel:[1,1] op_sel_hi:[0,1]
	s_delay_alu instid0(VALU_DEP_1) | instskip(SKIP_1) | instid1(VALU_DEP_2)
	v_pk_fma_f32 v[40:41], v[0:1], v[36:37], v[38:39] op_sel_hi:[1,0,1]
	v_pk_fma_f32 v[0:1], v[0:1], v[36:37], v[38:39] neg_lo:[0,0,1] neg_hi:[0,0,1]
	v_mov_b32_e32 v1, v41
	ds_store_b64 v29, v[0:1] offset:16
.LBB12_140:
	s_or_b32 exec_lo, exec_lo, s4
	ds_load_b64 v[0:1], v29 offset:24
	s_mov_b32 s4, exec_lo
	s_wait_dscnt 0x0
	ds_store_b64 v30, v[0:1]
	s_wait_dscnt 0x0
	s_barrier_signal -1
	s_barrier_wait -1
	v_cmpx_gt_u32_e32 3, v34
	s_cbranch_execz .LBB12_150
; %bb.141:
	v_cmp_ne_u32_e32 vcc_lo, 1, v32
	s_cbranch_vccnz .LBB12_143
; %bb.142:
	ds_load_b64 v[0:1], v31
	ds_load_b64 v[36:37], v30
	s_wait_dscnt 0x0
	v_pk_mul_f32 v[38:39], v[36:37], v[0:1] op_sel:[1,1] op_sel_hi:[0,1]
	s_delay_alu instid0(VALU_DEP_1) | instskip(SKIP_1) | instid1(VALU_DEP_2)
	v_pk_fma_f32 v[40:41], v[36:37], v[0:1], v[38:39] op_sel_hi:[1,0,1]
	v_pk_fma_f32 v[0:1], v[36:37], v[0:1], v[38:39] neg_lo:[0,0,1] neg_hi:[0,0,1]
	v_mov_b32_e32 v1, v41
	s_cbranch_execz .LBB12_144
	s_branch .LBB12_145
.LBB12_143:
                                        ; implicit-def: $vgpr0_vgpr1
.LBB12_144:
	ds_load_b64 v[0:1], v30
.LBB12_145:
	s_mov_b32 s5, exec_lo
	v_cmpx_ne_u32_e32 2, v34
	s_cbranch_execz .LBB12_149
; %bb.146:
	ds_load_b64 v[36:37], v31 offset:8
	ds_load_b64 v[38:39], v30 offset:8
	s_wait_dscnt 0x0
	v_pk_mul_f32 v[40:41], v[38:39], v[36:37] op_sel:[1,1] op_sel_hi:[0,1]
	s_delay_alu instid0(VALU_DEP_1) | instskip(SKIP_1) | instid1(VALU_DEP_2)
	v_pk_fma_f32 v[42:43], v[38:39], v[36:37], v[40:41] op_sel_hi:[1,0,1]
	v_pk_fma_f32 v[36:37], v[38:39], v[36:37], v[40:41] neg_lo:[0,0,1] neg_hi:[0,0,1]
	v_mov_b32_e32 v37, v43
	s_delay_alu instid0(VALU_DEP_1)
	v_pk_add_f32 v[0:1], v[0:1], v[36:37]
	s_and_saveexec_b32 s6, s0
	s_cbranch_execz .LBB12_148
; %bb.147:
	v_mov_b32_e32 v33, 0
	ds_load_b64 v[36:37], v33 offset:128
	ds_load_b64 v[38:39], v29 offset:16
	s_wait_dscnt 0x0
	v_pk_mul_f32 v[40:41], v[36:37], v[38:39] op_sel:[1,1] op_sel_hi:[0,1]
	s_delay_alu instid0(VALU_DEP_1) | instskip(SKIP_1) | instid1(VALU_DEP_2)
	v_pk_fma_f32 v[42:43], v[36:37], v[38:39], v[40:41] op_sel_hi:[1,0,1]
	v_pk_fma_f32 v[36:37], v[36:37], v[38:39], v[40:41] neg_lo:[0,0,1] neg_hi:[0,0,1]
	v_mov_b32_e32 v37, v43
	s_delay_alu instid0(VALU_DEP_1)
	v_pk_add_f32 v[0:1], v[0:1], v[36:37]
.LBB12_148:
	s_or_b32 exec_lo, exec_lo, s6
.LBB12_149:
	s_delay_alu instid0(SALU_CYCLE_1) | instskip(SKIP_4) | instid1(VALU_DEP_1)
	s_or_b32 exec_lo, exec_lo, s5
	v_mov_b32_e32 v33, 0
	ds_load_b64 v[36:37], v33 offset:24
	s_wait_dscnt 0x0
	v_pk_mul_f32 v[38:39], v[0:1], v[36:37] op_sel:[1,1] op_sel_hi:[0,1]
	v_pk_fma_f32 v[40:41], v[0:1], v[36:37], v[38:39] op_sel_hi:[1,0,1]
	v_pk_fma_f32 v[0:1], v[0:1], v[36:37], v[38:39] neg_lo:[0,0,1] neg_hi:[0,0,1]
	s_delay_alu instid0(VALU_DEP_2)
	v_mov_b32_e32 v1, v41
	ds_store_b64 v29, v[0:1] offset:24
.LBB12_150:
	s_or_b32 exec_lo, exec_lo, s4
	ds_load_b64 v[0:1], v29 offset:32
	s_mov_b32 s0, exec_lo
	s_wait_dscnt 0x0
	ds_store_b64 v30, v[0:1]
	s_wait_dscnt 0x0
	s_barrier_signal -1
	s_barrier_wait -1
	v_cmpx_gt_u32_e32 4, v34
	s_cbranch_execz .LBB12_160
; %bb.151:
	v_cmp_ne_u32_e32 vcc_lo, 1, v32
	s_cbranch_vccnz .LBB12_153
; %bb.152:
	ds_load_b64 v[0:1], v31
	ds_load_b64 v[36:37], v30
	s_wait_dscnt 0x0
	v_pk_mul_f32 v[38:39], v[36:37], v[0:1] op_sel:[1,1] op_sel_hi:[0,1]
	s_delay_alu instid0(VALU_DEP_1) | instskip(SKIP_1) | instid1(VALU_DEP_2)
	v_pk_fma_f32 v[40:41], v[36:37], v[0:1], v[38:39] op_sel_hi:[1,0,1]
	v_pk_fma_f32 v[0:1], v[36:37], v[0:1], v[38:39] neg_lo:[0,0,1] neg_hi:[0,0,1]
	v_mov_b32_e32 v1, v41
	s_cbranch_execz .LBB12_154
	s_branch .LBB12_155
.LBB12_153:
                                        ; implicit-def: $vgpr0_vgpr1
.LBB12_154:
	ds_load_b64 v[0:1], v30
.LBB12_155:
	s_mov_b32 s4, exec_lo
	v_cmpx_ne_u32_e32 3, v34
	s_cbranch_execz .LBB12_159
; %bb.156:
	v_add_nc_u32_e32 v33, 0x78, v28
	v_add3_u32 v36, v35, v28, 0xe8
	v_mov_b32_e32 v37, v34
	s_mov_b32 s5, 0
.LBB12_157:                             ; =>This Inner Loop Header: Depth=1
	ds_load_b64 v[38:39], v36
	ds_load_b64 v[40:41], v33
	v_dual_add_nc_u32 v33, 8, v33 :: v_dual_add_nc_u32 v36, 8, v36
	s_wait_dscnt 0x0
	v_pk_mul_f32 v[42:43], v[40:41], v[38:39] op_sel:[1,1] op_sel_hi:[0,1]
	s_delay_alu instid0(VALU_DEP_1) | instskip(SKIP_2) | instid1(VALU_DEP_3)
	v_pk_fma_f32 v[44:45], v[40:41], v[38:39], v[42:43] op_sel_hi:[1,0,1]
	v_add_nc_u32_e32 v37, 1, v37
	v_pk_fma_f32 v[38:39], v[40:41], v[38:39], v[42:43] neg_lo:[0,0,1] neg_hi:[0,0,1]
	v_mov_b32_e32 v39, v45
	s_delay_alu instid0(VALU_DEP_3) | instskip(NEXT) | instid1(VALU_DEP_2)
	v_cmp_lt_u32_e32 vcc_lo, 2, v37
	v_pk_add_f32 v[0:1], v[0:1], v[38:39]
	s_or_b32 s5, vcc_lo, s5
	s_delay_alu instid0(SALU_CYCLE_1)
	s_and_not1_b32 exec_lo, exec_lo, s5
	s_cbranch_execnz .LBB12_157
; %bb.158:
	s_or_b32 exec_lo, exec_lo, s5
.LBB12_159:
	s_delay_alu instid0(SALU_CYCLE_1) | instskip(SKIP_4) | instid1(VALU_DEP_1)
	s_or_b32 exec_lo, exec_lo, s4
	v_mov_b32_e32 v33, 0
	ds_load_b64 v[36:37], v33 offset:32
	s_wait_dscnt 0x0
	v_pk_mul_f32 v[38:39], v[0:1], v[36:37] op_sel:[1,1] op_sel_hi:[0,1]
	v_pk_fma_f32 v[40:41], v[0:1], v[36:37], v[38:39] op_sel_hi:[1,0,1]
	v_pk_fma_f32 v[0:1], v[0:1], v[36:37], v[38:39] neg_lo:[0,0,1] neg_hi:[0,0,1]
	s_delay_alu instid0(VALU_DEP_2)
	v_mov_b32_e32 v1, v41
	ds_store_b64 v29, v[0:1] offset:32
.LBB12_160:
	s_or_b32 exec_lo, exec_lo, s0
	ds_load_b64 v[0:1], v29 offset:40
	s_mov_b32 s0, exec_lo
	s_wait_dscnt 0x0
	ds_store_b64 v30, v[0:1]
	s_wait_dscnt 0x0
	s_barrier_signal -1
	s_barrier_wait -1
	v_cmpx_gt_u32_e32 5, v34
	s_cbranch_execz .LBB12_170
; %bb.161:
	v_cmp_ne_u32_e32 vcc_lo, 1, v32
	s_cbranch_vccnz .LBB12_163
; %bb.162:
	ds_load_b64 v[0:1], v31
	ds_load_b64 v[36:37], v30
	s_wait_dscnt 0x0
	v_pk_mul_f32 v[38:39], v[36:37], v[0:1] op_sel:[1,1] op_sel_hi:[0,1]
	s_delay_alu instid0(VALU_DEP_1) | instskip(SKIP_1) | instid1(VALU_DEP_2)
	v_pk_fma_f32 v[40:41], v[36:37], v[0:1], v[38:39] op_sel_hi:[1,0,1]
	v_pk_fma_f32 v[0:1], v[36:37], v[0:1], v[38:39] neg_lo:[0,0,1] neg_hi:[0,0,1]
	v_mov_b32_e32 v1, v41
	s_cbranch_execz .LBB12_164
	s_branch .LBB12_165
.LBB12_163:
                                        ; implicit-def: $vgpr0_vgpr1
.LBB12_164:
	ds_load_b64 v[0:1], v30
.LBB12_165:
	s_mov_b32 s4, exec_lo
	v_cmpx_ne_u32_e32 4, v34
	s_cbranch_execz .LBB12_169
; %bb.166:
	v_add_nc_u32_e32 v33, 0x78, v28
	v_add3_u32 v36, v35, v28, 0xe8
	v_mov_b32_e32 v37, v34
	s_mov_b32 s5, 0
.LBB12_167:                             ; =>This Inner Loop Header: Depth=1
	ds_load_b64 v[38:39], v36
	ds_load_b64 v[40:41], v33
	v_dual_add_nc_u32 v33, 8, v33 :: v_dual_add_nc_u32 v36, 8, v36
	s_wait_dscnt 0x0
	v_pk_mul_f32 v[42:43], v[40:41], v[38:39] op_sel:[1,1] op_sel_hi:[0,1]
	s_delay_alu instid0(VALU_DEP_1) | instskip(SKIP_2) | instid1(VALU_DEP_3)
	v_pk_fma_f32 v[44:45], v[40:41], v[38:39], v[42:43] op_sel_hi:[1,0,1]
	v_add_nc_u32_e32 v37, 1, v37
	v_pk_fma_f32 v[38:39], v[40:41], v[38:39], v[42:43] neg_lo:[0,0,1] neg_hi:[0,0,1]
	v_mov_b32_e32 v39, v45
	s_delay_alu instid0(VALU_DEP_3) | instskip(NEXT) | instid1(VALU_DEP_2)
	v_cmp_lt_u32_e32 vcc_lo, 3, v37
	v_pk_add_f32 v[0:1], v[0:1], v[38:39]
	s_or_b32 s5, vcc_lo, s5
	s_delay_alu instid0(SALU_CYCLE_1)
	s_and_not1_b32 exec_lo, exec_lo, s5
	s_cbranch_execnz .LBB12_167
; %bb.168:
	s_or_b32 exec_lo, exec_lo, s5
.LBB12_169:
	s_delay_alu instid0(SALU_CYCLE_1) | instskip(SKIP_4) | instid1(VALU_DEP_1)
	s_or_b32 exec_lo, exec_lo, s4
	v_mov_b32_e32 v33, 0
	ds_load_b64 v[36:37], v33 offset:40
	s_wait_dscnt 0x0
	v_pk_mul_f32 v[38:39], v[0:1], v[36:37] op_sel:[1,1] op_sel_hi:[0,1]
	v_pk_fma_f32 v[40:41], v[0:1], v[36:37], v[38:39] op_sel_hi:[1,0,1]
	v_pk_fma_f32 v[0:1], v[0:1], v[36:37], v[38:39] neg_lo:[0,0,1] neg_hi:[0,0,1]
	s_delay_alu instid0(VALU_DEP_2)
	v_mov_b32_e32 v1, v41
	ds_store_b64 v29, v[0:1] offset:40
.LBB12_170:
	s_or_b32 exec_lo, exec_lo, s0
	ds_load_b64 v[0:1], v29 offset:48
	s_mov_b32 s0, exec_lo
	s_wait_dscnt 0x0
	ds_store_b64 v30, v[0:1]
	s_wait_dscnt 0x0
	s_barrier_signal -1
	s_barrier_wait -1
	v_cmpx_gt_u32_e32 6, v34
	s_cbranch_execz .LBB12_180
; %bb.171:
	v_cmp_ne_u32_e32 vcc_lo, 1, v32
	s_cbranch_vccnz .LBB12_173
; %bb.172:
	ds_load_b64 v[0:1], v31
	ds_load_b64 v[36:37], v30
	s_wait_dscnt 0x0
	v_pk_mul_f32 v[38:39], v[36:37], v[0:1] op_sel:[1,1] op_sel_hi:[0,1]
	s_delay_alu instid0(VALU_DEP_1) | instskip(SKIP_1) | instid1(VALU_DEP_2)
	v_pk_fma_f32 v[40:41], v[36:37], v[0:1], v[38:39] op_sel_hi:[1,0,1]
	v_pk_fma_f32 v[0:1], v[36:37], v[0:1], v[38:39] neg_lo:[0,0,1] neg_hi:[0,0,1]
	v_mov_b32_e32 v1, v41
	s_cbranch_execz .LBB12_174
	s_branch .LBB12_175
.LBB12_173:
                                        ; implicit-def: $vgpr0_vgpr1
.LBB12_174:
	ds_load_b64 v[0:1], v30
.LBB12_175:
	s_mov_b32 s4, exec_lo
	v_cmpx_ne_u32_e32 5, v34
	s_cbranch_execz .LBB12_179
; %bb.176:
	v_add_nc_u32_e32 v33, 0x78, v28
	v_add3_u32 v36, v35, v28, 0xe8
	v_mov_b32_e32 v37, v34
	s_mov_b32 s5, 0
.LBB12_177:                             ; =>This Inner Loop Header: Depth=1
	ds_load_b64 v[38:39], v36
	ds_load_b64 v[40:41], v33
	v_dual_add_nc_u32 v33, 8, v33 :: v_dual_add_nc_u32 v36, 8, v36
	s_wait_dscnt 0x0
	v_pk_mul_f32 v[42:43], v[40:41], v[38:39] op_sel:[1,1] op_sel_hi:[0,1]
	s_delay_alu instid0(VALU_DEP_1) | instskip(SKIP_2) | instid1(VALU_DEP_3)
	v_pk_fma_f32 v[44:45], v[40:41], v[38:39], v[42:43] op_sel_hi:[1,0,1]
	v_add_nc_u32_e32 v37, 1, v37
	v_pk_fma_f32 v[38:39], v[40:41], v[38:39], v[42:43] neg_lo:[0,0,1] neg_hi:[0,0,1]
	v_mov_b32_e32 v39, v45
	s_delay_alu instid0(VALU_DEP_3) | instskip(NEXT) | instid1(VALU_DEP_2)
	v_cmp_lt_u32_e32 vcc_lo, 4, v37
	v_pk_add_f32 v[0:1], v[0:1], v[38:39]
	s_or_b32 s5, vcc_lo, s5
	s_delay_alu instid0(SALU_CYCLE_1)
	s_and_not1_b32 exec_lo, exec_lo, s5
	s_cbranch_execnz .LBB12_177
; %bb.178:
	s_or_b32 exec_lo, exec_lo, s5
.LBB12_179:
	s_delay_alu instid0(SALU_CYCLE_1) | instskip(SKIP_4) | instid1(VALU_DEP_1)
	s_or_b32 exec_lo, exec_lo, s4
	v_mov_b32_e32 v33, 0
	ds_load_b64 v[36:37], v33 offset:48
	s_wait_dscnt 0x0
	v_pk_mul_f32 v[38:39], v[0:1], v[36:37] op_sel:[1,1] op_sel_hi:[0,1]
	v_pk_fma_f32 v[40:41], v[0:1], v[36:37], v[38:39] op_sel_hi:[1,0,1]
	v_pk_fma_f32 v[0:1], v[0:1], v[36:37], v[38:39] neg_lo:[0,0,1] neg_hi:[0,0,1]
	s_delay_alu instid0(VALU_DEP_2)
	v_mov_b32_e32 v1, v41
	ds_store_b64 v29, v[0:1] offset:48
.LBB12_180:
	s_or_b32 exec_lo, exec_lo, s0
	ds_load_b64 v[0:1], v29 offset:56
	s_mov_b32 s0, exec_lo
	s_wait_dscnt 0x0
	ds_store_b64 v30, v[0:1]
	s_wait_dscnt 0x0
	s_barrier_signal -1
	s_barrier_wait -1
	v_cmpx_gt_u32_e32 7, v34
	s_cbranch_execz .LBB12_190
; %bb.181:
	v_cmp_ne_u32_e32 vcc_lo, 1, v32
	s_cbranch_vccnz .LBB12_183
; %bb.182:
	ds_load_b64 v[0:1], v31
	ds_load_b64 v[36:37], v30
	s_wait_dscnt 0x0
	v_pk_mul_f32 v[38:39], v[36:37], v[0:1] op_sel:[1,1] op_sel_hi:[0,1]
	s_delay_alu instid0(VALU_DEP_1) | instskip(SKIP_1) | instid1(VALU_DEP_2)
	v_pk_fma_f32 v[40:41], v[36:37], v[0:1], v[38:39] op_sel_hi:[1,0,1]
	v_pk_fma_f32 v[0:1], v[36:37], v[0:1], v[38:39] neg_lo:[0,0,1] neg_hi:[0,0,1]
	v_mov_b32_e32 v1, v41
	s_cbranch_execz .LBB12_184
	s_branch .LBB12_185
.LBB12_183:
                                        ; implicit-def: $vgpr0_vgpr1
.LBB12_184:
	ds_load_b64 v[0:1], v30
.LBB12_185:
	s_mov_b32 s4, exec_lo
	v_cmpx_ne_u32_e32 6, v34
	s_cbranch_execz .LBB12_189
; %bb.186:
	v_add_nc_u32_e32 v33, 0x78, v28
	v_add3_u32 v36, v35, v28, 0xe8
	v_mov_b32_e32 v37, v34
	s_mov_b32 s5, 0
.LBB12_187:                             ; =>This Inner Loop Header: Depth=1
	ds_load_b64 v[38:39], v36
	ds_load_b64 v[40:41], v33
	v_dual_add_nc_u32 v33, 8, v33 :: v_dual_add_nc_u32 v36, 8, v36
	s_wait_dscnt 0x0
	v_pk_mul_f32 v[42:43], v[40:41], v[38:39] op_sel:[1,1] op_sel_hi:[0,1]
	s_delay_alu instid0(VALU_DEP_1) | instskip(SKIP_2) | instid1(VALU_DEP_3)
	v_pk_fma_f32 v[44:45], v[40:41], v[38:39], v[42:43] op_sel_hi:[1,0,1]
	v_add_nc_u32_e32 v37, 1, v37
	v_pk_fma_f32 v[38:39], v[40:41], v[38:39], v[42:43] neg_lo:[0,0,1] neg_hi:[0,0,1]
	v_mov_b32_e32 v39, v45
	s_delay_alu instid0(VALU_DEP_3) | instskip(NEXT) | instid1(VALU_DEP_2)
	v_cmp_lt_u32_e32 vcc_lo, 5, v37
	v_pk_add_f32 v[0:1], v[0:1], v[38:39]
	s_or_b32 s5, vcc_lo, s5
	s_delay_alu instid0(SALU_CYCLE_1)
	s_and_not1_b32 exec_lo, exec_lo, s5
	s_cbranch_execnz .LBB12_187
; %bb.188:
	s_or_b32 exec_lo, exec_lo, s5
.LBB12_189:
	s_delay_alu instid0(SALU_CYCLE_1) | instskip(SKIP_4) | instid1(VALU_DEP_1)
	s_or_b32 exec_lo, exec_lo, s4
	v_mov_b32_e32 v33, 0
	ds_load_b64 v[36:37], v33 offset:56
	s_wait_dscnt 0x0
	v_pk_mul_f32 v[38:39], v[0:1], v[36:37] op_sel:[1,1] op_sel_hi:[0,1]
	v_pk_fma_f32 v[40:41], v[0:1], v[36:37], v[38:39] op_sel_hi:[1,0,1]
	v_pk_fma_f32 v[0:1], v[0:1], v[36:37], v[38:39] neg_lo:[0,0,1] neg_hi:[0,0,1]
	s_delay_alu instid0(VALU_DEP_2)
	v_mov_b32_e32 v1, v41
	ds_store_b64 v29, v[0:1] offset:56
.LBB12_190:
	s_or_b32 exec_lo, exec_lo, s0
	ds_load_b64 v[0:1], v29 offset:64
	s_mov_b32 s0, exec_lo
	s_wait_dscnt 0x0
	ds_store_b64 v30, v[0:1]
	s_wait_dscnt 0x0
	s_barrier_signal -1
	s_barrier_wait -1
	v_cmpx_gt_u32_e32 8, v34
	s_cbranch_execz .LBB12_200
; %bb.191:
	v_cmp_ne_u32_e32 vcc_lo, 1, v32
	s_cbranch_vccnz .LBB12_193
; %bb.192:
	ds_load_b64 v[0:1], v31
	ds_load_b64 v[36:37], v30
	s_wait_dscnt 0x0
	v_pk_mul_f32 v[38:39], v[36:37], v[0:1] op_sel:[1,1] op_sel_hi:[0,1]
	s_delay_alu instid0(VALU_DEP_1) | instskip(SKIP_1) | instid1(VALU_DEP_2)
	v_pk_fma_f32 v[40:41], v[36:37], v[0:1], v[38:39] op_sel_hi:[1,0,1]
	v_pk_fma_f32 v[0:1], v[36:37], v[0:1], v[38:39] neg_lo:[0,0,1] neg_hi:[0,0,1]
	v_mov_b32_e32 v1, v41
	s_cbranch_execz .LBB12_194
	s_branch .LBB12_195
.LBB12_193:
                                        ; implicit-def: $vgpr0_vgpr1
.LBB12_194:
	ds_load_b64 v[0:1], v30
.LBB12_195:
	s_mov_b32 s4, exec_lo
	v_cmpx_ne_u32_e32 7, v34
	s_cbranch_execz .LBB12_199
; %bb.196:
	v_add_nc_u32_e32 v33, 0x78, v28
	v_add3_u32 v36, v35, v28, 0xe8
	v_mov_b32_e32 v37, v34
	s_mov_b32 s5, 0
.LBB12_197:                             ; =>This Inner Loop Header: Depth=1
	ds_load_b64 v[38:39], v36
	ds_load_b64 v[40:41], v33
	v_dual_add_nc_u32 v33, 8, v33 :: v_dual_add_nc_u32 v36, 8, v36
	s_wait_dscnt 0x0
	v_pk_mul_f32 v[42:43], v[40:41], v[38:39] op_sel:[1,1] op_sel_hi:[0,1]
	s_delay_alu instid0(VALU_DEP_1) | instskip(SKIP_2) | instid1(VALU_DEP_3)
	v_pk_fma_f32 v[44:45], v[40:41], v[38:39], v[42:43] op_sel_hi:[1,0,1]
	v_add_nc_u32_e32 v37, 1, v37
	v_pk_fma_f32 v[38:39], v[40:41], v[38:39], v[42:43] neg_lo:[0,0,1] neg_hi:[0,0,1]
	v_mov_b32_e32 v39, v45
	s_delay_alu instid0(VALU_DEP_3) | instskip(NEXT) | instid1(VALU_DEP_2)
	v_cmp_lt_u32_e32 vcc_lo, 6, v37
	v_pk_add_f32 v[0:1], v[0:1], v[38:39]
	s_or_b32 s5, vcc_lo, s5
	s_delay_alu instid0(SALU_CYCLE_1)
	s_and_not1_b32 exec_lo, exec_lo, s5
	s_cbranch_execnz .LBB12_197
; %bb.198:
	s_or_b32 exec_lo, exec_lo, s5
.LBB12_199:
	s_delay_alu instid0(SALU_CYCLE_1) | instskip(SKIP_4) | instid1(VALU_DEP_1)
	s_or_b32 exec_lo, exec_lo, s4
	v_mov_b32_e32 v33, 0
	ds_load_b64 v[36:37], v33 offset:64
	s_wait_dscnt 0x0
	v_pk_mul_f32 v[38:39], v[0:1], v[36:37] op_sel:[1,1] op_sel_hi:[0,1]
	v_pk_fma_f32 v[40:41], v[0:1], v[36:37], v[38:39] op_sel_hi:[1,0,1]
	v_pk_fma_f32 v[0:1], v[0:1], v[36:37], v[38:39] neg_lo:[0,0,1] neg_hi:[0,0,1]
	s_delay_alu instid0(VALU_DEP_2)
	v_mov_b32_e32 v1, v41
	ds_store_b64 v29, v[0:1] offset:64
.LBB12_200:
	s_or_b32 exec_lo, exec_lo, s0
	ds_load_b64 v[0:1], v29 offset:72
	s_mov_b32 s0, exec_lo
	s_wait_dscnt 0x0
	ds_store_b64 v30, v[0:1]
	s_wait_dscnt 0x0
	s_barrier_signal -1
	s_barrier_wait -1
	v_cmpx_gt_u32_e32 9, v34
	s_cbranch_execz .LBB12_210
; %bb.201:
	v_cmp_ne_u32_e32 vcc_lo, 1, v32
	s_cbranch_vccnz .LBB12_203
; %bb.202:
	ds_load_b64 v[0:1], v31
	ds_load_b64 v[36:37], v30
	s_wait_dscnt 0x0
	v_pk_mul_f32 v[38:39], v[36:37], v[0:1] op_sel:[1,1] op_sel_hi:[0,1]
	s_delay_alu instid0(VALU_DEP_1) | instskip(SKIP_1) | instid1(VALU_DEP_2)
	v_pk_fma_f32 v[40:41], v[36:37], v[0:1], v[38:39] op_sel_hi:[1,0,1]
	v_pk_fma_f32 v[0:1], v[36:37], v[0:1], v[38:39] neg_lo:[0,0,1] neg_hi:[0,0,1]
	v_mov_b32_e32 v1, v41
	s_cbranch_execz .LBB12_204
	s_branch .LBB12_205
.LBB12_203:
                                        ; implicit-def: $vgpr0_vgpr1
.LBB12_204:
	ds_load_b64 v[0:1], v30
.LBB12_205:
	s_mov_b32 s4, exec_lo
	v_cmpx_ne_u32_e32 8, v34
	s_cbranch_execz .LBB12_209
; %bb.206:
	v_add_nc_u32_e32 v33, 0x78, v28
	v_add3_u32 v36, v35, v28, 0xe8
	v_mov_b32_e32 v37, v34
	s_mov_b32 s5, 0
.LBB12_207:                             ; =>This Inner Loop Header: Depth=1
	ds_load_b64 v[38:39], v36
	ds_load_b64 v[40:41], v33
	v_dual_add_nc_u32 v33, 8, v33 :: v_dual_add_nc_u32 v36, 8, v36
	s_wait_dscnt 0x0
	v_pk_mul_f32 v[42:43], v[40:41], v[38:39] op_sel:[1,1] op_sel_hi:[0,1]
	s_delay_alu instid0(VALU_DEP_1) | instskip(SKIP_2) | instid1(VALU_DEP_3)
	v_pk_fma_f32 v[44:45], v[40:41], v[38:39], v[42:43] op_sel_hi:[1,0,1]
	v_add_nc_u32_e32 v37, 1, v37
	v_pk_fma_f32 v[38:39], v[40:41], v[38:39], v[42:43] neg_lo:[0,0,1] neg_hi:[0,0,1]
	v_mov_b32_e32 v39, v45
	s_delay_alu instid0(VALU_DEP_3) | instskip(NEXT) | instid1(VALU_DEP_2)
	v_cmp_lt_u32_e32 vcc_lo, 7, v37
	v_pk_add_f32 v[0:1], v[0:1], v[38:39]
	s_or_b32 s5, vcc_lo, s5
	s_delay_alu instid0(SALU_CYCLE_1)
	s_and_not1_b32 exec_lo, exec_lo, s5
	s_cbranch_execnz .LBB12_207
; %bb.208:
	s_or_b32 exec_lo, exec_lo, s5
.LBB12_209:
	s_delay_alu instid0(SALU_CYCLE_1) | instskip(SKIP_4) | instid1(VALU_DEP_1)
	s_or_b32 exec_lo, exec_lo, s4
	v_mov_b32_e32 v33, 0
	ds_load_b64 v[36:37], v33 offset:72
	s_wait_dscnt 0x0
	v_pk_mul_f32 v[38:39], v[0:1], v[36:37] op_sel:[1,1] op_sel_hi:[0,1]
	v_pk_fma_f32 v[40:41], v[0:1], v[36:37], v[38:39] op_sel_hi:[1,0,1]
	v_pk_fma_f32 v[0:1], v[0:1], v[36:37], v[38:39] neg_lo:[0,0,1] neg_hi:[0,0,1]
	s_delay_alu instid0(VALU_DEP_2)
	v_mov_b32_e32 v1, v41
	ds_store_b64 v29, v[0:1] offset:72
.LBB12_210:
	s_or_b32 exec_lo, exec_lo, s0
	ds_load_b64 v[0:1], v29 offset:80
	s_mov_b32 s0, exec_lo
	s_wait_dscnt 0x0
	ds_store_b64 v30, v[0:1]
	s_wait_dscnt 0x0
	s_barrier_signal -1
	s_barrier_wait -1
	v_cmpx_gt_u32_e32 10, v34
	s_cbranch_execz .LBB12_220
; %bb.211:
	v_cmp_ne_u32_e32 vcc_lo, 1, v32
	s_cbranch_vccnz .LBB12_213
; %bb.212:
	ds_load_b64 v[0:1], v31
	ds_load_b64 v[36:37], v30
	s_wait_dscnt 0x0
	v_pk_mul_f32 v[38:39], v[36:37], v[0:1] op_sel:[1,1] op_sel_hi:[0,1]
	s_delay_alu instid0(VALU_DEP_1) | instskip(SKIP_1) | instid1(VALU_DEP_2)
	v_pk_fma_f32 v[40:41], v[36:37], v[0:1], v[38:39] op_sel_hi:[1,0,1]
	v_pk_fma_f32 v[0:1], v[36:37], v[0:1], v[38:39] neg_lo:[0,0,1] neg_hi:[0,0,1]
	v_mov_b32_e32 v1, v41
	s_cbranch_execz .LBB12_214
	s_branch .LBB12_215
.LBB12_213:
                                        ; implicit-def: $vgpr0_vgpr1
.LBB12_214:
	ds_load_b64 v[0:1], v30
.LBB12_215:
	s_mov_b32 s4, exec_lo
	v_cmpx_ne_u32_e32 9, v34
	s_cbranch_execz .LBB12_219
; %bb.216:
	v_add_nc_u32_e32 v33, 0x78, v28
	v_add3_u32 v36, v35, v28, 0xe8
	v_mov_b32_e32 v37, v34
	s_mov_b32 s5, 0
.LBB12_217:                             ; =>This Inner Loop Header: Depth=1
	ds_load_b64 v[38:39], v36
	ds_load_b64 v[40:41], v33
	v_dual_add_nc_u32 v33, 8, v33 :: v_dual_add_nc_u32 v36, 8, v36
	s_wait_dscnt 0x0
	v_pk_mul_f32 v[42:43], v[40:41], v[38:39] op_sel:[1,1] op_sel_hi:[0,1]
	s_delay_alu instid0(VALU_DEP_1) | instskip(SKIP_2) | instid1(VALU_DEP_3)
	v_pk_fma_f32 v[44:45], v[40:41], v[38:39], v[42:43] op_sel_hi:[1,0,1]
	v_add_nc_u32_e32 v37, 1, v37
	v_pk_fma_f32 v[38:39], v[40:41], v[38:39], v[42:43] neg_lo:[0,0,1] neg_hi:[0,0,1]
	v_mov_b32_e32 v39, v45
	s_delay_alu instid0(VALU_DEP_3) | instskip(NEXT) | instid1(VALU_DEP_2)
	v_cmp_lt_u32_e32 vcc_lo, 8, v37
	v_pk_add_f32 v[0:1], v[0:1], v[38:39]
	s_or_b32 s5, vcc_lo, s5
	s_delay_alu instid0(SALU_CYCLE_1)
	s_and_not1_b32 exec_lo, exec_lo, s5
	s_cbranch_execnz .LBB12_217
; %bb.218:
	s_or_b32 exec_lo, exec_lo, s5
.LBB12_219:
	s_delay_alu instid0(SALU_CYCLE_1) | instskip(SKIP_4) | instid1(VALU_DEP_1)
	s_or_b32 exec_lo, exec_lo, s4
	v_mov_b32_e32 v33, 0
	ds_load_b64 v[36:37], v33 offset:80
	s_wait_dscnt 0x0
	v_pk_mul_f32 v[38:39], v[0:1], v[36:37] op_sel:[1,1] op_sel_hi:[0,1]
	v_pk_fma_f32 v[40:41], v[0:1], v[36:37], v[38:39] op_sel_hi:[1,0,1]
	v_pk_fma_f32 v[0:1], v[0:1], v[36:37], v[38:39] neg_lo:[0,0,1] neg_hi:[0,0,1]
	s_delay_alu instid0(VALU_DEP_2)
	v_mov_b32_e32 v1, v41
	ds_store_b64 v29, v[0:1] offset:80
.LBB12_220:
	s_or_b32 exec_lo, exec_lo, s0
	ds_load_b64 v[0:1], v29 offset:88
	v_cmp_gt_u32_e64 s0, 11, v34
	s_wait_dscnt 0x0
	ds_store_b64 v30, v[0:1]
	s_wait_dscnt 0x0
	s_barrier_signal -1
	s_barrier_wait -1
	s_and_saveexec_b32 s4, s0
	s_cbranch_execz .LBB12_230
; %bb.221:
	v_cmp_ne_u32_e32 vcc_lo, 1, v32
	s_cbranch_vccnz .LBB12_223
; %bb.222:
	ds_load_b64 v[0:1], v31
	ds_load_b64 v[36:37], v30
	s_wait_dscnt 0x0
	v_pk_mul_f32 v[38:39], v[36:37], v[0:1] op_sel:[1,1] op_sel_hi:[0,1]
	s_delay_alu instid0(VALU_DEP_1) | instskip(SKIP_1) | instid1(VALU_DEP_2)
	v_pk_fma_f32 v[40:41], v[36:37], v[0:1], v[38:39] op_sel_hi:[1,0,1]
	v_pk_fma_f32 v[0:1], v[36:37], v[0:1], v[38:39] neg_lo:[0,0,1] neg_hi:[0,0,1]
	v_mov_b32_e32 v1, v41
	s_cbranch_execz .LBB12_224
	s_branch .LBB12_225
.LBB12_223:
                                        ; implicit-def: $vgpr0_vgpr1
.LBB12_224:
	ds_load_b64 v[0:1], v30
.LBB12_225:
	s_mov_b32 s5, exec_lo
	v_cmpx_ne_u32_e32 10, v34
	s_cbranch_execz .LBB12_229
; %bb.226:
	v_add_nc_u32_e32 v33, 0x78, v28
	v_add3_u32 v36, v35, v28, 0xe8
	v_mov_b32_e32 v37, v34
	s_mov_b32 s6, 0
.LBB12_227:                             ; =>This Inner Loop Header: Depth=1
	ds_load_b64 v[38:39], v36
	ds_load_b64 v[40:41], v33
	v_dual_add_nc_u32 v33, 8, v33 :: v_dual_add_nc_u32 v36, 8, v36
	s_wait_dscnt 0x0
	v_pk_mul_f32 v[42:43], v[40:41], v[38:39] op_sel:[1,1] op_sel_hi:[0,1]
	s_delay_alu instid0(VALU_DEP_1) | instskip(SKIP_2) | instid1(VALU_DEP_3)
	v_pk_fma_f32 v[44:45], v[40:41], v[38:39], v[42:43] op_sel_hi:[1,0,1]
	v_add_nc_u32_e32 v37, 1, v37
	v_pk_fma_f32 v[38:39], v[40:41], v[38:39], v[42:43] neg_lo:[0,0,1] neg_hi:[0,0,1]
	v_mov_b32_e32 v39, v45
	s_delay_alu instid0(VALU_DEP_3) | instskip(NEXT) | instid1(VALU_DEP_2)
	v_cmp_lt_u32_e32 vcc_lo, 9, v37
	v_pk_add_f32 v[0:1], v[0:1], v[38:39]
	s_or_b32 s6, vcc_lo, s6
	s_delay_alu instid0(SALU_CYCLE_1)
	s_and_not1_b32 exec_lo, exec_lo, s6
	s_cbranch_execnz .LBB12_227
; %bb.228:
	s_or_b32 exec_lo, exec_lo, s6
.LBB12_229:
	s_delay_alu instid0(SALU_CYCLE_1) | instskip(SKIP_4) | instid1(VALU_DEP_1)
	s_or_b32 exec_lo, exec_lo, s5
	v_mov_b32_e32 v33, 0
	ds_load_b64 v[36:37], v33 offset:88
	s_wait_dscnt 0x0
	v_pk_mul_f32 v[38:39], v[0:1], v[36:37] op_sel:[1,1] op_sel_hi:[0,1]
	v_pk_fma_f32 v[40:41], v[0:1], v[36:37], v[38:39] op_sel_hi:[1,0,1]
	v_pk_fma_f32 v[0:1], v[0:1], v[36:37], v[38:39] neg_lo:[0,0,1] neg_hi:[0,0,1]
	s_delay_alu instid0(VALU_DEP_2)
	v_mov_b32_e32 v1, v41
	ds_store_b64 v29, v[0:1] offset:88
.LBB12_230:
	s_or_b32 exec_lo, exec_lo, s4
	ds_load_b64 v[0:1], v29 offset:96
	s_mov_b32 s4, exec_lo
                                        ; implicit-def: $vgpr33
                                        ; implicit-def: $vgpr37
	s_wait_dscnt 0x0
	ds_store_b64 v30, v[0:1]
	s_wait_dscnt 0x0
	s_barrier_signal -1
	s_barrier_wait -1
	v_cmpx_ne_u32_e32 12, v34
	s_cbranch_execz .LBB12_240
; %bb.231:
	v_cmp_ne_u32_e32 vcc_lo, 1, v32
	s_cbranch_vccnz .LBB12_233
; %bb.232:
	ds_load_b64 v[32:33], v31
	ds_load_b64 v[36:37], v30
	s_wait_dscnt 0x0
	v_dual_mul_f32 v0, v37, v33 :: v_dual_mul_f32 v1, v36, v33
	s_delay_alu instid0(VALU_DEP_1)
	v_dual_fma_f32 v0, v36, v32, -v0 :: v_dual_fmac_f32 v1, v37, v32
	s_cbranch_execz .LBB12_234
	s_branch .LBB12_235
.LBB12_233:
                                        ; implicit-def: $vgpr1
.LBB12_234:
	ds_load_b64 v[0:1], v30
.LBB12_235:
	s_and_saveexec_b32 s5, s0
	s_cbranch_execz .LBB12_239
; %bb.236:
	v_add_nc_u32_e32 v30, 0x78, v28
	v_add3_u32 v28, v35, v28, 0xe8
	s_mov_b32 s0, 0
.LBB12_237:                             ; =>This Inner Loop Header: Depth=1
	ds_load_b64 v[32:33], v28
	ds_load_b64 v[36:37], v30
	s_wait_dscnt 0x0
	v_dual_mul_f32 v31, v37, v33 :: v_dual_add_nc_u32 v30, 8, v30
	v_dual_mul_f32 v33, v36, v33 :: v_dual_add_nc_u32 v34, 1, v34
	s_delay_alu instid0(VALU_DEP_1) | instskip(NEXT) | instid1(VALU_DEP_2)
	v_dual_fma_f32 v31, v36, v32, -v31 :: v_dual_fmac_f32 v33, v37, v32
	v_cmp_lt_u32_e32 vcc_lo, 10, v34
	s_delay_alu instid0(VALU_DEP_2) | instskip(NEXT) | instid1(VALU_DEP_3)
	v_dual_add_nc_u32 v28, 8, v28 :: v_dual_add_f32 v0, v0, v31
	v_add_f32_e32 v1, v1, v33
	s_or_b32 s0, vcc_lo, s0
	s_delay_alu instid0(SALU_CYCLE_1)
	s_and_not1_b32 exec_lo, exec_lo, s0
	s_cbranch_execnz .LBB12_237
; %bb.238:
	s_or_b32 exec_lo, exec_lo, s0
.LBB12_239:
	s_delay_alu instid0(SALU_CYCLE_1)
	s_or_b32 exec_lo, exec_lo, s5
	v_mov_b32_e32 v28, 0
	s_or_b32 s1, s1, exec_lo
	v_add_nc_u32_e32 v37, 0x64, v29
	ds_load_b64 v[30:31], v28 offset:96
	s_wait_dscnt 0x0
	v_dual_mul_f32 v28, v1, v31 :: v_dual_mul_f32 v33, v0, v31
	s_delay_alu instid0(VALU_DEP_1)
	v_dual_fma_f32 v0, v0, v30, -v28 :: v_dual_fmac_f32 v33, v1, v30
	ds_store_b32 v29, v0 offset:96
.LBB12_240:
	s_or_b32 exec_lo, exec_lo, s4
.LBB12_241:
	v_lshl_add_u64 v[0:1], v[6:7], 3, s[2:3]
	v_lshl_add_u64 v[6:7], v[8:9], 3, s[2:3]
	;; [unrolled: 1-line block ×11, first 2 shown]
	s_and_saveexec_b32 s0, s1
; %bb.242:
	ds_store_b32 v37, v33
; %bb.243:
	s_or_b32 exec_lo, exec_lo, s0
	ds_load_b128 v[30:33], v29
	ds_load_b128 v[34:37], v29 offset:16
	ds_load_b128 v[38:41], v29 offset:32
	;; [unrolled: 1-line block ×5, first 2 shown]
	ds_load_b64 v[26:27], v29 offset:96
	s_wait_dscnt 0x6
	s_clause 0x1
	global_store_b64 v[2:3], v[30:31], off
	global_store_b64 v[4:5], v[32:33], off
	s_wait_dscnt 0x5
	s_clause 0x1
	global_store_b64 v[0:1], v[34:35], off
	global_store_b64 v[6:7], v[36:37], off
	;; [unrolled: 4-line block ×6, first 2 shown]
	s_wait_dscnt 0x0
	global_store_b64 v[24:25], v[26:27], off
.LBB12_244:
	s_endpgm
	.section	.rodata,"a",@progbits
	.p2align	6, 0x0
	.amdhsa_kernel _ZN9rocsolver6v33100L18trti2_kernel_smallILi13E19rocblas_complex_numIfEPS3_EEv13rocblas_fill_17rocblas_diagonal_T1_iil
		.amdhsa_group_segment_fixed_size 6880
		.amdhsa_private_segment_fixed_size 0
		.amdhsa_kernarg_size 32
		.amdhsa_user_sgpr_count 4
		.amdhsa_user_sgpr_dispatch_ptr 1
		.amdhsa_user_sgpr_queue_ptr 0
		.amdhsa_user_sgpr_kernarg_segment_ptr 1
		.amdhsa_user_sgpr_dispatch_id 0
		.amdhsa_user_sgpr_kernarg_preload_length 0
		.amdhsa_user_sgpr_kernarg_preload_offset 0
		.amdhsa_user_sgpr_private_segment_size 0
		.amdhsa_wavefront_size32 1
		.amdhsa_uses_dynamic_stack 0
		.amdhsa_enable_private_segment 0
		.amdhsa_system_sgpr_workgroup_id_x 1
		.amdhsa_system_sgpr_workgroup_id_y 0
		.amdhsa_system_sgpr_workgroup_id_z 0
		.amdhsa_system_sgpr_workgroup_info 0
		.amdhsa_system_vgpr_workitem_id 2
		.amdhsa_next_free_vgpr 60
		.amdhsa_next_free_sgpr 14
		.amdhsa_named_barrier_count 0
		.amdhsa_reserve_vcc 1
		.amdhsa_float_round_mode_32 0
		.amdhsa_float_round_mode_16_64 0
		.amdhsa_float_denorm_mode_32 3
		.amdhsa_float_denorm_mode_16_64 3
		.amdhsa_fp16_overflow 0
		.amdhsa_memory_ordered 1
		.amdhsa_forward_progress 1
		.amdhsa_inst_pref_size 72
		.amdhsa_round_robin_scheduling 0
		.amdhsa_exception_fp_ieee_invalid_op 0
		.amdhsa_exception_fp_denorm_src 0
		.amdhsa_exception_fp_ieee_div_zero 0
		.amdhsa_exception_fp_ieee_overflow 0
		.amdhsa_exception_fp_ieee_underflow 0
		.amdhsa_exception_fp_ieee_inexact 0
		.amdhsa_exception_int_div_zero 0
	.end_amdhsa_kernel
	.section	.text._ZN9rocsolver6v33100L18trti2_kernel_smallILi13E19rocblas_complex_numIfEPS3_EEv13rocblas_fill_17rocblas_diagonal_T1_iil,"axG",@progbits,_ZN9rocsolver6v33100L18trti2_kernel_smallILi13E19rocblas_complex_numIfEPS3_EEv13rocblas_fill_17rocblas_diagonal_T1_iil,comdat
.Lfunc_end12:
	.size	_ZN9rocsolver6v33100L18trti2_kernel_smallILi13E19rocblas_complex_numIfEPS3_EEv13rocblas_fill_17rocblas_diagonal_T1_iil, .Lfunc_end12-_ZN9rocsolver6v33100L18trti2_kernel_smallILi13E19rocblas_complex_numIfEPS3_EEv13rocblas_fill_17rocblas_diagonal_T1_iil
                                        ; -- End function
	.set _ZN9rocsolver6v33100L18trti2_kernel_smallILi13E19rocblas_complex_numIfEPS3_EEv13rocblas_fill_17rocblas_diagonal_T1_iil.num_vgpr, 60
	.set _ZN9rocsolver6v33100L18trti2_kernel_smallILi13E19rocblas_complex_numIfEPS3_EEv13rocblas_fill_17rocblas_diagonal_T1_iil.num_agpr, 0
	.set _ZN9rocsolver6v33100L18trti2_kernel_smallILi13E19rocblas_complex_numIfEPS3_EEv13rocblas_fill_17rocblas_diagonal_T1_iil.numbered_sgpr, 14
	.set _ZN9rocsolver6v33100L18trti2_kernel_smallILi13E19rocblas_complex_numIfEPS3_EEv13rocblas_fill_17rocblas_diagonal_T1_iil.num_named_barrier, 0
	.set _ZN9rocsolver6v33100L18trti2_kernel_smallILi13E19rocblas_complex_numIfEPS3_EEv13rocblas_fill_17rocblas_diagonal_T1_iil.private_seg_size, 0
	.set _ZN9rocsolver6v33100L18trti2_kernel_smallILi13E19rocblas_complex_numIfEPS3_EEv13rocblas_fill_17rocblas_diagonal_T1_iil.uses_vcc, 1
	.set _ZN9rocsolver6v33100L18trti2_kernel_smallILi13E19rocblas_complex_numIfEPS3_EEv13rocblas_fill_17rocblas_diagonal_T1_iil.uses_flat_scratch, 0
	.set _ZN9rocsolver6v33100L18trti2_kernel_smallILi13E19rocblas_complex_numIfEPS3_EEv13rocblas_fill_17rocblas_diagonal_T1_iil.has_dyn_sized_stack, 0
	.set _ZN9rocsolver6v33100L18trti2_kernel_smallILi13E19rocblas_complex_numIfEPS3_EEv13rocblas_fill_17rocblas_diagonal_T1_iil.has_recursion, 0
	.set _ZN9rocsolver6v33100L18trti2_kernel_smallILi13E19rocblas_complex_numIfEPS3_EEv13rocblas_fill_17rocblas_diagonal_T1_iil.has_indirect_call, 0
	.section	.AMDGPU.csdata,"",@progbits
; Kernel info:
; codeLenInByte = 9180
; TotalNumSgprs: 16
; NumVgprs: 60
; ScratchSize: 0
; MemoryBound: 0
; FloatMode: 240
; IeeeMode: 1
; LDSByteSize: 6880 bytes/workgroup (compile time only)
; SGPRBlocks: 0
; VGPRBlocks: 3
; NumSGPRsForWavesPerEU: 16
; NumVGPRsForWavesPerEU: 60
; NamedBarCnt: 0
; Occupancy: 12
; WaveLimiterHint : 0
; COMPUTE_PGM_RSRC2:SCRATCH_EN: 0
; COMPUTE_PGM_RSRC2:USER_SGPR: 4
; COMPUTE_PGM_RSRC2:TRAP_HANDLER: 0
; COMPUTE_PGM_RSRC2:TGID_X_EN: 1
; COMPUTE_PGM_RSRC2:TGID_Y_EN: 0
; COMPUTE_PGM_RSRC2:TGID_Z_EN: 0
; COMPUTE_PGM_RSRC2:TIDIG_COMP_CNT: 2
	.section	.text._ZN9rocsolver6v33100L18trti2_kernel_smallILi14E19rocblas_complex_numIfEPS3_EEv13rocblas_fill_17rocblas_diagonal_T1_iil,"axG",@progbits,_ZN9rocsolver6v33100L18trti2_kernel_smallILi14E19rocblas_complex_numIfEPS3_EEv13rocblas_fill_17rocblas_diagonal_T1_iil,comdat
	.globl	_ZN9rocsolver6v33100L18trti2_kernel_smallILi14E19rocblas_complex_numIfEPS3_EEv13rocblas_fill_17rocblas_diagonal_T1_iil ; -- Begin function _ZN9rocsolver6v33100L18trti2_kernel_smallILi14E19rocblas_complex_numIfEPS3_EEv13rocblas_fill_17rocblas_diagonal_T1_iil
	.p2align	8
	.type	_ZN9rocsolver6v33100L18trti2_kernel_smallILi14E19rocblas_complex_numIfEPS3_EEv13rocblas_fill_17rocblas_diagonal_T1_iil,@function
_ZN9rocsolver6v33100L18trti2_kernel_smallILi14E19rocblas_complex_numIfEPS3_EEv13rocblas_fill_17rocblas_diagonal_T1_iil: ; @_ZN9rocsolver6v33100L18trti2_kernel_smallILi14E19rocblas_complex_numIfEPS3_EEv13rocblas_fill_17rocblas_diagonal_T1_iil
; %bb.0:
	v_and_b32_e32 v36, 0x3ff, v0
	s_mov_b32 s4, exec_lo
	s_delay_alu instid0(VALU_DEP_1)
	v_cmpx_gt_u32_e32 14, v36
	s_cbranch_execz .LBB13_264
; %bb.1:
	s_load_b256 s[4:11], s[2:3], 0x0
	s_load_b64 s[12:13], s[0:1], 0x4
	s_wait_xcnt 0x0
	s_bfe_u32 s0, ttmp6, 0x4000c
	s_and_b32 s1, ttmp6, 15
	s_add_co_i32 s0, s0, 1
	s_getreg_b32 s2, hwreg(HW_REG_IB_STS2, 6, 4)
	s_mul_i32 s0, ttmp9, s0
	v_bfe_u32 v1, v0, 10, 10
	s_add_co_i32 s0, s1, s0
	v_bfe_u32 v0, v0, 20, 10
	v_dual_mov_b32 v31, 0 :: v_dual_lshlrev_b32 v30, 3, v36
	s_wait_kmcnt 0x0
	v_add3_u32 v6, s9, s9, v36
	s_lshr_b32 s12, s12, 16
	s_ashr_i32 s1, s8, 31
	s_cmp_eq_u32 s2, 0
	s_mul_i32 s12, s12, s13
	v_add_nc_u32_e32 v8, s9, v6
	s_cselect_b32 s2, ttmp9, s0
	s_mov_b32 s0, s8
	s_ashr_i32 s3, s2, 31
	s_lshl_b64 s[0:1], s[0:1], 3
	v_add_nc_u32_e32 v10, s9, v8
	s_mul_u64 s[2:3], s[10:11], s[2:3]
	v_mul_u32_u24_e32 v1, s13, v1
	s_lshl_b64 s[2:3], s[2:3], 3
	v_mul_u32_u24_e32 v7, s12, v36
	v_add_nc_u32_e32 v12, s9, v10
	s_add_nc_u64 s[2:3], s[6:7], s[2:3]
	s_delay_alu instid0(SALU_CYCLE_1) | instskip(SKIP_1) | instid1(VALU_DEP_1)
	s_add_nc_u64 s[6:7], s[2:3], s[0:1]
	s_mov_b32 s0, s9
	v_add_nc_u32_e32 v14, s9, v12
	v_add_nc_u64_e32 v[2:3], s[6:7], v[30:31]
	s_ashr_i32 s1, s9, 31
	v_add3_u32 v38, v7, v1, v0
	s_cmp_lg_u32 s5, 0x84
	v_add_nc_u32_e32 v16, s9, v14
	s_cselect_b32 s3, -1, 0
	s_delay_alu instid0(VALU_DEP_3) | instskip(SKIP_1) | instid1(VALU_DEP_3)
	v_lshl_add_u64 v[4:5], s[0:1], 3, v[2:3]
	v_mul_lo_u32 v31, 0x70, v38
	v_add_nc_u32_e32 v18, s9, v16
	s_clause 0x3
	global_load_b64 v[32:33], v36, s[6:7] scale_offset
	global_load_b64 v[34:35], v[4:5], off
	global_load_b64 v[40:41], v6, s[6:7] scale_offset
	global_load_b64 v[42:43], v8, s[6:7] scale_offset
	s_mov_b32 s0, -1
	s_and_b32 vcc_lo, exec_lo, s3
	v_add_nc_u32_e32 v20, s9, v18
	v_add_nc_u32_e32 v37, 0xe0, v31
	s_delay_alu instid0(VALU_DEP_2)
	v_add_nc_u32_e32 v22, s9, v20
	s_clause 0x3
	global_load_b64 v[44:45], v10, s[6:7] scale_offset
	global_load_b64 v[46:47], v12, s[6:7] scale_offset
	;; [unrolled: 1-line block ×4, first 2 shown]
	v_add_nc_u32_e32 v24, s9, v22
	s_delay_alu instid0(VALU_DEP_1) | instskip(NEXT) | instid1(VALU_DEP_1)
	v_add_nc_u32_e32 v26, s9, v24
	v_add_nc_u32_e32 v28, s9, v26
	s_clause 0x5
	global_load_b64 v[52:53], v18, s[6:7] scale_offset
	global_load_b64 v[54:55], v20, s[6:7] scale_offset
	;; [unrolled: 1-line block ×6, first 2 shown]
	s_wait_loadcnt 0xc
	ds_store_b128 v31, v[32:35] offset:224
	s_wait_loadcnt 0xa
	ds_store_b128 v31, v[40:43] offset:240
	;; [unrolled: 2-line block ×7, first 2 shown]
	s_cbranch_vccz .LBB13_7
; %bb.2:
	v_lshl_add_u32 v7, v36, 3, v37
                                        ; implicit-def: $vgpr35
                                        ; implicit-def: $vgpr32
	ds_load_b64 v[0:1], v7
	s_wait_dscnt 0x0
	v_cmp_ngt_f32_e64 s0, |v0|, |v1|
	s_and_saveexec_b32 s1, s0
	s_delay_alu instid0(SALU_CYCLE_1)
	s_xor_b32 s0, exec_lo, s1
	s_cbranch_execz .LBB13_4
; %bb.3:
	v_div_scale_f32 v9, null, v1, v1, v0
	v_div_scale_f32 v15, vcc_lo, v0, v1, v0
	s_delay_alu instid0(VALU_DEP_2) | instskip(SKIP_1) | instid1(TRANS32_DEP_1)
	v_rcp_f32_e32 v11, v9
	v_nop
	v_fma_f32 v13, -v9, v11, 1.0
	s_delay_alu instid0(VALU_DEP_1) | instskip(NEXT) | instid1(VALU_DEP_1)
	v_fmac_f32_e32 v11, v13, v11
	v_mul_f32_e32 v13, v15, v11
	s_delay_alu instid0(VALU_DEP_1) | instskip(NEXT) | instid1(VALU_DEP_1)
	v_fma_f32 v17, -v9, v13, v15
	v_fmac_f32_e32 v13, v17, v11
	s_delay_alu instid0(VALU_DEP_1) | instskip(NEXT) | instid1(VALU_DEP_1)
	v_fma_f32 v9, -v9, v13, v15
	v_div_fmas_f32 v9, v9, v11, v13
	s_delay_alu instid0(VALU_DEP_1) | instskip(NEXT) | instid1(VALU_DEP_1)
	v_div_fixup_f32 v9, v9, v1, v0
	v_fmac_f32_e32 v1, v0, v9
	s_delay_alu instid0(VALU_DEP_1) | instskip(NEXT) | instid1(VALU_DEP_1)
	v_div_scale_f32 v0, null, v1, v1, -1.0
	v_rcp_f32_e32 v11, v0
	v_nop
	s_delay_alu instid0(TRANS32_DEP_1) | instskip(NEXT) | instid1(VALU_DEP_1)
	v_fma_f32 v13, -v0, v11, 1.0
	v_fmac_f32_e32 v11, v13, v11
	v_div_scale_f32 v13, vcc_lo, -1.0, v1, -1.0
	s_delay_alu instid0(VALU_DEP_1) | instskip(NEXT) | instid1(VALU_DEP_1)
	v_mul_f32_e32 v15, v13, v11
	v_fma_f32 v17, -v0, v15, v13
	s_delay_alu instid0(VALU_DEP_1) | instskip(NEXT) | instid1(VALU_DEP_1)
	v_fmac_f32_e32 v15, v17, v11
	v_fma_f32 v0, -v0, v15, v13
	s_delay_alu instid0(VALU_DEP_1) | instskip(NEXT) | instid1(VALU_DEP_1)
	v_div_fmas_f32 v0, v0, v11, v15
	v_div_fixup_f32 v35, v0, v1, -1.0
                                        ; implicit-def: $vgpr0_vgpr1
	s_delay_alu instid0(VALU_DEP_1) | instskip(NEXT) | instid1(VALU_DEP_1)
	v_mul_f32_e32 v32, v9, v35
	v_xor_b32_e32 v34, 0x80000000, v32
.LBB13_4:
	s_and_not1_saveexec_b32 s0, s0
	s_cbranch_execz .LBB13_6
; %bb.5:
	v_div_scale_f32 v9, null, v0, v0, v1
	v_div_scale_f32 v15, vcc_lo, v1, v0, v1
	s_delay_alu instid0(VALU_DEP_2) | instskip(SKIP_1) | instid1(TRANS32_DEP_1)
	v_rcp_f32_e32 v11, v9
	v_nop
	v_fma_f32 v13, -v9, v11, 1.0
	s_delay_alu instid0(VALU_DEP_1) | instskip(NEXT) | instid1(VALU_DEP_1)
	v_fmac_f32_e32 v11, v13, v11
	v_mul_f32_e32 v13, v15, v11
	s_delay_alu instid0(VALU_DEP_1) | instskip(NEXT) | instid1(VALU_DEP_1)
	v_fma_f32 v17, -v9, v13, v15
	v_fmac_f32_e32 v13, v17, v11
	s_delay_alu instid0(VALU_DEP_1) | instskip(NEXT) | instid1(VALU_DEP_1)
	v_fma_f32 v9, -v9, v13, v15
	v_div_fmas_f32 v9, v9, v11, v13
	s_delay_alu instid0(VALU_DEP_1) | instskip(NEXT) | instid1(VALU_DEP_1)
	v_div_fixup_f32 v9, v9, v0, v1
	v_fmac_f32_e32 v0, v1, v9
	s_delay_alu instid0(VALU_DEP_1) | instskip(SKIP_1) | instid1(VALU_DEP_2)
	v_div_scale_f32 v1, null, v0, v0, 1.0
	v_div_scale_f32 v15, vcc_lo, 1.0, v0, 1.0
	v_rcp_f32_e32 v11, v1
	v_nop
	s_delay_alu instid0(TRANS32_DEP_1) | instskip(NEXT) | instid1(VALU_DEP_1)
	v_fma_f32 v13, -v1, v11, 1.0
	v_fmac_f32_e32 v11, v13, v11
	s_delay_alu instid0(VALU_DEP_1) | instskip(NEXT) | instid1(VALU_DEP_1)
	v_mul_f32_e32 v13, v15, v11
	v_fma_f32 v17, -v1, v13, v15
	s_delay_alu instid0(VALU_DEP_1) | instskip(NEXT) | instid1(VALU_DEP_1)
	v_fmac_f32_e32 v13, v17, v11
	v_fma_f32 v1, -v1, v13, v15
	s_delay_alu instid0(VALU_DEP_1) | instskip(NEXT) | instid1(VALU_DEP_1)
	v_div_fmas_f32 v1, v1, v11, v13
	v_div_fixup_f32 v34, v1, v0, 1.0
	s_delay_alu instid0(VALU_DEP_1)
	v_xor_b32_e32 v32, 0x80000000, v34
	v_mul_f32_e64 v35, v9, -v34
.LBB13_6:
	s_or_b32 exec_lo, exec_lo, s0
	s_delay_alu instid0(VALU_DEP_1)
	v_xor_b32_e32 v33, 0x80000000, v35
	s_mov_b32 s0, 0
	ds_store_b64 v7, v[34:35]
	ds_store_b64 v30, v[32:33]
.LBB13_7:
	s_and_b32 vcc_lo, exec_lo, s0
	s_cbranch_vccz .LBB13_9
; %bb.8:
	s_mov_b64 s[0:1], 0xbf800000
	s_delay_alu instid0(SALU_CYCLE_1)
	v_mov_b64_e32 v[0:1], s[0:1]
	ds_store_b64 v30, v[0:1]
.LBB13_9:
	v_dual_ashrrev_i32 v7, 31, v6 :: v_dual_ashrrev_i32 v9, 31, v8
	v_dual_ashrrev_i32 v11, 31, v10 :: v_dual_ashrrev_i32 v13, 31, v12
	;; [unrolled: 1-line block ×6, first 2 shown]
	v_add_nc_u32_e32 v32, 0x70, v30
	v_add_nc_u32_e32 v33, v37, v30
	s_cmp_eq_u32 s4, 0x79
	s_cbranch_scc1 .LBB13_13
; %bb.10:
	ds_load_b64 v[0:1], v37 offset:96
	v_cmp_eq_u32_e64 s0, 13, v36
	s_wait_dscnt 0x0
	ds_store_b64 v32, v[0:1]
	s_wait_dscnt 0x0
	s_barrier_signal -1
	s_barrier_wait -1
	s_and_saveexec_b32 s1, s0
	s_cbranch_execz .LBB13_17
; %bb.11:
	s_and_b32 vcc_lo, exec_lo, s3
	s_cbranch_vccz .LBB13_14
; %bb.12:
	ds_load_b64 v[0:1], v33
	ds_load_b64 v[34:35], v32
	s_wait_dscnt 0x0
	v_pk_mul_f32 v[40:41], v[34:35], v[0:1] op_sel:[1,1] op_sel_hi:[0,1]
	v_pk_mul_f32 v[42:43], v[34:35], v[0:1] op_sel_hi:[1,0]
	s_delay_alu instid0(VALU_DEP_2) | instskip(NEXT) | instid1(VALU_DEP_2)
	v_pk_fma_f32 v[0:1], v[34:35], v[0:1], v[40:41] op_sel_hi:[1,0,1]
	v_sub_f32_e32 v0, v42, v40
	s_cbranch_execz .LBB13_15
	s_branch .LBB13_16
.LBB13_13:
	s_mov_b32 s1, 0
                                        ; implicit-def: $vgpr35
                                        ; implicit-def: $vgpr39
	s_cbranch_execnz .LBB13_136
	s_branch .LBB13_261
.LBB13_14:
                                        ; implicit-def: $vgpr1
.LBB13_15:
	ds_load_b64 v[0:1], v32
.LBB13_16:
	s_wait_dscnt 0x0
	v_dual_mov_b32 v34, 0 :: v_dual_mov_b32 v40, v1
	v_mov_b32_e32 v41, v0
	ds_load_b64 v[34:35], v34 offset:96
	s_wait_dscnt 0x0
	v_pk_mul_f32 v[40:41], v[40:41], v[34:35] op_sel:[0,1]
	s_delay_alu instid0(VALU_DEP_1) | instskip(SKIP_1) | instid1(VALU_DEP_2)
	v_pk_fma_f32 v[42:43], v[0:1], v[34:35], v[40:41] op_sel_hi:[1,0,1]
	v_pk_fma_f32 v[0:1], v[0:1], v[34:35], v[40:41] neg_lo:[0,0,1] neg_hi:[0,0,1]
	v_mov_b32_e32 v1, v43
	ds_store_b64 v37, v[0:1] offset:96
.LBB13_17:
	s_or_b32 exec_lo, exec_lo, s1
	ds_load_b64 v[0:1], v37 offset:88
	v_cmp_lt_u32_e64 s1, 11, v36
	s_wait_dscnt 0x0
	ds_store_b64 v32, v[0:1]
	s_wait_dscnt 0x0
	s_barrier_signal -1
	s_barrier_wait -1
	s_and_saveexec_b32 s2, s1
	s_cbranch_execz .LBB13_25
; %bb.18:
	s_and_not1_b32 vcc_lo, exec_lo, s3
	s_cbranch_vccnz .LBB13_20
; %bb.19:
	ds_load_b64 v[0:1], v33
	ds_load_b64 v[34:35], v32
	s_wait_dscnt 0x0
	v_pk_mul_f32 v[40:41], v[34:35], v[0:1] op_sel:[1,1] op_sel_hi:[0,1]
	s_delay_alu instid0(VALU_DEP_1) | instskip(SKIP_1) | instid1(VALU_DEP_2)
	v_pk_fma_f32 v[42:43], v[34:35], v[0:1], v[40:41] op_sel_hi:[1,0,1]
	v_pk_fma_f32 v[0:1], v[34:35], v[0:1], v[40:41] neg_lo:[0,0,1] neg_hi:[0,0,1]
	v_mov_b32_e32 v1, v43
	s_cbranch_execz .LBB13_21
	s_branch .LBB13_22
.LBB13_20:
                                        ; implicit-def: $vgpr0_vgpr1
.LBB13_21:
	ds_load_b64 v[0:1], v32
.LBB13_22:
	s_and_saveexec_b32 s4, s0
	s_cbranch_execz .LBB13_24
; %bb.23:
	v_mov_b32_e32 v39, 0
	ds_load_b64 v[34:35], v37 offset:96
	ds_load_b64 v[40:41], v39 offset:208
	s_wait_dscnt 0x0
	v_pk_mul_f32 v[42:43], v[40:41], v[34:35] op_sel:[1,1] op_sel_hi:[0,1]
	s_delay_alu instid0(VALU_DEP_1) | instskip(SKIP_1) | instid1(VALU_DEP_2)
	v_pk_fma_f32 v[44:45], v[40:41], v[34:35], v[42:43] op_sel_hi:[1,0,1]
	v_pk_fma_f32 v[34:35], v[40:41], v[34:35], v[42:43] neg_lo:[0,0,1] neg_hi:[0,0,1]
	v_mov_b32_e32 v35, v45
	s_delay_alu instid0(VALU_DEP_1)
	v_pk_add_f32 v[0:1], v[0:1], v[34:35]
.LBB13_24:
	s_or_b32 exec_lo, exec_lo, s4
	v_mov_b32_e32 v34, 0
	ds_load_b64 v[34:35], v34 offset:88
	s_wait_dscnt 0x0
	v_pk_mul_f32 v[40:41], v[0:1], v[34:35] op_sel:[1,1] op_sel_hi:[0,1]
	s_delay_alu instid0(VALU_DEP_1) | instskip(SKIP_1) | instid1(VALU_DEP_2)
	v_pk_fma_f32 v[42:43], v[0:1], v[34:35], v[40:41] op_sel_hi:[1,0,1]
	v_pk_fma_f32 v[0:1], v[0:1], v[34:35], v[40:41] neg_lo:[0,0,1] neg_hi:[0,0,1]
	v_mov_b32_e32 v1, v43
	ds_store_b64 v37, v[0:1] offset:88
.LBB13_25:
	s_or_b32 exec_lo, exec_lo, s2
	ds_load_b64 v[0:1], v37 offset:80
	v_cmp_lt_u32_e64 s0, 10, v36
	s_wait_dscnt 0x0
	ds_store_b64 v32, v[0:1]
	s_wait_dscnt 0x0
	s_barrier_signal -1
	s_barrier_wait -1
	s_and_saveexec_b32 s2, s0
	s_cbranch_execz .LBB13_35
; %bb.26:
	s_and_not1_b32 vcc_lo, exec_lo, s3
	s_cbranch_vccnz .LBB13_28
; %bb.27:
	ds_load_b64 v[0:1], v33
	ds_load_b64 v[34:35], v32
	s_wait_dscnt 0x0
	v_pk_mul_f32 v[40:41], v[34:35], v[0:1] op_sel:[1,1] op_sel_hi:[0,1]
	s_delay_alu instid0(VALU_DEP_1) | instskip(SKIP_1) | instid1(VALU_DEP_2)
	v_pk_fma_f32 v[42:43], v[34:35], v[0:1], v[40:41] op_sel_hi:[1,0,1]
	v_pk_fma_f32 v[0:1], v[34:35], v[0:1], v[40:41] neg_lo:[0,0,1] neg_hi:[0,0,1]
	v_mov_b32_e32 v1, v43
	s_cbranch_execz .LBB13_29
	s_branch .LBB13_30
.LBB13_28:
                                        ; implicit-def: $vgpr0_vgpr1
.LBB13_29:
	ds_load_b64 v[0:1], v32
.LBB13_30:
	s_and_saveexec_b32 s4, s1
	s_cbranch_execz .LBB13_34
; %bb.31:
	s_movk_i32 s1, 0x70
	v_add_nc_u32_e32 v35, -11, v36
	v_mad_u32 v34, v38, s1, 0x138
	s_movk_i32 s5, 0xc8
	s_mov_b32 s1, 0
.LBB13_32:                              ; =>This Inner Loop Header: Depth=1
	s_delay_alu instid0(VALU_DEP_2)
	v_dual_mov_b32 v39, s5 :: v_dual_add_nc_u32 v35, -1, v35
	s_add_co_i32 s5, s5, 8
	ds_load_b64 v[40:41], v34
	ds_load_b64 v[42:43], v39
	v_add_nc_u32_e32 v34, 8, v34
	v_cmp_eq_u32_e32 vcc_lo, 0, v35
	s_or_b32 s1, vcc_lo, s1
	s_wait_dscnt 0x0
	v_pk_mul_f32 v[44:45], v[42:43], v[40:41] op_sel:[1,1] op_sel_hi:[0,1]
	s_delay_alu instid0(VALU_DEP_1) | instskip(SKIP_1) | instid1(VALU_DEP_2)
	v_pk_fma_f32 v[46:47], v[42:43], v[40:41], v[44:45] op_sel_hi:[1,0,1]
	v_pk_fma_f32 v[40:41], v[42:43], v[40:41], v[44:45] neg_lo:[0,0,1] neg_hi:[0,0,1]
	v_mov_b32_e32 v41, v47
	s_delay_alu instid0(VALU_DEP_1)
	v_pk_add_f32 v[0:1], v[0:1], v[40:41]
	s_and_not1_b32 exec_lo, exec_lo, s1
	s_cbranch_execnz .LBB13_32
; %bb.33:
	s_or_b32 exec_lo, exec_lo, s1
.LBB13_34:
	s_delay_alu instid0(SALU_CYCLE_1) | instskip(SKIP_4) | instid1(VALU_DEP_1)
	s_or_b32 exec_lo, exec_lo, s4
	v_mov_b32_e32 v34, 0
	ds_load_b64 v[34:35], v34 offset:80
	s_wait_dscnt 0x0
	v_pk_mul_f32 v[40:41], v[0:1], v[34:35] op_sel:[1,1] op_sel_hi:[0,1]
	v_pk_fma_f32 v[42:43], v[0:1], v[34:35], v[40:41] op_sel_hi:[1,0,1]
	v_pk_fma_f32 v[0:1], v[0:1], v[34:35], v[40:41] neg_lo:[0,0,1] neg_hi:[0,0,1]
	s_delay_alu instid0(VALU_DEP_2)
	v_mov_b32_e32 v1, v43
	ds_store_b64 v37, v[0:1] offset:80
.LBB13_35:
	s_or_b32 exec_lo, exec_lo, s2
	ds_load_b64 v[0:1], v37 offset:72
	v_cmp_lt_u32_e64 s1, 9, v36
	s_wait_dscnt 0x0
	ds_store_b64 v32, v[0:1]
	s_wait_dscnt 0x0
	s_barrier_signal -1
	s_barrier_wait -1
	s_and_saveexec_b32 s2, s1
	s_cbranch_execz .LBB13_45
; %bb.36:
	s_and_not1_b32 vcc_lo, exec_lo, s3
	s_cbranch_vccnz .LBB13_38
; %bb.37:
	ds_load_b64 v[0:1], v33
	ds_load_b64 v[34:35], v32
	s_wait_dscnt 0x0
	v_pk_mul_f32 v[40:41], v[34:35], v[0:1] op_sel:[1,1] op_sel_hi:[0,1]
	s_delay_alu instid0(VALU_DEP_1) | instskip(SKIP_1) | instid1(VALU_DEP_2)
	v_pk_fma_f32 v[42:43], v[34:35], v[0:1], v[40:41] op_sel_hi:[1,0,1]
	v_pk_fma_f32 v[0:1], v[34:35], v[0:1], v[40:41] neg_lo:[0,0,1] neg_hi:[0,0,1]
	v_mov_b32_e32 v1, v43
	s_cbranch_execz .LBB13_39
	s_branch .LBB13_40
.LBB13_38:
                                        ; implicit-def: $vgpr0_vgpr1
.LBB13_39:
	ds_load_b64 v[0:1], v32
.LBB13_40:
	s_and_saveexec_b32 s4, s0
	s_cbranch_execz .LBB13_44
; %bb.41:
	s_movk_i32 s0, 0x70
	v_add_nc_u32_e32 v35, -10, v36
	v_mad_u32 v34, v38, s0, 0x130
	s_movk_i32 s5, 0xc0
	s_mov_b32 s0, 0
.LBB13_42:                              ; =>This Inner Loop Header: Depth=1
	s_delay_alu instid0(VALU_DEP_2)
	v_dual_mov_b32 v39, s5 :: v_dual_add_nc_u32 v35, -1, v35
	s_add_co_i32 s5, s5, 8
	ds_load_b64 v[40:41], v34
	ds_load_b64 v[42:43], v39
	v_add_nc_u32_e32 v34, 8, v34
	v_cmp_eq_u32_e32 vcc_lo, 0, v35
	s_or_b32 s0, vcc_lo, s0
	s_wait_dscnt 0x0
	v_pk_mul_f32 v[44:45], v[42:43], v[40:41] op_sel:[1,1] op_sel_hi:[0,1]
	s_delay_alu instid0(VALU_DEP_1) | instskip(SKIP_1) | instid1(VALU_DEP_2)
	v_pk_fma_f32 v[46:47], v[42:43], v[40:41], v[44:45] op_sel_hi:[1,0,1]
	v_pk_fma_f32 v[40:41], v[42:43], v[40:41], v[44:45] neg_lo:[0,0,1] neg_hi:[0,0,1]
	v_mov_b32_e32 v41, v47
	s_delay_alu instid0(VALU_DEP_1)
	v_pk_add_f32 v[0:1], v[0:1], v[40:41]
	s_and_not1_b32 exec_lo, exec_lo, s0
	s_cbranch_execnz .LBB13_42
; %bb.43:
	s_or_b32 exec_lo, exec_lo, s0
.LBB13_44:
	s_delay_alu instid0(SALU_CYCLE_1) | instskip(SKIP_4) | instid1(VALU_DEP_1)
	s_or_b32 exec_lo, exec_lo, s4
	v_mov_b32_e32 v34, 0
	ds_load_b64 v[34:35], v34 offset:72
	s_wait_dscnt 0x0
	v_pk_mul_f32 v[40:41], v[0:1], v[34:35] op_sel:[1,1] op_sel_hi:[0,1]
	v_pk_fma_f32 v[42:43], v[0:1], v[34:35], v[40:41] op_sel_hi:[1,0,1]
	v_pk_fma_f32 v[0:1], v[0:1], v[34:35], v[40:41] neg_lo:[0,0,1] neg_hi:[0,0,1]
	s_delay_alu instid0(VALU_DEP_2)
	v_mov_b32_e32 v1, v43
	ds_store_b64 v37, v[0:1] offset:72
.LBB13_45:
	s_or_b32 exec_lo, exec_lo, s2
	ds_load_b64 v[0:1], v37 offset:64
	v_cmp_lt_u32_e64 s0, 8, v36
	s_wait_dscnt 0x0
	ds_store_b64 v32, v[0:1]
	s_wait_dscnt 0x0
	s_barrier_signal -1
	s_barrier_wait -1
	s_and_saveexec_b32 s2, s0
	s_cbranch_execz .LBB13_55
; %bb.46:
	s_and_not1_b32 vcc_lo, exec_lo, s3
	s_cbranch_vccnz .LBB13_48
; %bb.47:
	ds_load_b64 v[0:1], v33
	ds_load_b64 v[34:35], v32
	s_wait_dscnt 0x0
	v_pk_mul_f32 v[40:41], v[34:35], v[0:1] op_sel:[1,1] op_sel_hi:[0,1]
	s_delay_alu instid0(VALU_DEP_1) | instskip(SKIP_1) | instid1(VALU_DEP_2)
	v_pk_fma_f32 v[42:43], v[34:35], v[0:1], v[40:41] op_sel_hi:[1,0,1]
	v_pk_fma_f32 v[0:1], v[34:35], v[0:1], v[40:41] neg_lo:[0,0,1] neg_hi:[0,0,1]
	v_mov_b32_e32 v1, v43
	s_cbranch_execz .LBB13_49
	s_branch .LBB13_50
.LBB13_48:
                                        ; implicit-def: $vgpr0_vgpr1
.LBB13_49:
	ds_load_b64 v[0:1], v32
.LBB13_50:
	s_and_saveexec_b32 s4, s1
	s_cbranch_execz .LBB13_54
; %bb.51:
	s_movk_i32 s1, 0x70
	v_add_nc_u32_e32 v35, -9, v36
	v_mad_u32 v34, v38, s1, 0x128
	s_movk_i32 s5, 0xb8
	s_mov_b32 s1, 0
.LBB13_52:                              ; =>This Inner Loop Header: Depth=1
	s_delay_alu instid0(VALU_DEP_2)
	v_dual_mov_b32 v39, s5 :: v_dual_add_nc_u32 v35, -1, v35
	s_add_co_i32 s5, s5, 8
	ds_load_b64 v[40:41], v34
	ds_load_b64 v[42:43], v39
	v_add_nc_u32_e32 v34, 8, v34
	v_cmp_eq_u32_e32 vcc_lo, 0, v35
	s_or_b32 s1, vcc_lo, s1
	s_wait_dscnt 0x0
	v_pk_mul_f32 v[44:45], v[42:43], v[40:41] op_sel:[1,1] op_sel_hi:[0,1]
	s_delay_alu instid0(VALU_DEP_1) | instskip(SKIP_1) | instid1(VALU_DEP_2)
	v_pk_fma_f32 v[46:47], v[42:43], v[40:41], v[44:45] op_sel_hi:[1,0,1]
	v_pk_fma_f32 v[40:41], v[42:43], v[40:41], v[44:45] neg_lo:[0,0,1] neg_hi:[0,0,1]
	v_mov_b32_e32 v41, v47
	s_delay_alu instid0(VALU_DEP_1)
	v_pk_add_f32 v[0:1], v[0:1], v[40:41]
	s_and_not1_b32 exec_lo, exec_lo, s1
	s_cbranch_execnz .LBB13_52
; %bb.53:
	s_or_b32 exec_lo, exec_lo, s1
.LBB13_54:
	s_delay_alu instid0(SALU_CYCLE_1) | instskip(SKIP_4) | instid1(VALU_DEP_1)
	s_or_b32 exec_lo, exec_lo, s4
	v_mov_b32_e32 v34, 0
	ds_load_b64 v[34:35], v34 offset:64
	s_wait_dscnt 0x0
	v_pk_mul_f32 v[40:41], v[0:1], v[34:35] op_sel:[1,1] op_sel_hi:[0,1]
	v_pk_fma_f32 v[42:43], v[0:1], v[34:35], v[40:41] op_sel_hi:[1,0,1]
	v_pk_fma_f32 v[0:1], v[0:1], v[34:35], v[40:41] neg_lo:[0,0,1] neg_hi:[0,0,1]
	s_delay_alu instid0(VALU_DEP_2)
	v_mov_b32_e32 v1, v43
	ds_store_b64 v37, v[0:1] offset:64
.LBB13_55:
	s_or_b32 exec_lo, exec_lo, s2
	ds_load_b64 v[0:1], v37 offset:56
	v_cmp_lt_u32_e64 s1, 7, v36
	s_wait_dscnt 0x0
	ds_store_b64 v32, v[0:1]
	s_wait_dscnt 0x0
	s_barrier_signal -1
	s_barrier_wait -1
	s_and_saveexec_b32 s2, s1
	s_cbranch_execz .LBB13_65
; %bb.56:
	s_and_not1_b32 vcc_lo, exec_lo, s3
	s_cbranch_vccnz .LBB13_58
; %bb.57:
	ds_load_b64 v[0:1], v33
	ds_load_b64 v[34:35], v32
	s_wait_dscnt 0x0
	v_pk_mul_f32 v[40:41], v[34:35], v[0:1] op_sel:[1,1] op_sel_hi:[0,1]
	s_delay_alu instid0(VALU_DEP_1) | instskip(SKIP_1) | instid1(VALU_DEP_2)
	v_pk_fma_f32 v[42:43], v[34:35], v[0:1], v[40:41] op_sel_hi:[1,0,1]
	v_pk_fma_f32 v[0:1], v[34:35], v[0:1], v[40:41] neg_lo:[0,0,1] neg_hi:[0,0,1]
	v_mov_b32_e32 v1, v43
	s_cbranch_execz .LBB13_59
	s_branch .LBB13_60
.LBB13_58:
                                        ; implicit-def: $vgpr0_vgpr1
.LBB13_59:
	ds_load_b64 v[0:1], v32
.LBB13_60:
	s_and_saveexec_b32 s4, s0
	s_cbranch_execz .LBB13_64
; %bb.61:
	s_movk_i32 s0, 0x70
	v_add_nc_u32_e32 v35, -8, v36
	v_mad_u32 v34, v38, s0, 0x120
	s_movk_i32 s5, 0xb0
	s_mov_b32 s0, 0
.LBB13_62:                              ; =>This Inner Loop Header: Depth=1
	s_delay_alu instid0(VALU_DEP_2)
	v_dual_mov_b32 v39, s5 :: v_dual_add_nc_u32 v35, -1, v35
	s_add_co_i32 s5, s5, 8
	ds_load_b64 v[40:41], v34
	ds_load_b64 v[42:43], v39
	v_add_nc_u32_e32 v34, 8, v34
	v_cmp_eq_u32_e32 vcc_lo, 0, v35
	s_or_b32 s0, vcc_lo, s0
	s_wait_dscnt 0x0
	v_pk_mul_f32 v[44:45], v[42:43], v[40:41] op_sel:[1,1] op_sel_hi:[0,1]
	s_delay_alu instid0(VALU_DEP_1) | instskip(SKIP_1) | instid1(VALU_DEP_2)
	v_pk_fma_f32 v[46:47], v[42:43], v[40:41], v[44:45] op_sel_hi:[1,0,1]
	v_pk_fma_f32 v[40:41], v[42:43], v[40:41], v[44:45] neg_lo:[0,0,1] neg_hi:[0,0,1]
	v_mov_b32_e32 v41, v47
	s_delay_alu instid0(VALU_DEP_1)
	v_pk_add_f32 v[0:1], v[0:1], v[40:41]
	s_and_not1_b32 exec_lo, exec_lo, s0
	s_cbranch_execnz .LBB13_62
; %bb.63:
	s_or_b32 exec_lo, exec_lo, s0
.LBB13_64:
	s_delay_alu instid0(SALU_CYCLE_1) | instskip(SKIP_4) | instid1(VALU_DEP_1)
	s_or_b32 exec_lo, exec_lo, s4
	v_mov_b32_e32 v34, 0
	ds_load_b64 v[34:35], v34 offset:56
	s_wait_dscnt 0x0
	v_pk_mul_f32 v[40:41], v[0:1], v[34:35] op_sel:[1,1] op_sel_hi:[0,1]
	v_pk_fma_f32 v[42:43], v[0:1], v[34:35], v[40:41] op_sel_hi:[1,0,1]
	v_pk_fma_f32 v[0:1], v[0:1], v[34:35], v[40:41] neg_lo:[0,0,1] neg_hi:[0,0,1]
	s_delay_alu instid0(VALU_DEP_2)
	v_mov_b32_e32 v1, v43
	ds_store_b64 v37, v[0:1] offset:56
.LBB13_65:
	s_or_b32 exec_lo, exec_lo, s2
	ds_load_b64 v[0:1], v37 offset:48
	v_cmp_lt_u32_e64 s0, 6, v36
	s_wait_dscnt 0x0
	ds_store_b64 v32, v[0:1]
	s_wait_dscnt 0x0
	s_barrier_signal -1
	s_barrier_wait -1
	s_and_saveexec_b32 s2, s0
	s_cbranch_execz .LBB13_75
; %bb.66:
	s_and_not1_b32 vcc_lo, exec_lo, s3
	s_cbranch_vccnz .LBB13_68
; %bb.67:
	ds_load_b64 v[0:1], v33
	ds_load_b64 v[34:35], v32
	s_wait_dscnt 0x0
	v_pk_mul_f32 v[40:41], v[34:35], v[0:1] op_sel:[1,1] op_sel_hi:[0,1]
	s_delay_alu instid0(VALU_DEP_1) | instskip(SKIP_1) | instid1(VALU_DEP_2)
	v_pk_fma_f32 v[42:43], v[34:35], v[0:1], v[40:41] op_sel_hi:[1,0,1]
	v_pk_fma_f32 v[0:1], v[34:35], v[0:1], v[40:41] neg_lo:[0,0,1] neg_hi:[0,0,1]
	v_mov_b32_e32 v1, v43
	s_cbranch_execz .LBB13_69
	s_branch .LBB13_70
.LBB13_68:
                                        ; implicit-def: $vgpr0_vgpr1
.LBB13_69:
	ds_load_b64 v[0:1], v32
.LBB13_70:
	s_and_saveexec_b32 s4, s1
	s_cbranch_execz .LBB13_74
; %bb.71:
	s_movk_i32 s1, 0x70
	v_add_nc_u32_e32 v35, -7, v36
	v_mad_u32 v34, v38, s1, 0x118
	s_movk_i32 s5, 0xa8
	s_mov_b32 s1, 0
.LBB13_72:                              ; =>This Inner Loop Header: Depth=1
	s_delay_alu instid0(VALU_DEP_2)
	v_dual_mov_b32 v39, s5 :: v_dual_add_nc_u32 v35, -1, v35
	s_add_co_i32 s5, s5, 8
	ds_load_b64 v[40:41], v34
	ds_load_b64 v[42:43], v39
	v_add_nc_u32_e32 v34, 8, v34
	v_cmp_eq_u32_e32 vcc_lo, 0, v35
	s_or_b32 s1, vcc_lo, s1
	s_wait_dscnt 0x0
	v_pk_mul_f32 v[44:45], v[42:43], v[40:41] op_sel:[1,1] op_sel_hi:[0,1]
	s_delay_alu instid0(VALU_DEP_1) | instskip(SKIP_1) | instid1(VALU_DEP_2)
	v_pk_fma_f32 v[46:47], v[42:43], v[40:41], v[44:45] op_sel_hi:[1,0,1]
	v_pk_fma_f32 v[40:41], v[42:43], v[40:41], v[44:45] neg_lo:[0,0,1] neg_hi:[0,0,1]
	v_mov_b32_e32 v41, v47
	s_delay_alu instid0(VALU_DEP_1)
	v_pk_add_f32 v[0:1], v[0:1], v[40:41]
	s_and_not1_b32 exec_lo, exec_lo, s1
	s_cbranch_execnz .LBB13_72
; %bb.73:
	s_or_b32 exec_lo, exec_lo, s1
.LBB13_74:
	s_delay_alu instid0(SALU_CYCLE_1) | instskip(SKIP_4) | instid1(VALU_DEP_1)
	s_or_b32 exec_lo, exec_lo, s4
	v_mov_b32_e32 v34, 0
	ds_load_b64 v[34:35], v34 offset:48
	s_wait_dscnt 0x0
	v_pk_mul_f32 v[40:41], v[0:1], v[34:35] op_sel:[1,1] op_sel_hi:[0,1]
	v_pk_fma_f32 v[42:43], v[0:1], v[34:35], v[40:41] op_sel_hi:[1,0,1]
	v_pk_fma_f32 v[0:1], v[0:1], v[34:35], v[40:41] neg_lo:[0,0,1] neg_hi:[0,0,1]
	s_delay_alu instid0(VALU_DEP_2)
	v_mov_b32_e32 v1, v43
	ds_store_b64 v37, v[0:1] offset:48
.LBB13_75:
	s_or_b32 exec_lo, exec_lo, s2
	ds_load_b64 v[0:1], v37 offset:40
	v_cmp_lt_u32_e64 s1, 5, v36
	s_wait_dscnt 0x0
	ds_store_b64 v32, v[0:1]
	s_wait_dscnt 0x0
	s_barrier_signal -1
	s_barrier_wait -1
	s_and_saveexec_b32 s2, s1
	s_cbranch_execz .LBB13_85
; %bb.76:
	s_and_not1_b32 vcc_lo, exec_lo, s3
	s_cbranch_vccnz .LBB13_78
; %bb.77:
	ds_load_b64 v[0:1], v33
	ds_load_b64 v[34:35], v32
	s_wait_dscnt 0x0
	v_pk_mul_f32 v[40:41], v[34:35], v[0:1] op_sel:[1,1] op_sel_hi:[0,1]
	s_delay_alu instid0(VALU_DEP_1) | instskip(SKIP_1) | instid1(VALU_DEP_2)
	v_pk_fma_f32 v[42:43], v[34:35], v[0:1], v[40:41] op_sel_hi:[1,0,1]
	v_pk_fma_f32 v[0:1], v[34:35], v[0:1], v[40:41] neg_lo:[0,0,1] neg_hi:[0,0,1]
	v_mov_b32_e32 v1, v43
	s_cbranch_execz .LBB13_79
	s_branch .LBB13_80
.LBB13_78:
                                        ; implicit-def: $vgpr0_vgpr1
.LBB13_79:
	ds_load_b64 v[0:1], v32
.LBB13_80:
	s_and_saveexec_b32 s4, s0
	s_cbranch_execz .LBB13_84
; %bb.81:
	s_movk_i32 s0, 0x70
	v_add_nc_u32_e32 v35, -6, v36
	v_mad_u32 v34, v38, s0, 0x110
	s_movk_i32 s5, 0xa0
	s_mov_b32 s0, 0
.LBB13_82:                              ; =>This Inner Loop Header: Depth=1
	s_delay_alu instid0(VALU_DEP_2)
	v_dual_mov_b32 v39, s5 :: v_dual_add_nc_u32 v35, -1, v35
	s_add_co_i32 s5, s5, 8
	ds_load_b64 v[40:41], v34
	ds_load_b64 v[42:43], v39
	v_add_nc_u32_e32 v34, 8, v34
	v_cmp_eq_u32_e32 vcc_lo, 0, v35
	s_or_b32 s0, vcc_lo, s0
	s_wait_dscnt 0x0
	v_pk_mul_f32 v[44:45], v[42:43], v[40:41] op_sel:[1,1] op_sel_hi:[0,1]
	s_delay_alu instid0(VALU_DEP_1) | instskip(SKIP_1) | instid1(VALU_DEP_2)
	v_pk_fma_f32 v[46:47], v[42:43], v[40:41], v[44:45] op_sel_hi:[1,0,1]
	v_pk_fma_f32 v[40:41], v[42:43], v[40:41], v[44:45] neg_lo:[0,0,1] neg_hi:[0,0,1]
	v_mov_b32_e32 v41, v47
	s_delay_alu instid0(VALU_DEP_1)
	v_pk_add_f32 v[0:1], v[0:1], v[40:41]
	s_and_not1_b32 exec_lo, exec_lo, s0
	s_cbranch_execnz .LBB13_82
; %bb.83:
	s_or_b32 exec_lo, exec_lo, s0
.LBB13_84:
	s_delay_alu instid0(SALU_CYCLE_1) | instskip(SKIP_4) | instid1(VALU_DEP_1)
	s_or_b32 exec_lo, exec_lo, s4
	v_mov_b32_e32 v34, 0
	ds_load_b64 v[34:35], v34 offset:40
	s_wait_dscnt 0x0
	v_pk_mul_f32 v[40:41], v[0:1], v[34:35] op_sel:[1,1] op_sel_hi:[0,1]
	v_pk_fma_f32 v[42:43], v[0:1], v[34:35], v[40:41] op_sel_hi:[1,0,1]
	v_pk_fma_f32 v[0:1], v[0:1], v[34:35], v[40:41] neg_lo:[0,0,1] neg_hi:[0,0,1]
	s_delay_alu instid0(VALU_DEP_2)
	v_mov_b32_e32 v1, v43
	ds_store_b64 v37, v[0:1] offset:40
.LBB13_85:
	s_or_b32 exec_lo, exec_lo, s2
	ds_load_b64 v[0:1], v37 offset:32
	v_cmp_lt_u32_e64 s0, 4, v36
	s_wait_dscnt 0x0
	ds_store_b64 v32, v[0:1]
	s_wait_dscnt 0x0
	s_barrier_signal -1
	s_barrier_wait -1
	s_and_saveexec_b32 s2, s0
	s_cbranch_execz .LBB13_95
; %bb.86:
	s_and_not1_b32 vcc_lo, exec_lo, s3
	s_cbranch_vccnz .LBB13_88
; %bb.87:
	ds_load_b64 v[0:1], v33
	ds_load_b64 v[34:35], v32
	s_wait_dscnt 0x0
	v_pk_mul_f32 v[40:41], v[34:35], v[0:1] op_sel:[1,1] op_sel_hi:[0,1]
	s_delay_alu instid0(VALU_DEP_1) | instskip(SKIP_1) | instid1(VALU_DEP_2)
	v_pk_fma_f32 v[42:43], v[34:35], v[0:1], v[40:41] op_sel_hi:[1,0,1]
	v_pk_fma_f32 v[0:1], v[34:35], v[0:1], v[40:41] neg_lo:[0,0,1] neg_hi:[0,0,1]
	v_mov_b32_e32 v1, v43
	s_cbranch_execz .LBB13_89
	s_branch .LBB13_90
.LBB13_88:
                                        ; implicit-def: $vgpr0_vgpr1
.LBB13_89:
	ds_load_b64 v[0:1], v32
.LBB13_90:
	s_and_saveexec_b32 s4, s1
	s_cbranch_execz .LBB13_94
; %bb.91:
	s_movk_i32 s1, 0x70
	v_add_nc_u32_e32 v35, -5, v36
	v_mad_u32 v34, v38, s1, 0x108
	s_movk_i32 s5, 0x98
	s_mov_b32 s1, 0
.LBB13_92:                              ; =>This Inner Loop Header: Depth=1
	s_delay_alu instid0(VALU_DEP_2)
	v_dual_mov_b32 v39, s5 :: v_dual_add_nc_u32 v35, -1, v35
	s_add_co_i32 s5, s5, 8
	ds_load_b64 v[40:41], v34
	ds_load_b64 v[42:43], v39
	v_add_nc_u32_e32 v34, 8, v34
	v_cmp_eq_u32_e32 vcc_lo, 0, v35
	s_or_b32 s1, vcc_lo, s1
	s_wait_dscnt 0x0
	v_pk_mul_f32 v[44:45], v[42:43], v[40:41] op_sel:[1,1] op_sel_hi:[0,1]
	s_delay_alu instid0(VALU_DEP_1) | instskip(SKIP_1) | instid1(VALU_DEP_2)
	v_pk_fma_f32 v[46:47], v[42:43], v[40:41], v[44:45] op_sel_hi:[1,0,1]
	v_pk_fma_f32 v[40:41], v[42:43], v[40:41], v[44:45] neg_lo:[0,0,1] neg_hi:[0,0,1]
	v_mov_b32_e32 v41, v47
	s_delay_alu instid0(VALU_DEP_1)
	v_pk_add_f32 v[0:1], v[0:1], v[40:41]
	s_and_not1_b32 exec_lo, exec_lo, s1
	s_cbranch_execnz .LBB13_92
; %bb.93:
	s_or_b32 exec_lo, exec_lo, s1
.LBB13_94:
	s_delay_alu instid0(SALU_CYCLE_1) | instskip(SKIP_4) | instid1(VALU_DEP_1)
	s_or_b32 exec_lo, exec_lo, s4
	v_mov_b32_e32 v34, 0
	ds_load_b64 v[34:35], v34 offset:32
	s_wait_dscnt 0x0
	v_pk_mul_f32 v[40:41], v[0:1], v[34:35] op_sel:[1,1] op_sel_hi:[0,1]
	v_pk_fma_f32 v[42:43], v[0:1], v[34:35], v[40:41] op_sel_hi:[1,0,1]
	v_pk_fma_f32 v[0:1], v[0:1], v[34:35], v[40:41] neg_lo:[0,0,1] neg_hi:[0,0,1]
	s_delay_alu instid0(VALU_DEP_2)
	v_mov_b32_e32 v1, v43
	ds_store_b64 v37, v[0:1] offset:32
.LBB13_95:
	s_or_b32 exec_lo, exec_lo, s2
	ds_load_b64 v[0:1], v37 offset:24
	v_cmp_lt_u32_e64 s1, 3, v36
	s_wait_dscnt 0x0
	ds_store_b64 v32, v[0:1]
	s_wait_dscnt 0x0
	s_barrier_signal -1
	s_barrier_wait -1
	s_and_saveexec_b32 s2, s1
	s_cbranch_execz .LBB13_105
; %bb.96:
	s_and_not1_b32 vcc_lo, exec_lo, s3
	s_cbranch_vccnz .LBB13_98
; %bb.97:
	ds_load_b64 v[0:1], v33
	ds_load_b64 v[34:35], v32
	s_wait_dscnt 0x0
	v_pk_mul_f32 v[40:41], v[34:35], v[0:1] op_sel:[1,1] op_sel_hi:[0,1]
	s_delay_alu instid0(VALU_DEP_1) | instskip(SKIP_1) | instid1(VALU_DEP_2)
	v_pk_fma_f32 v[42:43], v[34:35], v[0:1], v[40:41] op_sel_hi:[1,0,1]
	v_pk_fma_f32 v[0:1], v[34:35], v[0:1], v[40:41] neg_lo:[0,0,1] neg_hi:[0,0,1]
	v_mov_b32_e32 v1, v43
	s_cbranch_execz .LBB13_99
	s_branch .LBB13_100
.LBB13_98:
                                        ; implicit-def: $vgpr0_vgpr1
.LBB13_99:
	ds_load_b64 v[0:1], v32
.LBB13_100:
	s_and_saveexec_b32 s4, s0
	s_cbranch_execz .LBB13_104
; %bb.101:
	s_movk_i32 s0, 0x70
	v_add_nc_u32_e32 v35, -4, v36
	v_mad_u32 v34, v38, s0, 0x100
	s_movk_i32 s5, 0x90
	s_mov_b32 s0, 0
.LBB13_102:                             ; =>This Inner Loop Header: Depth=1
	s_delay_alu instid0(VALU_DEP_2)
	v_dual_mov_b32 v39, s5 :: v_dual_add_nc_u32 v35, -1, v35
	s_add_co_i32 s5, s5, 8
	ds_load_b64 v[40:41], v34
	ds_load_b64 v[42:43], v39
	v_add_nc_u32_e32 v34, 8, v34
	v_cmp_eq_u32_e32 vcc_lo, 0, v35
	s_or_b32 s0, vcc_lo, s0
	s_wait_dscnt 0x0
	v_pk_mul_f32 v[44:45], v[42:43], v[40:41] op_sel:[1,1] op_sel_hi:[0,1]
	s_delay_alu instid0(VALU_DEP_1) | instskip(SKIP_1) | instid1(VALU_DEP_2)
	v_pk_fma_f32 v[46:47], v[42:43], v[40:41], v[44:45] op_sel_hi:[1,0,1]
	v_pk_fma_f32 v[40:41], v[42:43], v[40:41], v[44:45] neg_lo:[0,0,1] neg_hi:[0,0,1]
	v_mov_b32_e32 v41, v47
	s_delay_alu instid0(VALU_DEP_1)
	v_pk_add_f32 v[0:1], v[0:1], v[40:41]
	s_and_not1_b32 exec_lo, exec_lo, s0
	s_cbranch_execnz .LBB13_102
; %bb.103:
	s_or_b32 exec_lo, exec_lo, s0
.LBB13_104:
	s_delay_alu instid0(SALU_CYCLE_1) | instskip(SKIP_4) | instid1(VALU_DEP_1)
	s_or_b32 exec_lo, exec_lo, s4
	v_mov_b32_e32 v34, 0
	ds_load_b64 v[34:35], v34 offset:24
	s_wait_dscnt 0x0
	v_pk_mul_f32 v[40:41], v[0:1], v[34:35] op_sel:[1,1] op_sel_hi:[0,1]
	v_pk_fma_f32 v[42:43], v[0:1], v[34:35], v[40:41] op_sel_hi:[1,0,1]
	v_pk_fma_f32 v[0:1], v[0:1], v[34:35], v[40:41] neg_lo:[0,0,1] neg_hi:[0,0,1]
	s_delay_alu instid0(VALU_DEP_2)
	v_mov_b32_e32 v1, v43
	ds_store_b64 v37, v[0:1] offset:24
.LBB13_105:
	s_or_b32 exec_lo, exec_lo, s2
	ds_load_b64 v[0:1], v37 offset:16
	v_cmp_lt_u32_e64 s2, 2, v36
	s_wait_dscnt 0x0
	ds_store_b64 v32, v[0:1]
	s_wait_dscnt 0x0
	s_barrier_signal -1
	s_barrier_wait -1
	s_and_saveexec_b32 s0, s2
	s_cbranch_execz .LBB13_115
; %bb.106:
	s_and_not1_b32 vcc_lo, exec_lo, s3
	s_cbranch_vccnz .LBB13_108
; %bb.107:
	ds_load_b64 v[0:1], v33
	ds_load_b64 v[34:35], v32
	s_wait_dscnt 0x0
	v_pk_mul_f32 v[40:41], v[34:35], v[0:1] op_sel:[1,1] op_sel_hi:[0,1]
	s_delay_alu instid0(VALU_DEP_1) | instskip(SKIP_1) | instid1(VALU_DEP_2)
	v_pk_fma_f32 v[42:43], v[34:35], v[0:1], v[40:41] op_sel_hi:[1,0,1]
	v_pk_fma_f32 v[0:1], v[34:35], v[0:1], v[40:41] neg_lo:[0,0,1] neg_hi:[0,0,1]
	v_mov_b32_e32 v1, v43
	s_cbranch_execz .LBB13_109
	s_branch .LBB13_110
.LBB13_108:
                                        ; implicit-def: $vgpr0_vgpr1
.LBB13_109:
	ds_load_b64 v[0:1], v32
.LBB13_110:
	s_and_saveexec_b32 s4, s1
	s_cbranch_execz .LBB13_114
; %bb.111:
	s_movk_i32 s1, 0x70
	v_add_nc_u32_e32 v35, -3, v36
	v_mad_u32 v34, v38, s1, 0xf8
	s_movk_i32 s5, 0x88
	s_mov_b32 s1, 0
.LBB13_112:                             ; =>This Inner Loop Header: Depth=1
	s_delay_alu instid0(VALU_DEP_2)
	v_dual_mov_b32 v39, s5 :: v_dual_add_nc_u32 v35, -1, v35
	s_add_co_i32 s5, s5, 8
	ds_load_b64 v[40:41], v34
	ds_load_b64 v[42:43], v39
	v_add_nc_u32_e32 v34, 8, v34
	v_cmp_eq_u32_e32 vcc_lo, 0, v35
	s_or_b32 s1, vcc_lo, s1
	s_wait_dscnt 0x0
	v_pk_mul_f32 v[44:45], v[42:43], v[40:41] op_sel:[1,1] op_sel_hi:[0,1]
	s_delay_alu instid0(VALU_DEP_1) | instskip(SKIP_1) | instid1(VALU_DEP_2)
	v_pk_fma_f32 v[46:47], v[42:43], v[40:41], v[44:45] op_sel_hi:[1,0,1]
	v_pk_fma_f32 v[40:41], v[42:43], v[40:41], v[44:45] neg_lo:[0,0,1] neg_hi:[0,0,1]
	v_mov_b32_e32 v41, v47
	s_delay_alu instid0(VALU_DEP_1)
	v_pk_add_f32 v[0:1], v[0:1], v[40:41]
	s_and_not1_b32 exec_lo, exec_lo, s1
	s_cbranch_execnz .LBB13_112
; %bb.113:
	s_or_b32 exec_lo, exec_lo, s1
.LBB13_114:
	s_delay_alu instid0(SALU_CYCLE_1) | instskip(SKIP_4) | instid1(VALU_DEP_1)
	s_or_b32 exec_lo, exec_lo, s4
	v_mov_b32_e32 v34, 0
	ds_load_b64 v[34:35], v34 offset:16
	s_wait_dscnt 0x0
	v_pk_mul_f32 v[40:41], v[0:1], v[34:35] op_sel:[1,1] op_sel_hi:[0,1]
	v_pk_fma_f32 v[42:43], v[0:1], v[34:35], v[40:41] op_sel_hi:[1,0,1]
	v_pk_fma_f32 v[0:1], v[0:1], v[34:35], v[40:41] neg_lo:[0,0,1] neg_hi:[0,0,1]
	s_delay_alu instid0(VALU_DEP_2)
	v_mov_b32_e32 v1, v43
	ds_store_b64 v37, v[0:1] offset:16
.LBB13_115:
	s_or_b32 exec_lo, exec_lo, s0
	ds_load_b64 v[0:1], v37 offset:8
	v_cmp_lt_u32_e64 s0, 1, v36
	s_wait_dscnt 0x0
	ds_store_b64 v32, v[0:1]
	s_wait_dscnt 0x0
	s_barrier_signal -1
	s_barrier_wait -1
	s_and_saveexec_b32 s1, s0
	s_cbranch_execz .LBB13_125
; %bb.116:
	s_and_not1_b32 vcc_lo, exec_lo, s3
	s_cbranch_vccnz .LBB13_118
; %bb.117:
	ds_load_b64 v[0:1], v33
	ds_load_b64 v[34:35], v32
	s_wait_dscnt 0x0
	v_pk_mul_f32 v[40:41], v[34:35], v[0:1] op_sel:[1,1] op_sel_hi:[0,1]
	s_delay_alu instid0(VALU_DEP_1) | instskip(SKIP_1) | instid1(VALU_DEP_2)
	v_pk_fma_f32 v[42:43], v[34:35], v[0:1], v[40:41] op_sel_hi:[1,0,1]
	v_pk_fma_f32 v[0:1], v[34:35], v[0:1], v[40:41] neg_lo:[0,0,1] neg_hi:[0,0,1]
	v_mov_b32_e32 v1, v43
	s_cbranch_execz .LBB13_119
	s_branch .LBB13_120
.LBB13_118:
                                        ; implicit-def: $vgpr0_vgpr1
.LBB13_119:
	ds_load_b64 v[0:1], v32
.LBB13_120:
	s_and_saveexec_b32 s4, s2
	s_cbranch_execz .LBB13_124
; %bb.121:
	s_movk_i32 s2, 0x70
	v_add_nc_u32_e32 v35, -2, v36
	v_mad_u32 v34, v38, s2, 0xf0
	s_movk_i32 s5, 0x80
	s_mov_b32 s2, 0
.LBB13_122:                             ; =>This Inner Loop Header: Depth=1
	s_delay_alu instid0(VALU_DEP_2)
	v_dual_mov_b32 v39, s5 :: v_dual_add_nc_u32 v35, -1, v35
	s_add_co_i32 s5, s5, 8
	ds_load_b64 v[40:41], v34
	ds_load_b64 v[42:43], v39
	v_add_nc_u32_e32 v34, 8, v34
	v_cmp_eq_u32_e32 vcc_lo, 0, v35
	s_or_b32 s2, vcc_lo, s2
	s_wait_dscnt 0x0
	v_pk_mul_f32 v[44:45], v[42:43], v[40:41] op_sel:[1,1] op_sel_hi:[0,1]
	s_delay_alu instid0(VALU_DEP_1) | instskip(SKIP_1) | instid1(VALU_DEP_2)
	v_pk_fma_f32 v[46:47], v[42:43], v[40:41], v[44:45] op_sel_hi:[1,0,1]
	v_pk_fma_f32 v[40:41], v[42:43], v[40:41], v[44:45] neg_lo:[0,0,1] neg_hi:[0,0,1]
	v_mov_b32_e32 v41, v47
	s_delay_alu instid0(VALU_DEP_1)
	v_pk_add_f32 v[0:1], v[0:1], v[40:41]
	s_and_not1_b32 exec_lo, exec_lo, s2
	s_cbranch_execnz .LBB13_122
; %bb.123:
	s_or_b32 exec_lo, exec_lo, s2
.LBB13_124:
	s_delay_alu instid0(SALU_CYCLE_1) | instskip(SKIP_4) | instid1(VALU_DEP_1)
	s_or_b32 exec_lo, exec_lo, s4
	v_mov_b32_e32 v34, 0
	ds_load_b64 v[34:35], v34 offset:8
	s_wait_dscnt 0x0
	v_pk_mul_f32 v[40:41], v[0:1], v[34:35] op_sel:[1,1] op_sel_hi:[0,1]
	v_pk_fma_f32 v[42:43], v[0:1], v[34:35], v[40:41] op_sel_hi:[1,0,1]
	v_pk_fma_f32 v[0:1], v[0:1], v[34:35], v[40:41] neg_lo:[0,0,1] neg_hi:[0,0,1]
	s_delay_alu instid0(VALU_DEP_2)
	v_mov_b32_e32 v1, v43
	ds_store_b64 v37, v[0:1] offset:8
.LBB13_125:
	s_or_b32 exec_lo, exec_lo, s1
	ds_load_b64 v[0:1], v37
	s_mov_b32 s2, 0
	s_mov_b32 s1, 0
	s_mov_b32 s4, exec_lo
                                        ; implicit-def: $vgpr35
                                        ; implicit-def: $vgpr39
	s_wait_dscnt 0x0
	ds_store_b64 v32, v[0:1]
	s_wait_dscnt 0x0
	s_barrier_signal -1
	s_barrier_wait -1
	v_cmpx_ne_u32_e32 0, v36
	s_cbranch_execz .LBB13_135
; %bb.126:
	s_and_not1_b32 vcc_lo, exec_lo, s3
	s_cbranch_vccnz .LBB13_128
; %bb.127:
	ds_load_b64 v[34:35], v33
	ds_load_b64 v[40:41], v32
	s_wait_dscnt 0x0
	v_dual_mul_f32 v0, v41, v35 :: v_dual_mul_f32 v1, v40, v35
	s_delay_alu instid0(VALU_DEP_1)
	v_dual_fma_f32 v0, v40, v34, -v0 :: v_dual_fmac_f32 v1, v41, v34
	s_and_not1_b32 vcc_lo, exec_lo, s1
	s_cbranch_vccz .LBB13_129
	s_branch .LBB13_130
.LBB13_128:
                                        ; implicit-def: $vgpr0
.LBB13_129:
	ds_load_b64 v[0:1], v32
.LBB13_130:
	s_and_saveexec_b32 s1, s0
	s_cbranch_execz .LBB13_134
; %bb.131:
	s_movk_i32 s0, 0x70
	v_add_nc_u32_e32 v35, -1, v36
	v_mad_u32 v34, v38, s0, 0xe8
	s_movk_i32 s5, 0x78
	s_mov_b32 s0, 0
.LBB13_132:                             ; =>This Inner Loop Header: Depth=1
	v_mov_b32_e32 v40, s5
	s_add_co_i32 s5, s5, 8
	ds_load_b64 v[38:39], v34
	ds_load_b64 v[40:41], v40
	s_wait_dscnt 0x0
	v_dual_mul_f32 v42, v41, v39 :: v_dual_mul_f32 v39, v40, v39
	s_delay_alu instid0(VALU_DEP_1) | instskip(NEXT) | instid1(VALU_DEP_2)
	v_dual_fma_f32 v40, v40, v38, -v42 :: v_dual_add_nc_u32 v35, -1, v35
	v_fmac_f32_e32 v39, v41, v38
	s_delay_alu instid0(VALU_DEP_2) | instskip(NEXT) | instid1(VALU_DEP_3)
	v_dual_add_nc_u32 v34, 8, v34 :: v_dual_add_f32 v0, v0, v40
	v_cmp_eq_u32_e32 vcc_lo, 0, v35
	s_delay_alu instid0(VALU_DEP_3) | instskip(SKIP_1) | instid1(SALU_CYCLE_1)
	v_add_f32_e32 v1, v1, v39
	s_or_b32 s0, vcc_lo, s0
	s_and_not1_b32 exec_lo, exec_lo, s0
	s_cbranch_execnz .LBB13_132
; %bb.133:
	s_or_b32 exec_lo, exec_lo, s0
.LBB13_134:
	s_delay_alu instid0(SALU_CYCLE_1)
	s_or_b32 exec_lo, exec_lo, s1
	v_mov_b32_e32 v34, 0
	s_mov_b32 s1, exec_lo
	v_add_nc_u32_e32 v39, 4, v37
	ds_load_b64 v[34:35], v34
	s_wait_dscnt 0x0
	v_dual_mul_f32 v38, v1, v35 :: v_dual_mul_f32 v35, v0, v35
	s_delay_alu instid0(VALU_DEP_1)
	v_dual_fma_f32 v0, v0, v34, -v38 :: v_dual_fmac_f32 v35, v1, v34
	ds_store_b32 v37, v0
.LBB13_135:
	s_or_b32 exec_lo, exec_lo, s4
	s_delay_alu instid0(SALU_CYCLE_1)
	s_and_b32 vcc_lo, exec_lo, s2
	s_cbranch_vccz .LBB13_261
.LBB13_136:
	ds_load_b64 v[0:1], v37 offset:8
	v_cmp_eq_u32_e64 s0, 0, v36
	s_wait_dscnt 0x0
	ds_store_b64 v32, v[0:1]
	s_wait_dscnt 0x0
	s_barrier_signal -1
	s_barrier_wait -1
	s_and_saveexec_b32 s2, s0
	s_cbranch_execz .LBB13_142
; %bb.137:
	s_and_b32 vcc_lo, exec_lo, s3
	s_cbranch_vccz .LBB13_139
; %bb.138:
	ds_load_b64 v[0:1], v33
	ds_load_b64 v[34:35], v32
	s_wait_dscnt 0x0
	v_pk_mul_f32 v[38:39], v[34:35], v[0:1] op_sel:[1,1] op_sel_hi:[0,1]
	v_pk_mul_f32 v[40:41], v[34:35], v[0:1] op_sel_hi:[1,0]
	s_delay_alu instid0(VALU_DEP_2) | instskip(NEXT) | instid1(VALU_DEP_2)
	v_pk_fma_f32 v[0:1], v[34:35], v[0:1], v[38:39] op_sel_hi:[1,0,1]
	v_sub_f32_e32 v0, v40, v38
	s_cbranch_execz .LBB13_140
	s_branch .LBB13_141
.LBB13_139:
                                        ; implicit-def: $vgpr1
.LBB13_140:
	ds_load_b64 v[0:1], v32
.LBB13_141:
	s_wait_dscnt 0x0
	v_dual_mov_b32 v34, 0 :: v_dual_mov_b32 v38, v1
	v_mov_b32_e32 v39, v0
	ds_load_b64 v[34:35], v34 offset:8
	s_wait_dscnt 0x0
	v_pk_mul_f32 v[38:39], v[38:39], v[34:35] op_sel:[0,1]
	s_delay_alu instid0(VALU_DEP_1) | instskip(SKIP_1) | instid1(VALU_DEP_2)
	v_pk_fma_f32 v[40:41], v[0:1], v[34:35], v[38:39] op_sel_hi:[1,0,1]
	v_pk_fma_f32 v[0:1], v[0:1], v[34:35], v[38:39] neg_lo:[0,0,1] neg_hi:[0,0,1]
	v_mov_b32_e32 v1, v41
	ds_store_b64 v37, v[0:1] offset:8
.LBB13_142:
	s_or_b32 exec_lo, exec_lo, s2
	ds_load_b64 v[0:1], v37 offset:16
	v_cndmask_b32_e64 v34, 0, 1, s3
	s_mov_b32 s2, exec_lo
	s_wait_dscnt 0x0
	ds_store_b64 v32, v[0:1]
	s_wait_dscnt 0x0
	s_barrier_signal -1
	s_barrier_wait -1
	v_cmpx_gt_u32_e32 2, v36
	s_cbranch_execz .LBB13_150
; %bb.143:
	s_and_not1_b32 vcc_lo, exec_lo, s3
	s_cbranch_vccnz .LBB13_145
; %bb.144:
	ds_load_b64 v[0:1], v33
	ds_load_b64 v[38:39], v32
	s_wait_dscnt 0x0
	v_pk_mul_f32 v[40:41], v[38:39], v[0:1] op_sel:[1,1] op_sel_hi:[0,1]
	s_delay_alu instid0(VALU_DEP_1) | instskip(SKIP_1) | instid1(VALU_DEP_2)
	v_pk_fma_f32 v[42:43], v[38:39], v[0:1], v[40:41] op_sel_hi:[1,0,1]
	v_pk_fma_f32 v[0:1], v[38:39], v[0:1], v[40:41] neg_lo:[0,0,1] neg_hi:[0,0,1]
	v_mov_b32_e32 v1, v43
	s_cbranch_execz .LBB13_146
	s_branch .LBB13_147
.LBB13_145:
                                        ; implicit-def: $vgpr0_vgpr1
.LBB13_146:
	ds_load_b64 v[0:1], v32
.LBB13_147:
	s_and_saveexec_b32 s3, s0
	s_cbranch_execz .LBB13_149
; %bb.148:
	v_mov_b32_e32 v35, 0
	ds_load_b64 v[38:39], v37 offset:8
	ds_load_b64 v[40:41], v35 offset:120
	s_wait_dscnt 0x0
	v_pk_mul_f32 v[42:43], v[40:41], v[38:39] op_sel:[1,1] op_sel_hi:[0,1]
	s_delay_alu instid0(VALU_DEP_1) | instskip(SKIP_1) | instid1(VALU_DEP_2)
	v_pk_fma_f32 v[44:45], v[40:41], v[38:39], v[42:43] op_sel_hi:[1,0,1]
	v_pk_fma_f32 v[38:39], v[40:41], v[38:39], v[42:43] neg_lo:[0,0,1] neg_hi:[0,0,1]
	v_mov_b32_e32 v39, v45
	s_delay_alu instid0(VALU_DEP_1)
	v_pk_add_f32 v[0:1], v[0:1], v[38:39]
.LBB13_149:
	s_or_b32 exec_lo, exec_lo, s3
	v_mov_b32_e32 v35, 0
	ds_load_b64 v[38:39], v35 offset:16
	s_wait_dscnt 0x0
	v_pk_mul_f32 v[40:41], v[0:1], v[38:39] op_sel:[1,1] op_sel_hi:[0,1]
	s_delay_alu instid0(VALU_DEP_1) | instskip(SKIP_1) | instid1(VALU_DEP_2)
	v_pk_fma_f32 v[42:43], v[0:1], v[38:39], v[40:41] op_sel_hi:[1,0,1]
	v_pk_fma_f32 v[0:1], v[0:1], v[38:39], v[40:41] neg_lo:[0,0,1] neg_hi:[0,0,1]
	v_mov_b32_e32 v1, v43
	ds_store_b64 v37, v[0:1] offset:16
.LBB13_150:
	s_or_b32 exec_lo, exec_lo, s2
	ds_load_b64 v[0:1], v37 offset:24
	s_mov_b32 s2, exec_lo
	s_wait_dscnt 0x0
	ds_store_b64 v32, v[0:1]
	s_wait_dscnt 0x0
	s_barrier_signal -1
	s_barrier_wait -1
	v_cmpx_gt_u32_e32 3, v36
	s_cbranch_execz .LBB13_160
; %bb.151:
	v_cmp_ne_u32_e32 vcc_lo, 1, v34
	s_cbranch_vccnz .LBB13_153
; %bb.152:
	ds_load_b64 v[0:1], v33
	ds_load_b64 v[38:39], v32
	s_wait_dscnt 0x0
	v_pk_mul_f32 v[40:41], v[38:39], v[0:1] op_sel:[1,1] op_sel_hi:[0,1]
	s_delay_alu instid0(VALU_DEP_1) | instskip(SKIP_1) | instid1(VALU_DEP_2)
	v_pk_fma_f32 v[42:43], v[38:39], v[0:1], v[40:41] op_sel_hi:[1,0,1]
	v_pk_fma_f32 v[0:1], v[38:39], v[0:1], v[40:41] neg_lo:[0,0,1] neg_hi:[0,0,1]
	v_mov_b32_e32 v1, v43
	s_cbranch_execz .LBB13_154
	s_branch .LBB13_155
.LBB13_153:
                                        ; implicit-def: $vgpr0_vgpr1
.LBB13_154:
	ds_load_b64 v[0:1], v32
.LBB13_155:
	s_mov_b32 s3, exec_lo
	v_cmpx_ne_u32_e32 2, v36
	s_cbranch_execz .LBB13_159
; %bb.156:
	ds_load_b64 v[38:39], v33 offset:8
	ds_load_b64 v[40:41], v32 offset:8
	s_wait_dscnt 0x0
	v_pk_mul_f32 v[42:43], v[40:41], v[38:39] op_sel:[1,1] op_sel_hi:[0,1]
	s_delay_alu instid0(VALU_DEP_1) | instskip(SKIP_1) | instid1(VALU_DEP_2)
	v_pk_fma_f32 v[44:45], v[40:41], v[38:39], v[42:43] op_sel_hi:[1,0,1]
	v_pk_fma_f32 v[38:39], v[40:41], v[38:39], v[42:43] neg_lo:[0,0,1] neg_hi:[0,0,1]
	v_mov_b32_e32 v39, v45
	s_delay_alu instid0(VALU_DEP_1)
	v_pk_add_f32 v[0:1], v[0:1], v[38:39]
	s_and_saveexec_b32 s4, s0
	s_cbranch_execz .LBB13_158
; %bb.157:
	v_mov_b32_e32 v35, 0
	ds_load_b64 v[38:39], v35 offset:128
	ds_load_b64 v[40:41], v37 offset:16
	s_wait_dscnt 0x0
	v_pk_mul_f32 v[42:43], v[38:39], v[40:41] op_sel:[1,1] op_sel_hi:[0,1]
	s_delay_alu instid0(VALU_DEP_1) | instskip(SKIP_1) | instid1(VALU_DEP_2)
	v_pk_fma_f32 v[44:45], v[38:39], v[40:41], v[42:43] op_sel_hi:[1,0,1]
	v_pk_fma_f32 v[38:39], v[38:39], v[40:41], v[42:43] neg_lo:[0,0,1] neg_hi:[0,0,1]
	v_mov_b32_e32 v39, v45
	s_delay_alu instid0(VALU_DEP_1)
	v_pk_add_f32 v[0:1], v[0:1], v[38:39]
.LBB13_158:
	s_or_b32 exec_lo, exec_lo, s4
.LBB13_159:
	s_delay_alu instid0(SALU_CYCLE_1) | instskip(SKIP_4) | instid1(VALU_DEP_1)
	s_or_b32 exec_lo, exec_lo, s3
	v_mov_b32_e32 v35, 0
	ds_load_b64 v[38:39], v35 offset:24
	s_wait_dscnt 0x0
	v_pk_mul_f32 v[40:41], v[0:1], v[38:39] op_sel:[1,1] op_sel_hi:[0,1]
	v_pk_fma_f32 v[42:43], v[0:1], v[38:39], v[40:41] op_sel_hi:[1,0,1]
	v_pk_fma_f32 v[0:1], v[0:1], v[38:39], v[40:41] neg_lo:[0,0,1] neg_hi:[0,0,1]
	s_delay_alu instid0(VALU_DEP_2)
	v_mov_b32_e32 v1, v43
	ds_store_b64 v37, v[0:1] offset:24
.LBB13_160:
	s_or_b32 exec_lo, exec_lo, s2
	ds_load_b64 v[0:1], v37 offset:32
	s_mov_b32 s0, exec_lo
	s_wait_dscnt 0x0
	ds_store_b64 v32, v[0:1]
	s_wait_dscnt 0x0
	s_barrier_signal -1
	s_barrier_wait -1
	v_cmpx_gt_u32_e32 4, v36
	s_cbranch_execz .LBB13_170
; %bb.161:
	v_cmp_ne_u32_e32 vcc_lo, 1, v34
	s_cbranch_vccnz .LBB13_163
; %bb.162:
	ds_load_b64 v[0:1], v33
	ds_load_b64 v[38:39], v32
	s_wait_dscnt 0x0
	v_pk_mul_f32 v[40:41], v[38:39], v[0:1] op_sel:[1,1] op_sel_hi:[0,1]
	s_delay_alu instid0(VALU_DEP_1) | instskip(SKIP_1) | instid1(VALU_DEP_2)
	v_pk_fma_f32 v[42:43], v[38:39], v[0:1], v[40:41] op_sel_hi:[1,0,1]
	v_pk_fma_f32 v[0:1], v[38:39], v[0:1], v[40:41] neg_lo:[0,0,1] neg_hi:[0,0,1]
	v_mov_b32_e32 v1, v43
	s_cbranch_execz .LBB13_164
	s_branch .LBB13_165
.LBB13_163:
                                        ; implicit-def: $vgpr0_vgpr1
.LBB13_164:
	ds_load_b64 v[0:1], v32
.LBB13_165:
	s_mov_b32 s2, exec_lo
	v_cmpx_ne_u32_e32 3, v36
	s_cbranch_execz .LBB13_169
; %bb.166:
	v_add_nc_u32_e32 v35, 0x78, v30
	v_add3_u32 v38, v31, v30, 0xe8
	v_mov_b32_e32 v39, v36
	s_mov_b32 s3, 0
.LBB13_167:                             ; =>This Inner Loop Header: Depth=1
	ds_load_b64 v[40:41], v38
	ds_load_b64 v[42:43], v35
	v_dual_add_nc_u32 v35, 8, v35 :: v_dual_add_nc_u32 v38, 8, v38
	s_wait_dscnt 0x0
	v_pk_mul_f32 v[44:45], v[42:43], v[40:41] op_sel:[1,1] op_sel_hi:[0,1]
	s_delay_alu instid0(VALU_DEP_1) | instskip(SKIP_2) | instid1(VALU_DEP_3)
	v_pk_fma_f32 v[46:47], v[42:43], v[40:41], v[44:45] op_sel_hi:[1,0,1]
	v_add_nc_u32_e32 v39, 1, v39
	v_pk_fma_f32 v[40:41], v[42:43], v[40:41], v[44:45] neg_lo:[0,0,1] neg_hi:[0,0,1]
	v_mov_b32_e32 v41, v47
	s_delay_alu instid0(VALU_DEP_3) | instskip(NEXT) | instid1(VALU_DEP_2)
	v_cmp_lt_u32_e32 vcc_lo, 2, v39
	v_pk_add_f32 v[0:1], v[0:1], v[40:41]
	s_or_b32 s3, vcc_lo, s3
	s_delay_alu instid0(SALU_CYCLE_1)
	s_and_not1_b32 exec_lo, exec_lo, s3
	s_cbranch_execnz .LBB13_167
; %bb.168:
	s_or_b32 exec_lo, exec_lo, s3
.LBB13_169:
	s_delay_alu instid0(SALU_CYCLE_1) | instskip(SKIP_4) | instid1(VALU_DEP_1)
	s_or_b32 exec_lo, exec_lo, s2
	v_mov_b32_e32 v35, 0
	ds_load_b64 v[38:39], v35 offset:32
	s_wait_dscnt 0x0
	v_pk_mul_f32 v[40:41], v[0:1], v[38:39] op_sel:[1,1] op_sel_hi:[0,1]
	v_pk_fma_f32 v[42:43], v[0:1], v[38:39], v[40:41] op_sel_hi:[1,0,1]
	v_pk_fma_f32 v[0:1], v[0:1], v[38:39], v[40:41] neg_lo:[0,0,1] neg_hi:[0,0,1]
	s_delay_alu instid0(VALU_DEP_2)
	v_mov_b32_e32 v1, v43
	ds_store_b64 v37, v[0:1] offset:32
.LBB13_170:
	s_or_b32 exec_lo, exec_lo, s0
	ds_load_b64 v[0:1], v37 offset:40
	s_mov_b32 s0, exec_lo
	s_wait_dscnt 0x0
	ds_store_b64 v32, v[0:1]
	s_wait_dscnt 0x0
	s_barrier_signal -1
	s_barrier_wait -1
	v_cmpx_gt_u32_e32 5, v36
	s_cbranch_execz .LBB13_180
; %bb.171:
	v_cmp_ne_u32_e32 vcc_lo, 1, v34
	s_cbranch_vccnz .LBB13_173
; %bb.172:
	ds_load_b64 v[0:1], v33
	ds_load_b64 v[38:39], v32
	s_wait_dscnt 0x0
	v_pk_mul_f32 v[40:41], v[38:39], v[0:1] op_sel:[1,1] op_sel_hi:[0,1]
	s_delay_alu instid0(VALU_DEP_1) | instskip(SKIP_1) | instid1(VALU_DEP_2)
	v_pk_fma_f32 v[42:43], v[38:39], v[0:1], v[40:41] op_sel_hi:[1,0,1]
	v_pk_fma_f32 v[0:1], v[38:39], v[0:1], v[40:41] neg_lo:[0,0,1] neg_hi:[0,0,1]
	v_mov_b32_e32 v1, v43
	s_cbranch_execz .LBB13_174
	s_branch .LBB13_175
.LBB13_173:
                                        ; implicit-def: $vgpr0_vgpr1
.LBB13_174:
	ds_load_b64 v[0:1], v32
.LBB13_175:
	s_mov_b32 s2, exec_lo
	v_cmpx_ne_u32_e32 4, v36
	s_cbranch_execz .LBB13_179
; %bb.176:
	v_add_nc_u32_e32 v35, 0x78, v30
	v_add3_u32 v38, v31, v30, 0xe8
	v_mov_b32_e32 v39, v36
	s_mov_b32 s3, 0
.LBB13_177:                             ; =>This Inner Loop Header: Depth=1
	ds_load_b64 v[40:41], v38
	ds_load_b64 v[42:43], v35
	v_dual_add_nc_u32 v35, 8, v35 :: v_dual_add_nc_u32 v38, 8, v38
	s_wait_dscnt 0x0
	v_pk_mul_f32 v[44:45], v[42:43], v[40:41] op_sel:[1,1] op_sel_hi:[0,1]
	s_delay_alu instid0(VALU_DEP_1) | instskip(SKIP_2) | instid1(VALU_DEP_3)
	v_pk_fma_f32 v[46:47], v[42:43], v[40:41], v[44:45] op_sel_hi:[1,0,1]
	v_add_nc_u32_e32 v39, 1, v39
	v_pk_fma_f32 v[40:41], v[42:43], v[40:41], v[44:45] neg_lo:[0,0,1] neg_hi:[0,0,1]
	v_mov_b32_e32 v41, v47
	s_delay_alu instid0(VALU_DEP_3) | instskip(NEXT) | instid1(VALU_DEP_2)
	v_cmp_lt_u32_e32 vcc_lo, 3, v39
	v_pk_add_f32 v[0:1], v[0:1], v[40:41]
	s_or_b32 s3, vcc_lo, s3
	s_delay_alu instid0(SALU_CYCLE_1)
	s_and_not1_b32 exec_lo, exec_lo, s3
	s_cbranch_execnz .LBB13_177
; %bb.178:
	s_or_b32 exec_lo, exec_lo, s3
.LBB13_179:
	s_delay_alu instid0(SALU_CYCLE_1) | instskip(SKIP_4) | instid1(VALU_DEP_1)
	s_or_b32 exec_lo, exec_lo, s2
	v_mov_b32_e32 v35, 0
	ds_load_b64 v[38:39], v35 offset:40
	s_wait_dscnt 0x0
	v_pk_mul_f32 v[40:41], v[0:1], v[38:39] op_sel:[1,1] op_sel_hi:[0,1]
	v_pk_fma_f32 v[42:43], v[0:1], v[38:39], v[40:41] op_sel_hi:[1,0,1]
	v_pk_fma_f32 v[0:1], v[0:1], v[38:39], v[40:41] neg_lo:[0,0,1] neg_hi:[0,0,1]
	s_delay_alu instid0(VALU_DEP_2)
	v_mov_b32_e32 v1, v43
	ds_store_b64 v37, v[0:1] offset:40
.LBB13_180:
	s_or_b32 exec_lo, exec_lo, s0
	ds_load_b64 v[0:1], v37 offset:48
	s_mov_b32 s0, exec_lo
	s_wait_dscnt 0x0
	ds_store_b64 v32, v[0:1]
	s_wait_dscnt 0x0
	s_barrier_signal -1
	s_barrier_wait -1
	v_cmpx_gt_u32_e32 6, v36
	s_cbranch_execz .LBB13_190
; %bb.181:
	v_cmp_ne_u32_e32 vcc_lo, 1, v34
	s_cbranch_vccnz .LBB13_183
; %bb.182:
	ds_load_b64 v[0:1], v33
	ds_load_b64 v[38:39], v32
	s_wait_dscnt 0x0
	v_pk_mul_f32 v[40:41], v[38:39], v[0:1] op_sel:[1,1] op_sel_hi:[0,1]
	s_delay_alu instid0(VALU_DEP_1) | instskip(SKIP_1) | instid1(VALU_DEP_2)
	v_pk_fma_f32 v[42:43], v[38:39], v[0:1], v[40:41] op_sel_hi:[1,0,1]
	v_pk_fma_f32 v[0:1], v[38:39], v[0:1], v[40:41] neg_lo:[0,0,1] neg_hi:[0,0,1]
	v_mov_b32_e32 v1, v43
	s_cbranch_execz .LBB13_184
	s_branch .LBB13_185
.LBB13_183:
                                        ; implicit-def: $vgpr0_vgpr1
.LBB13_184:
	ds_load_b64 v[0:1], v32
.LBB13_185:
	s_mov_b32 s2, exec_lo
	v_cmpx_ne_u32_e32 5, v36
	s_cbranch_execz .LBB13_189
; %bb.186:
	v_add_nc_u32_e32 v35, 0x78, v30
	v_add3_u32 v38, v31, v30, 0xe8
	v_mov_b32_e32 v39, v36
	s_mov_b32 s3, 0
.LBB13_187:                             ; =>This Inner Loop Header: Depth=1
	ds_load_b64 v[40:41], v38
	ds_load_b64 v[42:43], v35
	v_dual_add_nc_u32 v35, 8, v35 :: v_dual_add_nc_u32 v38, 8, v38
	s_wait_dscnt 0x0
	v_pk_mul_f32 v[44:45], v[42:43], v[40:41] op_sel:[1,1] op_sel_hi:[0,1]
	s_delay_alu instid0(VALU_DEP_1) | instskip(SKIP_2) | instid1(VALU_DEP_3)
	v_pk_fma_f32 v[46:47], v[42:43], v[40:41], v[44:45] op_sel_hi:[1,0,1]
	v_add_nc_u32_e32 v39, 1, v39
	v_pk_fma_f32 v[40:41], v[42:43], v[40:41], v[44:45] neg_lo:[0,0,1] neg_hi:[0,0,1]
	v_mov_b32_e32 v41, v47
	s_delay_alu instid0(VALU_DEP_3) | instskip(NEXT) | instid1(VALU_DEP_2)
	v_cmp_lt_u32_e32 vcc_lo, 4, v39
	v_pk_add_f32 v[0:1], v[0:1], v[40:41]
	s_or_b32 s3, vcc_lo, s3
	s_delay_alu instid0(SALU_CYCLE_1)
	s_and_not1_b32 exec_lo, exec_lo, s3
	s_cbranch_execnz .LBB13_187
; %bb.188:
	s_or_b32 exec_lo, exec_lo, s3
.LBB13_189:
	s_delay_alu instid0(SALU_CYCLE_1) | instskip(SKIP_4) | instid1(VALU_DEP_1)
	s_or_b32 exec_lo, exec_lo, s2
	v_mov_b32_e32 v35, 0
	ds_load_b64 v[38:39], v35 offset:48
	s_wait_dscnt 0x0
	v_pk_mul_f32 v[40:41], v[0:1], v[38:39] op_sel:[1,1] op_sel_hi:[0,1]
	v_pk_fma_f32 v[42:43], v[0:1], v[38:39], v[40:41] op_sel_hi:[1,0,1]
	v_pk_fma_f32 v[0:1], v[0:1], v[38:39], v[40:41] neg_lo:[0,0,1] neg_hi:[0,0,1]
	s_delay_alu instid0(VALU_DEP_2)
	v_mov_b32_e32 v1, v43
	ds_store_b64 v37, v[0:1] offset:48
.LBB13_190:
	s_or_b32 exec_lo, exec_lo, s0
	ds_load_b64 v[0:1], v37 offset:56
	s_mov_b32 s0, exec_lo
	s_wait_dscnt 0x0
	ds_store_b64 v32, v[0:1]
	s_wait_dscnt 0x0
	s_barrier_signal -1
	s_barrier_wait -1
	v_cmpx_gt_u32_e32 7, v36
	s_cbranch_execz .LBB13_200
; %bb.191:
	v_cmp_ne_u32_e32 vcc_lo, 1, v34
	s_cbranch_vccnz .LBB13_193
; %bb.192:
	ds_load_b64 v[0:1], v33
	ds_load_b64 v[38:39], v32
	s_wait_dscnt 0x0
	v_pk_mul_f32 v[40:41], v[38:39], v[0:1] op_sel:[1,1] op_sel_hi:[0,1]
	s_delay_alu instid0(VALU_DEP_1) | instskip(SKIP_1) | instid1(VALU_DEP_2)
	v_pk_fma_f32 v[42:43], v[38:39], v[0:1], v[40:41] op_sel_hi:[1,0,1]
	v_pk_fma_f32 v[0:1], v[38:39], v[0:1], v[40:41] neg_lo:[0,0,1] neg_hi:[0,0,1]
	v_mov_b32_e32 v1, v43
	s_cbranch_execz .LBB13_194
	s_branch .LBB13_195
.LBB13_193:
                                        ; implicit-def: $vgpr0_vgpr1
.LBB13_194:
	ds_load_b64 v[0:1], v32
.LBB13_195:
	s_mov_b32 s2, exec_lo
	v_cmpx_ne_u32_e32 6, v36
	s_cbranch_execz .LBB13_199
; %bb.196:
	v_add_nc_u32_e32 v35, 0x78, v30
	v_add3_u32 v38, v31, v30, 0xe8
	v_mov_b32_e32 v39, v36
	s_mov_b32 s3, 0
.LBB13_197:                             ; =>This Inner Loop Header: Depth=1
	ds_load_b64 v[40:41], v38
	ds_load_b64 v[42:43], v35
	v_dual_add_nc_u32 v35, 8, v35 :: v_dual_add_nc_u32 v38, 8, v38
	s_wait_dscnt 0x0
	v_pk_mul_f32 v[44:45], v[42:43], v[40:41] op_sel:[1,1] op_sel_hi:[0,1]
	s_delay_alu instid0(VALU_DEP_1) | instskip(SKIP_2) | instid1(VALU_DEP_3)
	v_pk_fma_f32 v[46:47], v[42:43], v[40:41], v[44:45] op_sel_hi:[1,0,1]
	v_add_nc_u32_e32 v39, 1, v39
	v_pk_fma_f32 v[40:41], v[42:43], v[40:41], v[44:45] neg_lo:[0,0,1] neg_hi:[0,0,1]
	v_mov_b32_e32 v41, v47
	s_delay_alu instid0(VALU_DEP_3) | instskip(NEXT) | instid1(VALU_DEP_2)
	v_cmp_lt_u32_e32 vcc_lo, 5, v39
	v_pk_add_f32 v[0:1], v[0:1], v[40:41]
	s_or_b32 s3, vcc_lo, s3
	s_delay_alu instid0(SALU_CYCLE_1)
	s_and_not1_b32 exec_lo, exec_lo, s3
	s_cbranch_execnz .LBB13_197
; %bb.198:
	s_or_b32 exec_lo, exec_lo, s3
.LBB13_199:
	s_delay_alu instid0(SALU_CYCLE_1) | instskip(SKIP_4) | instid1(VALU_DEP_1)
	s_or_b32 exec_lo, exec_lo, s2
	v_mov_b32_e32 v35, 0
	ds_load_b64 v[38:39], v35 offset:56
	s_wait_dscnt 0x0
	v_pk_mul_f32 v[40:41], v[0:1], v[38:39] op_sel:[1,1] op_sel_hi:[0,1]
	v_pk_fma_f32 v[42:43], v[0:1], v[38:39], v[40:41] op_sel_hi:[1,0,1]
	v_pk_fma_f32 v[0:1], v[0:1], v[38:39], v[40:41] neg_lo:[0,0,1] neg_hi:[0,0,1]
	s_delay_alu instid0(VALU_DEP_2)
	v_mov_b32_e32 v1, v43
	ds_store_b64 v37, v[0:1] offset:56
.LBB13_200:
	s_or_b32 exec_lo, exec_lo, s0
	ds_load_b64 v[0:1], v37 offset:64
	s_mov_b32 s0, exec_lo
	s_wait_dscnt 0x0
	ds_store_b64 v32, v[0:1]
	s_wait_dscnt 0x0
	s_barrier_signal -1
	s_barrier_wait -1
	v_cmpx_gt_u32_e32 8, v36
	s_cbranch_execz .LBB13_210
; %bb.201:
	v_cmp_ne_u32_e32 vcc_lo, 1, v34
	s_cbranch_vccnz .LBB13_203
; %bb.202:
	ds_load_b64 v[0:1], v33
	ds_load_b64 v[38:39], v32
	s_wait_dscnt 0x0
	v_pk_mul_f32 v[40:41], v[38:39], v[0:1] op_sel:[1,1] op_sel_hi:[0,1]
	s_delay_alu instid0(VALU_DEP_1) | instskip(SKIP_1) | instid1(VALU_DEP_2)
	v_pk_fma_f32 v[42:43], v[38:39], v[0:1], v[40:41] op_sel_hi:[1,0,1]
	v_pk_fma_f32 v[0:1], v[38:39], v[0:1], v[40:41] neg_lo:[0,0,1] neg_hi:[0,0,1]
	v_mov_b32_e32 v1, v43
	s_cbranch_execz .LBB13_204
	s_branch .LBB13_205
.LBB13_203:
                                        ; implicit-def: $vgpr0_vgpr1
.LBB13_204:
	ds_load_b64 v[0:1], v32
.LBB13_205:
	s_mov_b32 s2, exec_lo
	v_cmpx_ne_u32_e32 7, v36
	s_cbranch_execz .LBB13_209
; %bb.206:
	v_add_nc_u32_e32 v35, 0x78, v30
	v_add3_u32 v38, v31, v30, 0xe8
	v_mov_b32_e32 v39, v36
	s_mov_b32 s3, 0
.LBB13_207:                             ; =>This Inner Loop Header: Depth=1
	ds_load_b64 v[40:41], v38
	ds_load_b64 v[42:43], v35
	v_dual_add_nc_u32 v35, 8, v35 :: v_dual_add_nc_u32 v38, 8, v38
	s_wait_dscnt 0x0
	v_pk_mul_f32 v[44:45], v[42:43], v[40:41] op_sel:[1,1] op_sel_hi:[0,1]
	s_delay_alu instid0(VALU_DEP_1) | instskip(SKIP_2) | instid1(VALU_DEP_3)
	v_pk_fma_f32 v[46:47], v[42:43], v[40:41], v[44:45] op_sel_hi:[1,0,1]
	v_add_nc_u32_e32 v39, 1, v39
	v_pk_fma_f32 v[40:41], v[42:43], v[40:41], v[44:45] neg_lo:[0,0,1] neg_hi:[0,0,1]
	v_mov_b32_e32 v41, v47
	s_delay_alu instid0(VALU_DEP_3) | instskip(NEXT) | instid1(VALU_DEP_2)
	v_cmp_lt_u32_e32 vcc_lo, 6, v39
	v_pk_add_f32 v[0:1], v[0:1], v[40:41]
	s_or_b32 s3, vcc_lo, s3
	s_delay_alu instid0(SALU_CYCLE_1)
	s_and_not1_b32 exec_lo, exec_lo, s3
	s_cbranch_execnz .LBB13_207
; %bb.208:
	s_or_b32 exec_lo, exec_lo, s3
.LBB13_209:
	s_delay_alu instid0(SALU_CYCLE_1) | instskip(SKIP_4) | instid1(VALU_DEP_1)
	s_or_b32 exec_lo, exec_lo, s2
	v_mov_b32_e32 v35, 0
	ds_load_b64 v[38:39], v35 offset:64
	s_wait_dscnt 0x0
	v_pk_mul_f32 v[40:41], v[0:1], v[38:39] op_sel:[1,1] op_sel_hi:[0,1]
	v_pk_fma_f32 v[42:43], v[0:1], v[38:39], v[40:41] op_sel_hi:[1,0,1]
	v_pk_fma_f32 v[0:1], v[0:1], v[38:39], v[40:41] neg_lo:[0,0,1] neg_hi:[0,0,1]
	s_delay_alu instid0(VALU_DEP_2)
	v_mov_b32_e32 v1, v43
	ds_store_b64 v37, v[0:1] offset:64
.LBB13_210:
	s_or_b32 exec_lo, exec_lo, s0
	ds_load_b64 v[0:1], v37 offset:72
	s_mov_b32 s0, exec_lo
	s_wait_dscnt 0x0
	ds_store_b64 v32, v[0:1]
	s_wait_dscnt 0x0
	s_barrier_signal -1
	s_barrier_wait -1
	v_cmpx_gt_u32_e32 9, v36
	s_cbranch_execz .LBB13_220
; %bb.211:
	v_cmp_ne_u32_e32 vcc_lo, 1, v34
	s_cbranch_vccnz .LBB13_213
; %bb.212:
	ds_load_b64 v[0:1], v33
	ds_load_b64 v[38:39], v32
	s_wait_dscnt 0x0
	v_pk_mul_f32 v[40:41], v[38:39], v[0:1] op_sel:[1,1] op_sel_hi:[0,1]
	s_delay_alu instid0(VALU_DEP_1) | instskip(SKIP_1) | instid1(VALU_DEP_2)
	v_pk_fma_f32 v[42:43], v[38:39], v[0:1], v[40:41] op_sel_hi:[1,0,1]
	v_pk_fma_f32 v[0:1], v[38:39], v[0:1], v[40:41] neg_lo:[0,0,1] neg_hi:[0,0,1]
	v_mov_b32_e32 v1, v43
	s_cbranch_execz .LBB13_214
	s_branch .LBB13_215
.LBB13_213:
                                        ; implicit-def: $vgpr0_vgpr1
.LBB13_214:
	ds_load_b64 v[0:1], v32
.LBB13_215:
	s_mov_b32 s2, exec_lo
	v_cmpx_ne_u32_e32 8, v36
	s_cbranch_execz .LBB13_219
; %bb.216:
	v_add_nc_u32_e32 v35, 0x78, v30
	v_add3_u32 v38, v31, v30, 0xe8
	v_mov_b32_e32 v39, v36
	s_mov_b32 s3, 0
.LBB13_217:                             ; =>This Inner Loop Header: Depth=1
	ds_load_b64 v[40:41], v38
	ds_load_b64 v[42:43], v35
	v_dual_add_nc_u32 v35, 8, v35 :: v_dual_add_nc_u32 v38, 8, v38
	s_wait_dscnt 0x0
	v_pk_mul_f32 v[44:45], v[42:43], v[40:41] op_sel:[1,1] op_sel_hi:[0,1]
	s_delay_alu instid0(VALU_DEP_1) | instskip(SKIP_2) | instid1(VALU_DEP_3)
	v_pk_fma_f32 v[46:47], v[42:43], v[40:41], v[44:45] op_sel_hi:[1,0,1]
	v_add_nc_u32_e32 v39, 1, v39
	v_pk_fma_f32 v[40:41], v[42:43], v[40:41], v[44:45] neg_lo:[0,0,1] neg_hi:[0,0,1]
	v_mov_b32_e32 v41, v47
	s_delay_alu instid0(VALU_DEP_3) | instskip(NEXT) | instid1(VALU_DEP_2)
	v_cmp_lt_u32_e32 vcc_lo, 7, v39
	v_pk_add_f32 v[0:1], v[0:1], v[40:41]
	s_or_b32 s3, vcc_lo, s3
	s_delay_alu instid0(SALU_CYCLE_1)
	s_and_not1_b32 exec_lo, exec_lo, s3
	s_cbranch_execnz .LBB13_217
; %bb.218:
	s_or_b32 exec_lo, exec_lo, s3
.LBB13_219:
	s_delay_alu instid0(SALU_CYCLE_1) | instskip(SKIP_4) | instid1(VALU_DEP_1)
	s_or_b32 exec_lo, exec_lo, s2
	v_mov_b32_e32 v35, 0
	ds_load_b64 v[38:39], v35 offset:72
	s_wait_dscnt 0x0
	v_pk_mul_f32 v[40:41], v[0:1], v[38:39] op_sel:[1,1] op_sel_hi:[0,1]
	v_pk_fma_f32 v[42:43], v[0:1], v[38:39], v[40:41] op_sel_hi:[1,0,1]
	v_pk_fma_f32 v[0:1], v[0:1], v[38:39], v[40:41] neg_lo:[0,0,1] neg_hi:[0,0,1]
	s_delay_alu instid0(VALU_DEP_2)
	v_mov_b32_e32 v1, v43
	ds_store_b64 v37, v[0:1] offset:72
.LBB13_220:
	s_or_b32 exec_lo, exec_lo, s0
	ds_load_b64 v[0:1], v37 offset:80
	s_mov_b32 s0, exec_lo
	s_wait_dscnt 0x0
	ds_store_b64 v32, v[0:1]
	s_wait_dscnt 0x0
	s_barrier_signal -1
	s_barrier_wait -1
	v_cmpx_gt_u32_e32 10, v36
	s_cbranch_execz .LBB13_230
; %bb.221:
	v_cmp_ne_u32_e32 vcc_lo, 1, v34
	s_cbranch_vccnz .LBB13_223
; %bb.222:
	ds_load_b64 v[0:1], v33
	ds_load_b64 v[38:39], v32
	s_wait_dscnt 0x0
	v_pk_mul_f32 v[40:41], v[38:39], v[0:1] op_sel:[1,1] op_sel_hi:[0,1]
	s_delay_alu instid0(VALU_DEP_1) | instskip(SKIP_1) | instid1(VALU_DEP_2)
	v_pk_fma_f32 v[42:43], v[38:39], v[0:1], v[40:41] op_sel_hi:[1,0,1]
	v_pk_fma_f32 v[0:1], v[38:39], v[0:1], v[40:41] neg_lo:[0,0,1] neg_hi:[0,0,1]
	v_mov_b32_e32 v1, v43
	s_cbranch_execz .LBB13_224
	s_branch .LBB13_225
.LBB13_223:
                                        ; implicit-def: $vgpr0_vgpr1
.LBB13_224:
	ds_load_b64 v[0:1], v32
.LBB13_225:
	s_mov_b32 s2, exec_lo
	v_cmpx_ne_u32_e32 9, v36
	s_cbranch_execz .LBB13_229
; %bb.226:
	v_add_nc_u32_e32 v35, 0x78, v30
	v_add3_u32 v38, v31, v30, 0xe8
	v_mov_b32_e32 v39, v36
	s_mov_b32 s3, 0
.LBB13_227:                             ; =>This Inner Loop Header: Depth=1
	ds_load_b64 v[40:41], v38
	ds_load_b64 v[42:43], v35
	v_dual_add_nc_u32 v35, 8, v35 :: v_dual_add_nc_u32 v38, 8, v38
	s_wait_dscnt 0x0
	v_pk_mul_f32 v[44:45], v[42:43], v[40:41] op_sel:[1,1] op_sel_hi:[0,1]
	s_delay_alu instid0(VALU_DEP_1) | instskip(SKIP_2) | instid1(VALU_DEP_3)
	v_pk_fma_f32 v[46:47], v[42:43], v[40:41], v[44:45] op_sel_hi:[1,0,1]
	v_add_nc_u32_e32 v39, 1, v39
	v_pk_fma_f32 v[40:41], v[42:43], v[40:41], v[44:45] neg_lo:[0,0,1] neg_hi:[0,0,1]
	v_mov_b32_e32 v41, v47
	s_delay_alu instid0(VALU_DEP_3) | instskip(NEXT) | instid1(VALU_DEP_2)
	v_cmp_lt_u32_e32 vcc_lo, 8, v39
	v_pk_add_f32 v[0:1], v[0:1], v[40:41]
	s_or_b32 s3, vcc_lo, s3
	s_delay_alu instid0(SALU_CYCLE_1)
	s_and_not1_b32 exec_lo, exec_lo, s3
	s_cbranch_execnz .LBB13_227
; %bb.228:
	s_or_b32 exec_lo, exec_lo, s3
.LBB13_229:
	s_delay_alu instid0(SALU_CYCLE_1) | instskip(SKIP_4) | instid1(VALU_DEP_1)
	s_or_b32 exec_lo, exec_lo, s2
	v_mov_b32_e32 v35, 0
	ds_load_b64 v[38:39], v35 offset:80
	s_wait_dscnt 0x0
	v_pk_mul_f32 v[40:41], v[0:1], v[38:39] op_sel:[1,1] op_sel_hi:[0,1]
	v_pk_fma_f32 v[42:43], v[0:1], v[38:39], v[40:41] op_sel_hi:[1,0,1]
	v_pk_fma_f32 v[0:1], v[0:1], v[38:39], v[40:41] neg_lo:[0,0,1] neg_hi:[0,0,1]
	s_delay_alu instid0(VALU_DEP_2)
	v_mov_b32_e32 v1, v43
	ds_store_b64 v37, v[0:1] offset:80
.LBB13_230:
	s_or_b32 exec_lo, exec_lo, s0
	ds_load_b64 v[0:1], v37 offset:88
	s_mov_b32 s0, exec_lo
	s_wait_dscnt 0x0
	ds_store_b64 v32, v[0:1]
	s_wait_dscnt 0x0
	s_barrier_signal -1
	s_barrier_wait -1
	v_cmpx_gt_u32_e32 11, v36
	s_cbranch_execz .LBB13_240
; %bb.231:
	v_cmp_ne_u32_e32 vcc_lo, 1, v34
	s_cbranch_vccnz .LBB13_233
; %bb.232:
	ds_load_b64 v[0:1], v33
	ds_load_b64 v[38:39], v32
	s_wait_dscnt 0x0
	v_pk_mul_f32 v[40:41], v[38:39], v[0:1] op_sel:[1,1] op_sel_hi:[0,1]
	s_delay_alu instid0(VALU_DEP_1) | instskip(SKIP_1) | instid1(VALU_DEP_2)
	v_pk_fma_f32 v[42:43], v[38:39], v[0:1], v[40:41] op_sel_hi:[1,0,1]
	v_pk_fma_f32 v[0:1], v[38:39], v[0:1], v[40:41] neg_lo:[0,0,1] neg_hi:[0,0,1]
	v_mov_b32_e32 v1, v43
	s_cbranch_execz .LBB13_234
	s_branch .LBB13_235
.LBB13_233:
                                        ; implicit-def: $vgpr0_vgpr1
.LBB13_234:
	ds_load_b64 v[0:1], v32
.LBB13_235:
	s_mov_b32 s2, exec_lo
	v_cmpx_ne_u32_e32 10, v36
	s_cbranch_execz .LBB13_239
; %bb.236:
	v_add_nc_u32_e32 v35, 0x78, v30
	v_add3_u32 v38, v31, v30, 0xe8
	v_mov_b32_e32 v39, v36
	s_mov_b32 s3, 0
.LBB13_237:                             ; =>This Inner Loop Header: Depth=1
	ds_load_b64 v[40:41], v38
	ds_load_b64 v[42:43], v35
	v_dual_add_nc_u32 v35, 8, v35 :: v_dual_add_nc_u32 v38, 8, v38
	s_wait_dscnt 0x0
	v_pk_mul_f32 v[44:45], v[42:43], v[40:41] op_sel:[1,1] op_sel_hi:[0,1]
	s_delay_alu instid0(VALU_DEP_1) | instskip(SKIP_2) | instid1(VALU_DEP_3)
	v_pk_fma_f32 v[46:47], v[42:43], v[40:41], v[44:45] op_sel_hi:[1,0,1]
	v_add_nc_u32_e32 v39, 1, v39
	v_pk_fma_f32 v[40:41], v[42:43], v[40:41], v[44:45] neg_lo:[0,0,1] neg_hi:[0,0,1]
	v_mov_b32_e32 v41, v47
	s_delay_alu instid0(VALU_DEP_3) | instskip(NEXT) | instid1(VALU_DEP_2)
	v_cmp_lt_u32_e32 vcc_lo, 9, v39
	v_pk_add_f32 v[0:1], v[0:1], v[40:41]
	s_or_b32 s3, vcc_lo, s3
	s_delay_alu instid0(SALU_CYCLE_1)
	s_and_not1_b32 exec_lo, exec_lo, s3
	s_cbranch_execnz .LBB13_237
; %bb.238:
	s_or_b32 exec_lo, exec_lo, s3
.LBB13_239:
	s_delay_alu instid0(SALU_CYCLE_1) | instskip(SKIP_4) | instid1(VALU_DEP_1)
	s_or_b32 exec_lo, exec_lo, s2
	v_mov_b32_e32 v35, 0
	ds_load_b64 v[38:39], v35 offset:88
	s_wait_dscnt 0x0
	v_pk_mul_f32 v[40:41], v[0:1], v[38:39] op_sel:[1,1] op_sel_hi:[0,1]
	v_pk_fma_f32 v[42:43], v[0:1], v[38:39], v[40:41] op_sel_hi:[1,0,1]
	v_pk_fma_f32 v[0:1], v[0:1], v[38:39], v[40:41] neg_lo:[0,0,1] neg_hi:[0,0,1]
	s_delay_alu instid0(VALU_DEP_2)
	v_mov_b32_e32 v1, v43
	ds_store_b64 v37, v[0:1] offset:88
.LBB13_240:
	s_or_b32 exec_lo, exec_lo, s0
	ds_load_b64 v[0:1], v37 offset:96
	v_cmp_gt_u32_e64 s0, 12, v36
	s_wait_dscnt 0x0
	ds_store_b64 v32, v[0:1]
	s_wait_dscnt 0x0
	s_barrier_signal -1
	s_barrier_wait -1
	s_and_saveexec_b32 s2, s0
	s_cbranch_execz .LBB13_250
; %bb.241:
	v_cmp_ne_u32_e32 vcc_lo, 1, v34
	s_cbranch_vccnz .LBB13_243
; %bb.242:
	ds_load_b64 v[0:1], v33
	ds_load_b64 v[38:39], v32
	s_wait_dscnt 0x0
	v_pk_mul_f32 v[40:41], v[38:39], v[0:1] op_sel:[1,1] op_sel_hi:[0,1]
	s_delay_alu instid0(VALU_DEP_1) | instskip(SKIP_1) | instid1(VALU_DEP_2)
	v_pk_fma_f32 v[42:43], v[38:39], v[0:1], v[40:41] op_sel_hi:[1,0,1]
	v_pk_fma_f32 v[0:1], v[38:39], v[0:1], v[40:41] neg_lo:[0,0,1] neg_hi:[0,0,1]
	v_mov_b32_e32 v1, v43
	s_cbranch_execz .LBB13_244
	s_branch .LBB13_245
.LBB13_243:
                                        ; implicit-def: $vgpr0_vgpr1
.LBB13_244:
	ds_load_b64 v[0:1], v32
.LBB13_245:
	s_mov_b32 s3, exec_lo
	v_cmpx_ne_u32_e32 11, v36
	s_cbranch_execz .LBB13_249
; %bb.246:
	v_add_nc_u32_e32 v35, 0x78, v30
	v_add3_u32 v38, v31, v30, 0xe8
	v_mov_b32_e32 v39, v36
	s_mov_b32 s4, 0
.LBB13_247:                             ; =>This Inner Loop Header: Depth=1
	ds_load_b64 v[40:41], v38
	ds_load_b64 v[42:43], v35
	v_dual_add_nc_u32 v35, 8, v35 :: v_dual_add_nc_u32 v38, 8, v38
	s_wait_dscnt 0x0
	v_pk_mul_f32 v[44:45], v[42:43], v[40:41] op_sel:[1,1] op_sel_hi:[0,1]
	s_delay_alu instid0(VALU_DEP_1) | instskip(SKIP_2) | instid1(VALU_DEP_3)
	v_pk_fma_f32 v[46:47], v[42:43], v[40:41], v[44:45] op_sel_hi:[1,0,1]
	v_add_nc_u32_e32 v39, 1, v39
	v_pk_fma_f32 v[40:41], v[42:43], v[40:41], v[44:45] neg_lo:[0,0,1] neg_hi:[0,0,1]
	v_mov_b32_e32 v41, v47
	s_delay_alu instid0(VALU_DEP_3) | instskip(NEXT) | instid1(VALU_DEP_2)
	v_cmp_lt_u32_e32 vcc_lo, 10, v39
	v_pk_add_f32 v[0:1], v[0:1], v[40:41]
	s_or_b32 s4, vcc_lo, s4
	s_delay_alu instid0(SALU_CYCLE_1)
	s_and_not1_b32 exec_lo, exec_lo, s4
	s_cbranch_execnz .LBB13_247
; %bb.248:
	s_or_b32 exec_lo, exec_lo, s4
.LBB13_249:
	s_delay_alu instid0(SALU_CYCLE_1) | instskip(SKIP_4) | instid1(VALU_DEP_1)
	s_or_b32 exec_lo, exec_lo, s3
	v_mov_b32_e32 v35, 0
	ds_load_b64 v[38:39], v35 offset:96
	s_wait_dscnt 0x0
	v_pk_mul_f32 v[40:41], v[0:1], v[38:39] op_sel:[1,1] op_sel_hi:[0,1]
	v_pk_fma_f32 v[42:43], v[0:1], v[38:39], v[40:41] op_sel_hi:[1,0,1]
	v_pk_fma_f32 v[0:1], v[0:1], v[38:39], v[40:41] neg_lo:[0,0,1] neg_hi:[0,0,1]
	s_delay_alu instid0(VALU_DEP_2)
	v_mov_b32_e32 v1, v43
	ds_store_b64 v37, v[0:1] offset:96
.LBB13_250:
	s_or_b32 exec_lo, exec_lo, s2
	ds_load_b64 v[0:1], v37 offset:104
	s_mov_b32 s2, exec_lo
                                        ; implicit-def: $vgpr35
                                        ; implicit-def: $vgpr39
	s_wait_dscnt 0x0
	ds_store_b64 v32, v[0:1]
	s_wait_dscnt 0x0
	s_barrier_signal -1
	s_barrier_wait -1
	v_cmpx_ne_u32_e32 13, v36
	s_cbranch_execz .LBB13_260
; %bb.251:
	v_cmp_ne_u32_e32 vcc_lo, 1, v34
	s_cbranch_vccnz .LBB13_253
; %bb.252:
	ds_load_b64 v[34:35], v33
	ds_load_b64 v[38:39], v32
	s_wait_dscnt 0x0
	v_dual_mul_f32 v0, v39, v35 :: v_dual_mul_f32 v1, v38, v35
	s_delay_alu instid0(VALU_DEP_1)
	v_dual_fma_f32 v0, v38, v34, -v0 :: v_dual_fmac_f32 v1, v39, v34
	s_cbranch_execz .LBB13_254
	s_branch .LBB13_255
.LBB13_253:
                                        ; implicit-def: $vgpr1
.LBB13_254:
	ds_load_b64 v[0:1], v32
.LBB13_255:
	s_and_saveexec_b32 s3, s0
	s_cbranch_execz .LBB13_259
; %bb.256:
	v_add_nc_u32_e32 v32, 0x78, v30
	v_add3_u32 v30, v31, v30, 0xe8
	s_mov_b32 s0, 0
.LBB13_257:                             ; =>This Inner Loop Header: Depth=1
	ds_load_b64 v[34:35], v30
	ds_load_b64 v[38:39], v32
	s_wait_dscnt 0x0
	v_dual_mul_f32 v31, v39, v35 :: v_dual_add_nc_u32 v32, 8, v32
	v_dual_mul_f32 v33, v38, v35 :: v_dual_add_nc_u32 v36, 1, v36
	s_delay_alu instid0(VALU_DEP_1) | instskip(NEXT) | instid1(VALU_DEP_2)
	v_dual_fma_f32 v31, v38, v34, -v31 :: v_dual_fmac_f32 v33, v39, v34
	v_cmp_lt_u32_e32 vcc_lo, 11, v36
	s_delay_alu instid0(VALU_DEP_2) | instskip(NEXT) | instid1(VALU_DEP_3)
	v_dual_add_nc_u32 v30, 8, v30 :: v_dual_add_f32 v0, v0, v31
	v_add_f32_e32 v1, v1, v33
	s_or_b32 s0, vcc_lo, s0
	s_delay_alu instid0(SALU_CYCLE_1)
	s_and_not1_b32 exec_lo, exec_lo, s0
	s_cbranch_execnz .LBB13_257
; %bb.258:
	s_or_b32 exec_lo, exec_lo, s0
.LBB13_259:
	s_delay_alu instid0(SALU_CYCLE_1)
	s_or_b32 exec_lo, exec_lo, s3
	v_dual_mov_b32 v30, 0 :: v_dual_add_nc_u32 v39, 0x6c, v37
	s_or_b32 s1, s1, exec_lo
	ds_load_b64 v[30:31], v30 offset:104
	s_wait_dscnt 0x0
	v_dual_mul_f32 v32, v1, v31 :: v_dual_mul_f32 v35, v0, v31
	s_delay_alu instid0(VALU_DEP_1)
	v_dual_fma_f32 v0, v0, v30, -v32 :: v_dual_fmac_f32 v35, v1, v30
	ds_store_b32 v37, v0 offset:104
.LBB13_260:
	s_or_b32 exec_lo, exec_lo, s2
.LBB13_261:
	v_lshl_add_u64 v[30:31], v[6:7], 3, s[6:7]
	v_lshl_add_u64 v[8:9], v[8:9], 3, s[6:7]
	;; [unrolled: 1-line block ×12, first 2 shown]
	s_and_saveexec_b32 s0, s1
; %bb.262:
	ds_store_b32 v39, v35
; %bb.263:
	s_or_b32 exec_lo, exec_lo, s0
	ds_load_b128 v[26:29], v37
	ds_load_b128 v[32:35], v37 offset:16
	ds_load_b128 v[38:41], v37 offset:32
	;; [unrolled: 1-line block ×6, first 2 shown]
	s_wait_dscnt 0x6
	s_clause 0x1
	global_store_b64 v[2:3], v[26:27], off
	global_store_b64 v[4:5], v[28:29], off
	s_wait_dscnt 0x5
	s_clause 0x1
	global_store_b64 v[30:31], v[32:33], off
	global_store_b64 v[8:9], v[34:35], off
	;; [unrolled: 4-line block ×7, first 2 shown]
.LBB13_264:
	s_endpgm
	.section	.rodata,"a",@progbits
	.p2align	6, 0x0
	.amdhsa_kernel _ZN9rocsolver6v33100L18trti2_kernel_smallILi14E19rocblas_complex_numIfEPS3_EEv13rocblas_fill_17rocblas_diagonal_T1_iil
		.amdhsa_group_segment_fixed_size 7392
		.amdhsa_private_segment_fixed_size 0
		.amdhsa_kernarg_size 32
		.amdhsa_user_sgpr_count 4
		.amdhsa_user_sgpr_dispatch_ptr 1
		.amdhsa_user_sgpr_queue_ptr 0
		.amdhsa_user_sgpr_kernarg_segment_ptr 1
		.amdhsa_user_sgpr_dispatch_id 0
		.amdhsa_user_sgpr_kernarg_preload_length 0
		.amdhsa_user_sgpr_kernarg_preload_offset 0
		.amdhsa_user_sgpr_private_segment_size 0
		.amdhsa_wavefront_size32 1
		.amdhsa_uses_dynamic_stack 0
		.amdhsa_enable_private_segment 0
		.amdhsa_system_sgpr_workgroup_id_x 1
		.amdhsa_system_sgpr_workgroup_id_y 0
		.amdhsa_system_sgpr_workgroup_id_z 0
		.amdhsa_system_sgpr_workgroup_info 0
		.amdhsa_system_vgpr_workitem_id 2
		.amdhsa_next_free_vgpr 64
		.amdhsa_next_free_sgpr 14
		.amdhsa_named_barrier_count 0
		.amdhsa_reserve_vcc 1
		.amdhsa_float_round_mode_32 0
		.amdhsa_float_round_mode_16_64 0
		.amdhsa_float_denorm_mode_32 3
		.amdhsa_float_denorm_mode_16_64 3
		.amdhsa_fp16_overflow 0
		.amdhsa_memory_ordered 1
		.amdhsa_forward_progress 1
		.amdhsa_inst_pref_size 78
		.amdhsa_round_robin_scheduling 0
		.amdhsa_exception_fp_ieee_invalid_op 0
		.amdhsa_exception_fp_denorm_src 0
		.amdhsa_exception_fp_ieee_div_zero 0
		.amdhsa_exception_fp_ieee_overflow 0
		.amdhsa_exception_fp_ieee_underflow 0
		.amdhsa_exception_fp_ieee_inexact 0
		.amdhsa_exception_int_div_zero 0
	.end_amdhsa_kernel
	.section	.text._ZN9rocsolver6v33100L18trti2_kernel_smallILi14E19rocblas_complex_numIfEPS3_EEv13rocblas_fill_17rocblas_diagonal_T1_iil,"axG",@progbits,_ZN9rocsolver6v33100L18trti2_kernel_smallILi14E19rocblas_complex_numIfEPS3_EEv13rocblas_fill_17rocblas_diagonal_T1_iil,comdat
.Lfunc_end13:
	.size	_ZN9rocsolver6v33100L18trti2_kernel_smallILi14E19rocblas_complex_numIfEPS3_EEv13rocblas_fill_17rocblas_diagonal_T1_iil, .Lfunc_end13-_ZN9rocsolver6v33100L18trti2_kernel_smallILi14E19rocblas_complex_numIfEPS3_EEv13rocblas_fill_17rocblas_diagonal_T1_iil
                                        ; -- End function
	.set _ZN9rocsolver6v33100L18trti2_kernel_smallILi14E19rocblas_complex_numIfEPS3_EEv13rocblas_fill_17rocblas_diagonal_T1_iil.num_vgpr, 64
	.set _ZN9rocsolver6v33100L18trti2_kernel_smallILi14E19rocblas_complex_numIfEPS3_EEv13rocblas_fill_17rocblas_diagonal_T1_iil.num_agpr, 0
	.set _ZN9rocsolver6v33100L18trti2_kernel_smallILi14E19rocblas_complex_numIfEPS3_EEv13rocblas_fill_17rocblas_diagonal_T1_iil.numbered_sgpr, 14
	.set _ZN9rocsolver6v33100L18trti2_kernel_smallILi14E19rocblas_complex_numIfEPS3_EEv13rocblas_fill_17rocblas_diagonal_T1_iil.num_named_barrier, 0
	.set _ZN9rocsolver6v33100L18trti2_kernel_smallILi14E19rocblas_complex_numIfEPS3_EEv13rocblas_fill_17rocblas_diagonal_T1_iil.private_seg_size, 0
	.set _ZN9rocsolver6v33100L18trti2_kernel_smallILi14E19rocblas_complex_numIfEPS3_EEv13rocblas_fill_17rocblas_diagonal_T1_iil.uses_vcc, 1
	.set _ZN9rocsolver6v33100L18trti2_kernel_smallILi14E19rocblas_complex_numIfEPS3_EEv13rocblas_fill_17rocblas_diagonal_T1_iil.uses_flat_scratch, 0
	.set _ZN9rocsolver6v33100L18trti2_kernel_smallILi14E19rocblas_complex_numIfEPS3_EEv13rocblas_fill_17rocblas_diagonal_T1_iil.has_dyn_sized_stack, 0
	.set _ZN9rocsolver6v33100L18trti2_kernel_smallILi14E19rocblas_complex_numIfEPS3_EEv13rocblas_fill_17rocblas_diagonal_T1_iil.has_recursion, 0
	.set _ZN9rocsolver6v33100L18trti2_kernel_smallILi14E19rocblas_complex_numIfEPS3_EEv13rocblas_fill_17rocblas_diagonal_T1_iil.has_indirect_call, 0
	.section	.AMDGPU.csdata,"",@progbits
; Kernel info:
; codeLenInByte = 9892
; TotalNumSgprs: 16
; NumVgprs: 64
; ScratchSize: 0
; MemoryBound: 0
; FloatMode: 240
; IeeeMode: 1
; LDSByteSize: 7392 bytes/workgroup (compile time only)
; SGPRBlocks: 0
; VGPRBlocks: 3
; NumSGPRsForWavesPerEU: 16
; NumVGPRsForWavesPerEU: 64
; NamedBarCnt: 0
; Occupancy: 11
; WaveLimiterHint : 0
; COMPUTE_PGM_RSRC2:SCRATCH_EN: 0
; COMPUTE_PGM_RSRC2:USER_SGPR: 4
; COMPUTE_PGM_RSRC2:TRAP_HANDLER: 0
; COMPUTE_PGM_RSRC2:TGID_X_EN: 1
; COMPUTE_PGM_RSRC2:TGID_Y_EN: 0
; COMPUTE_PGM_RSRC2:TGID_Z_EN: 0
; COMPUTE_PGM_RSRC2:TIDIG_COMP_CNT: 2
	.section	.text._ZN9rocsolver6v33100L18trti2_kernel_smallILi15E19rocblas_complex_numIfEPS3_EEv13rocblas_fill_17rocblas_diagonal_T1_iil,"axG",@progbits,_ZN9rocsolver6v33100L18trti2_kernel_smallILi15E19rocblas_complex_numIfEPS3_EEv13rocblas_fill_17rocblas_diagonal_T1_iil,comdat
	.globl	_ZN9rocsolver6v33100L18trti2_kernel_smallILi15E19rocblas_complex_numIfEPS3_EEv13rocblas_fill_17rocblas_diagonal_T1_iil ; -- Begin function _ZN9rocsolver6v33100L18trti2_kernel_smallILi15E19rocblas_complex_numIfEPS3_EEv13rocblas_fill_17rocblas_diagonal_T1_iil
	.p2align	8
	.type	_ZN9rocsolver6v33100L18trti2_kernel_smallILi15E19rocblas_complex_numIfEPS3_EEv13rocblas_fill_17rocblas_diagonal_T1_iil,@function
_ZN9rocsolver6v33100L18trti2_kernel_smallILi15E19rocblas_complex_numIfEPS3_EEv13rocblas_fill_17rocblas_diagonal_T1_iil: ; @_ZN9rocsolver6v33100L18trti2_kernel_smallILi15E19rocblas_complex_numIfEPS3_EEv13rocblas_fill_17rocblas_diagonal_T1_iil
; %bb.0:
	v_and_b32_e32 v38, 0x3ff, v0
	s_mov_b32 s4, exec_lo
	s_delay_alu instid0(VALU_DEP_1)
	v_cmpx_gt_u32_e32 15, v38
	s_cbranch_execz .LBB14_284
; %bb.1:
	s_load_b256 s[4:11], s[2:3], 0x0
	s_load_b64 s[12:13], s[0:1], 0x4
	s_wait_xcnt 0x0
	s_bfe_u32 s0, ttmp6, 0x4000c
	s_and_b32 s1, ttmp6, 15
	s_add_co_i32 s0, s0, 1
	s_getreg_b32 s2, hwreg(HW_REG_IB_STS2, 6, 4)
	s_mul_i32 s0, ttmp9, s0
	v_bfe_u32 v1, v0, 10, 10
	s_add_co_i32 s0, s1, s0
	v_bfe_u32 v0, v0, 20, 10
	v_mov_b32_e32 v33, 0
	s_wait_kmcnt 0x0
	v_add3_u32 v6, s9, s9, v38
	s_lshr_b32 s12, s12, 16
	s_ashr_i32 s1, s8, 31
	s_cmp_eq_u32 s2, 0
	s_mul_i32 s12, s12, s13
	v_add_nc_u32_e32 v8, s9, v6
	s_cselect_b32 s2, ttmp9, s0
	s_mov_b32 s0, s8
	s_ashr_i32 s3, s2, 31
	s_lshl_b64 s[0:1], s[0:1], 3
	v_add_nc_u32_e32 v10, s9, v8
	s_mul_u64 s[2:3], s[10:11], s[2:3]
	v_mul_u32_u24_e32 v1, s13, v1
	s_lshl_b64 s[2:3], s[2:3], 3
	v_mul_u32_u24_e32 v7, s12, v38
	v_add_nc_u32_e32 v12, s9, v10
	s_add_nc_u64 s[2:3], s[6:7], s[2:3]
	s_delay_alu instid0(SALU_CYCLE_1) | instskip(SKIP_1) | instid1(VALU_DEP_1)
	s_add_nc_u64 s[2:3], s[2:3], s[0:1]
	s_mov_b32 s0, s9
	v_add_nc_u32_e32 v14, s9, v12
	s_ashr_i32 s1, s9, 31
	v_add3_u32 v40, v7, v1, v0
	s_cmp_lg_u32 s5, 0x84
	s_cselect_b32 s5, -1, 0
	v_add_nc_u32_e32 v16, s9, v14
	v_lshlrev_b32_e32 v32, 3, v38
	v_mul_lo_u32 v39, 0x78, v40
	s_and_b32 vcc_lo, exec_lo, s5
	s_delay_alu instid0(VALU_DEP_3) | instskip(NEXT) | instid1(VALU_DEP_3)
	v_add_nc_u32_e32 v18, s9, v16
	v_add_nc_u64_e32 v[2:3], s[2:3], v[32:33]
	s_delay_alu instid0(VALU_DEP_2) | instskip(NEXT) | instid1(VALU_DEP_2)
	v_add_nc_u32_e32 v20, s9, v18
	v_lshl_add_u64 v[4:5], s[0:1], 3, v[2:3]
	v_add_nc_u32_e32 v33, 0x100, v39
	s_delay_alu instid0(VALU_DEP_3)
	v_add_nc_u32_e32 v22, s9, v20
	s_clause 0x7
	global_load_b64 v[34:35], v38, s[2:3] scale_offset
	global_load_b64 v[36:37], v[4:5], off
	global_load_b64 v[42:43], v6, s[2:3] scale_offset
	global_load_b64 v[44:45], v8, s[2:3] scale_offset
	;; [unrolled: 1-line block ×6, first 2 shown]
	s_mov_b32 s0, -1
	v_add_nc_u32_e32 v24, s9, v22
	s_delay_alu instid0(VALU_DEP_1) | instskip(NEXT) | instid1(VALU_DEP_1)
	v_add_nc_u32_e32 v26, s9, v24
	v_add_nc_u32_e32 v28, s9, v26
	s_delay_alu instid0(VALU_DEP_1)
	v_add_nc_u32_e32 v30, s9, v28
	s_clause 0x6
	global_load_b64 v[54:55], v18, s[2:3] scale_offset
	global_load_b64 v[56:57], v20, s[2:3] scale_offset
	;; [unrolled: 1-line block ×7, first 2 shown]
	s_wait_loadcnt 0xd
	ds_store_b128 v39, v[34:37] offset:256
	s_wait_loadcnt 0xb
	ds_store_b128 v39, v[42:45] offset:272
	;; [unrolled: 2-line block ×7, first 2 shown]
	s_wait_loadcnt 0x0
	ds_store_b64 v39, v[66:67] offset:368
	s_cbranch_vccz .LBB14_7
; %bb.2:
	v_lshl_add_u32 v7, v38, 3, v33
                                        ; implicit-def: $vgpr37
                                        ; implicit-def: $vgpr34
	ds_load_b64 v[0:1], v7
	s_wait_dscnt 0x0
	v_cmp_ngt_f32_e64 s0, |v0|, |v1|
	s_and_saveexec_b32 s1, s0
	s_delay_alu instid0(SALU_CYCLE_1)
	s_xor_b32 s0, exec_lo, s1
	s_cbranch_execz .LBB14_4
; %bb.3:
	v_div_scale_f32 v9, null, v1, v1, v0
	v_div_scale_f32 v15, vcc_lo, v0, v1, v0
	s_delay_alu instid0(VALU_DEP_2) | instskip(SKIP_1) | instid1(TRANS32_DEP_1)
	v_rcp_f32_e32 v11, v9
	v_nop
	v_fma_f32 v13, -v9, v11, 1.0
	s_delay_alu instid0(VALU_DEP_1) | instskip(NEXT) | instid1(VALU_DEP_1)
	v_fmac_f32_e32 v11, v13, v11
	v_mul_f32_e32 v13, v15, v11
	s_delay_alu instid0(VALU_DEP_1) | instskip(NEXT) | instid1(VALU_DEP_1)
	v_fma_f32 v17, -v9, v13, v15
	v_fmac_f32_e32 v13, v17, v11
	s_delay_alu instid0(VALU_DEP_1) | instskip(NEXT) | instid1(VALU_DEP_1)
	v_fma_f32 v9, -v9, v13, v15
	v_div_fmas_f32 v9, v9, v11, v13
	s_delay_alu instid0(VALU_DEP_1) | instskip(NEXT) | instid1(VALU_DEP_1)
	v_div_fixup_f32 v9, v9, v1, v0
	v_fmac_f32_e32 v1, v0, v9
	s_delay_alu instid0(VALU_DEP_1) | instskip(NEXT) | instid1(VALU_DEP_1)
	v_div_scale_f32 v0, null, v1, v1, -1.0
	v_rcp_f32_e32 v11, v0
	v_nop
	s_delay_alu instid0(TRANS32_DEP_1) | instskip(NEXT) | instid1(VALU_DEP_1)
	v_fma_f32 v13, -v0, v11, 1.0
	v_fmac_f32_e32 v11, v13, v11
	v_div_scale_f32 v13, vcc_lo, -1.0, v1, -1.0
	s_delay_alu instid0(VALU_DEP_1) | instskip(NEXT) | instid1(VALU_DEP_1)
	v_mul_f32_e32 v15, v13, v11
	v_fma_f32 v17, -v0, v15, v13
	s_delay_alu instid0(VALU_DEP_1) | instskip(NEXT) | instid1(VALU_DEP_1)
	v_fmac_f32_e32 v15, v17, v11
	v_fma_f32 v0, -v0, v15, v13
	s_delay_alu instid0(VALU_DEP_1) | instskip(NEXT) | instid1(VALU_DEP_1)
	v_div_fmas_f32 v0, v0, v11, v15
	v_div_fixup_f32 v37, v0, v1, -1.0
                                        ; implicit-def: $vgpr0_vgpr1
	s_delay_alu instid0(VALU_DEP_1) | instskip(NEXT) | instid1(VALU_DEP_1)
	v_mul_f32_e32 v34, v9, v37
	v_xor_b32_e32 v36, 0x80000000, v34
.LBB14_4:
	s_and_not1_saveexec_b32 s0, s0
	s_cbranch_execz .LBB14_6
; %bb.5:
	v_div_scale_f32 v9, null, v0, v0, v1
	v_div_scale_f32 v15, vcc_lo, v1, v0, v1
	s_delay_alu instid0(VALU_DEP_2) | instskip(SKIP_1) | instid1(TRANS32_DEP_1)
	v_rcp_f32_e32 v11, v9
	v_nop
	v_fma_f32 v13, -v9, v11, 1.0
	s_delay_alu instid0(VALU_DEP_1) | instskip(NEXT) | instid1(VALU_DEP_1)
	v_fmac_f32_e32 v11, v13, v11
	v_mul_f32_e32 v13, v15, v11
	s_delay_alu instid0(VALU_DEP_1) | instskip(NEXT) | instid1(VALU_DEP_1)
	v_fma_f32 v17, -v9, v13, v15
	v_fmac_f32_e32 v13, v17, v11
	s_delay_alu instid0(VALU_DEP_1) | instskip(NEXT) | instid1(VALU_DEP_1)
	v_fma_f32 v9, -v9, v13, v15
	v_div_fmas_f32 v9, v9, v11, v13
	s_delay_alu instid0(VALU_DEP_1) | instskip(NEXT) | instid1(VALU_DEP_1)
	v_div_fixup_f32 v9, v9, v0, v1
	v_fmac_f32_e32 v0, v1, v9
	s_delay_alu instid0(VALU_DEP_1) | instskip(SKIP_1) | instid1(VALU_DEP_2)
	v_div_scale_f32 v1, null, v0, v0, 1.0
	v_div_scale_f32 v15, vcc_lo, 1.0, v0, 1.0
	v_rcp_f32_e32 v11, v1
	v_nop
	s_delay_alu instid0(TRANS32_DEP_1) | instskip(NEXT) | instid1(VALU_DEP_1)
	v_fma_f32 v13, -v1, v11, 1.0
	v_fmac_f32_e32 v11, v13, v11
	s_delay_alu instid0(VALU_DEP_1) | instskip(NEXT) | instid1(VALU_DEP_1)
	v_mul_f32_e32 v13, v15, v11
	v_fma_f32 v17, -v1, v13, v15
	s_delay_alu instid0(VALU_DEP_1) | instskip(NEXT) | instid1(VALU_DEP_1)
	v_fmac_f32_e32 v13, v17, v11
	v_fma_f32 v1, -v1, v13, v15
	s_delay_alu instid0(VALU_DEP_1) | instskip(NEXT) | instid1(VALU_DEP_1)
	v_div_fmas_f32 v1, v1, v11, v13
	v_div_fixup_f32 v36, v1, v0, 1.0
	s_delay_alu instid0(VALU_DEP_1)
	v_xor_b32_e32 v34, 0x80000000, v36
	v_mul_f32_e64 v37, v9, -v36
.LBB14_6:
	s_or_b32 exec_lo, exec_lo, s0
	s_delay_alu instid0(VALU_DEP_1)
	v_xor_b32_e32 v35, 0x80000000, v37
	s_mov_b32 s0, 0
	ds_store_b64 v7, v[36:37]
	ds_store_b64 v32, v[34:35]
.LBB14_7:
	s_and_b32 vcc_lo, exec_lo, s0
	s_cbranch_vccz .LBB14_9
; %bb.8:
	s_mov_b64 s[0:1], 0xbf800000
	s_delay_alu instid0(SALU_CYCLE_1)
	v_mov_b64_e32 v[0:1], s[0:1]
	ds_store_b64 v32, v[0:1]
.LBB14_9:
	v_dual_ashrrev_i32 v7, 31, v6 :: v_dual_ashrrev_i32 v9, 31, v8
	v_dual_ashrrev_i32 v11, 31, v10 :: v_dual_ashrrev_i32 v13, 31, v12
	;; [unrolled: 1-line block ×6, first 2 shown]
	v_dual_ashrrev_i32 v31, 31, v30 :: v_dual_add_nc_u32 v35, v33, v32
	v_add_nc_u32_e32 v34, 0x80, v32
	s_cmp_eq_u32 s4, 0x79
	s_cbranch_scc1 .LBB14_13
; %bb.10:
	ds_load_b64 v[0:1], v33 offset:104
	v_cmp_eq_u32_e64 s0, 14, v38
	s_wait_dscnt 0x0
	ds_store_b64 v34, v[0:1]
	s_wait_dscnt 0x0
	s_barrier_signal -1
	s_barrier_wait -1
	s_and_saveexec_b32 s1, s0
	s_cbranch_execz .LBB14_17
; %bb.11:
	s_and_b32 vcc_lo, exec_lo, s5
	s_cbranch_vccz .LBB14_14
; %bb.12:
	ds_load_b64 v[0:1], v35
	ds_load_b64 v[36:37], v34
	s_wait_dscnt 0x0
	v_pk_mul_f32 v[42:43], v[36:37], v[0:1] op_sel:[1,1] op_sel_hi:[0,1]
	v_pk_mul_f32 v[44:45], v[36:37], v[0:1] op_sel_hi:[1,0]
	s_delay_alu instid0(VALU_DEP_2) | instskip(NEXT) | instid1(VALU_DEP_2)
	v_pk_fma_f32 v[0:1], v[36:37], v[0:1], v[42:43] op_sel_hi:[1,0,1]
	v_sub_f32_e32 v0, v44, v42
	s_cbranch_execz .LBB14_15
	s_branch .LBB14_16
.LBB14_13:
	s_mov_b32 s1, 0
                                        ; implicit-def: $vgpr37
                                        ; implicit-def: $vgpr41
	s_cbranch_execnz .LBB14_146
	s_branch .LBB14_281
.LBB14_14:
                                        ; implicit-def: $vgpr1
.LBB14_15:
	ds_load_b64 v[0:1], v34
.LBB14_16:
	s_wait_dscnt 0x0
	v_dual_mov_b32 v36, 0 :: v_dual_mov_b32 v42, v1
	v_mov_b32_e32 v43, v0
	ds_load_b64 v[36:37], v36 offset:104
	s_wait_dscnt 0x0
	v_pk_mul_f32 v[42:43], v[42:43], v[36:37] op_sel:[0,1]
	s_delay_alu instid0(VALU_DEP_1) | instskip(SKIP_1) | instid1(VALU_DEP_2)
	v_pk_fma_f32 v[44:45], v[0:1], v[36:37], v[42:43] op_sel_hi:[1,0,1]
	v_pk_fma_f32 v[0:1], v[0:1], v[36:37], v[42:43] neg_lo:[0,0,1] neg_hi:[0,0,1]
	v_mov_b32_e32 v1, v45
	ds_store_b64 v33, v[0:1] offset:104
.LBB14_17:
	s_or_b32 exec_lo, exec_lo, s1
	ds_load_b64 v[0:1], v33 offset:96
	v_cmp_lt_u32_e64 s1, 12, v38
	s_wait_dscnt 0x0
	ds_store_b64 v34, v[0:1]
	s_wait_dscnt 0x0
	s_barrier_signal -1
	s_barrier_wait -1
	s_and_saveexec_b32 s4, s1
	s_cbranch_execz .LBB14_25
; %bb.18:
	s_and_not1_b32 vcc_lo, exec_lo, s5
	s_cbranch_vccnz .LBB14_20
; %bb.19:
	ds_load_b64 v[0:1], v35
	ds_load_b64 v[36:37], v34
	s_wait_dscnt 0x0
	v_pk_mul_f32 v[42:43], v[36:37], v[0:1] op_sel:[1,1] op_sel_hi:[0,1]
	s_delay_alu instid0(VALU_DEP_1) | instskip(SKIP_1) | instid1(VALU_DEP_2)
	v_pk_fma_f32 v[44:45], v[36:37], v[0:1], v[42:43] op_sel_hi:[1,0,1]
	v_pk_fma_f32 v[0:1], v[36:37], v[0:1], v[42:43] neg_lo:[0,0,1] neg_hi:[0,0,1]
	v_mov_b32_e32 v1, v45
	s_cbranch_execz .LBB14_21
	s_branch .LBB14_22
.LBB14_20:
                                        ; implicit-def: $vgpr0_vgpr1
.LBB14_21:
	ds_load_b64 v[0:1], v34
.LBB14_22:
	s_and_saveexec_b32 s6, s0
	s_cbranch_execz .LBB14_24
; %bb.23:
	v_mov_b32_e32 v41, 0
	ds_load_b64 v[36:37], v33 offset:104
	ds_load_b64 v[42:43], v41 offset:232
	s_wait_dscnt 0x0
	v_pk_mul_f32 v[44:45], v[42:43], v[36:37] op_sel:[1,1] op_sel_hi:[0,1]
	s_delay_alu instid0(VALU_DEP_1) | instskip(SKIP_1) | instid1(VALU_DEP_2)
	v_pk_fma_f32 v[46:47], v[42:43], v[36:37], v[44:45] op_sel_hi:[1,0,1]
	v_pk_fma_f32 v[36:37], v[42:43], v[36:37], v[44:45] neg_lo:[0,0,1] neg_hi:[0,0,1]
	v_mov_b32_e32 v37, v47
	s_delay_alu instid0(VALU_DEP_1)
	v_pk_add_f32 v[0:1], v[0:1], v[36:37]
.LBB14_24:
	s_or_b32 exec_lo, exec_lo, s6
	v_mov_b32_e32 v36, 0
	ds_load_b64 v[36:37], v36 offset:96
	s_wait_dscnt 0x0
	v_pk_mul_f32 v[42:43], v[0:1], v[36:37] op_sel:[1,1] op_sel_hi:[0,1]
	s_delay_alu instid0(VALU_DEP_1) | instskip(SKIP_1) | instid1(VALU_DEP_2)
	v_pk_fma_f32 v[44:45], v[0:1], v[36:37], v[42:43] op_sel_hi:[1,0,1]
	v_pk_fma_f32 v[0:1], v[0:1], v[36:37], v[42:43] neg_lo:[0,0,1] neg_hi:[0,0,1]
	v_mov_b32_e32 v1, v45
	ds_store_b64 v33, v[0:1] offset:96
.LBB14_25:
	s_or_b32 exec_lo, exec_lo, s4
	ds_load_b64 v[0:1], v33 offset:88
	v_cmp_lt_u32_e64 s0, 11, v38
	s_wait_dscnt 0x0
	ds_store_b64 v34, v[0:1]
	s_wait_dscnt 0x0
	s_barrier_signal -1
	s_barrier_wait -1
	s_and_saveexec_b32 s4, s0
	s_cbranch_execz .LBB14_35
; %bb.26:
	s_and_not1_b32 vcc_lo, exec_lo, s5
	s_cbranch_vccnz .LBB14_28
; %bb.27:
	ds_load_b64 v[0:1], v35
	ds_load_b64 v[36:37], v34
	s_wait_dscnt 0x0
	v_pk_mul_f32 v[42:43], v[36:37], v[0:1] op_sel:[1,1] op_sel_hi:[0,1]
	s_delay_alu instid0(VALU_DEP_1) | instskip(SKIP_1) | instid1(VALU_DEP_2)
	v_pk_fma_f32 v[44:45], v[36:37], v[0:1], v[42:43] op_sel_hi:[1,0,1]
	v_pk_fma_f32 v[0:1], v[36:37], v[0:1], v[42:43] neg_lo:[0,0,1] neg_hi:[0,0,1]
	v_mov_b32_e32 v1, v45
	s_cbranch_execz .LBB14_29
	s_branch .LBB14_30
.LBB14_28:
                                        ; implicit-def: $vgpr0_vgpr1
.LBB14_29:
	ds_load_b64 v[0:1], v34
.LBB14_30:
	s_and_saveexec_b32 s6, s1
	s_cbranch_execz .LBB14_34
; %bb.31:
	s_movk_i32 s1, 0x78
	v_add_nc_u32_e32 v37, -12, v38
	v_mad_u32 v36, v40, s1, 0x160
	s_movk_i32 s7, 0xe0
	s_mov_b32 s1, 0
.LBB14_32:                              ; =>This Inner Loop Header: Depth=1
	s_delay_alu instid0(VALU_DEP_2)
	v_dual_mov_b32 v41, s7 :: v_dual_add_nc_u32 v37, -1, v37
	s_add_co_i32 s7, s7, 8
	ds_load_b64 v[42:43], v36
	ds_load_b64 v[44:45], v41
	v_add_nc_u32_e32 v36, 8, v36
	v_cmp_eq_u32_e32 vcc_lo, 0, v37
	s_or_b32 s1, vcc_lo, s1
	s_wait_dscnt 0x0
	v_pk_mul_f32 v[46:47], v[44:45], v[42:43] op_sel:[1,1] op_sel_hi:[0,1]
	s_delay_alu instid0(VALU_DEP_1) | instskip(SKIP_1) | instid1(VALU_DEP_2)
	v_pk_fma_f32 v[48:49], v[44:45], v[42:43], v[46:47] op_sel_hi:[1,0,1]
	v_pk_fma_f32 v[42:43], v[44:45], v[42:43], v[46:47] neg_lo:[0,0,1] neg_hi:[0,0,1]
	v_mov_b32_e32 v43, v49
	s_delay_alu instid0(VALU_DEP_1)
	v_pk_add_f32 v[0:1], v[0:1], v[42:43]
	s_and_not1_b32 exec_lo, exec_lo, s1
	s_cbranch_execnz .LBB14_32
; %bb.33:
	s_or_b32 exec_lo, exec_lo, s1
.LBB14_34:
	s_delay_alu instid0(SALU_CYCLE_1) | instskip(SKIP_4) | instid1(VALU_DEP_1)
	s_or_b32 exec_lo, exec_lo, s6
	v_mov_b32_e32 v36, 0
	ds_load_b64 v[36:37], v36 offset:88
	s_wait_dscnt 0x0
	v_pk_mul_f32 v[42:43], v[0:1], v[36:37] op_sel:[1,1] op_sel_hi:[0,1]
	v_pk_fma_f32 v[44:45], v[0:1], v[36:37], v[42:43] op_sel_hi:[1,0,1]
	v_pk_fma_f32 v[0:1], v[0:1], v[36:37], v[42:43] neg_lo:[0,0,1] neg_hi:[0,0,1]
	s_delay_alu instid0(VALU_DEP_2)
	v_mov_b32_e32 v1, v45
	ds_store_b64 v33, v[0:1] offset:88
.LBB14_35:
	s_or_b32 exec_lo, exec_lo, s4
	ds_load_b64 v[0:1], v33 offset:80
	v_cmp_lt_u32_e64 s1, 10, v38
	s_wait_dscnt 0x0
	ds_store_b64 v34, v[0:1]
	s_wait_dscnt 0x0
	s_barrier_signal -1
	s_barrier_wait -1
	s_and_saveexec_b32 s4, s1
	s_cbranch_execz .LBB14_45
; %bb.36:
	s_and_not1_b32 vcc_lo, exec_lo, s5
	s_cbranch_vccnz .LBB14_38
; %bb.37:
	ds_load_b64 v[0:1], v35
	ds_load_b64 v[36:37], v34
	s_wait_dscnt 0x0
	v_pk_mul_f32 v[42:43], v[36:37], v[0:1] op_sel:[1,1] op_sel_hi:[0,1]
	s_delay_alu instid0(VALU_DEP_1) | instskip(SKIP_1) | instid1(VALU_DEP_2)
	v_pk_fma_f32 v[44:45], v[36:37], v[0:1], v[42:43] op_sel_hi:[1,0,1]
	v_pk_fma_f32 v[0:1], v[36:37], v[0:1], v[42:43] neg_lo:[0,0,1] neg_hi:[0,0,1]
	v_mov_b32_e32 v1, v45
	s_cbranch_execz .LBB14_39
	s_branch .LBB14_40
.LBB14_38:
                                        ; implicit-def: $vgpr0_vgpr1
.LBB14_39:
	ds_load_b64 v[0:1], v34
.LBB14_40:
	s_and_saveexec_b32 s6, s0
	s_cbranch_execz .LBB14_44
; %bb.41:
	s_movk_i32 s0, 0x78
	v_add_nc_u32_e32 v37, -11, v38
	v_mad_u32 v36, v40, s0, 0x158
	s_movk_i32 s7, 0xd8
	s_mov_b32 s0, 0
.LBB14_42:                              ; =>This Inner Loop Header: Depth=1
	s_delay_alu instid0(VALU_DEP_2)
	v_dual_mov_b32 v41, s7 :: v_dual_add_nc_u32 v37, -1, v37
	s_add_co_i32 s7, s7, 8
	ds_load_b64 v[42:43], v36
	ds_load_b64 v[44:45], v41
	v_add_nc_u32_e32 v36, 8, v36
	v_cmp_eq_u32_e32 vcc_lo, 0, v37
	s_or_b32 s0, vcc_lo, s0
	s_wait_dscnt 0x0
	v_pk_mul_f32 v[46:47], v[44:45], v[42:43] op_sel:[1,1] op_sel_hi:[0,1]
	s_delay_alu instid0(VALU_DEP_1) | instskip(SKIP_1) | instid1(VALU_DEP_2)
	v_pk_fma_f32 v[48:49], v[44:45], v[42:43], v[46:47] op_sel_hi:[1,0,1]
	v_pk_fma_f32 v[42:43], v[44:45], v[42:43], v[46:47] neg_lo:[0,0,1] neg_hi:[0,0,1]
	v_mov_b32_e32 v43, v49
	s_delay_alu instid0(VALU_DEP_1)
	v_pk_add_f32 v[0:1], v[0:1], v[42:43]
	s_and_not1_b32 exec_lo, exec_lo, s0
	s_cbranch_execnz .LBB14_42
; %bb.43:
	s_or_b32 exec_lo, exec_lo, s0
.LBB14_44:
	s_delay_alu instid0(SALU_CYCLE_1) | instskip(SKIP_4) | instid1(VALU_DEP_1)
	s_or_b32 exec_lo, exec_lo, s6
	v_mov_b32_e32 v36, 0
	ds_load_b64 v[36:37], v36 offset:80
	s_wait_dscnt 0x0
	v_pk_mul_f32 v[42:43], v[0:1], v[36:37] op_sel:[1,1] op_sel_hi:[0,1]
	v_pk_fma_f32 v[44:45], v[0:1], v[36:37], v[42:43] op_sel_hi:[1,0,1]
	v_pk_fma_f32 v[0:1], v[0:1], v[36:37], v[42:43] neg_lo:[0,0,1] neg_hi:[0,0,1]
	s_delay_alu instid0(VALU_DEP_2)
	v_mov_b32_e32 v1, v45
	ds_store_b64 v33, v[0:1] offset:80
.LBB14_45:
	s_or_b32 exec_lo, exec_lo, s4
	ds_load_b64 v[0:1], v33 offset:72
	v_cmp_lt_u32_e64 s0, 9, v38
	s_wait_dscnt 0x0
	ds_store_b64 v34, v[0:1]
	s_wait_dscnt 0x0
	s_barrier_signal -1
	s_barrier_wait -1
	s_and_saveexec_b32 s4, s0
	s_cbranch_execz .LBB14_55
; %bb.46:
	s_and_not1_b32 vcc_lo, exec_lo, s5
	s_cbranch_vccnz .LBB14_48
; %bb.47:
	ds_load_b64 v[0:1], v35
	ds_load_b64 v[36:37], v34
	s_wait_dscnt 0x0
	v_pk_mul_f32 v[42:43], v[36:37], v[0:1] op_sel:[1,1] op_sel_hi:[0,1]
	s_delay_alu instid0(VALU_DEP_1) | instskip(SKIP_1) | instid1(VALU_DEP_2)
	v_pk_fma_f32 v[44:45], v[36:37], v[0:1], v[42:43] op_sel_hi:[1,0,1]
	v_pk_fma_f32 v[0:1], v[36:37], v[0:1], v[42:43] neg_lo:[0,0,1] neg_hi:[0,0,1]
	v_mov_b32_e32 v1, v45
	s_cbranch_execz .LBB14_49
	s_branch .LBB14_50
.LBB14_48:
                                        ; implicit-def: $vgpr0_vgpr1
.LBB14_49:
	ds_load_b64 v[0:1], v34
.LBB14_50:
	s_and_saveexec_b32 s6, s1
	s_cbranch_execz .LBB14_54
; %bb.51:
	s_movk_i32 s1, 0x78
	v_add_nc_u32_e32 v37, -10, v38
	v_mad_u32 v36, v40, s1, 0x150
	s_movk_i32 s7, 0xd0
	s_mov_b32 s1, 0
.LBB14_52:                              ; =>This Inner Loop Header: Depth=1
	s_delay_alu instid0(VALU_DEP_2)
	v_dual_mov_b32 v41, s7 :: v_dual_add_nc_u32 v37, -1, v37
	s_add_co_i32 s7, s7, 8
	ds_load_b64 v[42:43], v36
	ds_load_b64 v[44:45], v41
	v_add_nc_u32_e32 v36, 8, v36
	v_cmp_eq_u32_e32 vcc_lo, 0, v37
	s_or_b32 s1, vcc_lo, s1
	s_wait_dscnt 0x0
	v_pk_mul_f32 v[46:47], v[44:45], v[42:43] op_sel:[1,1] op_sel_hi:[0,1]
	s_delay_alu instid0(VALU_DEP_1) | instskip(SKIP_1) | instid1(VALU_DEP_2)
	v_pk_fma_f32 v[48:49], v[44:45], v[42:43], v[46:47] op_sel_hi:[1,0,1]
	v_pk_fma_f32 v[42:43], v[44:45], v[42:43], v[46:47] neg_lo:[0,0,1] neg_hi:[0,0,1]
	v_mov_b32_e32 v43, v49
	s_delay_alu instid0(VALU_DEP_1)
	v_pk_add_f32 v[0:1], v[0:1], v[42:43]
	s_and_not1_b32 exec_lo, exec_lo, s1
	s_cbranch_execnz .LBB14_52
; %bb.53:
	s_or_b32 exec_lo, exec_lo, s1
.LBB14_54:
	s_delay_alu instid0(SALU_CYCLE_1) | instskip(SKIP_4) | instid1(VALU_DEP_1)
	s_or_b32 exec_lo, exec_lo, s6
	v_mov_b32_e32 v36, 0
	ds_load_b64 v[36:37], v36 offset:72
	s_wait_dscnt 0x0
	v_pk_mul_f32 v[42:43], v[0:1], v[36:37] op_sel:[1,1] op_sel_hi:[0,1]
	v_pk_fma_f32 v[44:45], v[0:1], v[36:37], v[42:43] op_sel_hi:[1,0,1]
	v_pk_fma_f32 v[0:1], v[0:1], v[36:37], v[42:43] neg_lo:[0,0,1] neg_hi:[0,0,1]
	s_delay_alu instid0(VALU_DEP_2)
	v_mov_b32_e32 v1, v45
	ds_store_b64 v33, v[0:1] offset:72
.LBB14_55:
	s_or_b32 exec_lo, exec_lo, s4
	ds_load_b64 v[0:1], v33 offset:64
	v_cmp_lt_u32_e64 s1, 8, v38
	s_wait_dscnt 0x0
	ds_store_b64 v34, v[0:1]
	s_wait_dscnt 0x0
	s_barrier_signal -1
	s_barrier_wait -1
	s_and_saveexec_b32 s4, s1
	s_cbranch_execz .LBB14_65
; %bb.56:
	s_and_not1_b32 vcc_lo, exec_lo, s5
	s_cbranch_vccnz .LBB14_58
; %bb.57:
	ds_load_b64 v[0:1], v35
	ds_load_b64 v[36:37], v34
	s_wait_dscnt 0x0
	v_pk_mul_f32 v[42:43], v[36:37], v[0:1] op_sel:[1,1] op_sel_hi:[0,1]
	s_delay_alu instid0(VALU_DEP_1) | instskip(SKIP_1) | instid1(VALU_DEP_2)
	v_pk_fma_f32 v[44:45], v[36:37], v[0:1], v[42:43] op_sel_hi:[1,0,1]
	v_pk_fma_f32 v[0:1], v[36:37], v[0:1], v[42:43] neg_lo:[0,0,1] neg_hi:[0,0,1]
	v_mov_b32_e32 v1, v45
	s_cbranch_execz .LBB14_59
	s_branch .LBB14_60
.LBB14_58:
                                        ; implicit-def: $vgpr0_vgpr1
.LBB14_59:
	ds_load_b64 v[0:1], v34
.LBB14_60:
	s_and_saveexec_b32 s6, s0
	s_cbranch_execz .LBB14_64
; %bb.61:
	s_movk_i32 s0, 0x78
	v_add_nc_u32_e32 v37, -9, v38
	v_mad_u32 v36, v40, s0, 0x148
	s_movk_i32 s7, 0xc8
	s_mov_b32 s0, 0
.LBB14_62:                              ; =>This Inner Loop Header: Depth=1
	s_delay_alu instid0(VALU_DEP_2)
	v_dual_mov_b32 v41, s7 :: v_dual_add_nc_u32 v37, -1, v37
	s_add_co_i32 s7, s7, 8
	ds_load_b64 v[42:43], v36
	ds_load_b64 v[44:45], v41
	v_add_nc_u32_e32 v36, 8, v36
	v_cmp_eq_u32_e32 vcc_lo, 0, v37
	s_or_b32 s0, vcc_lo, s0
	s_wait_dscnt 0x0
	v_pk_mul_f32 v[46:47], v[44:45], v[42:43] op_sel:[1,1] op_sel_hi:[0,1]
	s_delay_alu instid0(VALU_DEP_1) | instskip(SKIP_1) | instid1(VALU_DEP_2)
	v_pk_fma_f32 v[48:49], v[44:45], v[42:43], v[46:47] op_sel_hi:[1,0,1]
	v_pk_fma_f32 v[42:43], v[44:45], v[42:43], v[46:47] neg_lo:[0,0,1] neg_hi:[0,0,1]
	v_mov_b32_e32 v43, v49
	s_delay_alu instid0(VALU_DEP_1)
	v_pk_add_f32 v[0:1], v[0:1], v[42:43]
	s_and_not1_b32 exec_lo, exec_lo, s0
	s_cbranch_execnz .LBB14_62
; %bb.63:
	s_or_b32 exec_lo, exec_lo, s0
.LBB14_64:
	s_delay_alu instid0(SALU_CYCLE_1) | instskip(SKIP_4) | instid1(VALU_DEP_1)
	s_or_b32 exec_lo, exec_lo, s6
	v_mov_b32_e32 v36, 0
	ds_load_b64 v[36:37], v36 offset:64
	s_wait_dscnt 0x0
	v_pk_mul_f32 v[42:43], v[0:1], v[36:37] op_sel:[1,1] op_sel_hi:[0,1]
	v_pk_fma_f32 v[44:45], v[0:1], v[36:37], v[42:43] op_sel_hi:[1,0,1]
	v_pk_fma_f32 v[0:1], v[0:1], v[36:37], v[42:43] neg_lo:[0,0,1] neg_hi:[0,0,1]
	s_delay_alu instid0(VALU_DEP_2)
	v_mov_b32_e32 v1, v45
	ds_store_b64 v33, v[0:1] offset:64
.LBB14_65:
	s_or_b32 exec_lo, exec_lo, s4
	ds_load_b64 v[0:1], v33 offset:56
	v_cmp_lt_u32_e64 s0, 7, v38
	s_wait_dscnt 0x0
	ds_store_b64 v34, v[0:1]
	s_wait_dscnt 0x0
	s_barrier_signal -1
	s_barrier_wait -1
	s_and_saveexec_b32 s4, s0
	s_cbranch_execz .LBB14_75
; %bb.66:
	s_and_not1_b32 vcc_lo, exec_lo, s5
	s_cbranch_vccnz .LBB14_68
; %bb.67:
	ds_load_b64 v[0:1], v35
	ds_load_b64 v[36:37], v34
	s_wait_dscnt 0x0
	v_pk_mul_f32 v[42:43], v[36:37], v[0:1] op_sel:[1,1] op_sel_hi:[0,1]
	s_delay_alu instid0(VALU_DEP_1) | instskip(SKIP_1) | instid1(VALU_DEP_2)
	v_pk_fma_f32 v[44:45], v[36:37], v[0:1], v[42:43] op_sel_hi:[1,0,1]
	v_pk_fma_f32 v[0:1], v[36:37], v[0:1], v[42:43] neg_lo:[0,0,1] neg_hi:[0,0,1]
	v_mov_b32_e32 v1, v45
	s_cbranch_execz .LBB14_69
	s_branch .LBB14_70
.LBB14_68:
                                        ; implicit-def: $vgpr0_vgpr1
.LBB14_69:
	ds_load_b64 v[0:1], v34
.LBB14_70:
	s_and_saveexec_b32 s6, s1
	s_cbranch_execz .LBB14_74
; %bb.71:
	s_movk_i32 s1, 0x78
	v_add_nc_u32_e32 v37, -8, v38
	v_mad_u32 v36, v40, s1, 0x140
	s_movk_i32 s7, 0xc0
	s_mov_b32 s1, 0
.LBB14_72:                              ; =>This Inner Loop Header: Depth=1
	s_delay_alu instid0(VALU_DEP_2)
	v_dual_mov_b32 v41, s7 :: v_dual_add_nc_u32 v37, -1, v37
	s_add_co_i32 s7, s7, 8
	ds_load_b64 v[42:43], v36
	ds_load_b64 v[44:45], v41
	v_add_nc_u32_e32 v36, 8, v36
	v_cmp_eq_u32_e32 vcc_lo, 0, v37
	s_or_b32 s1, vcc_lo, s1
	s_wait_dscnt 0x0
	v_pk_mul_f32 v[46:47], v[44:45], v[42:43] op_sel:[1,1] op_sel_hi:[0,1]
	s_delay_alu instid0(VALU_DEP_1) | instskip(SKIP_1) | instid1(VALU_DEP_2)
	v_pk_fma_f32 v[48:49], v[44:45], v[42:43], v[46:47] op_sel_hi:[1,0,1]
	v_pk_fma_f32 v[42:43], v[44:45], v[42:43], v[46:47] neg_lo:[0,0,1] neg_hi:[0,0,1]
	v_mov_b32_e32 v43, v49
	s_delay_alu instid0(VALU_DEP_1)
	v_pk_add_f32 v[0:1], v[0:1], v[42:43]
	s_and_not1_b32 exec_lo, exec_lo, s1
	s_cbranch_execnz .LBB14_72
; %bb.73:
	s_or_b32 exec_lo, exec_lo, s1
.LBB14_74:
	s_delay_alu instid0(SALU_CYCLE_1) | instskip(SKIP_4) | instid1(VALU_DEP_1)
	s_or_b32 exec_lo, exec_lo, s6
	v_mov_b32_e32 v36, 0
	ds_load_b64 v[36:37], v36 offset:56
	s_wait_dscnt 0x0
	v_pk_mul_f32 v[42:43], v[0:1], v[36:37] op_sel:[1,1] op_sel_hi:[0,1]
	v_pk_fma_f32 v[44:45], v[0:1], v[36:37], v[42:43] op_sel_hi:[1,0,1]
	v_pk_fma_f32 v[0:1], v[0:1], v[36:37], v[42:43] neg_lo:[0,0,1] neg_hi:[0,0,1]
	s_delay_alu instid0(VALU_DEP_2)
	v_mov_b32_e32 v1, v45
	ds_store_b64 v33, v[0:1] offset:56
.LBB14_75:
	s_or_b32 exec_lo, exec_lo, s4
	ds_load_b64 v[0:1], v33 offset:48
	v_cmp_lt_u32_e64 s1, 6, v38
	s_wait_dscnt 0x0
	ds_store_b64 v34, v[0:1]
	s_wait_dscnt 0x0
	s_barrier_signal -1
	s_barrier_wait -1
	s_and_saveexec_b32 s4, s1
	s_cbranch_execz .LBB14_85
; %bb.76:
	s_and_not1_b32 vcc_lo, exec_lo, s5
	s_cbranch_vccnz .LBB14_78
; %bb.77:
	ds_load_b64 v[0:1], v35
	ds_load_b64 v[36:37], v34
	s_wait_dscnt 0x0
	v_pk_mul_f32 v[42:43], v[36:37], v[0:1] op_sel:[1,1] op_sel_hi:[0,1]
	s_delay_alu instid0(VALU_DEP_1) | instskip(SKIP_1) | instid1(VALU_DEP_2)
	v_pk_fma_f32 v[44:45], v[36:37], v[0:1], v[42:43] op_sel_hi:[1,0,1]
	v_pk_fma_f32 v[0:1], v[36:37], v[0:1], v[42:43] neg_lo:[0,0,1] neg_hi:[0,0,1]
	v_mov_b32_e32 v1, v45
	s_cbranch_execz .LBB14_79
	s_branch .LBB14_80
.LBB14_78:
                                        ; implicit-def: $vgpr0_vgpr1
.LBB14_79:
	ds_load_b64 v[0:1], v34
.LBB14_80:
	s_and_saveexec_b32 s6, s0
	s_cbranch_execz .LBB14_84
; %bb.81:
	s_movk_i32 s0, 0x78
	v_add_nc_u32_e32 v37, -7, v38
	v_mad_u32 v36, v40, s0, 0x138
	s_movk_i32 s7, 0xb8
	s_mov_b32 s0, 0
.LBB14_82:                              ; =>This Inner Loop Header: Depth=1
	s_delay_alu instid0(VALU_DEP_2)
	v_dual_mov_b32 v41, s7 :: v_dual_add_nc_u32 v37, -1, v37
	s_add_co_i32 s7, s7, 8
	ds_load_b64 v[42:43], v36
	ds_load_b64 v[44:45], v41
	v_add_nc_u32_e32 v36, 8, v36
	v_cmp_eq_u32_e32 vcc_lo, 0, v37
	s_or_b32 s0, vcc_lo, s0
	s_wait_dscnt 0x0
	v_pk_mul_f32 v[46:47], v[44:45], v[42:43] op_sel:[1,1] op_sel_hi:[0,1]
	s_delay_alu instid0(VALU_DEP_1) | instskip(SKIP_1) | instid1(VALU_DEP_2)
	v_pk_fma_f32 v[48:49], v[44:45], v[42:43], v[46:47] op_sel_hi:[1,0,1]
	v_pk_fma_f32 v[42:43], v[44:45], v[42:43], v[46:47] neg_lo:[0,0,1] neg_hi:[0,0,1]
	v_mov_b32_e32 v43, v49
	s_delay_alu instid0(VALU_DEP_1)
	v_pk_add_f32 v[0:1], v[0:1], v[42:43]
	s_and_not1_b32 exec_lo, exec_lo, s0
	s_cbranch_execnz .LBB14_82
; %bb.83:
	s_or_b32 exec_lo, exec_lo, s0
.LBB14_84:
	s_delay_alu instid0(SALU_CYCLE_1) | instskip(SKIP_4) | instid1(VALU_DEP_1)
	s_or_b32 exec_lo, exec_lo, s6
	v_mov_b32_e32 v36, 0
	ds_load_b64 v[36:37], v36 offset:48
	s_wait_dscnt 0x0
	v_pk_mul_f32 v[42:43], v[0:1], v[36:37] op_sel:[1,1] op_sel_hi:[0,1]
	v_pk_fma_f32 v[44:45], v[0:1], v[36:37], v[42:43] op_sel_hi:[1,0,1]
	v_pk_fma_f32 v[0:1], v[0:1], v[36:37], v[42:43] neg_lo:[0,0,1] neg_hi:[0,0,1]
	s_delay_alu instid0(VALU_DEP_2)
	v_mov_b32_e32 v1, v45
	ds_store_b64 v33, v[0:1] offset:48
.LBB14_85:
	s_or_b32 exec_lo, exec_lo, s4
	ds_load_b64 v[0:1], v33 offset:40
	v_cmp_lt_u32_e64 s0, 5, v38
	s_wait_dscnt 0x0
	ds_store_b64 v34, v[0:1]
	s_wait_dscnt 0x0
	s_barrier_signal -1
	s_barrier_wait -1
	s_and_saveexec_b32 s4, s0
	s_cbranch_execz .LBB14_95
; %bb.86:
	s_and_not1_b32 vcc_lo, exec_lo, s5
	s_cbranch_vccnz .LBB14_88
; %bb.87:
	ds_load_b64 v[0:1], v35
	ds_load_b64 v[36:37], v34
	s_wait_dscnt 0x0
	v_pk_mul_f32 v[42:43], v[36:37], v[0:1] op_sel:[1,1] op_sel_hi:[0,1]
	s_delay_alu instid0(VALU_DEP_1) | instskip(SKIP_1) | instid1(VALU_DEP_2)
	v_pk_fma_f32 v[44:45], v[36:37], v[0:1], v[42:43] op_sel_hi:[1,0,1]
	v_pk_fma_f32 v[0:1], v[36:37], v[0:1], v[42:43] neg_lo:[0,0,1] neg_hi:[0,0,1]
	v_mov_b32_e32 v1, v45
	s_cbranch_execz .LBB14_89
	s_branch .LBB14_90
.LBB14_88:
                                        ; implicit-def: $vgpr0_vgpr1
.LBB14_89:
	ds_load_b64 v[0:1], v34
.LBB14_90:
	s_and_saveexec_b32 s6, s1
	s_cbranch_execz .LBB14_94
; %bb.91:
	s_movk_i32 s1, 0x78
	v_add_nc_u32_e32 v37, -6, v38
	v_mad_u32 v36, v40, s1, 0x130
	s_movk_i32 s7, 0xb0
	s_mov_b32 s1, 0
.LBB14_92:                              ; =>This Inner Loop Header: Depth=1
	s_delay_alu instid0(VALU_DEP_2)
	v_dual_mov_b32 v41, s7 :: v_dual_add_nc_u32 v37, -1, v37
	s_add_co_i32 s7, s7, 8
	ds_load_b64 v[42:43], v36
	ds_load_b64 v[44:45], v41
	v_add_nc_u32_e32 v36, 8, v36
	v_cmp_eq_u32_e32 vcc_lo, 0, v37
	s_or_b32 s1, vcc_lo, s1
	s_wait_dscnt 0x0
	v_pk_mul_f32 v[46:47], v[44:45], v[42:43] op_sel:[1,1] op_sel_hi:[0,1]
	s_delay_alu instid0(VALU_DEP_1) | instskip(SKIP_1) | instid1(VALU_DEP_2)
	v_pk_fma_f32 v[48:49], v[44:45], v[42:43], v[46:47] op_sel_hi:[1,0,1]
	v_pk_fma_f32 v[42:43], v[44:45], v[42:43], v[46:47] neg_lo:[0,0,1] neg_hi:[0,0,1]
	v_mov_b32_e32 v43, v49
	s_delay_alu instid0(VALU_DEP_1)
	v_pk_add_f32 v[0:1], v[0:1], v[42:43]
	s_and_not1_b32 exec_lo, exec_lo, s1
	s_cbranch_execnz .LBB14_92
; %bb.93:
	s_or_b32 exec_lo, exec_lo, s1
.LBB14_94:
	s_delay_alu instid0(SALU_CYCLE_1) | instskip(SKIP_4) | instid1(VALU_DEP_1)
	s_or_b32 exec_lo, exec_lo, s6
	v_mov_b32_e32 v36, 0
	ds_load_b64 v[36:37], v36 offset:40
	s_wait_dscnt 0x0
	v_pk_mul_f32 v[42:43], v[0:1], v[36:37] op_sel:[1,1] op_sel_hi:[0,1]
	v_pk_fma_f32 v[44:45], v[0:1], v[36:37], v[42:43] op_sel_hi:[1,0,1]
	v_pk_fma_f32 v[0:1], v[0:1], v[36:37], v[42:43] neg_lo:[0,0,1] neg_hi:[0,0,1]
	s_delay_alu instid0(VALU_DEP_2)
	v_mov_b32_e32 v1, v45
	ds_store_b64 v33, v[0:1] offset:40
.LBB14_95:
	s_or_b32 exec_lo, exec_lo, s4
	ds_load_b64 v[0:1], v33 offset:32
	v_cmp_lt_u32_e64 s1, 4, v38
	s_wait_dscnt 0x0
	ds_store_b64 v34, v[0:1]
	s_wait_dscnt 0x0
	s_barrier_signal -1
	s_barrier_wait -1
	s_and_saveexec_b32 s4, s1
	s_cbranch_execz .LBB14_105
; %bb.96:
	s_and_not1_b32 vcc_lo, exec_lo, s5
	s_cbranch_vccnz .LBB14_98
; %bb.97:
	ds_load_b64 v[0:1], v35
	ds_load_b64 v[36:37], v34
	s_wait_dscnt 0x0
	v_pk_mul_f32 v[42:43], v[36:37], v[0:1] op_sel:[1,1] op_sel_hi:[0,1]
	s_delay_alu instid0(VALU_DEP_1) | instskip(SKIP_1) | instid1(VALU_DEP_2)
	v_pk_fma_f32 v[44:45], v[36:37], v[0:1], v[42:43] op_sel_hi:[1,0,1]
	v_pk_fma_f32 v[0:1], v[36:37], v[0:1], v[42:43] neg_lo:[0,0,1] neg_hi:[0,0,1]
	v_mov_b32_e32 v1, v45
	s_cbranch_execz .LBB14_99
	s_branch .LBB14_100
.LBB14_98:
                                        ; implicit-def: $vgpr0_vgpr1
.LBB14_99:
	ds_load_b64 v[0:1], v34
.LBB14_100:
	s_and_saveexec_b32 s6, s0
	s_cbranch_execz .LBB14_104
; %bb.101:
	s_movk_i32 s0, 0x78
	v_add_nc_u32_e32 v37, -5, v38
	v_mad_u32 v36, v40, s0, 0x128
	s_movk_i32 s7, 0xa8
	s_mov_b32 s0, 0
.LBB14_102:                             ; =>This Inner Loop Header: Depth=1
	s_delay_alu instid0(VALU_DEP_2)
	v_dual_mov_b32 v41, s7 :: v_dual_add_nc_u32 v37, -1, v37
	s_add_co_i32 s7, s7, 8
	ds_load_b64 v[42:43], v36
	ds_load_b64 v[44:45], v41
	v_add_nc_u32_e32 v36, 8, v36
	v_cmp_eq_u32_e32 vcc_lo, 0, v37
	s_or_b32 s0, vcc_lo, s0
	s_wait_dscnt 0x0
	v_pk_mul_f32 v[46:47], v[44:45], v[42:43] op_sel:[1,1] op_sel_hi:[0,1]
	s_delay_alu instid0(VALU_DEP_1) | instskip(SKIP_1) | instid1(VALU_DEP_2)
	v_pk_fma_f32 v[48:49], v[44:45], v[42:43], v[46:47] op_sel_hi:[1,0,1]
	v_pk_fma_f32 v[42:43], v[44:45], v[42:43], v[46:47] neg_lo:[0,0,1] neg_hi:[0,0,1]
	v_mov_b32_e32 v43, v49
	s_delay_alu instid0(VALU_DEP_1)
	v_pk_add_f32 v[0:1], v[0:1], v[42:43]
	s_and_not1_b32 exec_lo, exec_lo, s0
	s_cbranch_execnz .LBB14_102
; %bb.103:
	s_or_b32 exec_lo, exec_lo, s0
.LBB14_104:
	s_delay_alu instid0(SALU_CYCLE_1) | instskip(SKIP_4) | instid1(VALU_DEP_1)
	s_or_b32 exec_lo, exec_lo, s6
	v_mov_b32_e32 v36, 0
	ds_load_b64 v[36:37], v36 offset:32
	s_wait_dscnt 0x0
	v_pk_mul_f32 v[42:43], v[0:1], v[36:37] op_sel:[1,1] op_sel_hi:[0,1]
	v_pk_fma_f32 v[44:45], v[0:1], v[36:37], v[42:43] op_sel_hi:[1,0,1]
	v_pk_fma_f32 v[0:1], v[0:1], v[36:37], v[42:43] neg_lo:[0,0,1] neg_hi:[0,0,1]
	s_delay_alu instid0(VALU_DEP_2)
	v_mov_b32_e32 v1, v45
	ds_store_b64 v33, v[0:1] offset:32
.LBB14_105:
	s_or_b32 exec_lo, exec_lo, s4
	ds_load_b64 v[0:1], v33 offset:24
	v_cmp_lt_u32_e64 s0, 3, v38
	s_wait_dscnt 0x0
	ds_store_b64 v34, v[0:1]
	s_wait_dscnt 0x0
	s_barrier_signal -1
	s_barrier_wait -1
	s_and_saveexec_b32 s4, s0
	s_cbranch_execz .LBB14_115
; %bb.106:
	s_and_not1_b32 vcc_lo, exec_lo, s5
	s_cbranch_vccnz .LBB14_108
; %bb.107:
	ds_load_b64 v[0:1], v35
	ds_load_b64 v[36:37], v34
	s_wait_dscnt 0x0
	v_pk_mul_f32 v[42:43], v[36:37], v[0:1] op_sel:[1,1] op_sel_hi:[0,1]
	s_delay_alu instid0(VALU_DEP_1) | instskip(SKIP_1) | instid1(VALU_DEP_2)
	v_pk_fma_f32 v[44:45], v[36:37], v[0:1], v[42:43] op_sel_hi:[1,0,1]
	v_pk_fma_f32 v[0:1], v[36:37], v[0:1], v[42:43] neg_lo:[0,0,1] neg_hi:[0,0,1]
	v_mov_b32_e32 v1, v45
	s_cbranch_execz .LBB14_109
	s_branch .LBB14_110
.LBB14_108:
                                        ; implicit-def: $vgpr0_vgpr1
.LBB14_109:
	ds_load_b64 v[0:1], v34
.LBB14_110:
	s_and_saveexec_b32 s6, s1
	s_cbranch_execz .LBB14_114
; %bb.111:
	s_movk_i32 s1, 0x78
	v_add_nc_u32_e32 v37, -4, v38
	v_mad_u32 v36, v40, s1, 0x120
	s_movk_i32 s7, 0xa0
	s_mov_b32 s1, 0
.LBB14_112:                             ; =>This Inner Loop Header: Depth=1
	s_delay_alu instid0(VALU_DEP_2)
	v_dual_mov_b32 v41, s7 :: v_dual_add_nc_u32 v37, -1, v37
	s_add_co_i32 s7, s7, 8
	ds_load_b64 v[42:43], v36
	ds_load_b64 v[44:45], v41
	v_add_nc_u32_e32 v36, 8, v36
	v_cmp_eq_u32_e32 vcc_lo, 0, v37
	s_or_b32 s1, vcc_lo, s1
	s_wait_dscnt 0x0
	v_pk_mul_f32 v[46:47], v[44:45], v[42:43] op_sel:[1,1] op_sel_hi:[0,1]
	s_delay_alu instid0(VALU_DEP_1) | instskip(SKIP_1) | instid1(VALU_DEP_2)
	v_pk_fma_f32 v[48:49], v[44:45], v[42:43], v[46:47] op_sel_hi:[1,0,1]
	v_pk_fma_f32 v[42:43], v[44:45], v[42:43], v[46:47] neg_lo:[0,0,1] neg_hi:[0,0,1]
	v_mov_b32_e32 v43, v49
	s_delay_alu instid0(VALU_DEP_1)
	v_pk_add_f32 v[0:1], v[0:1], v[42:43]
	s_and_not1_b32 exec_lo, exec_lo, s1
	s_cbranch_execnz .LBB14_112
; %bb.113:
	s_or_b32 exec_lo, exec_lo, s1
.LBB14_114:
	s_delay_alu instid0(SALU_CYCLE_1) | instskip(SKIP_4) | instid1(VALU_DEP_1)
	s_or_b32 exec_lo, exec_lo, s6
	v_mov_b32_e32 v36, 0
	ds_load_b64 v[36:37], v36 offset:24
	s_wait_dscnt 0x0
	v_pk_mul_f32 v[42:43], v[0:1], v[36:37] op_sel:[1,1] op_sel_hi:[0,1]
	v_pk_fma_f32 v[44:45], v[0:1], v[36:37], v[42:43] op_sel_hi:[1,0,1]
	v_pk_fma_f32 v[0:1], v[0:1], v[36:37], v[42:43] neg_lo:[0,0,1] neg_hi:[0,0,1]
	s_delay_alu instid0(VALU_DEP_2)
	v_mov_b32_e32 v1, v45
	ds_store_b64 v33, v[0:1] offset:24
.LBB14_115:
	s_or_b32 exec_lo, exec_lo, s4
	ds_load_b64 v[0:1], v33 offset:16
	v_cmp_lt_u32_e64 s1, 2, v38
	s_wait_dscnt 0x0
	ds_store_b64 v34, v[0:1]
	s_wait_dscnt 0x0
	s_barrier_signal -1
	s_barrier_wait -1
	s_and_saveexec_b32 s4, s1
	s_cbranch_execz .LBB14_125
; %bb.116:
	s_and_not1_b32 vcc_lo, exec_lo, s5
	s_cbranch_vccnz .LBB14_118
; %bb.117:
	ds_load_b64 v[0:1], v35
	ds_load_b64 v[36:37], v34
	s_wait_dscnt 0x0
	v_pk_mul_f32 v[42:43], v[36:37], v[0:1] op_sel:[1,1] op_sel_hi:[0,1]
	s_delay_alu instid0(VALU_DEP_1) | instskip(SKIP_1) | instid1(VALU_DEP_2)
	v_pk_fma_f32 v[44:45], v[36:37], v[0:1], v[42:43] op_sel_hi:[1,0,1]
	v_pk_fma_f32 v[0:1], v[36:37], v[0:1], v[42:43] neg_lo:[0,0,1] neg_hi:[0,0,1]
	v_mov_b32_e32 v1, v45
	s_cbranch_execz .LBB14_119
	s_branch .LBB14_120
.LBB14_118:
                                        ; implicit-def: $vgpr0_vgpr1
.LBB14_119:
	ds_load_b64 v[0:1], v34
.LBB14_120:
	s_and_saveexec_b32 s6, s0
	s_cbranch_execz .LBB14_124
; %bb.121:
	s_movk_i32 s0, 0x78
	v_add_nc_u32_e32 v37, -3, v38
	v_mad_u32 v36, v40, s0, 0x118
	s_movk_i32 s7, 0x98
	s_mov_b32 s0, 0
.LBB14_122:                             ; =>This Inner Loop Header: Depth=1
	s_delay_alu instid0(VALU_DEP_2)
	v_dual_mov_b32 v41, s7 :: v_dual_add_nc_u32 v37, -1, v37
	s_add_co_i32 s7, s7, 8
	ds_load_b64 v[42:43], v36
	ds_load_b64 v[44:45], v41
	v_add_nc_u32_e32 v36, 8, v36
	v_cmp_eq_u32_e32 vcc_lo, 0, v37
	s_or_b32 s0, vcc_lo, s0
	s_wait_dscnt 0x0
	v_pk_mul_f32 v[46:47], v[44:45], v[42:43] op_sel:[1,1] op_sel_hi:[0,1]
	s_delay_alu instid0(VALU_DEP_1) | instskip(SKIP_1) | instid1(VALU_DEP_2)
	v_pk_fma_f32 v[48:49], v[44:45], v[42:43], v[46:47] op_sel_hi:[1,0,1]
	v_pk_fma_f32 v[42:43], v[44:45], v[42:43], v[46:47] neg_lo:[0,0,1] neg_hi:[0,0,1]
	v_mov_b32_e32 v43, v49
	s_delay_alu instid0(VALU_DEP_1)
	v_pk_add_f32 v[0:1], v[0:1], v[42:43]
	s_and_not1_b32 exec_lo, exec_lo, s0
	s_cbranch_execnz .LBB14_122
; %bb.123:
	s_or_b32 exec_lo, exec_lo, s0
.LBB14_124:
	s_delay_alu instid0(SALU_CYCLE_1) | instskip(SKIP_4) | instid1(VALU_DEP_1)
	s_or_b32 exec_lo, exec_lo, s6
	v_mov_b32_e32 v36, 0
	ds_load_b64 v[36:37], v36 offset:16
	s_wait_dscnt 0x0
	v_pk_mul_f32 v[42:43], v[0:1], v[36:37] op_sel:[1,1] op_sel_hi:[0,1]
	v_pk_fma_f32 v[44:45], v[0:1], v[36:37], v[42:43] op_sel_hi:[1,0,1]
	v_pk_fma_f32 v[0:1], v[0:1], v[36:37], v[42:43] neg_lo:[0,0,1] neg_hi:[0,0,1]
	s_delay_alu instid0(VALU_DEP_2)
	v_mov_b32_e32 v1, v45
	ds_store_b64 v33, v[0:1] offset:16
.LBB14_125:
	s_or_b32 exec_lo, exec_lo, s4
	ds_load_b64 v[0:1], v33 offset:8
	v_cmp_lt_u32_e64 s0, 1, v38
	s_wait_dscnt 0x0
	ds_store_b64 v34, v[0:1]
	s_wait_dscnt 0x0
	s_barrier_signal -1
	s_barrier_wait -1
	s_and_saveexec_b32 s4, s0
	s_cbranch_execz .LBB14_135
; %bb.126:
	s_and_not1_b32 vcc_lo, exec_lo, s5
	s_cbranch_vccnz .LBB14_128
; %bb.127:
	ds_load_b64 v[0:1], v35
	ds_load_b64 v[36:37], v34
	s_wait_dscnt 0x0
	v_pk_mul_f32 v[42:43], v[36:37], v[0:1] op_sel:[1,1] op_sel_hi:[0,1]
	s_delay_alu instid0(VALU_DEP_1) | instskip(SKIP_1) | instid1(VALU_DEP_2)
	v_pk_fma_f32 v[44:45], v[36:37], v[0:1], v[42:43] op_sel_hi:[1,0,1]
	v_pk_fma_f32 v[0:1], v[36:37], v[0:1], v[42:43] neg_lo:[0,0,1] neg_hi:[0,0,1]
	v_mov_b32_e32 v1, v45
	s_cbranch_execz .LBB14_129
	s_branch .LBB14_130
.LBB14_128:
                                        ; implicit-def: $vgpr0_vgpr1
.LBB14_129:
	ds_load_b64 v[0:1], v34
.LBB14_130:
	s_and_saveexec_b32 s6, s1
	s_cbranch_execz .LBB14_134
; %bb.131:
	s_movk_i32 s1, 0x78
	v_add_nc_u32_e32 v37, -2, v38
	v_mad_u32 v36, v40, s1, 0x110
	s_movk_i32 s7, 0x90
	s_mov_b32 s1, 0
.LBB14_132:                             ; =>This Inner Loop Header: Depth=1
	s_delay_alu instid0(VALU_DEP_2)
	v_dual_mov_b32 v41, s7 :: v_dual_add_nc_u32 v37, -1, v37
	s_add_co_i32 s7, s7, 8
	ds_load_b64 v[42:43], v36
	ds_load_b64 v[44:45], v41
	v_add_nc_u32_e32 v36, 8, v36
	v_cmp_eq_u32_e32 vcc_lo, 0, v37
	s_or_b32 s1, vcc_lo, s1
	s_wait_dscnt 0x0
	v_pk_mul_f32 v[46:47], v[44:45], v[42:43] op_sel:[1,1] op_sel_hi:[0,1]
	s_delay_alu instid0(VALU_DEP_1) | instskip(SKIP_1) | instid1(VALU_DEP_2)
	v_pk_fma_f32 v[48:49], v[44:45], v[42:43], v[46:47] op_sel_hi:[1,0,1]
	v_pk_fma_f32 v[42:43], v[44:45], v[42:43], v[46:47] neg_lo:[0,0,1] neg_hi:[0,0,1]
	v_mov_b32_e32 v43, v49
	s_delay_alu instid0(VALU_DEP_1)
	v_pk_add_f32 v[0:1], v[0:1], v[42:43]
	s_and_not1_b32 exec_lo, exec_lo, s1
	s_cbranch_execnz .LBB14_132
; %bb.133:
	s_or_b32 exec_lo, exec_lo, s1
.LBB14_134:
	s_delay_alu instid0(SALU_CYCLE_1) | instskip(SKIP_4) | instid1(VALU_DEP_1)
	s_or_b32 exec_lo, exec_lo, s6
	v_mov_b32_e32 v36, 0
	ds_load_b64 v[36:37], v36 offset:8
	s_wait_dscnt 0x0
	v_pk_mul_f32 v[42:43], v[0:1], v[36:37] op_sel:[1,1] op_sel_hi:[0,1]
	v_pk_fma_f32 v[44:45], v[0:1], v[36:37], v[42:43] op_sel_hi:[1,0,1]
	v_pk_fma_f32 v[0:1], v[0:1], v[36:37], v[42:43] neg_lo:[0,0,1] neg_hi:[0,0,1]
	s_delay_alu instid0(VALU_DEP_2)
	v_mov_b32_e32 v1, v45
	ds_store_b64 v33, v[0:1] offset:8
.LBB14_135:
	s_or_b32 exec_lo, exec_lo, s4
	ds_load_b64 v[0:1], v33
	s_mov_b32 s4, 0
	s_mov_b32 s1, 0
	s_mov_b32 s6, exec_lo
                                        ; implicit-def: $vgpr37
                                        ; implicit-def: $vgpr41
	s_wait_dscnt 0x0
	ds_store_b64 v34, v[0:1]
	s_wait_dscnt 0x0
	s_barrier_signal -1
	s_barrier_wait -1
	v_cmpx_ne_u32_e32 0, v38
	s_cbranch_execz .LBB14_145
; %bb.136:
	s_and_not1_b32 vcc_lo, exec_lo, s5
	s_cbranch_vccnz .LBB14_138
; %bb.137:
	ds_load_b64 v[36:37], v35
	ds_load_b64 v[42:43], v34
	s_wait_dscnt 0x0
	v_dual_mul_f32 v0, v43, v37 :: v_dual_mul_f32 v1, v42, v37
	s_delay_alu instid0(VALU_DEP_1)
	v_dual_fma_f32 v0, v42, v36, -v0 :: v_dual_fmac_f32 v1, v43, v36
	s_and_not1_b32 vcc_lo, exec_lo, s1
	s_cbranch_vccz .LBB14_139
	s_branch .LBB14_140
.LBB14_138:
                                        ; implicit-def: $vgpr0
.LBB14_139:
	ds_load_b64 v[0:1], v34
.LBB14_140:
	s_and_saveexec_b32 s1, s0
	s_cbranch_execz .LBB14_144
; %bb.141:
	s_movk_i32 s0, 0x78
	v_add_nc_u32_e32 v37, -1, v38
	v_mad_u32 v36, v40, s0, 0x108
	s_movk_i32 s7, 0x88
	s_mov_b32 s0, 0
.LBB14_142:                             ; =>This Inner Loop Header: Depth=1
	v_mov_b32_e32 v42, s7
	s_add_co_i32 s7, s7, 8
	ds_load_b64 v[40:41], v36
	ds_load_b64 v[42:43], v42
	s_wait_dscnt 0x0
	v_dual_mul_f32 v44, v43, v41 :: v_dual_mul_f32 v41, v42, v41
	s_delay_alu instid0(VALU_DEP_1) | instskip(NEXT) | instid1(VALU_DEP_2)
	v_dual_fma_f32 v42, v42, v40, -v44 :: v_dual_add_nc_u32 v37, -1, v37
	v_fmac_f32_e32 v41, v43, v40
	s_delay_alu instid0(VALU_DEP_2) | instskip(NEXT) | instid1(VALU_DEP_3)
	v_dual_add_nc_u32 v36, 8, v36 :: v_dual_add_f32 v0, v0, v42
	v_cmp_eq_u32_e32 vcc_lo, 0, v37
	s_delay_alu instid0(VALU_DEP_3) | instskip(SKIP_1) | instid1(SALU_CYCLE_1)
	v_add_f32_e32 v1, v1, v41
	s_or_b32 s0, vcc_lo, s0
	s_and_not1_b32 exec_lo, exec_lo, s0
	s_cbranch_execnz .LBB14_142
; %bb.143:
	s_or_b32 exec_lo, exec_lo, s0
.LBB14_144:
	s_delay_alu instid0(SALU_CYCLE_1)
	s_or_b32 exec_lo, exec_lo, s1
	v_mov_b32_e32 v36, 0
	s_mov_b32 s1, exec_lo
	ds_load_b64 v[36:37], v36
	s_wait_dscnt 0x0
	v_dual_mul_f32 v40, v1, v37 :: v_dual_mul_f32 v37, v0, v37
	s_delay_alu instid0(VALU_DEP_1) | instskip(NEXT) | instid1(VALU_DEP_2)
	v_dual_fma_f32 v0, v0, v36, -v40 :: v_dual_add_nc_u32 v41, 4, v33
	v_fmac_f32_e32 v37, v1, v36
	ds_store_b32 v33, v0
.LBB14_145:
	s_or_b32 exec_lo, exec_lo, s6
	s_delay_alu instid0(SALU_CYCLE_1)
	s_and_b32 vcc_lo, exec_lo, s4
	s_cbranch_vccz .LBB14_281
.LBB14_146:
	ds_load_b64 v[0:1], v33 offset:8
	v_cmp_eq_u32_e64 s0, 0, v38
	s_wait_dscnt 0x0
	ds_store_b64 v34, v[0:1]
	s_wait_dscnt 0x0
	s_barrier_signal -1
	s_barrier_wait -1
	s_and_saveexec_b32 s4, s0
	s_cbranch_execz .LBB14_152
; %bb.147:
	s_and_b32 vcc_lo, exec_lo, s5
	s_cbranch_vccz .LBB14_149
; %bb.148:
	ds_load_b64 v[0:1], v35
	ds_load_b64 v[36:37], v34
	s_wait_dscnt 0x0
	v_pk_mul_f32 v[40:41], v[36:37], v[0:1] op_sel:[1,1] op_sel_hi:[0,1]
	v_pk_mul_f32 v[42:43], v[36:37], v[0:1] op_sel_hi:[1,0]
	s_delay_alu instid0(VALU_DEP_2) | instskip(NEXT) | instid1(VALU_DEP_2)
	v_pk_fma_f32 v[0:1], v[36:37], v[0:1], v[40:41] op_sel_hi:[1,0,1]
	v_sub_f32_e32 v0, v42, v40
	s_cbranch_execz .LBB14_150
	s_branch .LBB14_151
.LBB14_149:
                                        ; implicit-def: $vgpr1
.LBB14_150:
	ds_load_b64 v[0:1], v34
.LBB14_151:
	s_wait_dscnt 0x0
	v_dual_mov_b32 v36, 0 :: v_dual_mov_b32 v40, v1
	v_mov_b32_e32 v41, v0
	ds_load_b64 v[36:37], v36 offset:8
	s_wait_dscnt 0x0
	v_pk_mul_f32 v[40:41], v[40:41], v[36:37] op_sel:[0,1]
	s_delay_alu instid0(VALU_DEP_1) | instskip(SKIP_1) | instid1(VALU_DEP_2)
	v_pk_fma_f32 v[42:43], v[0:1], v[36:37], v[40:41] op_sel_hi:[1,0,1]
	v_pk_fma_f32 v[0:1], v[0:1], v[36:37], v[40:41] neg_lo:[0,0,1] neg_hi:[0,0,1]
	v_mov_b32_e32 v1, v43
	ds_store_b64 v33, v[0:1] offset:8
.LBB14_152:
	s_or_b32 exec_lo, exec_lo, s4
	ds_load_b64 v[0:1], v33 offset:16
	v_cndmask_b32_e64 v36, 0, 1, s5
	s_mov_b32 s4, exec_lo
	s_wait_dscnt 0x0
	ds_store_b64 v34, v[0:1]
	s_wait_dscnt 0x0
	s_barrier_signal -1
	s_barrier_wait -1
	v_cmpx_gt_u32_e32 2, v38
	s_cbranch_execz .LBB14_160
; %bb.153:
	s_and_not1_b32 vcc_lo, exec_lo, s5
	s_cbranch_vccnz .LBB14_155
; %bb.154:
	ds_load_b64 v[0:1], v35
	ds_load_b64 v[40:41], v34
	s_wait_dscnt 0x0
	v_pk_mul_f32 v[42:43], v[40:41], v[0:1] op_sel:[1,1] op_sel_hi:[0,1]
	s_delay_alu instid0(VALU_DEP_1) | instskip(SKIP_1) | instid1(VALU_DEP_2)
	v_pk_fma_f32 v[44:45], v[40:41], v[0:1], v[42:43] op_sel_hi:[1,0,1]
	v_pk_fma_f32 v[0:1], v[40:41], v[0:1], v[42:43] neg_lo:[0,0,1] neg_hi:[0,0,1]
	v_mov_b32_e32 v1, v45
	s_cbranch_execz .LBB14_156
	s_branch .LBB14_157
.LBB14_155:
                                        ; implicit-def: $vgpr0_vgpr1
.LBB14_156:
	ds_load_b64 v[0:1], v34
.LBB14_157:
	s_and_saveexec_b32 s5, s0
	s_cbranch_execz .LBB14_159
; %bb.158:
	v_mov_b32_e32 v37, 0
	ds_load_b64 v[40:41], v33 offset:8
	ds_load_b64 v[42:43], v37 offset:136
	s_wait_dscnt 0x0
	v_pk_mul_f32 v[44:45], v[42:43], v[40:41] op_sel:[1,1] op_sel_hi:[0,1]
	s_delay_alu instid0(VALU_DEP_1) | instskip(SKIP_1) | instid1(VALU_DEP_2)
	v_pk_fma_f32 v[46:47], v[42:43], v[40:41], v[44:45] op_sel_hi:[1,0,1]
	v_pk_fma_f32 v[40:41], v[42:43], v[40:41], v[44:45] neg_lo:[0,0,1] neg_hi:[0,0,1]
	v_mov_b32_e32 v41, v47
	s_delay_alu instid0(VALU_DEP_1)
	v_pk_add_f32 v[0:1], v[0:1], v[40:41]
.LBB14_159:
	s_or_b32 exec_lo, exec_lo, s5
	v_mov_b32_e32 v37, 0
	ds_load_b64 v[40:41], v37 offset:16
	s_wait_dscnt 0x0
	v_pk_mul_f32 v[42:43], v[0:1], v[40:41] op_sel:[1,1] op_sel_hi:[0,1]
	s_delay_alu instid0(VALU_DEP_1) | instskip(SKIP_1) | instid1(VALU_DEP_2)
	v_pk_fma_f32 v[44:45], v[0:1], v[40:41], v[42:43] op_sel_hi:[1,0,1]
	v_pk_fma_f32 v[0:1], v[0:1], v[40:41], v[42:43] neg_lo:[0,0,1] neg_hi:[0,0,1]
	v_mov_b32_e32 v1, v45
	ds_store_b64 v33, v[0:1] offset:16
.LBB14_160:
	s_or_b32 exec_lo, exec_lo, s4
	ds_load_b64 v[0:1], v33 offset:24
	s_mov_b32 s4, exec_lo
	s_wait_dscnt 0x0
	ds_store_b64 v34, v[0:1]
	s_wait_dscnt 0x0
	s_barrier_signal -1
	s_barrier_wait -1
	v_cmpx_gt_u32_e32 3, v38
	s_cbranch_execz .LBB14_170
; %bb.161:
	v_cmp_ne_u32_e32 vcc_lo, 1, v36
	s_cbranch_vccnz .LBB14_163
; %bb.162:
	ds_load_b64 v[0:1], v35
	ds_load_b64 v[40:41], v34
	s_wait_dscnt 0x0
	v_pk_mul_f32 v[42:43], v[40:41], v[0:1] op_sel:[1,1] op_sel_hi:[0,1]
	s_delay_alu instid0(VALU_DEP_1) | instskip(SKIP_1) | instid1(VALU_DEP_2)
	v_pk_fma_f32 v[44:45], v[40:41], v[0:1], v[42:43] op_sel_hi:[1,0,1]
	v_pk_fma_f32 v[0:1], v[40:41], v[0:1], v[42:43] neg_lo:[0,0,1] neg_hi:[0,0,1]
	v_mov_b32_e32 v1, v45
	s_cbranch_execz .LBB14_164
	s_branch .LBB14_165
.LBB14_163:
                                        ; implicit-def: $vgpr0_vgpr1
.LBB14_164:
	ds_load_b64 v[0:1], v34
.LBB14_165:
	s_mov_b32 s5, exec_lo
	v_cmpx_ne_u32_e32 2, v38
	s_cbranch_execz .LBB14_169
; %bb.166:
	ds_load_b64 v[40:41], v35 offset:8
	ds_load_b64 v[42:43], v34 offset:8
	s_wait_dscnt 0x0
	v_pk_mul_f32 v[44:45], v[42:43], v[40:41] op_sel:[1,1] op_sel_hi:[0,1]
	s_delay_alu instid0(VALU_DEP_1) | instskip(SKIP_1) | instid1(VALU_DEP_2)
	v_pk_fma_f32 v[46:47], v[42:43], v[40:41], v[44:45] op_sel_hi:[1,0,1]
	v_pk_fma_f32 v[40:41], v[42:43], v[40:41], v[44:45] neg_lo:[0,0,1] neg_hi:[0,0,1]
	v_mov_b32_e32 v41, v47
	s_delay_alu instid0(VALU_DEP_1)
	v_pk_add_f32 v[0:1], v[0:1], v[40:41]
	s_and_saveexec_b32 s6, s0
	s_cbranch_execz .LBB14_168
; %bb.167:
	v_mov_b32_e32 v37, 0
	ds_load_b64 v[40:41], v37 offset:144
	ds_load_b64 v[42:43], v33 offset:16
	s_wait_dscnt 0x0
	v_pk_mul_f32 v[44:45], v[40:41], v[42:43] op_sel:[1,1] op_sel_hi:[0,1]
	s_delay_alu instid0(VALU_DEP_1) | instskip(SKIP_1) | instid1(VALU_DEP_2)
	v_pk_fma_f32 v[46:47], v[40:41], v[42:43], v[44:45] op_sel_hi:[1,0,1]
	v_pk_fma_f32 v[40:41], v[40:41], v[42:43], v[44:45] neg_lo:[0,0,1] neg_hi:[0,0,1]
	v_mov_b32_e32 v41, v47
	s_delay_alu instid0(VALU_DEP_1)
	v_pk_add_f32 v[0:1], v[0:1], v[40:41]
.LBB14_168:
	s_or_b32 exec_lo, exec_lo, s6
.LBB14_169:
	s_delay_alu instid0(SALU_CYCLE_1) | instskip(SKIP_4) | instid1(VALU_DEP_1)
	s_or_b32 exec_lo, exec_lo, s5
	v_mov_b32_e32 v37, 0
	ds_load_b64 v[40:41], v37 offset:24
	s_wait_dscnt 0x0
	v_pk_mul_f32 v[42:43], v[0:1], v[40:41] op_sel:[1,1] op_sel_hi:[0,1]
	v_pk_fma_f32 v[44:45], v[0:1], v[40:41], v[42:43] op_sel_hi:[1,0,1]
	v_pk_fma_f32 v[0:1], v[0:1], v[40:41], v[42:43] neg_lo:[0,0,1] neg_hi:[0,0,1]
	s_delay_alu instid0(VALU_DEP_2)
	v_mov_b32_e32 v1, v45
	ds_store_b64 v33, v[0:1] offset:24
.LBB14_170:
	s_or_b32 exec_lo, exec_lo, s4
	ds_load_b64 v[0:1], v33 offset:32
	s_mov_b32 s0, exec_lo
	s_wait_dscnt 0x0
	ds_store_b64 v34, v[0:1]
	s_wait_dscnt 0x0
	s_barrier_signal -1
	s_barrier_wait -1
	v_cmpx_gt_u32_e32 4, v38
	s_cbranch_execz .LBB14_180
; %bb.171:
	v_cmp_ne_u32_e32 vcc_lo, 1, v36
	s_cbranch_vccnz .LBB14_173
; %bb.172:
	ds_load_b64 v[0:1], v35
	ds_load_b64 v[40:41], v34
	s_wait_dscnt 0x0
	v_pk_mul_f32 v[42:43], v[40:41], v[0:1] op_sel:[1,1] op_sel_hi:[0,1]
	s_delay_alu instid0(VALU_DEP_1) | instskip(SKIP_1) | instid1(VALU_DEP_2)
	v_pk_fma_f32 v[44:45], v[40:41], v[0:1], v[42:43] op_sel_hi:[1,0,1]
	v_pk_fma_f32 v[0:1], v[40:41], v[0:1], v[42:43] neg_lo:[0,0,1] neg_hi:[0,0,1]
	v_mov_b32_e32 v1, v45
	s_cbranch_execz .LBB14_174
	s_branch .LBB14_175
.LBB14_173:
                                        ; implicit-def: $vgpr0_vgpr1
.LBB14_174:
	ds_load_b64 v[0:1], v34
.LBB14_175:
	s_mov_b32 s4, exec_lo
	v_cmpx_ne_u32_e32 3, v38
	s_cbranch_execz .LBB14_179
; %bb.176:
	v_add_nc_u32_e32 v37, 0x88, v32
	v_add3_u32 v40, v39, v32, 0x108
	v_mov_b32_e32 v41, v38
	s_mov_b32 s5, 0
.LBB14_177:                             ; =>This Inner Loop Header: Depth=1
	ds_load_b64 v[42:43], v40
	ds_load_b64 v[44:45], v37
	v_dual_add_nc_u32 v37, 8, v37 :: v_dual_add_nc_u32 v40, 8, v40
	s_wait_dscnt 0x0
	v_pk_mul_f32 v[46:47], v[44:45], v[42:43] op_sel:[1,1] op_sel_hi:[0,1]
	s_delay_alu instid0(VALU_DEP_1) | instskip(SKIP_2) | instid1(VALU_DEP_3)
	v_pk_fma_f32 v[48:49], v[44:45], v[42:43], v[46:47] op_sel_hi:[1,0,1]
	v_add_nc_u32_e32 v41, 1, v41
	v_pk_fma_f32 v[42:43], v[44:45], v[42:43], v[46:47] neg_lo:[0,0,1] neg_hi:[0,0,1]
	v_mov_b32_e32 v43, v49
	s_delay_alu instid0(VALU_DEP_3) | instskip(NEXT) | instid1(VALU_DEP_2)
	v_cmp_lt_u32_e32 vcc_lo, 2, v41
	v_pk_add_f32 v[0:1], v[0:1], v[42:43]
	s_or_b32 s5, vcc_lo, s5
	s_delay_alu instid0(SALU_CYCLE_1)
	s_and_not1_b32 exec_lo, exec_lo, s5
	s_cbranch_execnz .LBB14_177
; %bb.178:
	s_or_b32 exec_lo, exec_lo, s5
.LBB14_179:
	s_delay_alu instid0(SALU_CYCLE_1) | instskip(SKIP_4) | instid1(VALU_DEP_1)
	s_or_b32 exec_lo, exec_lo, s4
	v_mov_b32_e32 v37, 0
	ds_load_b64 v[40:41], v37 offset:32
	s_wait_dscnt 0x0
	v_pk_mul_f32 v[42:43], v[0:1], v[40:41] op_sel:[1,1] op_sel_hi:[0,1]
	v_pk_fma_f32 v[44:45], v[0:1], v[40:41], v[42:43] op_sel_hi:[1,0,1]
	v_pk_fma_f32 v[0:1], v[0:1], v[40:41], v[42:43] neg_lo:[0,0,1] neg_hi:[0,0,1]
	s_delay_alu instid0(VALU_DEP_2)
	v_mov_b32_e32 v1, v45
	ds_store_b64 v33, v[0:1] offset:32
.LBB14_180:
	s_or_b32 exec_lo, exec_lo, s0
	ds_load_b64 v[0:1], v33 offset:40
	s_mov_b32 s0, exec_lo
	s_wait_dscnt 0x0
	ds_store_b64 v34, v[0:1]
	s_wait_dscnt 0x0
	s_barrier_signal -1
	s_barrier_wait -1
	v_cmpx_gt_u32_e32 5, v38
	s_cbranch_execz .LBB14_190
; %bb.181:
	v_cmp_ne_u32_e32 vcc_lo, 1, v36
	s_cbranch_vccnz .LBB14_183
; %bb.182:
	ds_load_b64 v[0:1], v35
	ds_load_b64 v[40:41], v34
	s_wait_dscnt 0x0
	v_pk_mul_f32 v[42:43], v[40:41], v[0:1] op_sel:[1,1] op_sel_hi:[0,1]
	s_delay_alu instid0(VALU_DEP_1) | instskip(SKIP_1) | instid1(VALU_DEP_2)
	v_pk_fma_f32 v[44:45], v[40:41], v[0:1], v[42:43] op_sel_hi:[1,0,1]
	v_pk_fma_f32 v[0:1], v[40:41], v[0:1], v[42:43] neg_lo:[0,0,1] neg_hi:[0,0,1]
	v_mov_b32_e32 v1, v45
	s_cbranch_execz .LBB14_184
	s_branch .LBB14_185
.LBB14_183:
                                        ; implicit-def: $vgpr0_vgpr1
.LBB14_184:
	ds_load_b64 v[0:1], v34
.LBB14_185:
	s_mov_b32 s4, exec_lo
	v_cmpx_ne_u32_e32 4, v38
	s_cbranch_execz .LBB14_189
; %bb.186:
	v_add_nc_u32_e32 v37, 0x88, v32
	v_add3_u32 v40, v39, v32, 0x108
	v_mov_b32_e32 v41, v38
	s_mov_b32 s5, 0
.LBB14_187:                             ; =>This Inner Loop Header: Depth=1
	ds_load_b64 v[42:43], v40
	ds_load_b64 v[44:45], v37
	v_dual_add_nc_u32 v37, 8, v37 :: v_dual_add_nc_u32 v40, 8, v40
	s_wait_dscnt 0x0
	v_pk_mul_f32 v[46:47], v[44:45], v[42:43] op_sel:[1,1] op_sel_hi:[0,1]
	s_delay_alu instid0(VALU_DEP_1) | instskip(SKIP_2) | instid1(VALU_DEP_3)
	v_pk_fma_f32 v[48:49], v[44:45], v[42:43], v[46:47] op_sel_hi:[1,0,1]
	v_add_nc_u32_e32 v41, 1, v41
	v_pk_fma_f32 v[42:43], v[44:45], v[42:43], v[46:47] neg_lo:[0,0,1] neg_hi:[0,0,1]
	v_mov_b32_e32 v43, v49
	s_delay_alu instid0(VALU_DEP_3) | instskip(NEXT) | instid1(VALU_DEP_2)
	v_cmp_lt_u32_e32 vcc_lo, 3, v41
	v_pk_add_f32 v[0:1], v[0:1], v[42:43]
	s_or_b32 s5, vcc_lo, s5
	s_delay_alu instid0(SALU_CYCLE_1)
	s_and_not1_b32 exec_lo, exec_lo, s5
	s_cbranch_execnz .LBB14_187
; %bb.188:
	s_or_b32 exec_lo, exec_lo, s5
.LBB14_189:
	s_delay_alu instid0(SALU_CYCLE_1) | instskip(SKIP_4) | instid1(VALU_DEP_1)
	s_or_b32 exec_lo, exec_lo, s4
	v_mov_b32_e32 v37, 0
	ds_load_b64 v[40:41], v37 offset:40
	s_wait_dscnt 0x0
	v_pk_mul_f32 v[42:43], v[0:1], v[40:41] op_sel:[1,1] op_sel_hi:[0,1]
	v_pk_fma_f32 v[44:45], v[0:1], v[40:41], v[42:43] op_sel_hi:[1,0,1]
	v_pk_fma_f32 v[0:1], v[0:1], v[40:41], v[42:43] neg_lo:[0,0,1] neg_hi:[0,0,1]
	s_delay_alu instid0(VALU_DEP_2)
	v_mov_b32_e32 v1, v45
	ds_store_b64 v33, v[0:1] offset:40
.LBB14_190:
	s_or_b32 exec_lo, exec_lo, s0
	ds_load_b64 v[0:1], v33 offset:48
	s_mov_b32 s0, exec_lo
	s_wait_dscnt 0x0
	ds_store_b64 v34, v[0:1]
	s_wait_dscnt 0x0
	s_barrier_signal -1
	s_barrier_wait -1
	v_cmpx_gt_u32_e32 6, v38
	s_cbranch_execz .LBB14_200
; %bb.191:
	v_cmp_ne_u32_e32 vcc_lo, 1, v36
	s_cbranch_vccnz .LBB14_193
; %bb.192:
	ds_load_b64 v[0:1], v35
	ds_load_b64 v[40:41], v34
	s_wait_dscnt 0x0
	v_pk_mul_f32 v[42:43], v[40:41], v[0:1] op_sel:[1,1] op_sel_hi:[0,1]
	s_delay_alu instid0(VALU_DEP_1) | instskip(SKIP_1) | instid1(VALU_DEP_2)
	v_pk_fma_f32 v[44:45], v[40:41], v[0:1], v[42:43] op_sel_hi:[1,0,1]
	v_pk_fma_f32 v[0:1], v[40:41], v[0:1], v[42:43] neg_lo:[0,0,1] neg_hi:[0,0,1]
	v_mov_b32_e32 v1, v45
	s_cbranch_execz .LBB14_194
	s_branch .LBB14_195
.LBB14_193:
                                        ; implicit-def: $vgpr0_vgpr1
.LBB14_194:
	ds_load_b64 v[0:1], v34
.LBB14_195:
	s_mov_b32 s4, exec_lo
	v_cmpx_ne_u32_e32 5, v38
	s_cbranch_execz .LBB14_199
; %bb.196:
	v_add_nc_u32_e32 v37, 0x88, v32
	v_add3_u32 v40, v39, v32, 0x108
	v_mov_b32_e32 v41, v38
	s_mov_b32 s5, 0
.LBB14_197:                             ; =>This Inner Loop Header: Depth=1
	ds_load_b64 v[42:43], v40
	ds_load_b64 v[44:45], v37
	v_dual_add_nc_u32 v37, 8, v37 :: v_dual_add_nc_u32 v40, 8, v40
	s_wait_dscnt 0x0
	v_pk_mul_f32 v[46:47], v[44:45], v[42:43] op_sel:[1,1] op_sel_hi:[0,1]
	s_delay_alu instid0(VALU_DEP_1) | instskip(SKIP_2) | instid1(VALU_DEP_3)
	v_pk_fma_f32 v[48:49], v[44:45], v[42:43], v[46:47] op_sel_hi:[1,0,1]
	v_add_nc_u32_e32 v41, 1, v41
	v_pk_fma_f32 v[42:43], v[44:45], v[42:43], v[46:47] neg_lo:[0,0,1] neg_hi:[0,0,1]
	v_mov_b32_e32 v43, v49
	s_delay_alu instid0(VALU_DEP_3) | instskip(NEXT) | instid1(VALU_DEP_2)
	v_cmp_lt_u32_e32 vcc_lo, 4, v41
	v_pk_add_f32 v[0:1], v[0:1], v[42:43]
	s_or_b32 s5, vcc_lo, s5
	s_delay_alu instid0(SALU_CYCLE_1)
	s_and_not1_b32 exec_lo, exec_lo, s5
	s_cbranch_execnz .LBB14_197
; %bb.198:
	s_or_b32 exec_lo, exec_lo, s5
.LBB14_199:
	s_delay_alu instid0(SALU_CYCLE_1) | instskip(SKIP_4) | instid1(VALU_DEP_1)
	s_or_b32 exec_lo, exec_lo, s4
	v_mov_b32_e32 v37, 0
	ds_load_b64 v[40:41], v37 offset:48
	s_wait_dscnt 0x0
	v_pk_mul_f32 v[42:43], v[0:1], v[40:41] op_sel:[1,1] op_sel_hi:[0,1]
	v_pk_fma_f32 v[44:45], v[0:1], v[40:41], v[42:43] op_sel_hi:[1,0,1]
	v_pk_fma_f32 v[0:1], v[0:1], v[40:41], v[42:43] neg_lo:[0,0,1] neg_hi:[0,0,1]
	s_delay_alu instid0(VALU_DEP_2)
	v_mov_b32_e32 v1, v45
	ds_store_b64 v33, v[0:1] offset:48
.LBB14_200:
	s_or_b32 exec_lo, exec_lo, s0
	ds_load_b64 v[0:1], v33 offset:56
	s_mov_b32 s0, exec_lo
	s_wait_dscnt 0x0
	ds_store_b64 v34, v[0:1]
	s_wait_dscnt 0x0
	s_barrier_signal -1
	s_barrier_wait -1
	v_cmpx_gt_u32_e32 7, v38
	s_cbranch_execz .LBB14_210
; %bb.201:
	v_cmp_ne_u32_e32 vcc_lo, 1, v36
	s_cbranch_vccnz .LBB14_203
; %bb.202:
	ds_load_b64 v[0:1], v35
	ds_load_b64 v[40:41], v34
	s_wait_dscnt 0x0
	v_pk_mul_f32 v[42:43], v[40:41], v[0:1] op_sel:[1,1] op_sel_hi:[0,1]
	s_delay_alu instid0(VALU_DEP_1) | instskip(SKIP_1) | instid1(VALU_DEP_2)
	v_pk_fma_f32 v[44:45], v[40:41], v[0:1], v[42:43] op_sel_hi:[1,0,1]
	v_pk_fma_f32 v[0:1], v[40:41], v[0:1], v[42:43] neg_lo:[0,0,1] neg_hi:[0,0,1]
	v_mov_b32_e32 v1, v45
	s_cbranch_execz .LBB14_204
	s_branch .LBB14_205
.LBB14_203:
                                        ; implicit-def: $vgpr0_vgpr1
.LBB14_204:
	ds_load_b64 v[0:1], v34
.LBB14_205:
	s_mov_b32 s4, exec_lo
	v_cmpx_ne_u32_e32 6, v38
	s_cbranch_execz .LBB14_209
; %bb.206:
	v_add_nc_u32_e32 v37, 0x88, v32
	v_add3_u32 v40, v39, v32, 0x108
	v_mov_b32_e32 v41, v38
	s_mov_b32 s5, 0
.LBB14_207:                             ; =>This Inner Loop Header: Depth=1
	ds_load_b64 v[42:43], v40
	ds_load_b64 v[44:45], v37
	v_dual_add_nc_u32 v37, 8, v37 :: v_dual_add_nc_u32 v40, 8, v40
	s_wait_dscnt 0x0
	v_pk_mul_f32 v[46:47], v[44:45], v[42:43] op_sel:[1,1] op_sel_hi:[0,1]
	s_delay_alu instid0(VALU_DEP_1) | instskip(SKIP_2) | instid1(VALU_DEP_3)
	v_pk_fma_f32 v[48:49], v[44:45], v[42:43], v[46:47] op_sel_hi:[1,0,1]
	v_add_nc_u32_e32 v41, 1, v41
	v_pk_fma_f32 v[42:43], v[44:45], v[42:43], v[46:47] neg_lo:[0,0,1] neg_hi:[0,0,1]
	v_mov_b32_e32 v43, v49
	s_delay_alu instid0(VALU_DEP_3) | instskip(NEXT) | instid1(VALU_DEP_2)
	v_cmp_lt_u32_e32 vcc_lo, 5, v41
	v_pk_add_f32 v[0:1], v[0:1], v[42:43]
	s_or_b32 s5, vcc_lo, s5
	s_delay_alu instid0(SALU_CYCLE_1)
	s_and_not1_b32 exec_lo, exec_lo, s5
	s_cbranch_execnz .LBB14_207
; %bb.208:
	s_or_b32 exec_lo, exec_lo, s5
.LBB14_209:
	s_delay_alu instid0(SALU_CYCLE_1) | instskip(SKIP_4) | instid1(VALU_DEP_1)
	s_or_b32 exec_lo, exec_lo, s4
	v_mov_b32_e32 v37, 0
	ds_load_b64 v[40:41], v37 offset:56
	s_wait_dscnt 0x0
	v_pk_mul_f32 v[42:43], v[0:1], v[40:41] op_sel:[1,1] op_sel_hi:[0,1]
	v_pk_fma_f32 v[44:45], v[0:1], v[40:41], v[42:43] op_sel_hi:[1,0,1]
	v_pk_fma_f32 v[0:1], v[0:1], v[40:41], v[42:43] neg_lo:[0,0,1] neg_hi:[0,0,1]
	s_delay_alu instid0(VALU_DEP_2)
	v_mov_b32_e32 v1, v45
	ds_store_b64 v33, v[0:1] offset:56
.LBB14_210:
	s_or_b32 exec_lo, exec_lo, s0
	ds_load_b64 v[0:1], v33 offset:64
	s_mov_b32 s0, exec_lo
	s_wait_dscnt 0x0
	ds_store_b64 v34, v[0:1]
	s_wait_dscnt 0x0
	s_barrier_signal -1
	s_barrier_wait -1
	v_cmpx_gt_u32_e32 8, v38
	s_cbranch_execz .LBB14_220
; %bb.211:
	v_cmp_ne_u32_e32 vcc_lo, 1, v36
	s_cbranch_vccnz .LBB14_213
; %bb.212:
	ds_load_b64 v[0:1], v35
	ds_load_b64 v[40:41], v34
	s_wait_dscnt 0x0
	v_pk_mul_f32 v[42:43], v[40:41], v[0:1] op_sel:[1,1] op_sel_hi:[0,1]
	s_delay_alu instid0(VALU_DEP_1) | instskip(SKIP_1) | instid1(VALU_DEP_2)
	v_pk_fma_f32 v[44:45], v[40:41], v[0:1], v[42:43] op_sel_hi:[1,0,1]
	v_pk_fma_f32 v[0:1], v[40:41], v[0:1], v[42:43] neg_lo:[0,0,1] neg_hi:[0,0,1]
	v_mov_b32_e32 v1, v45
	s_cbranch_execz .LBB14_214
	s_branch .LBB14_215
.LBB14_213:
                                        ; implicit-def: $vgpr0_vgpr1
.LBB14_214:
	ds_load_b64 v[0:1], v34
.LBB14_215:
	s_mov_b32 s4, exec_lo
	v_cmpx_ne_u32_e32 7, v38
	s_cbranch_execz .LBB14_219
; %bb.216:
	v_add_nc_u32_e32 v37, 0x88, v32
	v_add3_u32 v40, v39, v32, 0x108
	v_mov_b32_e32 v41, v38
	s_mov_b32 s5, 0
.LBB14_217:                             ; =>This Inner Loop Header: Depth=1
	ds_load_b64 v[42:43], v40
	ds_load_b64 v[44:45], v37
	v_dual_add_nc_u32 v37, 8, v37 :: v_dual_add_nc_u32 v40, 8, v40
	s_wait_dscnt 0x0
	v_pk_mul_f32 v[46:47], v[44:45], v[42:43] op_sel:[1,1] op_sel_hi:[0,1]
	s_delay_alu instid0(VALU_DEP_1) | instskip(SKIP_2) | instid1(VALU_DEP_3)
	v_pk_fma_f32 v[48:49], v[44:45], v[42:43], v[46:47] op_sel_hi:[1,0,1]
	v_add_nc_u32_e32 v41, 1, v41
	v_pk_fma_f32 v[42:43], v[44:45], v[42:43], v[46:47] neg_lo:[0,0,1] neg_hi:[0,0,1]
	v_mov_b32_e32 v43, v49
	s_delay_alu instid0(VALU_DEP_3) | instskip(NEXT) | instid1(VALU_DEP_2)
	v_cmp_lt_u32_e32 vcc_lo, 6, v41
	v_pk_add_f32 v[0:1], v[0:1], v[42:43]
	s_or_b32 s5, vcc_lo, s5
	s_delay_alu instid0(SALU_CYCLE_1)
	s_and_not1_b32 exec_lo, exec_lo, s5
	s_cbranch_execnz .LBB14_217
; %bb.218:
	s_or_b32 exec_lo, exec_lo, s5
.LBB14_219:
	s_delay_alu instid0(SALU_CYCLE_1) | instskip(SKIP_4) | instid1(VALU_DEP_1)
	s_or_b32 exec_lo, exec_lo, s4
	v_mov_b32_e32 v37, 0
	ds_load_b64 v[40:41], v37 offset:64
	s_wait_dscnt 0x0
	v_pk_mul_f32 v[42:43], v[0:1], v[40:41] op_sel:[1,1] op_sel_hi:[0,1]
	v_pk_fma_f32 v[44:45], v[0:1], v[40:41], v[42:43] op_sel_hi:[1,0,1]
	v_pk_fma_f32 v[0:1], v[0:1], v[40:41], v[42:43] neg_lo:[0,0,1] neg_hi:[0,0,1]
	s_delay_alu instid0(VALU_DEP_2)
	v_mov_b32_e32 v1, v45
	ds_store_b64 v33, v[0:1] offset:64
.LBB14_220:
	s_or_b32 exec_lo, exec_lo, s0
	ds_load_b64 v[0:1], v33 offset:72
	s_mov_b32 s0, exec_lo
	s_wait_dscnt 0x0
	ds_store_b64 v34, v[0:1]
	s_wait_dscnt 0x0
	s_barrier_signal -1
	s_barrier_wait -1
	v_cmpx_gt_u32_e32 9, v38
	s_cbranch_execz .LBB14_230
; %bb.221:
	v_cmp_ne_u32_e32 vcc_lo, 1, v36
	s_cbranch_vccnz .LBB14_223
; %bb.222:
	ds_load_b64 v[0:1], v35
	ds_load_b64 v[40:41], v34
	s_wait_dscnt 0x0
	v_pk_mul_f32 v[42:43], v[40:41], v[0:1] op_sel:[1,1] op_sel_hi:[0,1]
	s_delay_alu instid0(VALU_DEP_1) | instskip(SKIP_1) | instid1(VALU_DEP_2)
	v_pk_fma_f32 v[44:45], v[40:41], v[0:1], v[42:43] op_sel_hi:[1,0,1]
	v_pk_fma_f32 v[0:1], v[40:41], v[0:1], v[42:43] neg_lo:[0,0,1] neg_hi:[0,0,1]
	v_mov_b32_e32 v1, v45
	s_cbranch_execz .LBB14_224
	s_branch .LBB14_225
.LBB14_223:
                                        ; implicit-def: $vgpr0_vgpr1
.LBB14_224:
	ds_load_b64 v[0:1], v34
.LBB14_225:
	s_mov_b32 s4, exec_lo
	v_cmpx_ne_u32_e32 8, v38
	s_cbranch_execz .LBB14_229
; %bb.226:
	v_add_nc_u32_e32 v37, 0x88, v32
	v_add3_u32 v40, v39, v32, 0x108
	v_mov_b32_e32 v41, v38
	s_mov_b32 s5, 0
.LBB14_227:                             ; =>This Inner Loop Header: Depth=1
	ds_load_b64 v[42:43], v40
	ds_load_b64 v[44:45], v37
	v_dual_add_nc_u32 v37, 8, v37 :: v_dual_add_nc_u32 v40, 8, v40
	s_wait_dscnt 0x0
	v_pk_mul_f32 v[46:47], v[44:45], v[42:43] op_sel:[1,1] op_sel_hi:[0,1]
	s_delay_alu instid0(VALU_DEP_1) | instskip(SKIP_2) | instid1(VALU_DEP_3)
	v_pk_fma_f32 v[48:49], v[44:45], v[42:43], v[46:47] op_sel_hi:[1,0,1]
	v_add_nc_u32_e32 v41, 1, v41
	v_pk_fma_f32 v[42:43], v[44:45], v[42:43], v[46:47] neg_lo:[0,0,1] neg_hi:[0,0,1]
	v_mov_b32_e32 v43, v49
	s_delay_alu instid0(VALU_DEP_3) | instskip(NEXT) | instid1(VALU_DEP_2)
	v_cmp_lt_u32_e32 vcc_lo, 7, v41
	v_pk_add_f32 v[0:1], v[0:1], v[42:43]
	s_or_b32 s5, vcc_lo, s5
	s_delay_alu instid0(SALU_CYCLE_1)
	s_and_not1_b32 exec_lo, exec_lo, s5
	s_cbranch_execnz .LBB14_227
; %bb.228:
	s_or_b32 exec_lo, exec_lo, s5
.LBB14_229:
	s_delay_alu instid0(SALU_CYCLE_1) | instskip(SKIP_4) | instid1(VALU_DEP_1)
	s_or_b32 exec_lo, exec_lo, s4
	v_mov_b32_e32 v37, 0
	ds_load_b64 v[40:41], v37 offset:72
	s_wait_dscnt 0x0
	v_pk_mul_f32 v[42:43], v[0:1], v[40:41] op_sel:[1,1] op_sel_hi:[0,1]
	v_pk_fma_f32 v[44:45], v[0:1], v[40:41], v[42:43] op_sel_hi:[1,0,1]
	v_pk_fma_f32 v[0:1], v[0:1], v[40:41], v[42:43] neg_lo:[0,0,1] neg_hi:[0,0,1]
	s_delay_alu instid0(VALU_DEP_2)
	v_mov_b32_e32 v1, v45
	ds_store_b64 v33, v[0:1] offset:72
.LBB14_230:
	s_or_b32 exec_lo, exec_lo, s0
	ds_load_b64 v[0:1], v33 offset:80
	s_mov_b32 s0, exec_lo
	s_wait_dscnt 0x0
	ds_store_b64 v34, v[0:1]
	s_wait_dscnt 0x0
	s_barrier_signal -1
	s_barrier_wait -1
	v_cmpx_gt_u32_e32 10, v38
	s_cbranch_execz .LBB14_240
; %bb.231:
	v_cmp_ne_u32_e32 vcc_lo, 1, v36
	s_cbranch_vccnz .LBB14_233
; %bb.232:
	ds_load_b64 v[0:1], v35
	ds_load_b64 v[40:41], v34
	s_wait_dscnt 0x0
	v_pk_mul_f32 v[42:43], v[40:41], v[0:1] op_sel:[1,1] op_sel_hi:[0,1]
	s_delay_alu instid0(VALU_DEP_1) | instskip(SKIP_1) | instid1(VALU_DEP_2)
	v_pk_fma_f32 v[44:45], v[40:41], v[0:1], v[42:43] op_sel_hi:[1,0,1]
	v_pk_fma_f32 v[0:1], v[40:41], v[0:1], v[42:43] neg_lo:[0,0,1] neg_hi:[0,0,1]
	v_mov_b32_e32 v1, v45
	s_cbranch_execz .LBB14_234
	s_branch .LBB14_235
.LBB14_233:
                                        ; implicit-def: $vgpr0_vgpr1
.LBB14_234:
	ds_load_b64 v[0:1], v34
.LBB14_235:
	s_mov_b32 s4, exec_lo
	v_cmpx_ne_u32_e32 9, v38
	s_cbranch_execz .LBB14_239
; %bb.236:
	v_add_nc_u32_e32 v37, 0x88, v32
	v_add3_u32 v40, v39, v32, 0x108
	v_mov_b32_e32 v41, v38
	s_mov_b32 s5, 0
.LBB14_237:                             ; =>This Inner Loop Header: Depth=1
	ds_load_b64 v[42:43], v40
	ds_load_b64 v[44:45], v37
	v_dual_add_nc_u32 v37, 8, v37 :: v_dual_add_nc_u32 v40, 8, v40
	s_wait_dscnt 0x0
	v_pk_mul_f32 v[46:47], v[44:45], v[42:43] op_sel:[1,1] op_sel_hi:[0,1]
	s_delay_alu instid0(VALU_DEP_1) | instskip(SKIP_2) | instid1(VALU_DEP_3)
	v_pk_fma_f32 v[48:49], v[44:45], v[42:43], v[46:47] op_sel_hi:[1,0,1]
	v_add_nc_u32_e32 v41, 1, v41
	v_pk_fma_f32 v[42:43], v[44:45], v[42:43], v[46:47] neg_lo:[0,0,1] neg_hi:[0,0,1]
	v_mov_b32_e32 v43, v49
	s_delay_alu instid0(VALU_DEP_3) | instskip(NEXT) | instid1(VALU_DEP_2)
	v_cmp_lt_u32_e32 vcc_lo, 8, v41
	v_pk_add_f32 v[0:1], v[0:1], v[42:43]
	s_or_b32 s5, vcc_lo, s5
	s_delay_alu instid0(SALU_CYCLE_1)
	s_and_not1_b32 exec_lo, exec_lo, s5
	s_cbranch_execnz .LBB14_237
; %bb.238:
	s_or_b32 exec_lo, exec_lo, s5
.LBB14_239:
	s_delay_alu instid0(SALU_CYCLE_1) | instskip(SKIP_4) | instid1(VALU_DEP_1)
	s_or_b32 exec_lo, exec_lo, s4
	v_mov_b32_e32 v37, 0
	ds_load_b64 v[40:41], v37 offset:80
	s_wait_dscnt 0x0
	v_pk_mul_f32 v[42:43], v[0:1], v[40:41] op_sel:[1,1] op_sel_hi:[0,1]
	v_pk_fma_f32 v[44:45], v[0:1], v[40:41], v[42:43] op_sel_hi:[1,0,1]
	v_pk_fma_f32 v[0:1], v[0:1], v[40:41], v[42:43] neg_lo:[0,0,1] neg_hi:[0,0,1]
	s_delay_alu instid0(VALU_DEP_2)
	v_mov_b32_e32 v1, v45
	ds_store_b64 v33, v[0:1] offset:80
.LBB14_240:
	s_or_b32 exec_lo, exec_lo, s0
	ds_load_b64 v[0:1], v33 offset:88
	s_mov_b32 s0, exec_lo
	s_wait_dscnt 0x0
	ds_store_b64 v34, v[0:1]
	s_wait_dscnt 0x0
	s_barrier_signal -1
	s_barrier_wait -1
	v_cmpx_gt_u32_e32 11, v38
	s_cbranch_execz .LBB14_250
; %bb.241:
	v_cmp_ne_u32_e32 vcc_lo, 1, v36
	s_cbranch_vccnz .LBB14_243
; %bb.242:
	ds_load_b64 v[0:1], v35
	ds_load_b64 v[40:41], v34
	s_wait_dscnt 0x0
	v_pk_mul_f32 v[42:43], v[40:41], v[0:1] op_sel:[1,1] op_sel_hi:[0,1]
	s_delay_alu instid0(VALU_DEP_1) | instskip(SKIP_1) | instid1(VALU_DEP_2)
	v_pk_fma_f32 v[44:45], v[40:41], v[0:1], v[42:43] op_sel_hi:[1,0,1]
	v_pk_fma_f32 v[0:1], v[40:41], v[0:1], v[42:43] neg_lo:[0,0,1] neg_hi:[0,0,1]
	v_mov_b32_e32 v1, v45
	s_cbranch_execz .LBB14_244
	s_branch .LBB14_245
.LBB14_243:
                                        ; implicit-def: $vgpr0_vgpr1
.LBB14_244:
	ds_load_b64 v[0:1], v34
.LBB14_245:
	s_mov_b32 s4, exec_lo
	v_cmpx_ne_u32_e32 10, v38
	s_cbranch_execz .LBB14_249
; %bb.246:
	v_add_nc_u32_e32 v37, 0x88, v32
	v_add3_u32 v40, v39, v32, 0x108
	v_mov_b32_e32 v41, v38
	s_mov_b32 s5, 0
.LBB14_247:                             ; =>This Inner Loop Header: Depth=1
	ds_load_b64 v[42:43], v40
	ds_load_b64 v[44:45], v37
	v_dual_add_nc_u32 v37, 8, v37 :: v_dual_add_nc_u32 v40, 8, v40
	s_wait_dscnt 0x0
	v_pk_mul_f32 v[46:47], v[44:45], v[42:43] op_sel:[1,1] op_sel_hi:[0,1]
	s_delay_alu instid0(VALU_DEP_1) | instskip(SKIP_2) | instid1(VALU_DEP_3)
	v_pk_fma_f32 v[48:49], v[44:45], v[42:43], v[46:47] op_sel_hi:[1,0,1]
	v_add_nc_u32_e32 v41, 1, v41
	v_pk_fma_f32 v[42:43], v[44:45], v[42:43], v[46:47] neg_lo:[0,0,1] neg_hi:[0,0,1]
	v_mov_b32_e32 v43, v49
	s_delay_alu instid0(VALU_DEP_3) | instskip(NEXT) | instid1(VALU_DEP_2)
	v_cmp_lt_u32_e32 vcc_lo, 9, v41
	v_pk_add_f32 v[0:1], v[0:1], v[42:43]
	s_or_b32 s5, vcc_lo, s5
	s_delay_alu instid0(SALU_CYCLE_1)
	s_and_not1_b32 exec_lo, exec_lo, s5
	s_cbranch_execnz .LBB14_247
; %bb.248:
	s_or_b32 exec_lo, exec_lo, s5
.LBB14_249:
	s_delay_alu instid0(SALU_CYCLE_1) | instskip(SKIP_4) | instid1(VALU_DEP_1)
	s_or_b32 exec_lo, exec_lo, s4
	v_mov_b32_e32 v37, 0
	ds_load_b64 v[40:41], v37 offset:88
	s_wait_dscnt 0x0
	v_pk_mul_f32 v[42:43], v[0:1], v[40:41] op_sel:[1,1] op_sel_hi:[0,1]
	v_pk_fma_f32 v[44:45], v[0:1], v[40:41], v[42:43] op_sel_hi:[1,0,1]
	v_pk_fma_f32 v[0:1], v[0:1], v[40:41], v[42:43] neg_lo:[0,0,1] neg_hi:[0,0,1]
	s_delay_alu instid0(VALU_DEP_2)
	v_mov_b32_e32 v1, v45
	ds_store_b64 v33, v[0:1] offset:88
.LBB14_250:
	s_or_b32 exec_lo, exec_lo, s0
	ds_load_b64 v[0:1], v33 offset:96
	s_mov_b32 s0, exec_lo
	s_wait_dscnt 0x0
	ds_store_b64 v34, v[0:1]
	s_wait_dscnt 0x0
	s_barrier_signal -1
	s_barrier_wait -1
	v_cmpx_gt_u32_e32 12, v38
	s_cbranch_execz .LBB14_260
; %bb.251:
	v_cmp_ne_u32_e32 vcc_lo, 1, v36
	s_cbranch_vccnz .LBB14_253
; %bb.252:
	ds_load_b64 v[0:1], v35
	ds_load_b64 v[40:41], v34
	s_wait_dscnt 0x0
	v_pk_mul_f32 v[42:43], v[40:41], v[0:1] op_sel:[1,1] op_sel_hi:[0,1]
	s_delay_alu instid0(VALU_DEP_1) | instskip(SKIP_1) | instid1(VALU_DEP_2)
	v_pk_fma_f32 v[44:45], v[40:41], v[0:1], v[42:43] op_sel_hi:[1,0,1]
	v_pk_fma_f32 v[0:1], v[40:41], v[0:1], v[42:43] neg_lo:[0,0,1] neg_hi:[0,0,1]
	v_mov_b32_e32 v1, v45
	s_cbranch_execz .LBB14_254
	s_branch .LBB14_255
.LBB14_253:
                                        ; implicit-def: $vgpr0_vgpr1
.LBB14_254:
	ds_load_b64 v[0:1], v34
.LBB14_255:
	s_mov_b32 s4, exec_lo
	v_cmpx_ne_u32_e32 11, v38
	s_cbranch_execz .LBB14_259
; %bb.256:
	v_add_nc_u32_e32 v37, 0x88, v32
	v_add3_u32 v40, v39, v32, 0x108
	v_mov_b32_e32 v41, v38
	s_mov_b32 s5, 0
.LBB14_257:                             ; =>This Inner Loop Header: Depth=1
	ds_load_b64 v[42:43], v40
	ds_load_b64 v[44:45], v37
	v_dual_add_nc_u32 v37, 8, v37 :: v_dual_add_nc_u32 v40, 8, v40
	s_wait_dscnt 0x0
	v_pk_mul_f32 v[46:47], v[44:45], v[42:43] op_sel:[1,1] op_sel_hi:[0,1]
	s_delay_alu instid0(VALU_DEP_1) | instskip(SKIP_2) | instid1(VALU_DEP_3)
	v_pk_fma_f32 v[48:49], v[44:45], v[42:43], v[46:47] op_sel_hi:[1,0,1]
	v_add_nc_u32_e32 v41, 1, v41
	v_pk_fma_f32 v[42:43], v[44:45], v[42:43], v[46:47] neg_lo:[0,0,1] neg_hi:[0,0,1]
	v_mov_b32_e32 v43, v49
	s_delay_alu instid0(VALU_DEP_3) | instskip(NEXT) | instid1(VALU_DEP_2)
	v_cmp_lt_u32_e32 vcc_lo, 10, v41
	v_pk_add_f32 v[0:1], v[0:1], v[42:43]
	s_or_b32 s5, vcc_lo, s5
	s_delay_alu instid0(SALU_CYCLE_1)
	s_and_not1_b32 exec_lo, exec_lo, s5
	s_cbranch_execnz .LBB14_257
; %bb.258:
	s_or_b32 exec_lo, exec_lo, s5
.LBB14_259:
	s_delay_alu instid0(SALU_CYCLE_1) | instskip(SKIP_4) | instid1(VALU_DEP_1)
	s_or_b32 exec_lo, exec_lo, s4
	v_mov_b32_e32 v37, 0
	ds_load_b64 v[40:41], v37 offset:96
	s_wait_dscnt 0x0
	v_pk_mul_f32 v[42:43], v[0:1], v[40:41] op_sel:[1,1] op_sel_hi:[0,1]
	v_pk_fma_f32 v[44:45], v[0:1], v[40:41], v[42:43] op_sel_hi:[1,0,1]
	v_pk_fma_f32 v[0:1], v[0:1], v[40:41], v[42:43] neg_lo:[0,0,1] neg_hi:[0,0,1]
	s_delay_alu instid0(VALU_DEP_2)
	v_mov_b32_e32 v1, v45
	ds_store_b64 v33, v[0:1] offset:96
.LBB14_260:
	s_or_b32 exec_lo, exec_lo, s0
	ds_load_b64 v[0:1], v33 offset:104
	v_cmp_gt_u32_e64 s0, 13, v38
	s_wait_dscnt 0x0
	ds_store_b64 v34, v[0:1]
	s_wait_dscnt 0x0
	s_barrier_signal -1
	s_barrier_wait -1
	s_and_saveexec_b32 s4, s0
	s_cbranch_execz .LBB14_270
; %bb.261:
	v_cmp_ne_u32_e32 vcc_lo, 1, v36
	s_cbranch_vccnz .LBB14_263
; %bb.262:
	ds_load_b64 v[0:1], v35
	ds_load_b64 v[40:41], v34
	s_wait_dscnt 0x0
	v_pk_mul_f32 v[42:43], v[40:41], v[0:1] op_sel:[1,1] op_sel_hi:[0,1]
	s_delay_alu instid0(VALU_DEP_1) | instskip(SKIP_1) | instid1(VALU_DEP_2)
	v_pk_fma_f32 v[44:45], v[40:41], v[0:1], v[42:43] op_sel_hi:[1,0,1]
	v_pk_fma_f32 v[0:1], v[40:41], v[0:1], v[42:43] neg_lo:[0,0,1] neg_hi:[0,0,1]
	v_mov_b32_e32 v1, v45
	s_cbranch_execz .LBB14_264
	s_branch .LBB14_265
.LBB14_263:
                                        ; implicit-def: $vgpr0_vgpr1
.LBB14_264:
	ds_load_b64 v[0:1], v34
.LBB14_265:
	s_mov_b32 s5, exec_lo
	v_cmpx_ne_u32_e32 12, v38
	s_cbranch_execz .LBB14_269
; %bb.266:
	v_add_nc_u32_e32 v37, 0x88, v32
	v_add3_u32 v40, v39, v32, 0x108
	v_mov_b32_e32 v41, v38
	s_mov_b32 s6, 0
.LBB14_267:                             ; =>This Inner Loop Header: Depth=1
	ds_load_b64 v[42:43], v40
	ds_load_b64 v[44:45], v37
	v_dual_add_nc_u32 v37, 8, v37 :: v_dual_add_nc_u32 v40, 8, v40
	s_wait_dscnt 0x0
	v_pk_mul_f32 v[46:47], v[44:45], v[42:43] op_sel:[1,1] op_sel_hi:[0,1]
	s_delay_alu instid0(VALU_DEP_1) | instskip(SKIP_2) | instid1(VALU_DEP_3)
	v_pk_fma_f32 v[48:49], v[44:45], v[42:43], v[46:47] op_sel_hi:[1,0,1]
	v_add_nc_u32_e32 v41, 1, v41
	v_pk_fma_f32 v[42:43], v[44:45], v[42:43], v[46:47] neg_lo:[0,0,1] neg_hi:[0,0,1]
	v_mov_b32_e32 v43, v49
	s_delay_alu instid0(VALU_DEP_3) | instskip(NEXT) | instid1(VALU_DEP_2)
	v_cmp_lt_u32_e32 vcc_lo, 11, v41
	v_pk_add_f32 v[0:1], v[0:1], v[42:43]
	s_or_b32 s6, vcc_lo, s6
	s_delay_alu instid0(SALU_CYCLE_1)
	s_and_not1_b32 exec_lo, exec_lo, s6
	s_cbranch_execnz .LBB14_267
; %bb.268:
	s_or_b32 exec_lo, exec_lo, s6
.LBB14_269:
	s_delay_alu instid0(SALU_CYCLE_1) | instskip(SKIP_4) | instid1(VALU_DEP_1)
	s_or_b32 exec_lo, exec_lo, s5
	v_mov_b32_e32 v37, 0
	ds_load_b64 v[40:41], v37 offset:104
	s_wait_dscnt 0x0
	v_pk_mul_f32 v[42:43], v[0:1], v[40:41] op_sel:[1,1] op_sel_hi:[0,1]
	v_pk_fma_f32 v[44:45], v[0:1], v[40:41], v[42:43] op_sel_hi:[1,0,1]
	v_pk_fma_f32 v[0:1], v[0:1], v[40:41], v[42:43] neg_lo:[0,0,1] neg_hi:[0,0,1]
	s_delay_alu instid0(VALU_DEP_2)
	v_mov_b32_e32 v1, v45
	ds_store_b64 v33, v[0:1] offset:104
.LBB14_270:
	s_or_b32 exec_lo, exec_lo, s4
	ds_load_b64 v[0:1], v33 offset:112
	s_mov_b32 s4, exec_lo
                                        ; implicit-def: $vgpr37
                                        ; implicit-def: $vgpr41
	s_wait_dscnt 0x0
	ds_store_b64 v34, v[0:1]
	s_wait_dscnt 0x0
	s_barrier_signal -1
	s_barrier_wait -1
	v_cmpx_ne_u32_e32 14, v38
	s_cbranch_execz .LBB14_280
; %bb.271:
	v_cmp_ne_u32_e32 vcc_lo, 1, v36
	s_cbranch_vccnz .LBB14_273
; %bb.272:
	ds_load_b64 v[36:37], v35
	ds_load_b64 v[40:41], v34
	s_wait_dscnt 0x0
	v_dual_mul_f32 v0, v41, v37 :: v_dual_mul_f32 v1, v40, v37
	s_delay_alu instid0(VALU_DEP_1)
	v_dual_fma_f32 v0, v40, v36, -v0 :: v_dual_fmac_f32 v1, v41, v36
	s_cbranch_execz .LBB14_274
	s_branch .LBB14_275
.LBB14_273:
                                        ; implicit-def: $vgpr1
.LBB14_274:
	ds_load_b64 v[0:1], v34
.LBB14_275:
	s_and_saveexec_b32 s5, s0
	s_cbranch_execz .LBB14_279
; %bb.276:
	v_add_nc_u32_e32 v34, 0x88, v32
	v_add3_u32 v32, v39, v32, 0x108
	s_mov_b32 s0, 0
.LBB14_277:                             ; =>This Inner Loop Header: Depth=1
	ds_load_b64 v[36:37], v32
	ds_load_b64 v[40:41], v34
	s_wait_dscnt 0x0
	v_dual_mul_f32 v35, v41, v37 :: v_dual_add_nc_u32 v34, 8, v34
	v_dual_mul_f32 v37, v40, v37 :: v_dual_add_nc_u32 v38, 1, v38
	s_delay_alu instid0(VALU_DEP_1) | instskip(NEXT) | instid1(VALU_DEP_2)
	v_dual_fma_f32 v35, v40, v36, -v35 :: v_dual_fmac_f32 v37, v41, v36
	v_cmp_lt_u32_e32 vcc_lo, 12, v38
	s_delay_alu instid0(VALU_DEP_2) | instskip(NEXT) | instid1(VALU_DEP_3)
	v_dual_add_nc_u32 v32, 8, v32 :: v_dual_add_f32 v0, v0, v35
	v_add_f32_e32 v1, v1, v37
	s_or_b32 s0, vcc_lo, s0
	s_delay_alu instid0(SALU_CYCLE_1)
	s_and_not1_b32 exec_lo, exec_lo, s0
	s_cbranch_execnz .LBB14_277
; %bb.278:
	s_or_b32 exec_lo, exec_lo, s0
.LBB14_279:
	s_delay_alu instid0(SALU_CYCLE_1)
	s_or_b32 exec_lo, exec_lo, s5
	v_mov_b32_e32 v32, 0
	s_or_b32 s1, s1, exec_lo
	v_add_nc_u32_e32 v41, 0x74, v33
	ds_load_b64 v[34:35], v32 offset:112
	s_wait_dscnt 0x0
	v_dual_mul_f32 v32, v1, v35 :: v_dual_mul_f32 v37, v0, v35
	s_delay_alu instid0(VALU_DEP_1)
	v_dual_fma_f32 v0, v0, v34, -v32 :: v_dual_fmac_f32 v37, v1, v34
	ds_store_b32 v33, v0 offset:112
.LBB14_280:
	s_or_b32 exec_lo, exec_lo, s4
.LBB14_281:
	v_lshl_add_u64 v[0:1], v[6:7], 3, s[2:3]
	v_lshl_add_u64 v[6:7], v[8:9], 3, s[2:3]
	;; [unrolled: 1-line block ×13, first 2 shown]
	s_and_saveexec_b32 s0, s1
; %bb.282:
	ds_store_b32 v41, v37
; %bb.283:
	s_or_b32 exec_lo, exec_lo, s0
	ds_load_b128 v[34:37], v33
	ds_load_b128 v[38:41], v33 offset:16
	ds_load_b128 v[42:45], v33 offset:32
	ds_load_b128 v[46:49], v33 offset:48
	ds_load_b128 v[50:53], v33 offset:64
	ds_load_b128 v[54:57], v33 offset:80
	ds_load_b128 v[58:61], v33 offset:96
	ds_load_b64 v[30:31], v33 offset:112
	s_wait_dscnt 0x7
	s_clause 0x1
	global_store_b64 v[2:3], v[34:35], off
	global_store_b64 v[4:5], v[36:37], off
	s_wait_dscnt 0x6
	s_clause 0x1
	global_store_b64 v[0:1], v[38:39], off
	global_store_b64 v[6:7], v[40:41], off
	;; [unrolled: 4-line block ×7, first 2 shown]
	s_wait_dscnt 0x0
	global_store_b64 v[28:29], v[30:31], off
.LBB14_284:
	s_sendmsg sendmsg(MSG_DEALLOC_VGPRS)
	s_endpgm
	.section	.rodata,"a",@progbits
	.p2align	6, 0x0
	.amdhsa_kernel _ZN9rocsolver6v33100L18trti2_kernel_smallILi15E19rocblas_complex_numIfEPS3_EEv13rocblas_fill_17rocblas_diagonal_T1_iil
		.amdhsa_group_segment_fixed_size 7936
		.amdhsa_private_segment_fixed_size 0
		.amdhsa_kernarg_size 32
		.amdhsa_user_sgpr_count 4
		.amdhsa_user_sgpr_dispatch_ptr 1
		.amdhsa_user_sgpr_queue_ptr 0
		.amdhsa_user_sgpr_kernarg_segment_ptr 1
		.amdhsa_user_sgpr_dispatch_id 0
		.amdhsa_user_sgpr_kernarg_preload_length 0
		.amdhsa_user_sgpr_kernarg_preload_offset 0
		.amdhsa_user_sgpr_private_segment_size 0
		.amdhsa_wavefront_size32 1
		.amdhsa_uses_dynamic_stack 0
		.amdhsa_enable_private_segment 0
		.amdhsa_system_sgpr_workgroup_id_x 1
		.amdhsa_system_sgpr_workgroup_id_y 0
		.amdhsa_system_sgpr_workgroup_id_z 0
		.amdhsa_system_sgpr_workgroup_info 0
		.amdhsa_system_vgpr_workitem_id 2
		.amdhsa_next_free_vgpr 68
		.amdhsa_next_free_sgpr 14
		.amdhsa_named_barrier_count 0
		.amdhsa_reserve_vcc 1
		.amdhsa_float_round_mode_32 0
		.amdhsa_float_round_mode_16_64 0
		.amdhsa_float_denorm_mode_32 3
		.amdhsa_float_denorm_mode_16_64 3
		.amdhsa_fp16_overflow 0
		.amdhsa_memory_ordered 1
		.amdhsa_forward_progress 1
		.amdhsa_inst_pref_size 84
		.amdhsa_round_robin_scheduling 0
		.amdhsa_exception_fp_ieee_invalid_op 0
		.amdhsa_exception_fp_denorm_src 0
		.amdhsa_exception_fp_ieee_div_zero 0
		.amdhsa_exception_fp_ieee_overflow 0
		.amdhsa_exception_fp_ieee_underflow 0
		.amdhsa_exception_fp_ieee_inexact 0
		.amdhsa_exception_int_div_zero 0
	.end_amdhsa_kernel
	.section	.text._ZN9rocsolver6v33100L18trti2_kernel_smallILi15E19rocblas_complex_numIfEPS3_EEv13rocblas_fill_17rocblas_diagonal_T1_iil,"axG",@progbits,_ZN9rocsolver6v33100L18trti2_kernel_smallILi15E19rocblas_complex_numIfEPS3_EEv13rocblas_fill_17rocblas_diagonal_T1_iil,comdat
.Lfunc_end14:
	.size	_ZN9rocsolver6v33100L18trti2_kernel_smallILi15E19rocblas_complex_numIfEPS3_EEv13rocblas_fill_17rocblas_diagonal_T1_iil, .Lfunc_end14-_ZN9rocsolver6v33100L18trti2_kernel_smallILi15E19rocblas_complex_numIfEPS3_EEv13rocblas_fill_17rocblas_diagonal_T1_iil
                                        ; -- End function
	.set _ZN9rocsolver6v33100L18trti2_kernel_smallILi15E19rocblas_complex_numIfEPS3_EEv13rocblas_fill_17rocblas_diagonal_T1_iil.num_vgpr, 68
	.set _ZN9rocsolver6v33100L18trti2_kernel_smallILi15E19rocblas_complex_numIfEPS3_EEv13rocblas_fill_17rocblas_diagonal_T1_iil.num_agpr, 0
	.set _ZN9rocsolver6v33100L18trti2_kernel_smallILi15E19rocblas_complex_numIfEPS3_EEv13rocblas_fill_17rocblas_diagonal_T1_iil.numbered_sgpr, 14
	.set _ZN9rocsolver6v33100L18trti2_kernel_smallILi15E19rocblas_complex_numIfEPS3_EEv13rocblas_fill_17rocblas_diagonal_T1_iil.num_named_barrier, 0
	.set _ZN9rocsolver6v33100L18trti2_kernel_smallILi15E19rocblas_complex_numIfEPS3_EEv13rocblas_fill_17rocblas_diagonal_T1_iil.private_seg_size, 0
	.set _ZN9rocsolver6v33100L18trti2_kernel_smallILi15E19rocblas_complex_numIfEPS3_EEv13rocblas_fill_17rocblas_diagonal_T1_iil.uses_vcc, 1
	.set _ZN9rocsolver6v33100L18trti2_kernel_smallILi15E19rocblas_complex_numIfEPS3_EEv13rocblas_fill_17rocblas_diagonal_T1_iil.uses_flat_scratch, 0
	.set _ZN9rocsolver6v33100L18trti2_kernel_smallILi15E19rocblas_complex_numIfEPS3_EEv13rocblas_fill_17rocblas_diagonal_T1_iil.has_dyn_sized_stack, 0
	.set _ZN9rocsolver6v33100L18trti2_kernel_smallILi15E19rocblas_complex_numIfEPS3_EEv13rocblas_fill_17rocblas_diagonal_T1_iil.has_recursion, 0
	.set _ZN9rocsolver6v33100L18trti2_kernel_smallILi15E19rocblas_complex_numIfEPS3_EEv13rocblas_fill_17rocblas_diagonal_T1_iil.has_indirect_call, 0
	.section	.AMDGPU.csdata,"",@progbits
; Kernel info:
; codeLenInByte = 10636
; TotalNumSgprs: 16
; NumVgprs: 68
; ScratchSize: 0
; MemoryBound: 0
; FloatMode: 240
; IeeeMode: 1
; LDSByteSize: 7936 bytes/workgroup (compile time only)
; SGPRBlocks: 0
; VGPRBlocks: 4
; NumSGPRsForWavesPerEU: 16
; NumVGPRsForWavesPerEU: 68
; NamedBarCnt: 0
; Occupancy: 11
; WaveLimiterHint : 0
; COMPUTE_PGM_RSRC2:SCRATCH_EN: 0
; COMPUTE_PGM_RSRC2:USER_SGPR: 4
; COMPUTE_PGM_RSRC2:TRAP_HANDLER: 0
; COMPUTE_PGM_RSRC2:TGID_X_EN: 1
; COMPUTE_PGM_RSRC2:TGID_Y_EN: 0
; COMPUTE_PGM_RSRC2:TGID_Z_EN: 0
; COMPUTE_PGM_RSRC2:TIDIG_COMP_CNT: 2
	.section	.text._ZN9rocsolver6v33100L18trti2_kernel_smallILi16E19rocblas_complex_numIfEPS3_EEv13rocblas_fill_17rocblas_diagonal_T1_iil,"axG",@progbits,_ZN9rocsolver6v33100L18trti2_kernel_smallILi16E19rocblas_complex_numIfEPS3_EEv13rocblas_fill_17rocblas_diagonal_T1_iil,comdat
	.globl	_ZN9rocsolver6v33100L18trti2_kernel_smallILi16E19rocblas_complex_numIfEPS3_EEv13rocblas_fill_17rocblas_diagonal_T1_iil ; -- Begin function _ZN9rocsolver6v33100L18trti2_kernel_smallILi16E19rocblas_complex_numIfEPS3_EEv13rocblas_fill_17rocblas_diagonal_T1_iil
	.p2align	8
	.type	_ZN9rocsolver6v33100L18trti2_kernel_smallILi16E19rocblas_complex_numIfEPS3_EEv13rocblas_fill_17rocblas_diagonal_T1_iil,@function
_ZN9rocsolver6v33100L18trti2_kernel_smallILi16E19rocblas_complex_numIfEPS3_EEv13rocblas_fill_17rocblas_diagonal_T1_iil: ; @_ZN9rocsolver6v33100L18trti2_kernel_smallILi16E19rocblas_complex_numIfEPS3_EEv13rocblas_fill_17rocblas_diagonal_T1_iil
; %bb.0:
	v_and_b32_e32 v40, 0x3ff, v0
	s_mov_b32 s4, exec_lo
	s_delay_alu instid0(VALU_DEP_1)
	v_cmpx_gt_u32_e32 16, v40
	s_cbranch_execz .LBB15_304
; %bb.1:
	s_load_b256 s[4:11], s[2:3], 0x0
	s_getreg_b32 s12, hwreg(HW_REG_IB_STS2, 6, 4)
	s_wait_xcnt 0x0
	s_load_b64 s[2:3], s[0:1], 0x4
	s_wait_xcnt 0x0
	s_bfe_u32 s0, ttmp6, 0x4000c
	s_and_b32 s1, ttmp6, 15
	s_add_co_i32 s0, s0, 1
	v_dual_mov_b32 v35, 0 :: v_dual_lshlrev_b32 v34, 3, v40
	s_mul_i32 s0, ttmp9, s0
	v_bfe_u32 v1, v0, 10, 10
	s_add_co_i32 s0, s1, s0
	v_bfe_u32 v0, v0, 20, 10
	s_wait_kmcnt 0x0
	v_add3_u32 v6, s9, s9, v40
	s_ashr_i32 s1, s8, 31
	s_lshr_b32 s2, s2, 16
	s_cmp_eq_u32 s12, 0
	s_mul_i32 s2, s2, s3
	v_add_nc_u32_e32 v8, s9, v6
	s_cselect_b32 s12, ttmp9, s0
	s_mov_b32 s0, s8
	s_ashr_i32 s13, s12, 31
	s_lshl_b64 s[0:1], s[0:1], 3
	v_add_nc_u32_e32 v10, s9, v8
	s_mul_u64 s[10:11], s[10:11], s[12:13]
	v_mul_u32_u24_e32 v1, s3, v1
	s_lshl_b64 s[10:11], s[10:11], 3
	v_mul_u32_u24_e32 v7, s2, v40
	v_add_nc_u32_e32 v12, s9, v10
	s_add_nc_u64 s[6:7], s[6:7], s[10:11]
	s_delay_alu instid0(SALU_CYCLE_1) | instskip(SKIP_1) | instid1(VALU_DEP_1)
	s_add_nc_u64 s[6:7], s[6:7], s[0:1]
	s_mov_b32 s0, s9
	v_add_nc_u32_e32 v14, s9, v12
	v_add_nc_u64_e32 v[2:3], s[6:7], v[34:35]
	s_ashr_i32 s1, s9, 31
	v_add3_u32 v42, v7, v1, v0
	s_cmp_lg_u32 s5, 0x84
	v_add_nc_u32_e32 v16, s9, v14
	s_cselect_b32 s3, -1, 0
	s_delay_alu instid0(VALU_DEP_3)
	v_lshl_add_u64 v[4:5], s[0:1], 3, v[2:3]
	s_clause 0x3
	global_load_b64 v[36:37], v40, s[6:7] scale_offset
	global_load_b64 v[38:39], v[4:5], off
	global_load_b64 v[44:45], v6, s[6:7] scale_offset
	global_load_b64 v[46:47], v8, s[6:7] scale_offset
	v_add_nc_u32_e32 v18, s9, v16
	s_clause 0x3
	global_load_b64 v[48:49], v10, s[6:7] scale_offset
	global_load_b64 v[50:51], v12, s[6:7] scale_offset
	;; [unrolled: 1-line block ×4, first 2 shown]
	v_lshlrev_b32_e32 v35, 7, v42
	s_mov_b32 s0, -1
	s_and_b32 vcc_lo, exec_lo, s3
	v_add_nc_u32_e32 v20, s9, v18
	s_delay_alu instid0(VALU_DEP_2) | instskip(NEXT) | instid1(VALU_DEP_2)
	v_add_nc_u32_e32 v41, 0x100, v35
	v_add_nc_u32_e32 v22, s9, v20
	s_delay_alu instid0(VALU_DEP_1) | instskip(NEXT) | instid1(VALU_DEP_1)
	v_add_nc_u32_e32 v24, s9, v22
	v_add_nc_u32_e32 v26, s9, v24
	s_delay_alu instid0(VALU_DEP_1) | instskip(NEXT) | instid1(VALU_DEP_1)
	v_add_nc_u32_e32 v28, s9, v26
	v_add_nc_u32_e32 v30, s9, v28
	s_delay_alu instid0(VALU_DEP_1)
	v_add_nc_u32_e32 v32, s9, v30
	s_clause 0x7
	global_load_b64 v[56:57], v18, s[6:7] scale_offset
	global_load_b64 v[58:59], v20, s[6:7] scale_offset
	;; [unrolled: 1-line block ×8, first 2 shown]
	s_wait_loadcnt 0xe
	ds_store_b128 v35, v[36:39] offset:256
	s_wait_loadcnt 0xc
	ds_store_b128 v35, v[44:47] offset:272
	;; [unrolled: 2-line block ×8, first 2 shown]
	s_cbranch_vccz .LBB15_7
; %bb.2:
	v_lshl_add_u32 v7, v40, 3, v41
                                        ; implicit-def: $vgpr39
                                        ; implicit-def: $vgpr36
	ds_load_b64 v[0:1], v7
	s_wait_dscnt 0x0
	v_cmp_ngt_f32_e64 s0, |v0|, |v1|
	s_and_saveexec_b32 s1, s0
	s_delay_alu instid0(SALU_CYCLE_1)
	s_xor_b32 s0, exec_lo, s1
	s_cbranch_execz .LBB15_4
; %bb.3:
	v_div_scale_f32 v9, null, v1, v1, v0
	v_div_scale_f32 v15, vcc_lo, v0, v1, v0
	s_delay_alu instid0(VALU_DEP_2) | instskip(SKIP_1) | instid1(TRANS32_DEP_1)
	v_rcp_f32_e32 v11, v9
	v_nop
	v_fma_f32 v13, -v9, v11, 1.0
	s_delay_alu instid0(VALU_DEP_1) | instskip(NEXT) | instid1(VALU_DEP_1)
	v_fmac_f32_e32 v11, v13, v11
	v_mul_f32_e32 v13, v15, v11
	s_delay_alu instid0(VALU_DEP_1) | instskip(NEXT) | instid1(VALU_DEP_1)
	v_fma_f32 v17, -v9, v13, v15
	v_fmac_f32_e32 v13, v17, v11
	s_delay_alu instid0(VALU_DEP_1) | instskip(NEXT) | instid1(VALU_DEP_1)
	v_fma_f32 v9, -v9, v13, v15
	v_div_fmas_f32 v9, v9, v11, v13
	s_delay_alu instid0(VALU_DEP_1) | instskip(NEXT) | instid1(VALU_DEP_1)
	v_div_fixup_f32 v9, v9, v1, v0
	v_fmac_f32_e32 v1, v0, v9
	s_delay_alu instid0(VALU_DEP_1) | instskip(NEXT) | instid1(VALU_DEP_1)
	v_div_scale_f32 v0, null, v1, v1, -1.0
	v_rcp_f32_e32 v11, v0
	v_nop
	s_delay_alu instid0(TRANS32_DEP_1) | instskip(NEXT) | instid1(VALU_DEP_1)
	v_fma_f32 v13, -v0, v11, 1.0
	v_fmac_f32_e32 v11, v13, v11
	v_div_scale_f32 v13, vcc_lo, -1.0, v1, -1.0
	s_delay_alu instid0(VALU_DEP_1) | instskip(NEXT) | instid1(VALU_DEP_1)
	v_mul_f32_e32 v15, v13, v11
	v_fma_f32 v17, -v0, v15, v13
	s_delay_alu instid0(VALU_DEP_1) | instskip(NEXT) | instid1(VALU_DEP_1)
	v_fmac_f32_e32 v15, v17, v11
	v_fma_f32 v0, -v0, v15, v13
	s_delay_alu instid0(VALU_DEP_1) | instskip(NEXT) | instid1(VALU_DEP_1)
	v_div_fmas_f32 v0, v0, v11, v15
	v_div_fixup_f32 v39, v0, v1, -1.0
                                        ; implicit-def: $vgpr0_vgpr1
	s_delay_alu instid0(VALU_DEP_1) | instskip(NEXT) | instid1(VALU_DEP_1)
	v_mul_f32_e32 v36, v9, v39
	v_xor_b32_e32 v38, 0x80000000, v36
.LBB15_4:
	s_and_not1_saveexec_b32 s0, s0
	s_cbranch_execz .LBB15_6
; %bb.5:
	v_div_scale_f32 v9, null, v0, v0, v1
	v_div_scale_f32 v15, vcc_lo, v1, v0, v1
	s_delay_alu instid0(VALU_DEP_2) | instskip(SKIP_1) | instid1(TRANS32_DEP_1)
	v_rcp_f32_e32 v11, v9
	v_nop
	v_fma_f32 v13, -v9, v11, 1.0
	s_delay_alu instid0(VALU_DEP_1) | instskip(NEXT) | instid1(VALU_DEP_1)
	v_fmac_f32_e32 v11, v13, v11
	v_mul_f32_e32 v13, v15, v11
	s_delay_alu instid0(VALU_DEP_1) | instskip(NEXT) | instid1(VALU_DEP_1)
	v_fma_f32 v17, -v9, v13, v15
	v_fmac_f32_e32 v13, v17, v11
	s_delay_alu instid0(VALU_DEP_1) | instskip(NEXT) | instid1(VALU_DEP_1)
	v_fma_f32 v9, -v9, v13, v15
	v_div_fmas_f32 v9, v9, v11, v13
	s_delay_alu instid0(VALU_DEP_1) | instskip(NEXT) | instid1(VALU_DEP_1)
	v_div_fixup_f32 v9, v9, v0, v1
	v_fmac_f32_e32 v0, v1, v9
	s_delay_alu instid0(VALU_DEP_1) | instskip(SKIP_1) | instid1(VALU_DEP_2)
	v_div_scale_f32 v1, null, v0, v0, 1.0
	v_div_scale_f32 v15, vcc_lo, 1.0, v0, 1.0
	v_rcp_f32_e32 v11, v1
	v_nop
	s_delay_alu instid0(TRANS32_DEP_1) | instskip(NEXT) | instid1(VALU_DEP_1)
	v_fma_f32 v13, -v1, v11, 1.0
	v_fmac_f32_e32 v11, v13, v11
	s_delay_alu instid0(VALU_DEP_1) | instskip(NEXT) | instid1(VALU_DEP_1)
	v_mul_f32_e32 v13, v15, v11
	v_fma_f32 v17, -v1, v13, v15
	s_delay_alu instid0(VALU_DEP_1) | instskip(NEXT) | instid1(VALU_DEP_1)
	v_fmac_f32_e32 v13, v17, v11
	v_fma_f32 v1, -v1, v13, v15
	s_delay_alu instid0(VALU_DEP_1) | instskip(NEXT) | instid1(VALU_DEP_1)
	v_div_fmas_f32 v1, v1, v11, v13
	v_div_fixup_f32 v38, v1, v0, 1.0
	s_delay_alu instid0(VALU_DEP_1)
	v_xor_b32_e32 v36, 0x80000000, v38
	v_mul_f32_e64 v39, v9, -v38
.LBB15_6:
	s_or_b32 exec_lo, exec_lo, s0
	s_delay_alu instid0(VALU_DEP_1)
	v_xor_b32_e32 v37, 0x80000000, v39
	s_mov_b32 s0, 0
	ds_store_b64 v7, v[38:39]
	ds_store_b64 v34, v[36:37]
.LBB15_7:
	s_and_b32 vcc_lo, exec_lo, s0
	s_cbranch_vccz .LBB15_9
; %bb.8:
	s_mov_b64 s[0:1], 0xbf800000
	s_delay_alu instid0(SALU_CYCLE_1)
	v_mov_b64_e32 v[0:1], s[0:1]
	ds_store_b64 v34, v[0:1]
.LBB15_9:
	v_dual_ashrrev_i32 v7, 31, v6 :: v_dual_ashrrev_i32 v9, 31, v8
	v_dual_ashrrev_i32 v11, 31, v10 :: v_dual_ashrrev_i32 v13, 31, v12
	;; [unrolled: 1-line block ×7, first 2 shown]
	v_add_nc_u32_e32 v36, 0x80, v34
	v_add_nc_u32_e32 v37, v41, v34
	s_cmp_eq_u32 s4, 0x79
	s_cbranch_scc1 .LBB15_13
; %bb.10:
	ds_load_b64 v[0:1], v41 offset:112
	v_cmp_eq_u32_e64 s0, 15, v40
	s_wait_dscnt 0x0
	ds_store_b64 v36, v[0:1]
	s_wait_dscnt 0x0
	s_barrier_signal -1
	s_barrier_wait -1
	s_and_saveexec_b32 s1, s0
	s_cbranch_execz .LBB15_17
; %bb.11:
	s_and_b32 vcc_lo, exec_lo, s3
	s_cbranch_vccz .LBB15_14
; %bb.12:
	ds_load_b64 v[0:1], v37
	ds_load_b64 v[38:39], v36
	s_wait_dscnt 0x0
	v_pk_mul_f32 v[44:45], v[38:39], v[0:1] op_sel:[1,1] op_sel_hi:[0,1]
	v_pk_mul_f32 v[46:47], v[38:39], v[0:1] op_sel_hi:[1,0]
	s_delay_alu instid0(VALU_DEP_2) | instskip(NEXT) | instid1(VALU_DEP_2)
	v_pk_fma_f32 v[0:1], v[38:39], v[0:1], v[44:45] op_sel_hi:[1,0,1]
	v_sub_f32_e32 v0, v46, v44
	s_cbranch_execz .LBB15_15
	s_branch .LBB15_16
.LBB15_13:
	s_mov_b32 s1, 0
                                        ; implicit-def: $vgpr39
                                        ; implicit-def: $vgpr43
	s_cbranch_execnz .LBB15_156
	s_branch .LBB15_301
.LBB15_14:
                                        ; implicit-def: $vgpr1
.LBB15_15:
	ds_load_b64 v[0:1], v36
.LBB15_16:
	s_wait_dscnt 0x0
	v_dual_mov_b32 v38, 0 :: v_dual_mov_b32 v44, v1
	v_mov_b32_e32 v45, v0
	ds_load_b64 v[38:39], v38 offset:112
	s_wait_dscnt 0x0
	v_pk_mul_f32 v[44:45], v[44:45], v[38:39] op_sel:[0,1]
	s_delay_alu instid0(VALU_DEP_1) | instskip(SKIP_1) | instid1(VALU_DEP_2)
	v_pk_fma_f32 v[46:47], v[0:1], v[38:39], v[44:45] op_sel_hi:[1,0,1]
	v_pk_fma_f32 v[0:1], v[0:1], v[38:39], v[44:45] neg_lo:[0,0,1] neg_hi:[0,0,1]
	v_mov_b32_e32 v1, v47
	ds_store_b64 v41, v[0:1] offset:112
.LBB15_17:
	s_or_b32 exec_lo, exec_lo, s1
	ds_load_b64 v[0:1], v41 offset:104
	v_cmp_lt_u32_e64 s1, 13, v40
	s_wait_dscnt 0x0
	ds_store_b64 v36, v[0:1]
	s_wait_dscnt 0x0
	s_barrier_signal -1
	s_barrier_wait -1
	s_and_saveexec_b32 s2, s1
	s_cbranch_execz .LBB15_25
; %bb.18:
	s_and_not1_b32 vcc_lo, exec_lo, s3
	s_cbranch_vccnz .LBB15_20
; %bb.19:
	ds_load_b64 v[0:1], v37
	ds_load_b64 v[38:39], v36
	s_wait_dscnt 0x0
	v_pk_mul_f32 v[44:45], v[38:39], v[0:1] op_sel:[1,1] op_sel_hi:[0,1]
	s_delay_alu instid0(VALU_DEP_1) | instskip(SKIP_1) | instid1(VALU_DEP_2)
	v_pk_fma_f32 v[46:47], v[38:39], v[0:1], v[44:45] op_sel_hi:[1,0,1]
	v_pk_fma_f32 v[0:1], v[38:39], v[0:1], v[44:45] neg_lo:[0,0,1] neg_hi:[0,0,1]
	v_mov_b32_e32 v1, v47
	s_cbranch_execz .LBB15_21
	s_branch .LBB15_22
.LBB15_20:
                                        ; implicit-def: $vgpr0_vgpr1
.LBB15_21:
	ds_load_b64 v[0:1], v36
.LBB15_22:
	s_and_saveexec_b32 s4, s0
	s_cbranch_execz .LBB15_24
; %bb.23:
	v_mov_b32_e32 v43, 0
	ds_load_b64 v[38:39], v41 offset:112
	ds_load_b64 v[44:45], v43 offset:240
	s_wait_dscnt 0x0
	v_pk_mul_f32 v[46:47], v[44:45], v[38:39] op_sel:[1,1] op_sel_hi:[0,1]
	s_delay_alu instid0(VALU_DEP_1) | instskip(SKIP_1) | instid1(VALU_DEP_2)
	v_pk_fma_f32 v[48:49], v[44:45], v[38:39], v[46:47] op_sel_hi:[1,0,1]
	v_pk_fma_f32 v[38:39], v[44:45], v[38:39], v[46:47] neg_lo:[0,0,1] neg_hi:[0,0,1]
	v_mov_b32_e32 v39, v49
	s_delay_alu instid0(VALU_DEP_1)
	v_pk_add_f32 v[0:1], v[0:1], v[38:39]
.LBB15_24:
	s_or_b32 exec_lo, exec_lo, s4
	v_mov_b32_e32 v38, 0
	ds_load_b64 v[38:39], v38 offset:104
	s_wait_dscnt 0x0
	v_pk_mul_f32 v[44:45], v[0:1], v[38:39] op_sel:[1,1] op_sel_hi:[0,1]
	s_delay_alu instid0(VALU_DEP_1) | instskip(SKIP_1) | instid1(VALU_DEP_2)
	v_pk_fma_f32 v[46:47], v[0:1], v[38:39], v[44:45] op_sel_hi:[1,0,1]
	v_pk_fma_f32 v[0:1], v[0:1], v[38:39], v[44:45] neg_lo:[0,0,1] neg_hi:[0,0,1]
	v_mov_b32_e32 v1, v47
	ds_store_b64 v41, v[0:1] offset:104
.LBB15_25:
	s_or_b32 exec_lo, exec_lo, s2
	ds_load_b64 v[0:1], v41 offset:96
	v_cmp_lt_u32_e64 s0, 12, v40
	s_wait_dscnt 0x0
	ds_store_b64 v36, v[0:1]
	s_wait_dscnt 0x0
	s_barrier_signal -1
	s_barrier_wait -1
	s_and_saveexec_b32 s2, s0
	s_cbranch_execz .LBB15_35
; %bb.26:
	s_and_not1_b32 vcc_lo, exec_lo, s3
	s_cbranch_vccnz .LBB15_28
; %bb.27:
	ds_load_b64 v[0:1], v37
	ds_load_b64 v[38:39], v36
	s_wait_dscnt 0x0
	v_pk_mul_f32 v[44:45], v[38:39], v[0:1] op_sel:[1,1] op_sel_hi:[0,1]
	s_delay_alu instid0(VALU_DEP_1) | instskip(SKIP_1) | instid1(VALU_DEP_2)
	v_pk_fma_f32 v[46:47], v[38:39], v[0:1], v[44:45] op_sel_hi:[1,0,1]
	v_pk_fma_f32 v[0:1], v[38:39], v[0:1], v[44:45] neg_lo:[0,0,1] neg_hi:[0,0,1]
	v_mov_b32_e32 v1, v47
	s_cbranch_execz .LBB15_29
	s_branch .LBB15_30
.LBB15_28:
                                        ; implicit-def: $vgpr0_vgpr1
.LBB15_29:
	ds_load_b64 v[0:1], v36
.LBB15_30:
	s_and_saveexec_b32 s4, s1
	s_cbranch_execz .LBB15_34
; %bb.31:
	v_add_nc_u32_e32 v38, -13, v40
	v_lshl_add_u32 v39, v42, 7, 0x168
	s_movk_i32 s5, 0xe8
	s_mov_b32 s1, 0
.LBB15_32:                              ; =>This Inner Loop Header: Depth=1
	s_delay_alu instid0(VALU_DEP_2)
	v_dual_mov_b32 v43, s5 :: v_dual_add_nc_u32 v38, -1, v38
	s_add_co_i32 s5, s5, 8
	ds_load_b64 v[44:45], v39
	ds_load_b64 v[46:47], v43
	v_add_nc_u32_e32 v39, 8, v39
	v_cmp_eq_u32_e32 vcc_lo, 0, v38
	s_or_b32 s1, vcc_lo, s1
	s_wait_dscnt 0x0
	v_pk_mul_f32 v[48:49], v[46:47], v[44:45] op_sel:[1,1] op_sel_hi:[0,1]
	s_delay_alu instid0(VALU_DEP_1) | instskip(SKIP_1) | instid1(VALU_DEP_2)
	v_pk_fma_f32 v[50:51], v[46:47], v[44:45], v[48:49] op_sel_hi:[1,0,1]
	v_pk_fma_f32 v[44:45], v[46:47], v[44:45], v[48:49] neg_lo:[0,0,1] neg_hi:[0,0,1]
	v_mov_b32_e32 v45, v51
	s_delay_alu instid0(VALU_DEP_1)
	v_pk_add_f32 v[0:1], v[0:1], v[44:45]
	s_and_not1_b32 exec_lo, exec_lo, s1
	s_cbranch_execnz .LBB15_32
; %bb.33:
	s_or_b32 exec_lo, exec_lo, s1
.LBB15_34:
	s_delay_alu instid0(SALU_CYCLE_1) | instskip(SKIP_4) | instid1(VALU_DEP_1)
	s_or_b32 exec_lo, exec_lo, s4
	v_mov_b32_e32 v38, 0
	ds_load_b64 v[38:39], v38 offset:96
	s_wait_dscnt 0x0
	v_pk_mul_f32 v[44:45], v[0:1], v[38:39] op_sel:[1,1] op_sel_hi:[0,1]
	v_pk_fma_f32 v[46:47], v[0:1], v[38:39], v[44:45] op_sel_hi:[1,0,1]
	v_pk_fma_f32 v[0:1], v[0:1], v[38:39], v[44:45] neg_lo:[0,0,1] neg_hi:[0,0,1]
	s_delay_alu instid0(VALU_DEP_2)
	v_mov_b32_e32 v1, v47
	ds_store_b64 v41, v[0:1] offset:96
.LBB15_35:
	s_or_b32 exec_lo, exec_lo, s2
	ds_load_b64 v[0:1], v41 offset:88
	v_cmp_lt_u32_e64 s1, 11, v40
	s_wait_dscnt 0x0
	ds_store_b64 v36, v[0:1]
	s_wait_dscnt 0x0
	s_barrier_signal -1
	s_barrier_wait -1
	s_and_saveexec_b32 s2, s1
	s_cbranch_execz .LBB15_45
; %bb.36:
	s_and_not1_b32 vcc_lo, exec_lo, s3
	s_cbranch_vccnz .LBB15_38
; %bb.37:
	ds_load_b64 v[0:1], v37
	ds_load_b64 v[38:39], v36
	s_wait_dscnt 0x0
	v_pk_mul_f32 v[44:45], v[38:39], v[0:1] op_sel:[1,1] op_sel_hi:[0,1]
	s_delay_alu instid0(VALU_DEP_1) | instskip(SKIP_1) | instid1(VALU_DEP_2)
	v_pk_fma_f32 v[46:47], v[38:39], v[0:1], v[44:45] op_sel_hi:[1,0,1]
	v_pk_fma_f32 v[0:1], v[38:39], v[0:1], v[44:45] neg_lo:[0,0,1] neg_hi:[0,0,1]
	v_mov_b32_e32 v1, v47
	s_cbranch_execz .LBB15_39
	s_branch .LBB15_40
.LBB15_38:
                                        ; implicit-def: $vgpr0_vgpr1
.LBB15_39:
	ds_load_b64 v[0:1], v36
.LBB15_40:
	s_and_saveexec_b32 s4, s0
	s_cbranch_execz .LBB15_44
; %bb.41:
	v_add_nc_u32_e32 v38, -12, v40
	v_lshl_add_u32 v39, v42, 7, 0x160
	s_movk_i32 s5, 0xe0
	s_mov_b32 s0, 0
.LBB15_42:                              ; =>This Inner Loop Header: Depth=1
	s_delay_alu instid0(VALU_DEP_2)
	v_dual_mov_b32 v43, s5 :: v_dual_add_nc_u32 v38, -1, v38
	s_add_co_i32 s5, s5, 8
	ds_load_b64 v[44:45], v39
	ds_load_b64 v[46:47], v43
	v_add_nc_u32_e32 v39, 8, v39
	v_cmp_eq_u32_e32 vcc_lo, 0, v38
	s_or_b32 s0, vcc_lo, s0
	s_wait_dscnt 0x0
	v_pk_mul_f32 v[48:49], v[46:47], v[44:45] op_sel:[1,1] op_sel_hi:[0,1]
	s_delay_alu instid0(VALU_DEP_1) | instskip(SKIP_1) | instid1(VALU_DEP_2)
	v_pk_fma_f32 v[50:51], v[46:47], v[44:45], v[48:49] op_sel_hi:[1,0,1]
	v_pk_fma_f32 v[44:45], v[46:47], v[44:45], v[48:49] neg_lo:[0,0,1] neg_hi:[0,0,1]
	v_mov_b32_e32 v45, v51
	s_delay_alu instid0(VALU_DEP_1)
	v_pk_add_f32 v[0:1], v[0:1], v[44:45]
	s_and_not1_b32 exec_lo, exec_lo, s0
	s_cbranch_execnz .LBB15_42
; %bb.43:
	s_or_b32 exec_lo, exec_lo, s0
.LBB15_44:
	s_delay_alu instid0(SALU_CYCLE_1) | instskip(SKIP_4) | instid1(VALU_DEP_1)
	s_or_b32 exec_lo, exec_lo, s4
	v_mov_b32_e32 v38, 0
	ds_load_b64 v[38:39], v38 offset:88
	s_wait_dscnt 0x0
	v_pk_mul_f32 v[44:45], v[0:1], v[38:39] op_sel:[1,1] op_sel_hi:[0,1]
	v_pk_fma_f32 v[46:47], v[0:1], v[38:39], v[44:45] op_sel_hi:[1,0,1]
	v_pk_fma_f32 v[0:1], v[0:1], v[38:39], v[44:45] neg_lo:[0,0,1] neg_hi:[0,0,1]
	s_delay_alu instid0(VALU_DEP_2)
	v_mov_b32_e32 v1, v47
	ds_store_b64 v41, v[0:1] offset:88
.LBB15_45:
	s_or_b32 exec_lo, exec_lo, s2
	ds_load_b64 v[0:1], v41 offset:80
	v_cmp_lt_u32_e64 s0, 10, v40
	s_wait_dscnt 0x0
	ds_store_b64 v36, v[0:1]
	s_wait_dscnt 0x0
	s_barrier_signal -1
	s_barrier_wait -1
	s_and_saveexec_b32 s2, s0
	s_cbranch_execz .LBB15_55
; %bb.46:
	s_and_not1_b32 vcc_lo, exec_lo, s3
	s_cbranch_vccnz .LBB15_48
; %bb.47:
	ds_load_b64 v[0:1], v37
	ds_load_b64 v[38:39], v36
	s_wait_dscnt 0x0
	v_pk_mul_f32 v[44:45], v[38:39], v[0:1] op_sel:[1,1] op_sel_hi:[0,1]
	s_delay_alu instid0(VALU_DEP_1) | instskip(SKIP_1) | instid1(VALU_DEP_2)
	v_pk_fma_f32 v[46:47], v[38:39], v[0:1], v[44:45] op_sel_hi:[1,0,1]
	v_pk_fma_f32 v[0:1], v[38:39], v[0:1], v[44:45] neg_lo:[0,0,1] neg_hi:[0,0,1]
	v_mov_b32_e32 v1, v47
	s_cbranch_execz .LBB15_49
	s_branch .LBB15_50
.LBB15_48:
                                        ; implicit-def: $vgpr0_vgpr1
.LBB15_49:
	ds_load_b64 v[0:1], v36
.LBB15_50:
	s_and_saveexec_b32 s4, s1
	s_cbranch_execz .LBB15_54
; %bb.51:
	v_add_nc_u32_e32 v38, -11, v40
	v_lshl_add_u32 v39, v42, 7, 0x158
	s_movk_i32 s5, 0xd8
	s_mov_b32 s1, 0
.LBB15_52:                              ; =>This Inner Loop Header: Depth=1
	s_delay_alu instid0(VALU_DEP_2)
	v_dual_mov_b32 v43, s5 :: v_dual_add_nc_u32 v38, -1, v38
	s_add_co_i32 s5, s5, 8
	ds_load_b64 v[44:45], v39
	ds_load_b64 v[46:47], v43
	v_add_nc_u32_e32 v39, 8, v39
	v_cmp_eq_u32_e32 vcc_lo, 0, v38
	s_or_b32 s1, vcc_lo, s1
	s_wait_dscnt 0x0
	v_pk_mul_f32 v[48:49], v[46:47], v[44:45] op_sel:[1,1] op_sel_hi:[0,1]
	s_delay_alu instid0(VALU_DEP_1) | instskip(SKIP_1) | instid1(VALU_DEP_2)
	v_pk_fma_f32 v[50:51], v[46:47], v[44:45], v[48:49] op_sel_hi:[1,0,1]
	v_pk_fma_f32 v[44:45], v[46:47], v[44:45], v[48:49] neg_lo:[0,0,1] neg_hi:[0,0,1]
	v_mov_b32_e32 v45, v51
	s_delay_alu instid0(VALU_DEP_1)
	v_pk_add_f32 v[0:1], v[0:1], v[44:45]
	s_and_not1_b32 exec_lo, exec_lo, s1
	s_cbranch_execnz .LBB15_52
; %bb.53:
	s_or_b32 exec_lo, exec_lo, s1
.LBB15_54:
	s_delay_alu instid0(SALU_CYCLE_1) | instskip(SKIP_4) | instid1(VALU_DEP_1)
	s_or_b32 exec_lo, exec_lo, s4
	v_mov_b32_e32 v38, 0
	ds_load_b64 v[38:39], v38 offset:80
	s_wait_dscnt 0x0
	v_pk_mul_f32 v[44:45], v[0:1], v[38:39] op_sel:[1,1] op_sel_hi:[0,1]
	v_pk_fma_f32 v[46:47], v[0:1], v[38:39], v[44:45] op_sel_hi:[1,0,1]
	v_pk_fma_f32 v[0:1], v[0:1], v[38:39], v[44:45] neg_lo:[0,0,1] neg_hi:[0,0,1]
	s_delay_alu instid0(VALU_DEP_2)
	v_mov_b32_e32 v1, v47
	ds_store_b64 v41, v[0:1] offset:80
.LBB15_55:
	s_or_b32 exec_lo, exec_lo, s2
	ds_load_b64 v[0:1], v41 offset:72
	v_cmp_lt_u32_e64 s1, 9, v40
	s_wait_dscnt 0x0
	ds_store_b64 v36, v[0:1]
	s_wait_dscnt 0x0
	s_barrier_signal -1
	s_barrier_wait -1
	s_and_saveexec_b32 s2, s1
	s_cbranch_execz .LBB15_65
; %bb.56:
	s_and_not1_b32 vcc_lo, exec_lo, s3
	s_cbranch_vccnz .LBB15_58
; %bb.57:
	ds_load_b64 v[0:1], v37
	ds_load_b64 v[38:39], v36
	s_wait_dscnt 0x0
	v_pk_mul_f32 v[44:45], v[38:39], v[0:1] op_sel:[1,1] op_sel_hi:[0,1]
	s_delay_alu instid0(VALU_DEP_1) | instskip(SKIP_1) | instid1(VALU_DEP_2)
	v_pk_fma_f32 v[46:47], v[38:39], v[0:1], v[44:45] op_sel_hi:[1,0,1]
	v_pk_fma_f32 v[0:1], v[38:39], v[0:1], v[44:45] neg_lo:[0,0,1] neg_hi:[0,0,1]
	v_mov_b32_e32 v1, v47
	s_cbranch_execz .LBB15_59
	s_branch .LBB15_60
.LBB15_58:
                                        ; implicit-def: $vgpr0_vgpr1
.LBB15_59:
	ds_load_b64 v[0:1], v36
.LBB15_60:
	s_and_saveexec_b32 s4, s0
	s_cbranch_execz .LBB15_64
; %bb.61:
	v_add_nc_u32_e32 v38, -10, v40
	v_lshl_add_u32 v39, v42, 7, 0x150
	s_movk_i32 s5, 0xd0
	s_mov_b32 s0, 0
.LBB15_62:                              ; =>This Inner Loop Header: Depth=1
	s_delay_alu instid0(VALU_DEP_2)
	v_dual_mov_b32 v43, s5 :: v_dual_add_nc_u32 v38, -1, v38
	s_add_co_i32 s5, s5, 8
	ds_load_b64 v[44:45], v39
	ds_load_b64 v[46:47], v43
	v_add_nc_u32_e32 v39, 8, v39
	v_cmp_eq_u32_e32 vcc_lo, 0, v38
	s_or_b32 s0, vcc_lo, s0
	s_wait_dscnt 0x0
	v_pk_mul_f32 v[48:49], v[46:47], v[44:45] op_sel:[1,1] op_sel_hi:[0,1]
	s_delay_alu instid0(VALU_DEP_1) | instskip(SKIP_1) | instid1(VALU_DEP_2)
	v_pk_fma_f32 v[50:51], v[46:47], v[44:45], v[48:49] op_sel_hi:[1,0,1]
	v_pk_fma_f32 v[44:45], v[46:47], v[44:45], v[48:49] neg_lo:[0,0,1] neg_hi:[0,0,1]
	v_mov_b32_e32 v45, v51
	s_delay_alu instid0(VALU_DEP_1)
	v_pk_add_f32 v[0:1], v[0:1], v[44:45]
	s_and_not1_b32 exec_lo, exec_lo, s0
	s_cbranch_execnz .LBB15_62
; %bb.63:
	s_or_b32 exec_lo, exec_lo, s0
.LBB15_64:
	s_delay_alu instid0(SALU_CYCLE_1) | instskip(SKIP_4) | instid1(VALU_DEP_1)
	s_or_b32 exec_lo, exec_lo, s4
	v_mov_b32_e32 v38, 0
	ds_load_b64 v[38:39], v38 offset:72
	s_wait_dscnt 0x0
	v_pk_mul_f32 v[44:45], v[0:1], v[38:39] op_sel:[1,1] op_sel_hi:[0,1]
	v_pk_fma_f32 v[46:47], v[0:1], v[38:39], v[44:45] op_sel_hi:[1,0,1]
	v_pk_fma_f32 v[0:1], v[0:1], v[38:39], v[44:45] neg_lo:[0,0,1] neg_hi:[0,0,1]
	s_delay_alu instid0(VALU_DEP_2)
	v_mov_b32_e32 v1, v47
	ds_store_b64 v41, v[0:1] offset:72
.LBB15_65:
	s_or_b32 exec_lo, exec_lo, s2
	ds_load_b64 v[0:1], v41 offset:64
	v_cmp_lt_u32_e64 s0, 8, v40
	s_wait_dscnt 0x0
	ds_store_b64 v36, v[0:1]
	s_wait_dscnt 0x0
	s_barrier_signal -1
	s_barrier_wait -1
	s_and_saveexec_b32 s2, s0
	s_cbranch_execz .LBB15_75
; %bb.66:
	s_and_not1_b32 vcc_lo, exec_lo, s3
	s_cbranch_vccnz .LBB15_68
; %bb.67:
	ds_load_b64 v[0:1], v37
	ds_load_b64 v[38:39], v36
	s_wait_dscnt 0x0
	v_pk_mul_f32 v[44:45], v[38:39], v[0:1] op_sel:[1,1] op_sel_hi:[0,1]
	s_delay_alu instid0(VALU_DEP_1) | instskip(SKIP_1) | instid1(VALU_DEP_2)
	v_pk_fma_f32 v[46:47], v[38:39], v[0:1], v[44:45] op_sel_hi:[1,0,1]
	v_pk_fma_f32 v[0:1], v[38:39], v[0:1], v[44:45] neg_lo:[0,0,1] neg_hi:[0,0,1]
	v_mov_b32_e32 v1, v47
	s_cbranch_execz .LBB15_69
	s_branch .LBB15_70
.LBB15_68:
                                        ; implicit-def: $vgpr0_vgpr1
.LBB15_69:
	ds_load_b64 v[0:1], v36
.LBB15_70:
	s_and_saveexec_b32 s4, s1
	s_cbranch_execz .LBB15_74
; %bb.71:
	v_add_nc_u32_e32 v38, -9, v40
	v_lshl_add_u32 v39, v42, 7, 0x148
	s_movk_i32 s5, 0xc8
	s_mov_b32 s1, 0
.LBB15_72:                              ; =>This Inner Loop Header: Depth=1
	s_delay_alu instid0(VALU_DEP_2)
	v_dual_mov_b32 v43, s5 :: v_dual_add_nc_u32 v38, -1, v38
	s_add_co_i32 s5, s5, 8
	ds_load_b64 v[44:45], v39
	ds_load_b64 v[46:47], v43
	v_add_nc_u32_e32 v39, 8, v39
	v_cmp_eq_u32_e32 vcc_lo, 0, v38
	s_or_b32 s1, vcc_lo, s1
	s_wait_dscnt 0x0
	v_pk_mul_f32 v[48:49], v[46:47], v[44:45] op_sel:[1,1] op_sel_hi:[0,1]
	s_delay_alu instid0(VALU_DEP_1) | instskip(SKIP_1) | instid1(VALU_DEP_2)
	v_pk_fma_f32 v[50:51], v[46:47], v[44:45], v[48:49] op_sel_hi:[1,0,1]
	v_pk_fma_f32 v[44:45], v[46:47], v[44:45], v[48:49] neg_lo:[0,0,1] neg_hi:[0,0,1]
	v_mov_b32_e32 v45, v51
	s_delay_alu instid0(VALU_DEP_1)
	v_pk_add_f32 v[0:1], v[0:1], v[44:45]
	s_and_not1_b32 exec_lo, exec_lo, s1
	s_cbranch_execnz .LBB15_72
; %bb.73:
	s_or_b32 exec_lo, exec_lo, s1
.LBB15_74:
	s_delay_alu instid0(SALU_CYCLE_1) | instskip(SKIP_4) | instid1(VALU_DEP_1)
	s_or_b32 exec_lo, exec_lo, s4
	v_mov_b32_e32 v38, 0
	ds_load_b64 v[38:39], v38 offset:64
	s_wait_dscnt 0x0
	v_pk_mul_f32 v[44:45], v[0:1], v[38:39] op_sel:[1,1] op_sel_hi:[0,1]
	v_pk_fma_f32 v[46:47], v[0:1], v[38:39], v[44:45] op_sel_hi:[1,0,1]
	v_pk_fma_f32 v[0:1], v[0:1], v[38:39], v[44:45] neg_lo:[0,0,1] neg_hi:[0,0,1]
	s_delay_alu instid0(VALU_DEP_2)
	v_mov_b32_e32 v1, v47
	ds_store_b64 v41, v[0:1] offset:64
.LBB15_75:
	s_or_b32 exec_lo, exec_lo, s2
	ds_load_b64 v[0:1], v41 offset:56
	v_cmp_lt_u32_e64 s1, 7, v40
	s_wait_dscnt 0x0
	ds_store_b64 v36, v[0:1]
	s_wait_dscnt 0x0
	s_barrier_signal -1
	s_barrier_wait -1
	s_and_saveexec_b32 s2, s1
	s_cbranch_execz .LBB15_85
; %bb.76:
	s_and_not1_b32 vcc_lo, exec_lo, s3
	s_cbranch_vccnz .LBB15_78
; %bb.77:
	ds_load_b64 v[0:1], v37
	ds_load_b64 v[38:39], v36
	s_wait_dscnt 0x0
	v_pk_mul_f32 v[44:45], v[38:39], v[0:1] op_sel:[1,1] op_sel_hi:[0,1]
	s_delay_alu instid0(VALU_DEP_1) | instskip(SKIP_1) | instid1(VALU_DEP_2)
	v_pk_fma_f32 v[46:47], v[38:39], v[0:1], v[44:45] op_sel_hi:[1,0,1]
	v_pk_fma_f32 v[0:1], v[38:39], v[0:1], v[44:45] neg_lo:[0,0,1] neg_hi:[0,0,1]
	v_mov_b32_e32 v1, v47
	s_cbranch_execz .LBB15_79
	s_branch .LBB15_80
.LBB15_78:
                                        ; implicit-def: $vgpr0_vgpr1
.LBB15_79:
	ds_load_b64 v[0:1], v36
.LBB15_80:
	s_and_saveexec_b32 s4, s0
	s_cbranch_execz .LBB15_84
; %bb.81:
	v_add_nc_u32_e32 v38, -8, v40
	v_lshl_add_u32 v39, v42, 7, 0x140
	s_movk_i32 s5, 0xc0
	s_mov_b32 s0, 0
.LBB15_82:                              ; =>This Inner Loop Header: Depth=1
	s_delay_alu instid0(VALU_DEP_2)
	v_dual_mov_b32 v43, s5 :: v_dual_add_nc_u32 v38, -1, v38
	s_add_co_i32 s5, s5, 8
	ds_load_b64 v[44:45], v39
	ds_load_b64 v[46:47], v43
	v_add_nc_u32_e32 v39, 8, v39
	v_cmp_eq_u32_e32 vcc_lo, 0, v38
	s_or_b32 s0, vcc_lo, s0
	s_wait_dscnt 0x0
	v_pk_mul_f32 v[48:49], v[46:47], v[44:45] op_sel:[1,1] op_sel_hi:[0,1]
	s_delay_alu instid0(VALU_DEP_1) | instskip(SKIP_1) | instid1(VALU_DEP_2)
	v_pk_fma_f32 v[50:51], v[46:47], v[44:45], v[48:49] op_sel_hi:[1,0,1]
	v_pk_fma_f32 v[44:45], v[46:47], v[44:45], v[48:49] neg_lo:[0,0,1] neg_hi:[0,0,1]
	v_mov_b32_e32 v45, v51
	s_delay_alu instid0(VALU_DEP_1)
	v_pk_add_f32 v[0:1], v[0:1], v[44:45]
	s_and_not1_b32 exec_lo, exec_lo, s0
	s_cbranch_execnz .LBB15_82
; %bb.83:
	s_or_b32 exec_lo, exec_lo, s0
.LBB15_84:
	s_delay_alu instid0(SALU_CYCLE_1) | instskip(SKIP_4) | instid1(VALU_DEP_1)
	s_or_b32 exec_lo, exec_lo, s4
	v_mov_b32_e32 v38, 0
	ds_load_b64 v[38:39], v38 offset:56
	s_wait_dscnt 0x0
	v_pk_mul_f32 v[44:45], v[0:1], v[38:39] op_sel:[1,1] op_sel_hi:[0,1]
	v_pk_fma_f32 v[46:47], v[0:1], v[38:39], v[44:45] op_sel_hi:[1,0,1]
	v_pk_fma_f32 v[0:1], v[0:1], v[38:39], v[44:45] neg_lo:[0,0,1] neg_hi:[0,0,1]
	s_delay_alu instid0(VALU_DEP_2)
	v_mov_b32_e32 v1, v47
	ds_store_b64 v41, v[0:1] offset:56
.LBB15_85:
	s_or_b32 exec_lo, exec_lo, s2
	ds_load_b64 v[0:1], v41 offset:48
	v_cmp_lt_u32_e64 s0, 6, v40
	s_wait_dscnt 0x0
	ds_store_b64 v36, v[0:1]
	s_wait_dscnt 0x0
	s_barrier_signal -1
	s_barrier_wait -1
	s_and_saveexec_b32 s2, s0
	s_cbranch_execz .LBB15_95
; %bb.86:
	s_and_not1_b32 vcc_lo, exec_lo, s3
	s_cbranch_vccnz .LBB15_88
; %bb.87:
	ds_load_b64 v[0:1], v37
	ds_load_b64 v[38:39], v36
	s_wait_dscnt 0x0
	v_pk_mul_f32 v[44:45], v[38:39], v[0:1] op_sel:[1,1] op_sel_hi:[0,1]
	s_delay_alu instid0(VALU_DEP_1) | instskip(SKIP_1) | instid1(VALU_DEP_2)
	v_pk_fma_f32 v[46:47], v[38:39], v[0:1], v[44:45] op_sel_hi:[1,0,1]
	v_pk_fma_f32 v[0:1], v[38:39], v[0:1], v[44:45] neg_lo:[0,0,1] neg_hi:[0,0,1]
	v_mov_b32_e32 v1, v47
	s_cbranch_execz .LBB15_89
	s_branch .LBB15_90
.LBB15_88:
                                        ; implicit-def: $vgpr0_vgpr1
.LBB15_89:
	ds_load_b64 v[0:1], v36
.LBB15_90:
	s_and_saveexec_b32 s4, s1
	s_cbranch_execz .LBB15_94
; %bb.91:
	v_add_nc_u32_e32 v38, -7, v40
	v_lshl_add_u32 v39, v42, 7, 0x138
	s_movk_i32 s5, 0xb8
	s_mov_b32 s1, 0
.LBB15_92:                              ; =>This Inner Loop Header: Depth=1
	s_delay_alu instid0(VALU_DEP_2)
	v_dual_mov_b32 v43, s5 :: v_dual_add_nc_u32 v38, -1, v38
	s_add_co_i32 s5, s5, 8
	ds_load_b64 v[44:45], v39
	ds_load_b64 v[46:47], v43
	v_add_nc_u32_e32 v39, 8, v39
	v_cmp_eq_u32_e32 vcc_lo, 0, v38
	s_or_b32 s1, vcc_lo, s1
	s_wait_dscnt 0x0
	v_pk_mul_f32 v[48:49], v[46:47], v[44:45] op_sel:[1,1] op_sel_hi:[0,1]
	s_delay_alu instid0(VALU_DEP_1) | instskip(SKIP_1) | instid1(VALU_DEP_2)
	v_pk_fma_f32 v[50:51], v[46:47], v[44:45], v[48:49] op_sel_hi:[1,0,1]
	v_pk_fma_f32 v[44:45], v[46:47], v[44:45], v[48:49] neg_lo:[0,0,1] neg_hi:[0,0,1]
	v_mov_b32_e32 v45, v51
	s_delay_alu instid0(VALU_DEP_1)
	v_pk_add_f32 v[0:1], v[0:1], v[44:45]
	s_and_not1_b32 exec_lo, exec_lo, s1
	s_cbranch_execnz .LBB15_92
; %bb.93:
	s_or_b32 exec_lo, exec_lo, s1
.LBB15_94:
	s_delay_alu instid0(SALU_CYCLE_1) | instskip(SKIP_4) | instid1(VALU_DEP_1)
	s_or_b32 exec_lo, exec_lo, s4
	v_mov_b32_e32 v38, 0
	ds_load_b64 v[38:39], v38 offset:48
	s_wait_dscnt 0x0
	v_pk_mul_f32 v[44:45], v[0:1], v[38:39] op_sel:[1,1] op_sel_hi:[0,1]
	v_pk_fma_f32 v[46:47], v[0:1], v[38:39], v[44:45] op_sel_hi:[1,0,1]
	v_pk_fma_f32 v[0:1], v[0:1], v[38:39], v[44:45] neg_lo:[0,0,1] neg_hi:[0,0,1]
	s_delay_alu instid0(VALU_DEP_2)
	v_mov_b32_e32 v1, v47
	ds_store_b64 v41, v[0:1] offset:48
.LBB15_95:
	s_or_b32 exec_lo, exec_lo, s2
	ds_load_b64 v[0:1], v41 offset:40
	v_cmp_lt_u32_e64 s1, 5, v40
	s_wait_dscnt 0x0
	ds_store_b64 v36, v[0:1]
	s_wait_dscnt 0x0
	s_barrier_signal -1
	s_barrier_wait -1
	s_and_saveexec_b32 s2, s1
	s_cbranch_execz .LBB15_105
; %bb.96:
	s_and_not1_b32 vcc_lo, exec_lo, s3
	s_cbranch_vccnz .LBB15_98
; %bb.97:
	ds_load_b64 v[0:1], v37
	ds_load_b64 v[38:39], v36
	s_wait_dscnt 0x0
	v_pk_mul_f32 v[44:45], v[38:39], v[0:1] op_sel:[1,1] op_sel_hi:[0,1]
	s_delay_alu instid0(VALU_DEP_1) | instskip(SKIP_1) | instid1(VALU_DEP_2)
	v_pk_fma_f32 v[46:47], v[38:39], v[0:1], v[44:45] op_sel_hi:[1,0,1]
	v_pk_fma_f32 v[0:1], v[38:39], v[0:1], v[44:45] neg_lo:[0,0,1] neg_hi:[0,0,1]
	v_mov_b32_e32 v1, v47
	s_cbranch_execz .LBB15_99
	s_branch .LBB15_100
.LBB15_98:
                                        ; implicit-def: $vgpr0_vgpr1
.LBB15_99:
	ds_load_b64 v[0:1], v36
.LBB15_100:
	s_and_saveexec_b32 s4, s0
	s_cbranch_execz .LBB15_104
; %bb.101:
	v_add_nc_u32_e32 v38, -6, v40
	v_lshl_add_u32 v39, v42, 7, 0x130
	s_movk_i32 s5, 0xb0
	s_mov_b32 s0, 0
.LBB15_102:                             ; =>This Inner Loop Header: Depth=1
	s_delay_alu instid0(VALU_DEP_2)
	v_dual_mov_b32 v43, s5 :: v_dual_add_nc_u32 v38, -1, v38
	s_add_co_i32 s5, s5, 8
	ds_load_b64 v[44:45], v39
	ds_load_b64 v[46:47], v43
	v_add_nc_u32_e32 v39, 8, v39
	v_cmp_eq_u32_e32 vcc_lo, 0, v38
	s_or_b32 s0, vcc_lo, s0
	s_wait_dscnt 0x0
	v_pk_mul_f32 v[48:49], v[46:47], v[44:45] op_sel:[1,1] op_sel_hi:[0,1]
	s_delay_alu instid0(VALU_DEP_1) | instskip(SKIP_1) | instid1(VALU_DEP_2)
	v_pk_fma_f32 v[50:51], v[46:47], v[44:45], v[48:49] op_sel_hi:[1,0,1]
	v_pk_fma_f32 v[44:45], v[46:47], v[44:45], v[48:49] neg_lo:[0,0,1] neg_hi:[0,0,1]
	v_mov_b32_e32 v45, v51
	s_delay_alu instid0(VALU_DEP_1)
	v_pk_add_f32 v[0:1], v[0:1], v[44:45]
	s_and_not1_b32 exec_lo, exec_lo, s0
	s_cbranch_execnz .LBB15_102
; %bb.103:
	s_or_b32 exec_lo, exec_lo, s0
.LBB15_104:
	s_delay_alu instid0(SALU_CYCLE_1) | instskip(SKIP_4) | instid1(VALU_DEP_1)
	s_or_b32 exec_lo, exec_lo, s4
	v_mov_b32_e32 v38, 0
	ds_load_b64 v[38:39], v38 offset:40
	s_wait_dscnt 0x0
	v_pk_mul_f32 v[44:45], v[0:1], v[38:39] op_sel:[1,1] op_sel_hi:[0,1]
	v_pk_fma_f32 v[46:47], v[0:1], v[38:39], v[44:45] op_sel_hi:[1,0,1]
	v_pk_fma_f32 v[0:1], v[0:1], v[38:39], v[44:45] neg_lo:[0,0,1] neg_hi:[0,0,1]
	s_delay_alu instid0(VALU_DEP_2)
	v_mov_b32_e32 v1, v47
	ds_store_b64 v41, v[0:1] offset:40
.LBB15_105:
	s_or_b32 exec_lo, exec_lo, s2
	ds_load_b64 v[0:1], v41 offset:32
	v_cmp_lt_u32_e64 s0, 4, v40
	s_wait_dscnt 0x0
	ds_store_b64 v36, v[0:1]
	s_wait_dscnt 0x0
	s_barrier_signal -1
	s_barrier_wait -1
	s_and_saveexec_b32 s2, s0
	s_cbranch_execz .LBB15_115
; %bb.106:
	s_and_not1_b32 vcc_lo, exec_lo, s3
	s_cbranch_vccnz .LBB15_108
; %bb.107:
	ds_load_b64 v[0:1], v37
	ds_load_b64 v[38:39], v36
	s_wait_dscnt 0x0
	v_pk_mul_f32 v[44:45], v[38:39], v[0:1] op_sel:[1,1] op_sel_hi:[0,1]
	s_delay_alu instid0(VALU_DEP_1) | instskip(SKIP_1) | instid1(VALU_DEP_2)
	v_pk_fma_f32 v[46:47], v[38:39], v[0:1], v[44:45] op_sel_hi:[1,0,1]
	v_pk_fma_f32 v[0:1], v[38:39], v[0:1], v[44:45] neg_lo:[0,0,1] neg_hi:[0,0,1]
	v_mov_b32_e32 v1, v47
	s_cbranch_execz .LBB15_109
	s_branch .LBB15_110
.LBB15_108:
                                        ; implicit-def: $vgpr0_vgpr1
.LBB15_109:
	ds_load_b64 v[0:1], v36
.LBB15_110:
	s_and_saveexec_b32 s4, s1
	s_cbranch_execz .LBB15_114
; %bb.111:
	v_add_nc_u32_e32 v38, -5, v40
	v_lshl_add_u32 v39, v42, 7, 0x128
	s_movk_i32 s5, 0xa8
	s_mov_b32 s1, 0
.LBB15_112:                             ; =>This Inner Loop Header: Depth=1
	s_delay_alu instid0(VALU_DEP_2)
	v_dual_mov_b32 v43, s5 :: v_dual_add_nc_u32 v38, -1, v38
	s_add_co_i32 s5, s5, 8
	ds_load_b64 v[44:45], v39
	ds_load_b64 v[46:47], v43
	v_add_nc_u32_e32 v39, 8, v39
	v_cmp_eq_u32_e32 vcc_lo, 0, v38
	s_or_b32 s1, vcc_lo, s1
	s_wait_dscnt 0x0
	v_pk_mul_f32 v[48:49], v[46:47], v[44:45] op_sel:[1,1] op_sel_hi:[0,1]
	s_delay_alu instid0(VALU_DEP_1) | instskip(SKIP_1) | instid1(VALU_DEP_2)
	v_pk_fma_f32 v[50:51], v[46:47], v[44:45], v[48:49] op_sel_hi:[1,0,1]
	v_pk_fma_f32 v[44:45], v[46:47], v[44:45], v[48:49] neg_lo:[0,0,1] neg_hi:[0,0,1]
	v_mov_b32_e32 v45, v51
	s_delay_alu instid0(VALU_DEP_1)
	v_pk_add_f32 v[0:1], v[0:1], v[44:45]
	s_and_not1_b32 exec_lo, exec_lo, s1
	s_cbranch_execnz .LBB15_112
; %bb.113:
	s_or_b32 exec_lo, exec_lo, s1
.LBB15_114:
	s_delay_alu instid0(SALU_CYCLE_1) | instskip(SKIP_4) | instid1(VALU_DEP_1)
	s_or_b32 exec_lo, exec_lo, s4
	v_mov_b32_e32 v38, 0
	ds_load_b64 v[38:39], v38 offset:32
	s_wait_dscnt 0x0
	v_pk_mul_f32 v[44:45], v[0:1], v[38:39] op_sel:[1,1] op_sel_hi:[0,1]
	v_pk_fma_f32 v[46:47], v[0:1], v[38:39], v[44:45] op_sel_hi:[1,0,1]
	v_pk_fma_f32 v[0:1], v[0:1], v[38:39], v[44:45] neg_lo:[0,0,1] neg_hi:[0,0,1]
	s_delay_alu instid0(VALU_DEP_2)
	v_mov_b32_e32 v1, v47
	ds_store_b64 v41, v[0:1] offset:32
.LBB15_115:
	s_or_b32 exec_lo, exec_lo, s2
	ds_load_b64 v[0:1], v41 offset:24
	v_cmp_lt_u32_e64 s1, 3, v40
	s_wait_dscnt 0x0
	ds_store_b64 v36, v[0:1]
	s_wait_dscnt 0x0
	s_barrier_signal -1
	s_barrier_wait -1
	s_and_saveexec_b32 s2, s1
	s_cbranch_execz .LBB15_125
; %bb.116:
	s_and_not1_b32 vcc_lo, exec_lo, s3
	s_cbranch_vccnz .LBB15_118
; %bb.117:
	ds_load_b64 v[0:1], v37
	ds_load_b64 v[38:39], v36
	s_wait_dscnt 0x0
	v_pk_mul_f32 v[44:45], v[38:39], v[0:1] op_sel:[1,1] op_sel_hi:[0,1]
	s_delay_alu instid0(VALU_DEP_1) | instskip(SKIP_1) | instid1(VALU_DEP_2)
	v_pk_fma_f32 v[46:47], v[38:39], v[0:1], v[44:45] op_sel_hi:[1,0,1]
	v_pk_fma_f32 v[0:1], v[38:39], v[0:1], v[44:45] neg_lo:[0,0,1] neg_hi:[0,0,1]
	v_mov_b32_e32 v1, v47
	s_cbranch_execz .LBB15_119
	s_branch .LBB15_120
.LBB15_118:
                                        ; implicit-def: $vgpr0_vgpr1
.LBB15_119:
	ds_load_b64 v[0:1], v36
.LBB15_120:
	s_and_saveexec_b32 s4, s0
	s_cbranch_execz .LBB15_124
; %bb.121:
	v_add_nc_u32_e32 v38, -4, v40
	v_lshl_add_u32 v39, v42, 7, 0x120
	s_movk_i32 s5, 0xa0
	s_mov_b32 s0, 0
.LBB15_122:                             ; =>This Inner Loop Header: Depth=1
	s_delay_alu instid0(VALU_DEP_2)
	v_dual_mov_b32 v43, s5 :: v_dual_add_nc_u32 v38, -1, v38
	s_add_co_i32 s5, s5, 8
	ds_load_b64 v[44:45], v39
	ds_load_b64 v[46:47], v43
	v_add_nc_u32_e32 v39, 8, v39
	v_cmp_eq_u32_e32 vcc_lo, 0, v38
	s_or_b32 s0, vcc_lo, s0
	s_wait_dscnt 0x0
	v_pk_mul_f32 v[48:49], v[46:47], v[44:45] op_sel:[1,1] op_sel_hi:[0,1]
	s_delay_alu instid0(VALU_DEP_1) | instskip(SKIP_1) | instid1(VALU_DEP_2)
	v_pk_fma_f32 v[50:51], v[46:47], v[44:45], v[48:49] op_sel_hi:[1,0,1]
	v_pk_fma_f32 v[44:45], v[46:47], v[44:45], v[48:49] neg_lo:[0,0,1] neg_hi:[0,0,1]
	v_mov_b32_e32 v45, v51
	s_delay_alu instid0(VALU_DEP_1)
	v_pk_add_f32 v[0:1], v[0:1], v[44:45]
	s_and_not1_b32 exec_lo, exec_lo, s0
	s_cbranch_execnz .LBB15_122
; %bb.123:
	s_or_b32 exec_lo, exec_lo, s0
.LBB15_124:
	s_delay_alu instid0(SALU_CYCLE_1) | instskip(SKIP_4) | instid1(VALU_DEP_1)
	s_or_b32 exec_lo, exec_lo, s4
	v_mov_b32_e32 v38, 0
	ds_load_b64 v[38:39], v38 offset:24
	s_wait_dscnt 0x0
	v_pk_mul_f32 v[44:45], v[0:1], v[38:39] op_sel:[1,1] op_sel_hi:[0,1]
	v_pk_fma_f32 v[46:47], v[0:1], v[38:39], v[44:45] op_sel_hi:[1,0,1]
	v_pk_fma_f32 v[0:1], v[0:1], v[38:39], v[44:45] neg_lo:[0,0,1] neg_hi:[0,0,1]
	s_delay_alu instid0(VALU_DEP_2)
	v_mov_b32_e32 v1, v47
	ds_store_b64 v41, v[0:1] offset:24
.LBB15_125:
	s_or_b32 exec_lo, exec_lo, s2
	ds_load_b64 v[0:1], v41 offset:16
	v_cmp_lt_u32_e64 s2, 2, v40
	s_wait_dscnt 0x0
	ds_store_b64 v36, v[0:1]
	s_wait_dscnt 0x0
	s_barrier_signal -1
	s_barrier_wait -1
	s_and_saveexec_b32 s0, s2
	s_cbranch_execz .LBB15_135
; %bb.126:
	s_and_not1_b32 vcc_lo, exec_lo, s3
	s_cbranch_vccnz .LBB15_128
; %bb.127:
	ds_load_b64 v[0:1], v37
	ds_load_b64 v[38:39], v36
	s_wait_dscnt 0x0
	v_pk_mul_f32 v[44:45], v[38:39], v[0:1] op_sel:[1,1] op_sel_hi:[0,1]
	s_delay_alu instid0(VALU_DEP_1) | instskip(SKIP_1) | instid1(VALU_DEP_2)
	v_pk_fma_f32 v[46:47], v[38:39], v[0:1], v[44:45] op_sel_hi:[1,0,1]
	v_pk_fma_f32 v[0:1], v[38:39], v[0:1], v[44:45] neg_lo:[0,0,1] neg_hi:[0,0,1]
	v_mov_b32_e32 v1, v47
	s_cbranch_execz .LBB15_129
	s_branch .LBB15_130
.LBB15_128:
                                        ; implicit-def: $vgpr0_vgpr1
.LBB15_129:
	ds_load_b64 v[0:1], v36
.LBB15_130:
	s_and_saveexec_b32 s4, s1
	s_cbranch_execz .LBB15_134
; %bb.131:
	v_add_nc_u32_e32 v38, -3, v40
	v_lshl_add_u32 v39, v42, 7, 0x118
	s_movk_i32 s5, 0x98
	s_mov_b32 s1, 0
.LBB15_132:                             ; =>This Inner Loop Header: Depth=1
	s_delay_alu instid0(VALU_DEP_2)
	v_dual_mov_b32 v43, s5 :: v_dual_add_nc_u32 v38, -1, v38
	s_add_co_i32 s5, s5, 8
	ds_load_b64 v[44:45], v39
	ds_load_b64 v[46:47], v43
	v_add_nc_u32_e32 v39, 8, v39
	v_cmp_eq_u32_e32 vcc_lo, 0, v38
	s_or_b32 s1, vcc_lo, s1
	s_wait_dscnt 0x0
	v_pk_mul_f32 v[48:49], v[46:47], v[44:45] op_sel:[1,1] op_sel_hi:[0,1]
	s_delay_alu instid0(VALU_DEP_1) | instskip(SKIP_1) | instid1(VALU_DEP_2)
	v_pk_fma_f32 v[50:51], v[46:47], v[44:45], v[48:49] op_sel_hi:[1,0,1]
	v_pk_fma_f32 v[44:45], v[46:47], v[44:45], v[48:49] neg_lo:[0,0,1] neg_hi:[0,0,1]
	v_mov_b32_e32 v45, v51
	s_delay_alu instid0(VALU_DEP_1)
	v_pk_add_f32 v[0:1], v[0:1], v[44:45]
	s_and_not1_b32 exec_lo, exec_lo, s1
	s_cbranch_execnz .LBB15_132
; %bb.133:
	s_or_b32 exec_lo, exec_lo, s1
.LBB15_134:
	s_delay_alu instid0(SALU_CYCLE_1) | instskip(SKIP_4) | instid1(VALU_DEP_1)
	s_or_b32 exec_lo, exec_lo, s4
	v_mov_b32_e32 v38, 0
	ds_load_b64 v[38:39], v38 offset:16
	s_wait_dscnt 0x0
	v_pk_mul_f32 v[44:45], v[0:1], v[38:39] op_sel:[1,1] op_sel_hi:[0,1]
	v_pk_fma_f32 v[46:47], v[0:1], v[38:39], v[44:45] op_sel_hi:[1,0,1]
	v_pk_fma_f32 v[0:1], v[0:1], v[38:39], v[44:45] neg_lo:[0,0,1] neg_hi:[0,0,1]
	s_delay_alu instid0(VALU_DEP_2)
	v_mov_b32_e32 v1, v47
	ds_store_b64 v41, v[0:1] offset:16
.LBB15_135:
	s_or_b32 exec_lo, exec_lo, s0
	ds_load_b64 v[0:1], v41 offset:8
	v_cmp_lt_u32_e64 s0, 1, v40
	s_wait_dscnt 0x0
	ds_store_b64 v36, v[0:1]
	s_wait_dscnt 0x0
	s_barrier_signal -1
	s_barrier_wait -1
	s_and_saveexec_b32 s1, s0
	s_cbranch_execz .LBB15_145
; %bb.136:
	s_and_not1_b32 vcc_lo, exec_lo, s3
	s_cbranch_vccnz .LBB15_138
; %bb.137:
	ds_load_b64 v[0:1], v37
	ds_load_b64 v[38:39], v36
	s_wait_dscnt 0x0
	v_pk_mul_f32 v[44:45], v[38:39], v[0:1] op_sel:[1,1] op_sel_hi:[0,1]
	s_delay_alu instid0(VALU_DEP_1) | instskip(SKIP_1) | instid1(VALU_DEP_2)
	v_pk_fma_f32 v[46:47], v[38:39], v[0:1], v[44:45] op_sel_hi:[1,0,1]
	v_pk_fma_f32 v[0:1], v[38:39], v[0:1], v[44:45] neg_lo:[0,0,1] neg_hi:[0,0,1]
	v_mov_b32_e32 v1, v47
	s_cbranch_execz .LBB15_139
	s_branch .LBB15_140
.LBB15_138:
                                        ; implicit-def: $vgpr0_vgpr1
.LBB15_139:
	ds_load_b64 v[0:1], v36
.LBB15_140:
	s_and_saveexec_b32 s4, s2
	s_cbranch_execz .LBB15_144
; %bb.141:
	v_add_nc_u32_e32 v38, -2, v40
	v_lshl_add_u32 v39, v42, 7, 0x110
	s_movk_i32 s5, 0x90
	s_mov_b32 s2, 0
.LBB15_142:                             ; =>This Inner Loop Header: Depth=1
	s_delay_alu instid0(VALU_DEP_2)
	v_dual_mov_b32 v43, s5 :: v_dual_add_nc_u32 v38, -1, v38
	s_add_co_i32 s5, s5, 8
	ds_load_b64 v[44:45], v39
	ds_load_b64 v[46:47], v43
	v_add_nc_u32_e32 v39, 8, v39
	v_cmp_eq_u32_e32 vcc_lo, 0, v38
	s_or_b32 s2, vcc_lo, s2
	s_wait_dscnt 0x0
	v_pk_mul_f32 v[48:49], v[46:47], v[44:45] op_sel:[1,1] op_sel_hi:[0,1]
	s_delay_alu instid0(VALU_DEP_1) | instskip(SKIP_1) | instid1(VALU_DEP_2)
	v_pk_fma_f32 v[50:51], v[46:47], v[44:45], v[48:49] op_sel_hi:[1,0,1]
	v_pk_fma_f32 v[44:45], v[46:47], v[44:45], v[48:49] neg_lo:[0,0,1] neg_hi:[0,0,1]
	v_mov_b32_e32 v45, v51
	s_delay_alu instid0(VALU_DEP_1)
	v_pk_add_f32 v[0:1], v[0:1], v[44:45]
	s_and_not1_b32 exec_lo, exec_lo, s2
	s_cbranch_execnz .LBB15_142
; %bb.143:
	s_or_b32 exec_lo, exec_lo, s2
.LBB15_144:
	s_delay_alu instid0(SALU_CYCLE_1) | instskip(SKIP_4) | instid1(VALU_DEP_1)
	s_or_b32 exec_lo, exec_lo, s4
	v_mov_b32_e32 v38, 0
	ds_load_b64 v[38:39], v38 offset:8
	s_wait_dscnt 0x0
	v_pk_mul_f32 v[44:45], v[0:1], v[38:39] op_sel:[1,1] op_sel_hi:[0,1]
	v_pk_fma_f32 v[46:47], v[0:1], v[38:39], v[44:45] op_sel_hi:[1,0,1]
	v_pk_fma_f32 v[0:1], v[0:1], v[38:39], v[44:45] neg_lo:[0,0,1] neg_hi:[0,0,1]
	s_delay_alu instid0(VALU_DEP_2)
	v_mov_b32_e32 v1, v47
	ds_store_b64 v41, v[0:1] offset:8
.LBB15_145:
	s_or_b32 exec_lo, exec_lo, s1
	ds_load_b64 v[0:1], v41
	s_mov_b32 s2, 0
	s_mov_b32 s1, 0
	s_mov_b32 s4, exec_lo
                                        ; implicit-def: $vgpr39
                                        ; implicit-def: $vgpr43
	s_wait_dscnt 0x0
	ds_store_b64 v36, v[0:1]
	s_wait_dscnt 0x0
	s_barrier_signal -1
	s_barrier_wait -1
	v_cmpx_ne_u32_e32 0, v40
	s_cbranch_execz .LBB15_155
; %bb.146:
	s_and_not1_b32 vcc_lo, exec_lo, s3
	s_cbranch_vccnz .LBB15_148
; %bb.147:
	ds_load_b64 v[38:39], v37
	ds_load_b64 v[44:45], v36
	s_wait_dscnt 0x0
	v_dual_mul_f32 v0, v45, v39 :: v_dual_mul_f32 v1, v44, v39
	s_delay_alu instid0(VALU_DEP_1)
	v_dual_fma_f32 v0, v44, v38, -v0 :: v_dual_fmac_f32 v1, v45, v38
	s_and_not1_b32 vcc_lo, exec_lo, s1
	s_cbranch_vccz .LBB15_149
	s_branch .LBB15_150
.LBB15_148:
                                        ; implicit-def: $vgpr0
.LBB15_149:
	ds_load_b64 v[0:1], v36
.LBB15_150:
	s_and_saveexec_b32 s1, s0
	s_cbranch_execz .LBB15_154
; %bb.151:
	v_add_nc_u32_e32 v38, -1, v40
	v_lshl_add_u32 v39, v42, 7, 0x108
	s_movk_i32 s5, 0x88
	s_mov_b32 s0, 0
.LBB15_152:                             ; =>This Inner Loop Header: Depth=1
	v_mov_b32_e32 v44, s5
	s_add_co_i32 s5, s5, 8
	ds_load_b64 v[42:43], v39
	ds_load_b64 v[44:45], v44
	v_add_nc_u32_e32 v38, -1, v38
	s_delay_alu instid0(VALU_DEP_1) | instskip(SKIP_3) | instid1(VALU_DEP_1)
	v_cmp_eq_u32_e32 vcc_lo, 0, v38
	s_or_b32 s0, vcc_lo, s0
	s_wait_dscnt 0x0
	v_dual_mul_f32 v46, v45, v43 :: v_dual_mul_f32 v43, v44, v43
	v_dual_fma_f32 v44, v44, v42, -v46 :: v_dual_fmac_f32 v43, v45, v42
	s_delay_alu instid0(VALU_DEP_1) | instskip(NEXT) | instid1(VALU_DEP_2)
	v_dual_add_f32 v0, v0, v44 :: v_dual_add_nc_u32 v39, 8, v39
	v_add_f32_e32 v1, v1, v43
	s_and_not1_b32 exec_lo, exec_lo, s0
	s_cbranch_execnz .LBB15_152
; %bb.153:
	s_or_b32 exec_lo, exec_lo, s0
.LBB15_154:
	s_delay_alu instid0(SALU_CYCLE_1)
	s_or_b32 exec_lo, exec_lo, s1
	v_mov_b32_e32 v38, 0
	s_mov_b32 s1, exec_lo
	v_add_nc_u32_e32 v43, 4, v41
	ds_load_b64 v[38:39], v38
	s_wait_dscnt 0x0
	v_dual_mul_f32 v42, v1, v39 :: v_dual_mul_f32 v39, v0, v39
	s_delay_alu instid0(VALU_DEP_1)
	v_dual_fma_f32 v0, v0, v38, -v42 :: v_dual_fmac_f32 v39, v1, v38
	ds_store_b32 v41, v0
.LBB15_155:
	s_or_b32 exec_lo, exec_lo, s4
	s_delay_alu instid0(SALU_CYCLE_1)
	s_and_b32 vcc_lo, exec_lo, s2
	s_cbranch_vccz .LBB15_301
.LBB15_156:
	ds_load_b64 v[0:1], v41 offset:8
	v_cmp_eq_u32_e64 s0, 0, v40
	s_wait_dscnt 0x0
	ds_store_b64 v36, v[0:1]
	s_wait_dscnt 0x0
	s_barrier_signal -1
	s_barrier_wait -1
	s_and_saveexec_b32 s2, s0
	s_cbranch_execz .LBB15_162
; %bb.157:
	s_and_b32 vcc_lo, exec_lo, s3
	s_cbranch_vccz .LBB15_159
; %bb.158:
	ds_load_b64 v[0:1], v37
	ds_load_b64 v[38:39], v36
	s_wait_dscnt 0x0
	v_pk_mul_f32 v[42:43], v[38:39], v[0:1] op_sel:[1,1] op_sel_hi:[0,1]
	v_pk_mul_f32 v[44:45], v[38:39], v[0:1] op_sel_hi:[1,0]
	s_delay_alu instid0(VALU_DEP_2) | instskip(NEXT) | instid1(VALU_DEP_2)
	v_pk_fma_f32 v[0:1], v[38:39], v[0:1], v[42:43] op_sel_hi:[1,0,1]
	v_sub_f32_e32 v0, v44, v42
	s_cbranch_execz .LBB15_160
	s_branch .LBB15_161
.LBB15_159:
                                        ; implicit-def: $vgpr1
.LBB15_160:
	ds_load_b64 v[0:1], v36
.LBB15_161:
	s_wait_dscnt 0x0
	v_dual_mov_b32 v38, 0 :: v_dual_mov_b32 v42, v1
	v_mov_b32_e32 v43, v0
	ds_load_b64 v[38:39], v38 offset:8
	s_wait_dscnt 0x0
	v_pk_mul_f32 v[42:43], v[42:43], v[38:39] op_sel:[0,1]
	s_delay_alu instid0(VALU_DEP_1) | instskip(SKIP_1) | instid1(VALU_DEP_2)
	v_pk_fma_f32 v[44:45], v[0:1], v[38:39], v[42:43] op_sel_hi:[1,0,1]
	v_pk_fma_f32 v[0:1], v[0:1], v[38:39], v[42:43] neg_lo:[0,0,1] neg_hi:[0,0,1]
	v_mov_b32_e32 v1, v45
	ds_store_b64 v41, v[0:1] offset:8
.LBB15_162:
	s_or_b32 exec_lo, exec_lo, s2
	ds_load_b64 v[0:1], v41 offset:16
	v_cndmask_b32_e64 v38, 0, 1, s3
	s_mov_b32 s2, exec_lo
	s_wait_dscnt 0x0
	ds_store_b64 v36, v[0:1]
	s_wait_dscnt 0x0
	s_barrier_signal -1
	s_barrier_wait -1
	v_cmpx_gt_u32_e32 2, v40
	s_cbranch_execz .LBB15_170
; %bb.163:
	s_and_not1_b32 vcc_lo, exec_lo, s3
	s_cbranch_vccnz .LBB15_165
; %bb.164:
	ds_load_b64 v[0:1], v37
	ds_load_b64 v[42:43], v36
	s_wait_dscnt 0x0
	v_pk_mul_f32 v[44:45], v[42:43], v[0:1] op_sel:[1,1] op_sel_hi:[0,1]
	s_delay_alu instid0(VALU_DEP_1) | instskip(SKIP_1) | instid1(VALU_DEP_2)
	v_pk_fma_f32 v[46:47], v[42:43], v[0:1], v[44:45] op_sel_hi:[1,0,1]
	v_pk_fma_f32 v[0:1], v[42:43], v[0:1], v[44:45] neg_lo:[0,0,1] neg_hi:[0,0,1]
	v_mov_b32_e32 v1, v47
	s_cbranch_execz .LBB15_166
	s_branch .LBB15_167
.LBB15_165:
                                        ; implicit-def: $vgpr0_vgpr1
.LBB15_166:
	ds_load_b64 v[0:1], v36
.LBB15_167:
	s_and_saveexec_b32 s3, s0
	s_cbranch_execz .LBB15_169
; %bb.168:
	v_mov_b32_e32 v39, 0
	ds_load_b64 v[42:43], v41 offset:8
	ds_load_b64 v[44:45], v39 offset:136
	s_wait_dscnt 0x0
	v_pk_mul_f32 v[46:47], v[44:45], v[42:43] op_sel:[1,1] op_sel_hi:[0,1]
	s_delay_alu instid0(VALU_DEP_1) | instskip(SKIP_1) | instid1(VALU_DEP_2)
	v_pk_fma_f32 v[48:49], v[44:45], v[42:43], v[46:47] op_sel_hi:[1,0,1]
	v_pk_fma_f32 v[42:43], v[44:45], v[42:43], v[46:47] neg_lo:[0,0,1] neg_hi:[0,0,1]
	v_mov_b32_e32 v43, v49
	s_delay_alu instid0(VALU_DEP_1)
	v_pk_add_f32 v[0:1], v[0:1], v[42:43]
.LBB15_169:
	s_or_b32 exec_lo, exec_lo, s3
	v_mov_b32_e32 v39, 0
	ds_load_b64 v[42:43], v39 offset:16
	s_wait_dscnt 0x0
	v_pk_mul_f32 v[44:45], v[0:1], v[42:43] op_sel:[1,1] op_sel_hi:[0,1]
	s_delay_alu instid0(VALU_DEP_1) | instskip(SKIP_1) | instid1(VALU_DEP_2)
	v_pk_fma_f32 v[46:47], v[0:1], v[42:43], v[44:45] op_sel_hi:[1,0,1]
	v_pk_fma_f32 v[0:1], v[0:1], v[42:43], v[44:45] neg_lo:[0,0,1] neg_hi:[0,0,1]
	v_mov_b32_e32 v1, v47
	ds_store_b64 v41, v[0:1] offset:16
.LBB15_170:
	s_or_b32 exec_lo, exec_lo, s2
	ds_load_b64 v[0:1], v41 offset:24
	s_mov_b32 s2, exec_lo
	s_wait_dscnt 0x0
	ds_store_b64 v36, v[0:1]
	s_wait_dscnt 0x0
	s_barrier_signal -1
	s_barrier_wait -1
	v_cmpx_gt_u32_e32 3, v40
	s_cbranch_execz .LBB15_180
; %bb.171:
	v_cmp_ne_u32_e32 vcc_lo, 1, v38
	s_cbranch_vccnz .LBB15_173
; %bb.172:
	ds_load_b64 v[0:1], v37
	ds_load_b64 v[42:43], v36
	s_wait_dscnt 0x0
	v_pk_mul_f32 v[44:45], v[42:43], v[0:1] op_sel:[1,1] op_sel_hi:[0,1]
	s_delay_alu instid0(VALU_DEP_1) | instskip(SKIP_1) | instid1(VALU_DEP_2)
	v_pk_fma_f32 v[46:47], v[42:43], v[0:1], v[44:45] op_sel_hi:[1,0,1]
	v_pk_fma_f32 v[0:1], v[42:43], v[0:1], v[44:45] neg_lo:[0,0,1] neg_hi:[0,0,1]
	v_mov_b32_e32 v1, v47
	s_cbranch_execz .LBB15_174
	s_branch .LBB15_175
.LBB15_173:
                                        ; implicit-def: $vgpr0_vgpr1
.LBB15_174:
	ds_load_b64 v[0:1], v36
.LBB15_175:
	s_mov_b32 s3, exec_lo
	v_cmpx_ne_u32_e32 2, v40
	s_cbranch_execz .LBB15_179
; %bb.176:
	ds_load_b64 v[42:43], v37 offset:8
	ds_load_b64 v[44:45], v36 offset:8
	s_wait_dscnt 0x0
	v_pk_mul_f32 v[46:47], v[44:45], v[42:43] op_sel:[1,1] op_sel_hi:[0,1]
	s_delay_alu instid0(VALU_DEP_1) | instskip(SKIP_1) | instid1(VALU_DEP_2)
	v_pk_fma_f32 v[48:49], v[44:45], v[42:43], v[46:47] op_sel_hi:[1,0,1]
	v_pk_fma_f32 v[42:43], v[44:45], v[42:43], v[46:47] neg_lo:[0,0,1] neg_hi:[0,0,1]
	v_mov_b32_e32 v43, v49
	s_delay_alu instid0(VALU_DEP_1)
	v_pk_add_f32 v[0:1], v[0:1], v[42:43]
	s_and_saveexec_b32 s4, s0
	s_cbranch_execz .LBB15_178
; %bb.177:
	v_mov_b32_e32 v39, 0
	ds_load_b64 v[42:43], v39 offset:144
	ds_load_b64 v[44:45], v41 offset:16
	s_wait_dscnt 0x0
	v_pk_mul_f32 v[46:47], v[42:43], v[44:45] op_sel:[1,1] op_sel_hi:[0,1]
	s_delay_alu instid0(VALU_DEP_1) | instskip(SKIP_1) | instid1(VALU_DEP_2)
	v_pk_fma_f32 v[48:49], v[42:43], v[44:45], v[46:47] op_sel_hi:[1,0,1]
	v_pk_fma_f32 v[42:43], v[42:43], v[44:45], v[46:47] neg_lo:[0,0,1] neg_hi:[0,0,1]
	v_mov_b32_e32 v43, v49
	s_delay_alu instid0(VALU_DEP_1)
	v_pk_add_f32 v[0:1], v[0:1], v[42:43]
.LBB15_178:
	s_or_b32 exec_lo, exec_lo, s4
.LBB15_179:
	s_delay_alu instid0(SALU_CYCLE_1) | instskip(SKIP_4) | instid1(VALU_DEP_1)
	s_or_b32 exec_lo, exec_lo, s3
	v_mov_b32_e32 v39, 0
	ds_load_b64 v[42:43], v39 offset:24
	s_wait_dscnt 0x0
	v_pk_mul_f32 v[44:45], v[0:1], v[42:43] op_sel:[1,1] op_sel_hi:[0,1]
	v_pk_fma_f32 v[46:47], v[0:1], v[42:43], v[44:45] op_sel_hi:[1,0,1]
	v_pk_fma_f32 v[0:1], v[0:1], v[42:43], v[44:45] neg_lo:[0,0,1] neg_hi:[0,0,1]
	s_delay_alu instid0(VALU_DEP_2)
	v_mov_b32_e32 v1, v47
	ds_store_b64 v41, v[0:1] offset:24
.LBB15_180:
	s_or_b32 exec_lo, exec_lo, s2
	ds_load_b64 v[0:1], v41 offset:32
	s_mov_b32 s0, exec_lo
	s_wait_dscnt 0x0
	ds_store_b64 v36, v[0:1]
	s_wait_dscnt 0x0
	s_barrier_signal -1
	s_barrier_wait -1
	v_cmpx_gt_u32_e32 4, v40
	s_cbranch_execz .LBB15_190
; %bb.181:
	v_cmp_ne_u32_e32 vcc_lo, 1, v38
	s_cbranch_vccnz .LBB15_183
; %bb.182:
	ds_load_b64 v[0:1], v37
	ds_load_b64 v[42:43], v36
	s_wait_dscnt 0x0
	v_pk_mul_f32 v[44:45], v[42:43], v[0:1] op_sel:[1,1] op_sel_hi:[0,1]
	s_delay_alu instid0(VALU_DEP_1) | instskip(SKIP_1) | instid1(VALU_DEP_2)
	v_pk_fma_f32 v[46:47], v[42:43], v[0:1], v[44:45] op_sel_hi:[1,0,1]
	v_pk_fma_f32 v[0:1], v[42:43], v[0:1], v[44:45] neg_lo:[0,0,1] neg_hi:[0,0,1]
	v_mov_b32_e32 v1, v47
	s_cbranch_execz .LBB15_184
	s_branch .LBB15_185
.LBB15_183:
                                        ; implicit-def: $vgpr0_vgpr1
.LBB15_184:
	ds_load_b64 v[0:1], v36
.LBB15_185:
	s_mov_b32 s2, exec_lo
	v_cmpx_ne_u32_e32 3, v40
	s_cbranch_execz .LBB15_189
; %bb.186:
	v_add_nc_u32_e32 v39, 0x88, v34
	v_add3_u32 v42, v35, v34, 0x108
	v_mov_b32_e32 v43, v40
	s_mov_b32 s3, 0
.LBB15_187:                             ; =>This Inner Loop Header: Depth=1
	ds_load_b64 v[44:45], v42
	ds_load_b64 v[46:47], v39
	v_dual_add_nc_u32 v39, 8, v39 :: v_dual_add_nc_u32 v42, 8, v42
	s_wait_dscnt 0x0
	v_pk_mul_f32 v[48:49], v[46:47], v[44:45] op_sel:[1,1] op_sel_hi:[0,1]
	s_delay_alu instid0(VALU_DEP_1) | instskip(SKIP_2) | instid1(VALU_DEP_3)
	v_pk_fma_f32 v[50:51], v[46:47], v[44:45], v[48:49] op_sel_hi:[1,0,1]
	v_add_nc_u32_e32 v43, 1, v43
	v_pk_fma_f32 v[44:45], v[46:47], v[44:45], v[48:49] neg_lo:[0,0,1] neg_hi:[0,0,1]
	v_mov_b32_e32 v45, v51
	s_delay_alu instid0(VALU_DEP_3) | instskip(NEXT) | instid1(VALU_DEP_2)
	v_cmp_lt_u32_e32 vcc_lo, 2, v43
	v_pk_add_f32 v[0:1], v[0:1], v[44:45]
	s_or_b32 s3, vcc_lo, s3
	s_delay_alu instid0(SALU_CYCLE_1)
	s_and_not1_b32 exec_lo, exec_lo, s3
	s_cbranch_execnz .LBB15_187
; %bb.188:
	s_or_b32 exec_lo, exec_lo, s3
.LBB15_189:
	s_delay_alu instid0(SALU_CYCLE_1) | instskip(SKIP_4) | instid1(VALU_DEP_1)
	s_or_b32 exec_lo, exec_lo, s2
	v_mov_b32_e32 v39, 0
	ds_load_b64 v[42:43], v39 offset:32
	s_wait_dscnt 0x0
	v_pk_mul_f32 v[44:45], v[0:1], v[42:43] op_sel:[1,1] op_sel_hi:[0,1]
	v_pk_fma_f32 v[46:47], v[0:1], v[42:43], v[44:45] op_sel_hi:[1,0,1]
	v_pk_fma_f32 v[0:1], v[0:1], v[42:43], v[44:45] neg_lo:[0,0,1] neg_hi:[0,0,1]
	s_delay_alu instid0(VALU_DEP_2)
	v_mov_b32_e32 v1, v47
	ds_store_b64 v41, v[0:1] offset:32
.LBB15_190:
	s_or_b32 exec_lo, exec_lo, s0
	ds_load_b64 v[0:1], v41 offset:40
	s_mov_b32 s0, exec_lo
	s_wait_dscnt 0x0
	ds_store_b64 v36, v[0:1]
	s_wait_dscnt 0x0
	s_barrier_signal -1
	s_barrier_wait -1
	v_cmpx_gt_u32_e32 5, v40
	s_cbranch_execz .LBB15_200
; %bb.191:
	v_cmp_ne_u32_e32 vcc_lo, 1, v38
	s_cbranch_vccnz .LBB15_193
; %bb.192:
	ds_load_b64 v[0:1], v37
	ds_load_b64 v[42:43], v36
	s_wait_dscnt 0x0
	v_pk_mul_f32 v[44:45], v[42:43], v[0:1] op_sel:[1,1] op_sel_hi:[0,1]
	s_delay_alu instid0(VALU_DEP_1) | instskip(SKIP_1) | instid1(VALU_DEP_2)
	v_pk_fma_f32 v[46:47], v[42:43], v[0:1], v[44:45] op_sel_hi:[1,0,1]
	v_pk_fma_f32 v[0:1], v[42:43], v[0:1], v[44:45] neg_lo:[0,0,1] neg_hi:[0,0,1]
	v_mov_b32_e32 v1, v47
	s_cbranch_execz .LBB15_194
	s_branch .LBB15_195
.LBB15_193:
                                        ; implicit-def: $vgpr0_vgpr1
.LBB15_194:
	ds_load_b64 v[0:1], v36
.LBB15_195:
	s_mov_b32 s2, exec_lo
	v_cmpx_ne_u32_e32 4, v40
	s_cbranch_execz .LBB15_199
; %bb.196:
	v_add_nc_u32_e32 v39, 0x88, v34
	v_add3_u32 v42, v35, v34, 0x108
	v_mov_b32_e32 v43, v40
	s_mov_b32 s3, 0
.LBB15_197:                             ; =>This Inner Loop Header: Depth=1
	ds_load_b64 v[44:45], v42
	ds_load_b64 v[46:47], v39
	v_dual_add_nc_u32 v39, 8, v39 :: v_dual_add_nc_u32 v42, 8, v42
	s_wait_dscnt 0x0
	v_pk_mul_f32 v[48:49], v[46:47], v[44:45] op_sel:[1,1] op_sel_hi:[0,1]
	s_delay_alu instid0(VALU_DEP_1) | instskip(SKIP_2) | instid1(VALU_DEP_3)
	v_pk_fma_f32 v[50:51], v[46:47], v[44:45], v[48:49] op_sel_hi:[1,0,1]
	v_add_nc_u32_e32 v43, 1, v43
	v_pk_fma_f32 v[44:45], v[46:47], v[44:45], v[48:49] neg_lo:[0,0,1] neg_hi:[0,0,1]
	v_mov_b32_e32 v45, v51
	s_delay_alu instid0(VALU_DEP_3) | instskip(NEXT) | instid1(VALU_DEP_2)
	v_cmp_lt_u32_e32 vcc_lo, 3, v43
	v_pk_add_f32 v[0:1], v[0:1], v[44:45]
	s_or_b32 s3, vcc_lo, s3
	s_delay_alu instid0(SALU_CYCLE_1)
	s_and_not1_b32 exec_lo, exec_lo, s3
	s_cbranch_execnz .LBB15_197
; %bb.198:
	s_or_b32 exec_lo, exec_lo, s3
.LBB15_199:
	s_delay_alu instid0(SALU_CYCLE_1) | instskip(SKIP_4) | instid1(VALU_DEP_1)
	s_or_b32 exec_lo, exec_lo, s2
	v_mov_b32_e32 v39, 0
	ds_load_b64 v[42:43], v39 offset:40
	s_wait_dscnt 0x0
	v_pk_mul_f32 v[44:45], v[0:1], v[42:43] op_sel:[1,1] op_sel_hi:[0,1]
	v_pk_fma_f32 v[46:47], v[0:1], v[42:43], v[44:45] op_sel_hi:[1,0,1]
	v_pk_fma_f32 v[0:1], v[0:1], v[42:43], v[44:45] neg_lo:[0,0,1] neg_hi:[0,0,1]
	s_delay_alu instid0(VALU_DEP_2)
	v_mov_b32_e32 v1, v47
	ds_store_b64 v41, v[0:1] offset:40
.LBB15_200:
	s_or_b32 exec_lo, exec_lo, s0
	ds_load_b64 v[0:1], v41 offset:48
	s_mov_b32 s0, exec_lo
	s_wait_dscnt 0x0
	ds_store_b64 v36, v[0:1]
	s_wait_dscnt 0x0
	s_barrier_signal -1
	s_barrier_wait -1
	v_cmpx_gt_u32_e32 6, v40
	s_cbranch_execz .LBB15_210
; %bb.201:
	v_cmp_ne_u32_e32 vcc_lo, 1, v38
	s_cbranch_vccnz .LBB15_203
; %bb.202:
	ds_load_b64 v[0:1], v37
	ds_load_b64 v[42:43], v36
	s_wait_dscnt 0x0
	v_pk_mul_f32 v[44:45], v[42:43], v[0:1] op_sel:[1,1] op_sel_hi:[0,1]
	s_delay_alu instid0(VALU_DEP_1) | instskip(SKIP_1) | instid1(VALU_DEP_2)
	v_pk_fma_f32 v[46:47], v[42:43], v[0:1], v[44:45] op_sel_hi:[1,0,1]
	v_pk_fma_f32 v[0:1], v[42:43], v[0:1], v[44:45] neg_lo:[0,0,1] neg_hi:[0,0,1]
	v_mov_b32_e32 v1, v47
	s_cbranch_execz .LBB15_204
	s_branch .LBB15_205
.LBB15_203:
                                        ; implicit-def: $vgpr0_vgpr1
.LBB15_204:
	ds_load_b64 v[0:1], v36
.LBB15_205:
	s_mov_b32 s2, exec_lo
	v_cmpx_ne_u32_e32 5, v40
	s_cbranch_execz .LBB15_209
; %bb.206:
	v_add_nc_u32_e32 v39, 0x88, v34
	v_add3_u32 v42, v35, v34, 0x108
	v_mov_b32_e32 v43, v40
	s_mov_b32 s3, 0
.LBB15_207:                             ; =>This Inner Loop Header: Depth=1
	ds_load_b64 v[44:45], v42
	ds_load_b64 v[46:47], v39
	v_dual_add_nc_u32 v39, 8, v39 :: v_dual_add_nc_u32 v42, 8, v42
	s_wait_dscnt 0x0
	v_pk_mul_f32 v[48:49], v[46:47], v[44:45] op_sel:[1,1] op_sel_hi:[0,1]
	s_delay_alu instid0(VALU_DEP_1) | instskip(SKIP_2) | instid1(VALU_DEP_3)
	v_pk_fma_f32 v[50:51], v[46:47], v[44:45], v[48:49] op_sel_hi:[1,0,1]
	v_add_nc_u32_e32 v43, 1, v43
	v_pk_fma_f32 v[44:45], v[46:47], v[44:45], v[48:49] neg_lo:[0,0,1] neg_hi:[0,0,1]
	v_mov_b32_e32 v45, v51
	s_delay_alu instid0(VALU_DEP_3) | instskip(NEXT) | instid1(VALU_DEP_2)
	v_cmp_lt_u32_e32 vcc_lo, 4, v43
	v_pk_add_f32 v[0:1], v[0:1], v[44:45]
	s_or_b32 s3, vcc_lo, s3
	s_delay_alu instid0(SALU_CYCLE_1)
	s_and_not1_b32 exec_lo, exec_lo, s3
	s_cbranch_execnz .LBB15_207
; %bb.208:
	s_or_b32 exec_lo, exec_lo, s3
.LBB15_209:
	s_delay_alu instid0(SALU_CYCLE_1) | instskip(SKIP_4) | instid1(VALU_DEP_1)
	s_or_b32 exec_lo, exec_lo, s2
	v_mov_b32_e32 v39, 0
	ds_load_b64 v[42:43], v39 offset:48
	s_wait_dscnt 0x0
	v_pk_mul_f32 v[44:45], v[0:1], v[42:43] op_sel:[1,1] op_sel_hi:[0,1]
	v_pk_fma_f32 v[46:47], v[0:1], v[42:43], v[44:45] op_sel_hi:[1,0,1]
	v_pk_fma_f32 v[0:1], v[0:1], v[42:43], v[44:45] neg_lo:[0,0,1] neg_hi:[0,0,1]
	s_delay_alu instid0(VALU_DEP_2)
	v_mov_b32_e32 v1, v47
	ds_store_b64 v41, v[0:1] offset:48
.LBB15_210:
	s_or_b32 exec_lo, exec_lo, s0
	ds_load_b64 v[0:1], v41 offset:56
	s_mov_b32 s0, exec_lo
	s_wait_dscnt 0x0
	ds_store_b64 v36, v[0:1]
	s_wait_dscnt 0x0
	s_barrier_signal -1
	s_barrier_wait -1
	v_cmpx_gt_u32_e32 7, v40
	s_cbranch_execz .LBB15_220
; %bb.211:
	v_cmp_ne_u32_e32 vcc_lo, 1, v38
	s_cbranch_vccnz .LBB15_213
; %bb.212:
	ds_load_b64 v[0:1], v37
	ds_load_b64 v[42:43], v36
	s_wait_dscnt 0x0
	v_pk_mul_f32 v[44:45], v[42:43], v[0:1] op_sel:[1,1] op_sel_hi:[0,1]
	s_delay_alu instid0(VALU_DEP_1) | instskip(SKIP_1) | instid1(VALU_DEP_2)
	v_pk_fma_f32 v[46:47], v[42:43], v[0:1], v[44:45] op_sel_hi:[1,0,1]
	v_pk_fma_f32 v[0:1], v[42:43], v[0:1], v[44:45] neg_lo:[0,0,1] neg_hi:[0,0,1]
	v_mov_b32_e32 v1, v47
	s_cbranch_execz .LBB15_214
	s_branch .LBB15_215
.LBB15_213:
                                        ; implicit-def: $vgpr0_vgpr1
.LBB15_214:
	ds_load_b64 v[0:1], v36
.LBB15_215:
	s_mov_b32 s2, exec_lo
	v_cmpx_ne_u32_e32 6, v40
	s_cbranch_execz .LBB15_219
; %bb.216:
	v_add_nc_u32_e32 v39, 0x88, v34
	v_add3_u32 v42, v35, v34, 0x108
	v_mov_b32_e32 v43, v40
	s_mov_b32 s3, 0
.LBB15_217:                             ; =>This Inner Loop Header: Depth=1
	ds_load_b64 v[44:45], v42
	ds_load_b64 v[46:47], v39
	v_dual_add_nc_u32 v39, 8, v39 :: v_dual_add_nc_u32 v42, 8, v42
	s_wait_dscnt 0x0
	v_pk_mul_f32 v[48:49], v[46:47], v[44:45] op_sel:[1,1] op_sel_hi:[0,1]
	s_delay_alu instid0(VALU_DEP_1) | instskip(SKIP_2) | instid1(VALU_DEP_3)
	v_pk_fma_f32 v[50:51], v[46:47], v[44:45], v[48:49] op_sel_hi:[1,0,1]
	v_add_nc_u32_e32 v43, 1, v43
	v_pk_fma_f32 v[44:45], v[46:47], v[44:45], v[48:49] neg_lo:[0,0,1] neg_hi:[0,0,1]
	v_mov_b32_e32 v45, v51
	s_delay_alu instid0(VALU_DEP_3) | instskip(NEXT) | instid1(VALU_DEP_2)
	v_cmp_lt_u32_e32 vcc_lo, 5, v43
	v_pk_add_f32 v[0:1], v[0:1], v[44:45]
	s_or_b32 s3, vcc_lo, s3
	s_delay_alu instid0(SALU_CYCLE_1)
	s_and_not1_b32 exec_lo, exec_lo, s3
	s_cbranch_execnz .LBB15_217
; %bb.218:
	s_or_b32 exec_lo, exec_lo, s3
.LBB15_219:
	s_delay_alu instid0(SALU_CYCLE_1) | instskip(SKIP_4) | instid1(VALU_DEP_1)
	s_or_b32 exec_lo, exec_lo, s2
	v_mov_b32_e32 v39, 0
	ds_load_b64 v[42:43], v39 offset:56
	s_wait_dscnt 0x0
	v_pk_mul_f32 v[44:45], v[0:1], v[42:43] op_sel:[1,1] op_sel_hi:[0,1]
	v_pk_fma_f32 v[46:47], v[0:1], v[42:43], v[44:45] op_sel_hi:[1,0,1]
	v_pk_fma_f32 v[0:1], v[0:1], v[42:43], v[44:45] neg_lo:[0,0,1] neg_hi:[0,0,1]
	s_delay_alu instid0(VALU_DEP_2)
	v_mov_b32_e32 v1, v47
	ds_store_b64 v41, v[0:1] offset:56
.LBB15_220:
	s_or_b32 exec_lo, exec_lo, s0
	ds_load_b64 v[0:1], v41 offset:64
	s_mov_b32 s0, exec_lo
	s_wait_dscnt 0x0
	ds_store_b64 v36, v[0:1]
	s_wait_dscnt 0x0
	s_barrier_signal -1
	s_barrier_wait -1
	v_cmpx_gt_u32_e32 8, v40
	s_cbranch_execz .LBB15_230
; %bb.221:
	v_cmp_ne_u32_e32 vcc_lo, 1, v38
	s_cbranch_vccnz .LBB15_223
; %bb.222:
	ds_load_b64 v[0:1], v37
	ds_load_b64 v[42:43], v36
	s_wait_dscnt 0x0
	v_pk_mul_f32 v[44:45], v[42:43], v[0:1] op_sel:[1,1] op_sel_hi:[0,1]
	s_delay_alu instid0(VALU_DEP_1) | instskip(SKIP_1) | instid1(VALU_DEP_2)
	v_pk_fma_f32 v[46:47], v[42:43], v[0:1], v[44:45] op_sel_hi:[1,0,1]
	v_pk_fma_f32 v[0:1], v[42:43], v[0:1], v[44:45] neg_lo:[0,0,1] neg_hi:[0,0,1]
	v_mov_b32_e32 v1, v47
	s_cbranch_execz .LBB15_224
	s_branch .LBB15_225
.LBB15_223:
                                        ; implicit-def: $vgpr0_vgpr1
.LBB15_224:
	ds_load_b64 v[0:1], v36
.LBB15_225:
	s_mov_b32 s2, exec_lo
	v_cmpx_ne_u32_e32 7, v40
	s_cbranch_execz .LBB15_229
; %bb.226:
	v_add_nc_u32_e32 v39, 0x88, v34
	v_add3_u32 v42, v35, v34, 0x108
	v_mov_b32_e32 v43, v40
	s_mov_b32 s3, 0
.LBB15_227:                             ; =>This Inner Loop Header: Depth=1
	ds_load_b64 v[44:45], v42
	ds_load_b64 v[46:47], v39
	v_dual_add_nc_u32 v39, 8, v39 :: v_dual_add_nc_u32 v42, 8, v42
	s_wait_dscnt 0x0
	v_pk_mul_f32 v[48:49], v[46:47], v[44:45] op_sel:[1,1] op_sel_hi:[0,1]
	s_delay_alu instid0(VALU_DEP_1) | instskip(SKIP_2) | instid1(VALU_DEP_3)
	v_pk_fma_f32 v[50:51], v[46:47], v[44:45], v[48:49] op_sel_hi:[1,0,1]
	v_add_nc_u32_e32 v43, 1, v43
	v_pk_fma_f32 v[44:45], v[46:47], v[44:45], v[48:49] neg_lo:[0,0,1] neg_hi:[0,0,1]
	v_mov_b32_e32 v45, v51
	s_delay_alu instid0(VALU_DEP_3) | instskip(NEXT) | instid1(VALU_DEP_2)
	v_cmp_lt_u32_e32 vcc_lo, 6, v43
	v_pk_add_f32 v[0:1], v[0:1], v[44:45]
	s_or_b32 s3, vcc_lo, s3
	s_delay_alu instid0(SALU_CYCLE_1)
	s_and_not1_b32 exec_lo, exec_lo, s3
	s_cbranch_execnz .LBB15_227
; %bb.228:
	s_or_b32 exec_lo, exec_lo, s3
.LBB15_229:
	s_delay_alu instid0(SALU_CYCLE_1) | instskip(SKIP_4) | instid1(VALU_DEP_1)
	s_or_b32 exec_lo, exec_lo, s2
	v_mov_b32_e32 v39, 0
	ds_load_b64 v[42:43], v39 offset:64
	s_wait_dscnt 0x0
	v_pk_mul_f32 v[44:45], v[0:1], v[42:43] op_sel:[1,1] op_sel_hi:[0,1]
	v_pk_fma_f32 v[46:47], v[0:1], v[42:43], v[44:45] op_sel_hi:[1,0,1]
	v_pk_fma_f32 v[0:1], v[0:1], v[42:43], v[44:45] neg_lo:[0,0,1] neg_hi:[0,0,1]
	s_delay_alu instid0(VALU_DEP_2)
	v_mov_b32_e32 v1, v47
	ds_store_b64 v41, v[0:1] offset:64
.LBB15_230:
	s_or_b32 exec_lo, exec_lo, s0
	ds_load_b64 v[0:1], v41 offset:72
	s_mov_b32 s0, exec_lo
	s_wait_dscnt 0x0
	ds_store_b64 v36, v[0:1]
	s_wait_dscnt 0x0
	s_barrier_signal -1
	s_barrier_wait -1
	v_cmpx_gt_u32_e32 9, v40
	s_cbranch_execz .LBB15_240
; %bb.231:
	v_cmp_ne_u32_e32 vcc_lo, 1, v38
	s_cbranch_vccnz .LBB15_233
; %bb.232:
	ds_load_b64 v[0:1], v37
	ds_load_b64 v[42:43], v36
	s_wait_dscnt 0x0
	v_pk_mul_f32 v[44:45], v[42:43], v[0:1] op_sel:[1,1] op_sel_hi:[0,1]
	s_delay_alu instid0(VALU_DEP_1) | instskip(SKIP_1) | instid1(VALU_DEP_2)
	v_pk_fma_f32 v[46:47], v[42:43], v[0:1], v[44:45] op_sel_hi:[1,0,1]
	v_pk_fma_f32 v[0:1], v[42:43], v[0:1], v[44:45] neg_lo:[0,0,1] neg_hi:[0,0,1]
	v_mov_b32_e32 v1, v47
	s_cbranch_execz .LBB15_234
	s_branch .LBB15_235
.LBB15_233:
                                        ; implicit-def: $vgpr0_vgpr1
.LBB15_234:
	ds_load_b64 v[0:1], v36
.LBB15_235:
	s_mov_b32 s2, exec_lo
	v_cmpx_ne_u32_e32 8, v40
	s_cbranch_execz .LBB15_239
; %bb.236:
	v_add_nc_u32_e32 v39, 0x88, v34
	v_add3_u32 v42, v35, v34, 0x108
	v_mov_b32_e32 v43, v40
	s_mov_b32 s3, 0
.LBB15_237:                             ; =>This Inner Loop Header: Depth=1
	ds_load_b64 v[44:45], v42
	ds_load_b64 v[46:47], v39
	v_dual_add_nc_u32 v39, 8, v39 :: v_dual_add_nc_u32 v42, 8, v42
	s_wait_dscnt 0x0
	v_pk_mul_f32 v[48:49], v[46:47], v[44:45] op_sel:[1,1] op_sel_hi:[0,1]
	s_delay_alu instid0(VALU_DEP_1) | instskip(SKIP_2) | instid1(VALU_DEP_3)
	v_pk_fma_f32 v[50:51], v[46:47], v[44:45], v[48:49] op_sel_hi:[1,0,1]
	v_add_nc_u32_e32 v43, 1, v43
	v_pk_fma_f32 v[44:45], v[46:47], v[44:45], v[48:49] neg_lo:[0,0,1] neg_hi:[0,0,1]
	v_mov_b32_e32 v45, v51
	s_delay_alu instid0(VALU_DEP_3) | instskip(NEXT) | instid1(VALU_DEP_2)
	v_cmp_lt_u32_e32 vcc_lo, 7, v43
	v_pk_add_f32 v[0:1], v[0:1], v[44:45]
	s_or_b32 s3, vcc_lo, s3
	s_delay_alu instid0(SALU_CYCLE_1)
	s_and_not1_b32 exec_lo, exec_lo, s3
	s_cbranch_execnz .LBB15_237
; %bb.238:
	s_or_b32 exec_lo, exec_lo, s3
.LBB15_239:
	s_delay_alu instid0(SALU_CYCLE_1) | instskip(SKIP_4) | instid1(VALU_DEP_1)
	s_or_b32 exec_lo, exec_lo, s2
	v_mov_b32_e32 v39, 0
	ds_load_b64 v[42:43], v39 offset:72
	s_wait_dscnt 0x0
	v_pk_mul_f32 v[44:45], v[0:1], v[42:43] op_sel:[1,1] op_sel_hi:[0,1]
	v_pk_fma_f32 v[46:47], v[0:1], v[42:43], v[44:45] op_sel_hi:[1,0,1]
	v_pk_fma_f32 v[0:1], v[0:1], v[42:43], v[44:45] neg_lo:[0,0,1] neg_hi:[0,0,1]
	s_delay_alu instid0(VALU_DEP_2)
	v_mov_b32_e32 v1, v47
	ds_store_b64 v41, v[0:1] offset:72
.LBB15_240:
	s_or_b32 exec_lo, exec_lo, s0
	ds_load_b64 v[0:1], v41 offset:80
	s_mov_b32 s0, exec_lo
	s_wait_dscnt 0x0
	ds_store_b64 v36, v[0:1]
	s_wait_dscnt 0x0
	s_barrier_signal -1
	s_barrier_wait -1
	v_cmpx_gt_u32_e32 10, v40
	s_cbranch_execz .LBB15_250
; %bb.241:
	v_cmp_ne_u32_e32 vcc_lo, 1, v38
	s_cbranch_vccnz .LBB15_243
; %bb.242:
	ds_load_b64 v[0:1], v37
	ds_load_b64 v[42:43], v36
	s_wait_dscnt 0x0
	v_pk_mul_f32 v[44:45], v[42:43], v[0:1] op_sel:[1,1] op_sel_hi:[0,1]
	s_delay_alu instid0(VALU_DEP_1) | instskip(SKIP_1) | instid1(VALU_DEP_2)
	v_pk_fma_f32 v[46:47], v[42:43], v[0:1], v[44:45] op_sel_hi:[1,0,1]
	v_pk_fma_f32 v[0:1], v[42:43], v[0:1], v[44:45] neg_lo:[0,0,1] neg_hi:[0,0,1]
	v_mov_b32_e32 v1, v47
	s_cbranch_execz .LBB15_244
	s_branch .LBB15_245
.LBB15_243:
                                        ; implicit-def: $vgpr0_vgpr1
.LBB15_244:
	ds_load_b64 v[0:1], v36
.LBB15_245:
	s_mov_b32 s2, exec_lo
	v_cmpx_ne_u32_e32 9, v40
	s_cbranch_execz .LBB15_249
; %bb.246:
	v_add_nc_u32_e32 v39, 0x88, v34
	v_add3_u32 v42, v35, v34, 0x108
	v_mov_b32_e32 v43, v40
	s_mov_b32 s3, 0
.LBB15_247:                             ; =>This Inner Loop Header: Depth=1
	ds_load_b64 v[44:45], v42
	ds_load_b64 v[46:47], v39
	v_dual_add_nc_u32 v39, 8, v39 :: v_dual_add_nc_u32 v42, 8, v42
	s_wait_dscnt 0x0
	v_pk_mul_f32 v[48:49], v[46:47], v[44:45] op_sel:[1,1] op_sel_hi:[0,1]
	s_delay_alu instid0(VALU_DEP_1) | instskip(SKIP_2) | instid1(VALU_DEP_3)
	v_pk_fma_f32 v[50:51], v[46:47], v[44:45], v[48:49] op_sel_hi:[1,0,1]
	v_add_nc_u32_e32 v43, 1, v43
	v_pk_fma_f32 v[44:45], v[46:47], v[44:45], v[48:49] neg_lo:[0,0,1] neg_hi:[0,0,1]
	v_mov_b32_e32 v45, v51
	s_delay_alu instid0(VALU_DEP_3) | instskip(NEXT) | instid1(VALU_DEP_2)
	v_cmp_lt_u32_e32 vcc_lo, 8, v43
	v_pk_add_f32 v[0:1], v[0:1], v[44:45]
	s_or_b32 s3, vcc_lo, s3
	s_delay_alu instid0(SALU_CYCLE_1)
	s_and_not1_b32 exec_lo, exec_lo, s3
	s_cbranch_execnz .LBB15_247
; %bb.248:
	s_or_b32 exec_lo, exec_lo, s3
.LBB15_249:
	s_delay_alu instid0(SALU_CYCLE_1) | instskip(SKIP_4) | instid1(VALU_DEP_1)
	s_or_b32 exec_lo, exec_lo, s2
	v_mov_b32_e32 v39, 0
	ds_load_b64 v[42:43], v39 offset:80
	s_wait_dscnt 0x0
	v_pk_mul_f32 v[44:45], v[0:1], v[42:43] op_sel:[1,1] op_sel_hi:[0,1]
	v_pk_fma_f32 v[46:47], v[0:1], v[42:43], v[44:45] op_sel_hi:[1,0,1]
	v_pk_fma_f32 v[0:1], v[0:1], v[42:43], v[44:45] neg_lo:[0,0,1] neg_hi:[0,0,1]
	s_delay_alu instid0(VALU_DEP_2)
	v_mov_b32_e32 v1, v47
	ds_store_b64 v41, v[0:1] offset:80
.LBB15_250:
	s_or_b32 exec_lo, exec_lo, s0
	ds_load_b64 v[0:1], v41 offset:88
	s_mov_b32 s0, exec_lo
	s_wait_dscnt 0x0
	ds_store_b64 v36, v[0:1]
	s_wait_dscnt 0x0
	s_barrier_signal -1
	s_barrier_wait -1
	v_cmpx_gt_u32_e32 11, v40
	s_cbranch_execz .LBB15_260
; %bb.251:
	v_cmp_ne_u32_e32 vcc_lo, 1, v38
	s_cbranch_vccnz .LBB15_253
; %bb.252:
	ds_load_b64 v[0:1], v37
	ds_load_b64 v[42:43], v36
	s_wait_dscnt 0x0
	v_pk_mul_f32 v[44:45], v[42:43], v[0:1] op_sel:[1,1] op_sel_hi:[0,1]
	s_delay_alu instid0(VALU_DEP_1) | instskip(SKIP_1) | instid1(VALU_DEP_2)
	v_pk_fma_f32 v[46:47], v[42:43], v[0:1], v[44:45] op_sel_hi:[1,0,1]
	v_pk_fma_f32 v[0:1], v[42:43], v[0:1], v[44:45] neg_lo:[0,0,1] neg_hi:[0,0,1]
	v_mov_b32_e32 v1, v47
	s_cbranch_execz .LBB15_254
	s_branch .LBB15_255
.LBB15_253:
                                        ; implicit-def: $vgpr0_vgpr1
.LBB15_254:
	ds_load_b64 v[0:1], v36
.LBB15_255:
	s_mov_b32 s2, exec_lo
	v_cmpx_ne_u32_e32 10, v40
	s_cbranch_execz .LBB15_259
; %bb.256:
	v_add_nc_u32_e32 v39, 0x88, v34
	v_add3_u32 v42, v35, v34, 0x108
	v_mov_b32_e32 v43, v40
	s_mov_b32 s3, 0
.LBB15_257:                             ; =>This Inner Loop Header: Depth=1
	ds_load_b64 v[44:45], v42
	ds_load_b64 v[46:47], v39
	v_dual_add_nc_u32 v39, 8, v39 :: v_dual_add_nc_u32 v42, 8, v42
	s_wait_dscnt 0x0
	v_pk_mul_f32 v[48:49], v[46:47], v[44:45] op_sel:[1,1] op_sel_hi:[0,1]
	s_delay_alu instid0(VALU_DEP_1) | instskip(SKIP_2) | instid1(VALU_DEP_3)
	v_pk_fma_f32 v[50:51], v[46:47], v[44:45], v[48:49] op_sel_hi:[1,0,1]
	v_add_nc_u32_e32 v43, 1, v43
	v_pk_fma_f32 v[44:45], v[46:47], v[44:45], v[48:49] neg_lo:[0,0,1] neg_hi:[0,0,1]
	v_mov_b32_e32 v45, v51
	s_delay_alu instid0(VALU_DEP_3) | instskip(NEXT) | instid1(VALU_DEP_2)
	v_cmp_lt_u32_e32 vcc_lo, 9, v43
	v_pk_add_f32 v[0:1], v[0:1], v[44:45]
	s_or_b32 s3, vcc_lo, s3
	s_delay_alu instid0(SALU_CYCLE_1)
	s_and_not1_b32 exec_lo, exec_lo, s3
	s_cbranch_execnz .LBB15_257
; %bb.258:
	s_or_b32 exec_lo, exec_lo, s3
.LBB15_259:
	s_delay_alu instid0(SALU_CYCLE_1) | instskip(SKIP_4) | instid1(VALU_DEP_1)
	s_or_b32 exec_lo, exec_lo, s2
	v_mov_b32_e32 v39, 0
	ds_load_b64 v[42:43], v39 offset:88
	s_wait_dscnt 0x0
	v_pk_mul_f32 v[44:45], v[0:1], v[42:43] op_sel:[1,1] op_sel_hi:[0,1]
	v_pk_fma_f32 v[46:47], v[0:1], v[42:43], v[44:45] op_sel_hi:[1,0,1]
	v_pk_fma_f32 v[0:1], v[0:1], v[42:43], v[44:45] neg_lo:[0,0,1] neg_hi:[0,0,1]
	s_delay_alu instid0(VALU_DEP_2)
	v_mov_b32_e32 v1, v47
	ds_store_b64 v41, v[0:1] offset:88
.LBB15_260:
	s_or_b32 exec_lo, exec_lo, s0
	ds_load_b64 v[0:1], v41 offset:96
	s_mov_b32 s0, exec_lo
	s_wait_dscnt 0x0
	ds_store_b64 v36, v[0:1]
	s_wait_dscnt 0x0
	s_barrier_signal -1
	s_barrier_wait -1
	v_cmpx_gt_u32_e32 12, v40
	s_cbranch_execz .LBB15_270
; %bb.261:
	v_cmp_ne_u32_e32 vcc_lo, 1, v38
	s_cbranch_vccnz .LBB15_263
; %bb.262:
	ds_load_b64 v[0:1], v37
	ds_load_b64 v[42:43], v36
	s_wait_dscnt 0x0
	v_pk_mul_f32 v[44:45], v[42:43], v[0:1] op_sel:[1,1] op_sel_hi:[0,1]
	s_delay_alu instid0(VALU_DEP_1) | instskip(SKIP_1) | instid1(VALU_DEP_2)
	v_pk_fma_f32 v[46:47], v[42:43], v[0:1], v[44:45] op_sel_hi:[1,0,1]
	v_pk_fma_f32 v[0:1], v[42:43], v[0:1], v[44:45] neg_lo:[0,0,1] neg_hi:[0,0,1]
	v_mov_b32_e32 v1, v47
	s_cbranch_execz .LBB15_264
	s_branch .LBB15_265
.LBB15_263:
                                        ; implicit-def: $vgpr0_vgpr1
.LBB15_264:
	ds_load_b64 v[0:1], v36
.LBB15_265:
	s_mov_b32 s2, exec_lo
	v_cmpx_ne_u32_e32 11, v40
	s_cbranch_execz .LBB15_269
; %bb.266:
	v_add_nc_u32_e32 v39, 0x88, v34
	v_add3_u32 v42, v35, v34, 0x108
	v_mov_b32_e32 v43, v40
	s_mov_b32 s3, 0
.LBB15_267:                             ; =>This Inner Loop Header: Depth=1
	ds_load_b64 v[44:45], v42
	ds_load_b64 v[46:47], v39
	v_dual_add_nc_u32 v39, 8, v39 :: v_dual_add_nc_u32 v42, 8, v42
	s_wait_dscnt 0x0
	v_pk_mul_f32 v[48:49], v[46:47], v[44:45] op_sel:[1,1] op_sel_hi:[0,1]
	s_delay_alu instid0(VALU_DEP_1) | instskip(SKIP_2) | instid1(VALU_DEP_3)
	v_pk_fma_f32 v[50:51], v[46:47], v[44:45], v[48:49] op_sel_hi:[1,0,1]
	v_add_nc_u32_e32 v43, 1, v43
	v_pk_fma_f32 v[44:45], v[46:47], v[44:45], v[48:49] neg_lo:[0,0,1] neg_hi:[0,0,1]
	v_mov_b32_e32 v45, v51
	s_delay_alu instid0(VALU_DEP_3) | instskip(NEXT) | instid1(VALU_DEP_2)
	v_cmp_lt_u32_e32 vcc_lo, 10, v43
	v_pk_add_f32 v[0:1], v[0:1], v[44:45]
	s_or_b32 s3, vcc_lo, s3
	s_delay_alu instid0(SALU_CYCLE_1)
	s_and_not1_b32 exec_lo, exec_lo, s3
	s_cbranch_execnz .LBB15_267
; %bb.268:
	s_or_b32 exec_lo, exec_lo, s3
.LBB15_269:
	s_delay_alu instid0(SALU_CYCLE_1) | instskip(SKIP_4) | instid1(VALU_DEP_1)
	s_or_b32 exec_lo, exec_lo, s2
	v_mov_b32_e32 v39, 0
	ds_load_b64 v[42:43], v39 offset:96
	s_wait_dscnt 0x0
	v_pk_mul_f32 v[44:45], v[0:1], v[42:43] op_sel:[1,1] op_sel_hi:[0,1]
	v_pk_fma_f32 v[46:47], v[0:1], v[42:43], v[44:45] op_sel_hi:[1,0,1]
	v_pk_fma_f32 v[0:1], v[0:1], v[42:43], v[44:45] neg_lo:[0,0,1] neg_hi:[0,0,1]
	s_delay_alu instid0(VALU_DEP_2)
	v_mov_b32_e32 v1, v47
	ds_store_b64 v41, v[0:1] offset:96
.LBB15_270:
	s_or_b32 exec_lo, exec_lo, s0
	ds_load_b64 v[0:1], v41 offset:104
	s_mov_b32 s0, exec_lo
	s_wait_dscnt 0x0
	ds_store_b64 v36, v[0:1]
	s_wait_dscnt 0x0
	s_barrier_signal -1
	s_barrier_wait -1
	v_cmpx_gt_u32_e32 13, v40
	s_cbranch_execz .LBB15_280
; %bb.271:
	v_cmp_ne_u32_e32 vcc_lo, 1, v38
	s_cbranch_vccnz .LBB15_273
; %bb.272:
	ds_load_b64 v[0:1], v37
	ds_load_b64 v[42:43], v36
	s_wait_dscnt 0x0
	v_pk_mul_f32 v[44:45], v[42:43], v[0:1] op_sel:[1,1] op_sel_hi:[0,1]
	s_delay_alu instid0(VALU_DEP_1) | instskip(SKIP_1) | instid1(VALU_DEP_2)
	v_pk_fma_f32 v[46:47], v[42:43], v[0:1], v[44:45] op_sel_hi:[1,0,1]
	v_pk_fma_f32 v[0:1], v[42:43], v[0:1], v[44:45] neg_lo:[0,0,1] neg_hi:[0,0,1]
	v_mov_b32_e32 v1, v47
	s_cbranch_execz .LBB15_274
	s_branch .LBB15_275
.LBB15_273:
                                        ; implicit-def: $vgpr0_vgpr1
.LBB15_274:
	ds_load_b64 v[0:1], v36
.LBB15_275:
	s_mov_b32 s2, exec_lo
	v_cmpx_ne_u32_e32 12, v40
	s_cbranch_execz .LBB15_279
; %bb.276:
	v_add_nc_u32_e32 v39, 0x88, v34
	v_add3_u32 v42, v35, v34, 0x108
	v_mov_b32_e32 v43, v40
	s_mov_b32 s3, 0
.LBB15_277:                             ; =>This Inner Loop Header: Depth=1
	ds_load_b64 v[44:45], v42
	ds_load_b64 v[46:47], v39
	v_dual_add_nc_u32 v39, 8, v39 :: v_dual_add_nc_u32 v42, 8, v42
	s_wait_dscnt 0x0
	v_pk_mul_f32 v[48:49], v[46:47], v[44:45] op_sel:[1,1] op_sel_hi:[0,1]
	s_delay_alu instid0(VALU_DEP_1) | instskip(SKIP_2) | instid1(VALU_DEP_3)
	v_pk_fma_f32 v[50:51], v[46:47], v[44:45], v[48:49] op_sel_hi:[1,0,1]
	v_add_nc_u32_e32 v43, 1, v43
	v_pk_fma_f32 v[44:45], v[46:47], v[44:45], v[48:49] neg_lo:[0,0,1] neg_hi:[0,0,1]
	v_mov_b32_e32 v45, v51
	s_delay_alu instid0(VALU_DEP_3) | instskip(NEXT) | instid1(VALU_DEP_2)
	v_cmp_lt_u32_e32 vcc_lo, 11, v43
	v_pk_add_f32 v[0:1], v[0:1], v[44:45]
	s_or_b32 s3, vcc_lo, s3
	s_delay_alu instid0(SALU_CYCLE_1)
	s_and_not1_b32 exec_lo, exec_lo, s3
	s_cbranch_execnz .LBB15_277
; %bb.278:
	s_or_b32 exec_lo, exec_lo, s3
.LBB15_279:
	s_delay_alu instid0(SALU_CYCLE_1) | instskip(SKIP_4) | instid1(VALU_DEP_1)
	s_or_b32 exec_lo, exec_lo, s2
	v_mov_b32_e32 v39, 0
	ds_load_b64 v[42:43], v39 offset:104
	s_wait_dscnt 0x0
	v_pk_mul_f32 v[44:45], v[0:1], v[42:43] op_sel:[1,1] op_sel_hi:[0,1]
	v_pk_fma_f32 v[46:47], v[0:1], v[42:43], v[44:45] op_sel_hi:[1,0,1]
	v_pk_fma_f32 v[0:1], v[0:1], v[42:43], v[44:45] neg_lo:[0,0,1] neg_hi:[0,0,1]
	s_delay_alu instid0(VALU_DEP_2)
	v_mov_b32_e32 v1, v47
	ds_store_b64 v41, v[0:1] offset:104
.LBB15_280:
	s_or_b32 exec_lo, exec_lo, s0
	ds_load_b64 v[0:1], v41 offset:112
	v_cmp_gt_u32_e64 s0, 14, v40
	s_wait_dscnt 0x0
	ds_store_b64 v36, v[0:1]
	s_wait_dscnt 0x0
	s_barrier_signal -1
	s_barrier_wait -1
	s_and_saveexec_b32 s2, s0
	s_cbranch_execz .LBB15_290
; %bb.281:
	v_cmp_ne_u32_e32 vcc_lo, 1, v38
	s_cbranch_vccnz .LBB15_283
; %bb.282:
	ds_load_b64 v[0:1], v37
	ds_load_b64 v[42:43], v36
	s_wait_dscnt 0x0
	v_pk_mul_f32 v[44:45], v[42:43], v[0:1] op_sel:[1,1] op_sel_hi:[0,1]
	s_delay_alu instid0(VALU_DEP_1) | instskip(SKIP_1) | instid1(VALU_DEP_2)
	v_pk_fma_f32 v[46:47], v[42:43], v[0:1], v[44:45] op_sel_hi:[1,0,1]
	v_pk_fma_f32 v[0:1], v[42:43], v[0:1], v[44:45] neg_lo:[0,0,1] neg_hi:[0,0,1]
	v_mov_b32_e32 v1, v47
	s_cbranch_execz .LBB15_284
	s_branch .LBB15_285
.LBB15_283:
                                        ; implicit-def: $vgpr0_vgpr1
.LBB15_284:
	ds_load_b64 v[0:1], v36
.LBB15_285:
	s_mov_b32 s3, exec_lo
	v_cmpx_ne_u32_e32 13, v40
	s_cbranch_execz .LBB15_289
; %bb.286:
	v_add_nc_u32_e32 v39, 0x88, v34
	v_add3_u32 v42, v35, v34, 0x108
	v_mov_b32_e32 v43, v40
	s_mov_b32 s4, 0
.LBB15_287:                             ; =>This Inner Loop Header: Depth=1
	ds_load_b64 v[44:45], v42
	ds_load_b64 v[46:47], v39
	v_dual_add_nc_u32 v39, 8, v39 :: v_dual_add_nc_u32 v42, 8, v42
	s_wait_dscnt 0x0
	v_pk_mul_f32 v[48:49], v[46:47], v[44:45] op_sel:[1,1] op_sel_hi:[0,1]
	s_delay_alu instid0(VALU_DEP_1) | instskip(SKIP_2) | instid1(VALU_DEP_3)
	v_pk_fma_f32 v[50:51], v[46:47], v[44:45], v[48:49] op_sel_hi:[1,0,1]
	v_add_nc_u32_e32 v43, 1, v43
	v_pk_fma_f32 v[44:45], v[46:47], v[44:45], v[48:49] neg_lo:[0,0,1] neg_hi:[0,0,1]
	v_mov_b32_e32 v45, v51
	s_delay_alu instid0(VALU_DEP_3) | instskip(NEXT) | instid1(VALU_DEP_2)
	v_cmp_lt_u32_e32 vcc_lo, 12, v43
	v_pk_add_f32 v[0:1], v[0:1], v[44:45]
	s_or_b32 s4, vcc_lo, s4
	s_delay_alu instid0(SALU_CYCLE_1)
	s_and_not1_b32 exec_lo, exec_lo, s4
	s_cbranch_execnz .LBB15_287
; %bb.288:
	s_or_b32 exec_lo, exec_lo, s4
.LBB15_289:
	s_delay_alu instid0(SALU_CYCLE_1) | instskip(SKIP_4) | instid1(VALU_DEP_1)
	s_or_b32 exec_lo, exec_lo, s3
	v_mov_b32_e32 v39, 0
	ds_load_b64 v[42:43], v39 offset:112
	s_wait_dscnt 0x0
	v_pk_mul_f32 v[44:45], v[0:1], v[42:43] op_sel:[1,1] op_sel_hi:[0,1]
	v_pk_fma_f32 v[46:47], v[0:1], v[42:43], v[44:45] op_sel_hi:[1,0,1]
	v_pk_fma_f32 v[0:1], v[0:1], v[42:43], v[44:45] neg_lo:[0,0,1] neg_hi:[0,0,1]
	s_delay_alu instid0(VALU_DEP_2)
	v_mov_b32_e32 v1, v47
	ds_store_b64 v41, v[0:1] offset:112
.LBB15_290:
	s_or_b32 exec_lo, exec_lo, s2
	ds_load_b64 v[0:1], v41 offset:120
	s_mov_b32 s2, exec_lo
                                        ; implicit-def: $vgpr39
                                        ; implicit-def: $vgpr43
	s_wait_dscnt 0x0
	ds_store_b64 v36, v[0:1]
	s_wait_dscnt 0x0
	s_barrier_signal -1
	s_barrier_wait -1
	v_cmpx_ne_u32_e32 15, v40
	s_cbranch_execz .LBB15_300
; %bb.291:
	v_cmp_ne_u32_e32 vcc_lo, 1, v38
	s_cbranch_vccnz .LBB15_293
; %bb.292:
	ds_load_b64 v[38:39], v37
	ds_load_b64 v[42:43], v36
	s_wait_dscnt 0x0
	v_dual_mul_f32 v0, v43, v39 :: v_dual_mul_f32 v1, v42, v39
	s_delay_alu instid0(VALU_DEP_1)
	v_dual_fma_f32 v0, v42, v38, -v0 :: v_dual_fmac_f32 v1, v43, v38
	s_cbranch_execz .LBB15_294
	s_branch .LBB15_295
.LBB15_293:
                                        ; implicit-def: $vgpr1
.LBB15_294:
	ds_load_b64 v[0:1], v36
.LBB15_295:
	s_and_saveexec_b32 s3, s0
	s_cbranch_execz .LBB15_299
; %bb.296:
	v_add_nc_u32_e32 v36, 0x88, v34
	v_add3_u32 v34, v35, v34, 0x108
	s_mov_b32 s0, 0
.LBB15_297:                             ; =>This Inner Loop Header: Depth=1
	ds_load_b64 v[38:39], v34
	ds_load_b64 v[42:43], v36
	s_wait_dscnt 0x0
	v_dual_mul_f32 v35, v43, v39 :: v_dual_add_nc_u32 v36, 8, v36
	v_dual_mul_f32 v37, v42, v39 :: v_dual_add_nc_u32 v40, 1, v40
	s_delay_alu instid0(VALU_DEP_1) | instskip(NEXT) | instid1(VALU_DEP_2)
	v_dual_fma_f32 v35, v42, v38, -v35 :: v_dual_fmac_f32 v37, v43, v38
	v_cmp_lt_u32_e32 vcc_lo, 13, v40
	s_delay_alu instid0(VALU_DEP_2) | instskip(NEXT) | instid1(VALU_DEP_3)
	v_dual_add_nc_u32 v34, 8, v34 :: v_dual_add_f32 v0, v0, v35
	v_add_f32_e32 v1, v1, v37
	s_or_b32 s0, vcc_lo, s0
	s_delay_alu instid0(SALU_CYCLE_1)
	s_and_not1_b32 exec_lo, exec_lo, s0
	s_cbranch_execnz .LBB15_297
; %bb.298:
	s_or_b32 exec_lo, exec_lo, s0
.LBB15_299:
	s_delay_alu instid0(SALU_CYCLE_1)
	s_or_b32 exec_lo, exec_lo, s3
	v_dual_mov_b32 v34, 0 :: v_dual_add_nc_u32 v43, 0x7c, v41
	s_or_b32 s1, s1, exec_lo
	ds_load_b64 v[34:35], v34 offset:120
	s_wait_dscnt 0x0
	v_dual_mul_f32 v36, v1, v35 :: v_dual_mul_f32 v39, v0, v35
	s_delay_alu instid0(VALU_DEP_1)
	v_dual_fma_f32 v0, v0, v34, -v36 :: v_dual_fmac_f32 v39, v1, v34
	ds_store_b32 v41, v0 offset:120
.LBB15_300:
	s_or_b32 exec_lo, exec_lo, s2
.LBB15_301:
	v_lshl_add_u64 v[34:35], v[6:7], 3, s[6:7]
	v_lshl_add_u64 v[8:9], v[8:9], 3, s[6:7]
	;; [unrolled: 1-line block ×14, first 2 shown]
	s_and_saveexec_b32 s0, s1
; %bb.302:
	ds_store_b32 v43, v39
; %bb.303:
	s_or_b32 exec_lo, exec_lo, s0
	ds_load_b128 v[30:33], v41
	ds_load_b128 v[36:39], v41 offset:16
	ds_load_b128 v[42:45], v41 offset:32
	;; [unrolled: 1-line block ×7, first 2 shown]
	s_wait_dscnt 0x7
	s_clause 0x1
	global_store_b64 v[2:3], v[30:31], off
	global_store_b64 v[4:5], v[32:33], off
	s_wait_dscnt 0x6
	s_clause 0x1
	global_store_b64 v[34:35], v[36:37], off
	global_store_b64 v[8:9], v[38:39], off
	;; [unrolled: 4-line block ×8, first 2 shown]
.LBB15_304:
	s_sendmsg sendmsg(MSG_DEALLOC_VGPRS)
	s_endpgm
	.section	.rodata,"a",@progbits
	.p2align	6, 0x0
	.amdhsa_kernel _ZN9rocsolver6v33100L18trti2_kernel_smallILi16E19rocblas_complex_numIfEPS3_EEv13rocblas_fill_17rocblas_diagonal_T1_iil
		.amdhsa_group_segment_fixed_size 8448
		.amdhsa_private_segment_fixed_size 0
		.amdhsa_kernarg_size 32
		.amdhsa_user_sgpr_count 4
		.amdhsa_user_sgpr_dispatch_ptr 1
		.amdhsa_user_sgpr_queue_ptr 0
		.amdhsa_user_sgpr_kernarg_segment_ptr 1
		.amdhsa_user_sgpr_dispatch_id 0
		.amdhsa_user_sgpr_kernarg_preload_length 0
		.amdhsa_user_sgpr_kernarg_preload_offset 0
		.amdhsa_user_sgpr_private_segment_size 0
		.amdhsa_wavefront_size32 1
		.amdhsa_uses_dynamic_stack 0
		.amdhsa_enable_private_segment 0
		.amdhsa_system_sgpr_workgroup_id_x 1
		.amdhsa_system_sgpr_workgroup_id_y 0
		.amdhsa_system_sgpr_workgroup_id_z 0
		.amdhsa_system_sgpr_workgroup_info 0
		.amdhsa_system_vgpr_workitem_id 2
		.amdhsa_next_free_vgpr 72
		.amdhsa_next_free_sgpr 14
		.amdhsa_named_barrier_count 0
		.amdhsa_reserve_vcc 1
		.amdhsa_float_round_mode_32 0
		.amdhsa_float_round_mode_16_64 0
		.amdhsa_float_denorm_mode_32 3
		.amdhsa_float_denorm_mode_16_64 3
		.amdhsa_fp16_overflow 0
		.amdhsa_memory_ordered 1
		.amdhsa_forward_progress 1
		.amdhsa_inst_pref_size 88
		.amdhsa_round_robin_scheduling 0
		.amdhsa_exception_fp_ieee_invalid_op 0
		.amdhsa_exception_fp_denorm_src 0
		.amdhsa_exception_fp_ieee_div_zero 0
		.amdhsa_exception_fp_ieee_overflow 0
		.amdhsa_exception_fp_ieee_underflow 0
		.amdhsa_exception_fp_ieee_inexact 0
		.amdhsa_exception_int_div_zero 0
	.end_amdhsa_kernel
	.section	.text._ZN9rocsolver6v33100L18trti2_kernel_smallILi16E19rocblas_complex_numIfEPS3_EEv13rocblas_fill_17rocblas_diagonal_T1_iil,"axG",@progbits,_ZN9rocsolver6v33100L18trti2_kernel_smallILi16E19rocblas_complex_numIfEPS3_EEv13rocblas_fill_17rocblas_diagonal_T1_iil,comdat
.Lfunc_end15:
	.size	_ZN9rocsolver6v33100L18trti2_kernel_smallILi16E19rocblas_complex_numIfEPS3_EEv13rocblas_fill_17rocblas_diagonal_T1_iil, .Lfunc_end15-_ZN9rocsolver6v33100L18trti2_kernel_smallILi16E19rocblas_complex_numIfEPS3_EEv13rocblas_fill_17rocblas_diagonal_T1_iil
                                        ; -- End function
	.set _ZN9rocsolver6v33100L18trti2_kernel_smallILi16E19rocblas_complex_numIfEPS3_EEv13rocblas_fill_17rocblas_diagonal_T1_iil.num_vgpr, 72
	.set _ZN9rocsolver6v33100L18trti2_kernel_smallILi16E19rocblas_complex_numIfEPS3_EEv13rocblas_fill_17rocblas_diagonal_T1_iil.num_agpr, 0
	.set _ZN9rocsolver6v33100L18trti2_kernel_smallILi16E19rocblas_complex_numIfEPS3_EEv13rocblas_fill_17rocblas_diagonal_T1_iil.numbered_sgpr, 14
	.set _ZN9rocsolver6v33100L18trti2_kernel_smallILi16E19rocblas_complex_numIfEPS3_EEv13rocblas_fill_17rocblas_diagonal_T1_iil.num_named_barrier, 0
	.set _ZN9rocsolver6v33100L18trti2_kernel_smallILi16E19rocblas_complex_numIfEPS3_EEv13rocblas_fill_17rocblas_diagonal_T1_iil.private_seg_size, 0
	.set _ZN9rocsolver6v33100L18trti2_kernel_smallILi16E19rocblas_complex_numIfEPS3_EEv13rocblas_fill_17rocblas_diagonal_T1_iil.uses_vcc, 1
	.set _ZN9rocsolver6v33100L18trti2_kernel_smallILi16E19rocblas_complex_numIfEPS3_EEv13rocblas_fill_17rocblas_diagonal_T1_iil.uses_flat_scratch, 0
	.set _ZN9rocsolver6v33100L18trti2_kernel_smallILi16E19rocblas_complex_numIfEPS3_EEv13rocblas_fill_17rocblas_diagonal_T1_iil.has_dyn_sized_stack, 0
	.set _ZN9rocsolver6v33100L18trti2_kernel_smallILi16E19rocblas_complex_numIfEPS3_EEv13rocblas_fill_17rocblas_diagonal_T1_iil.has_recursion, 0
	.set _ZN9rocsolver6v33100L18trti2_kernel_smallILi16E19rocblas_complex_numIfEPS3_EEv13rocblas_fill_17rocblas_diagonal_T1_iil.has_indirect_call, 0
	.section	.AMDGPU.csdata,"",@progbits
; Kernel info:
; codeLenInByte = 11240
; TotalNumSgprs: 16
; NumVgprs: 72
; ScratchSize: 0
; MemoryBound: 0
; FloatMode: 240
; IeeeMode: 1
; LDSByteSize: 8448 bytes/workgroup (compile time only)
; SGPRBlocks: 0
; VGPRBlocks: 4
; NumSGPRsForWavesPerEU: 16
; NumVGPRsForWavesPerEU: 72
; NamedBarCnt: 0
; Occupancy: 10
; WaveLimiterHint : 0
; COMPUTE_PGM_RSRC2:SCRATCH_EN: 0
; COMPUTE_PGM_RSRC2:USER_SGPR: 4
; COMPUTE_PGM_RSRC2:TRAP_HANDLER: 0
; COMPUTE_PGM_RSRC2:TGID_X_EN: 1
; COMPUTE_PGM_RSRC2:TGID_Y_EN: 0
; COMPUTE_PGM_RSRC2:TGID_Z_EN: 0
; COMPUTE_PGM_RSRC2:TIDIG_COMP_CNT: 2
	.section	.text._ZN9rocsolver6v33100L18trti2_kernel_smallILi17E19rocblas_complex_numIfEPS3_EEv13rocblas_fill_17rocblas_diagonal_T1_iil,"axG",@progbits,_ZN9rocsolver6v33100L18trti2_kernel_smallILi17E19rocblas_complex_numIfEPS3_EEv13rocblas_fill_17rocblas_diagonal_T1_iil,comdat
	.globl	_ZN9rocsolver6v33100L18trti2_kernel_smallILi17E19rocblas_complex_numIfEPS3_EEv13rocblas_fill_17rocblas_diagonal_T1_iil ; -- Begin function _ZN9rocsolver6v33100L18trti2_kernel_smallILi17E19rocblas_complex_numIfEPS3_EEv13rocblas_fill_17rocblas_diagonal_T1_iil
	.p2align	8
	.type	_ZN9rocsolver6v33100L18trti2_kernel_smallILi17E19rocblas_complex_numIfEPS3_EEv13rocblas_fill_17rocblas_diagonal_T1_iil,@function
_ZN9rocsolver6v33100L18trti2_kernel_smallILi17E19rocblas_complex_numIfEPS3_EEv13rocblas_fill_17rocblas_diagonal_T1_iil: ; @_ZN9rocsolver6v33100L18trti2_kernel_smallILi17E19rocblas_complex_numIfEPS3_EEv13rocblas_fill_17rocblas_diagonal_T1_iil
; %bb.0:
	v_and_b32_e32 v42, 0x3ff, v0
	s_mov_b32 s4, exec_lo
	s_delay_alu instid0(VALU_DEP_1)
	v_cmpx_gt_u32_e32 17, v42
	s_cbranch_execz .LBB16_324
; %bb.1:
	s_load_b256 s[4:11], s[2:3], 0x0
	s_load_b64 s[12:13], s[0:1], 0x4
	s_wait_xcnt 0x0
	s_bfe_u32 s0, ttmp6, 0x4000c
	s_and_b32 s1, ttmp6, 15
	s_add_co_i32 s0, s0, 1
	s_getreg_b32 s2, hwreg(HW_REG_IB_STS2, 6, 4)
	s_mul_i32 s0, ttmp9, s0
	v_dual_mov_b32 v37, 0 :: v_dual_lshlrev_b32 v36, 3, v42
	s_add_co_i32 s0, s1, s0
	v_bfe_u32 v1, v0, 10, 10
	v_bfe_u32 v0, v0, 20, 10
	s_wait_kmcnt 0x0
	v_add3_u32 v6, s9, s9, v42
	s_lshr_b32 s12, s12, 16
	s_ashr_i32 s1, s8, 31
	s_cmp_eq_u32 s2, 0
	s_mul_i32 s12, s12, s13
	v_add_nc_u32_e32 v8, s9, v6
	s_cselect_b32 s2, ttmp9, s0
	s_mov_b32 s0, s8
	s_ashr_i32 s3, s2, 31
	s_lshl_b64 s[0:1], s[0:1], 3
	v_add_nc_u32_e32 v10, s9, v8
	s_mul_u64 s[2:3], s[10:11], s[2:3]
	v_mul_u32_u24_e32 v1, s13, v1
	s_lshl_b64 s[2:3], s[2:3], 3
	v_mul_u32_u24_e32 v7, s12, v42
	v_add_nc_u32_e32 v12, s9, v10
	s_add_nc_u64 s[2:3], s[6:7], s[2:3]
	s_delay_alu instid0(SALU_CYCLE_1) | instskip(SKIP_1) | instid1(VALU_DEP_1)
	s_add_nc_u64 s[2:3], s[2:3], s[0:1]
	s_mov_b32 s0, s9
	v_add_nc_u32_e32 v14, s9, v12
	v_add_nc_u64_e32 v[2:3], s[2:3], v[36:37]
	s_ashr_i32 s1, s9, 31
	v_add3_u32 v44, v7, v1, v0
	s_cmp_lg_u32 s5, 0x84
	v_add_nc_u32_e32 v16, s9, v14
	s_cselect_b32 s5, -1, 0
	s_delay_alu instid0(VALU_DEP_3)
	v_lshl_add_u64 v[4:5], s[0:1], 3, v[2:3]
	s_clause 0x3
	global_load_b64 v[38:39], v42, s[2:3] scale_offset
	global_load_b64 v[40:41], v[4:5], off
	global_load_b64 v[46:47], v6, s[2:3] scale_offset
	global_load_b64 v[48:49], v8, s[2:3] scale_offset
	v_add_nc_u32_e32 v18, s9, v16
	s_clause 0x3
	global_load_b64 v[50:51], v10, s[2:3] scale_offset
	global_load_b64 v[52:53], v12, s[2:3] scale_offset
	;; [unrolled: 1-line block ×4, first 2 shown]
	v_mul_lo_u32 v43, 0x88, v44
	s_mov_b32 s0, -1
	s_and_b32 vcc_lo, exec_lo, s5
	v_add_nc_u32_e32 v20, s9, v18
	s_delay_alu instid0(VALU_DEP_1) | instskip(NEXT) | instid1(VALU_DEP_3)
	v_add_nc_u32_e32 v22, s9, v20
	v_add_nc_u32_e32 v37, 0x120, v43
	s_delay_alu instid0(VALU_DEP_2) | instskip(NEXT) | instid1(VALU_DEP_1)
	v_add_nc_u32_e32 v24, s9, v22
	v_add_nc_u32_e32 v26, s9, v24
	s_delay_alu instid0(VALU_DEP_1) | instskip(NEXT) | instid1(VALU_DEP_1)
	v_add_nc_u32_e32 v28, s9, v26
	v_add_nc_u32_e32 v30, s9, v28
	s_clause 0x3
	global_load_b64 v[58:59], v18, s[2:3] scale_offset
	global_load_b64 v[60:61], v20, s[2:3] scale_offset
	global_load_b64 v[62:63], v22, s[2:3] scale_offset
	global_load_b64 v[64:65], v24, s[2:3] scale_offset
	v_add_nc_u32_e32 v32, s9, v30
	s_delay_alu instid0(VALU_DEP_1)
	v_add_nc_u32_e32 v34, s9, v32
	s_clause 0x4
	global_load_b64 v[66:67], v26, s[2:3] scale_offset
	global_load_b64 v[68:69], v28, s[2:3] scale_offset
	;; [unrolled: 1-line block ×5, first 2 shown]
	s_wait_loadcnt 0xf
	ds_store_b128 v43, v[38:41] offset:288
	s_wait_loadcnt 0xd
	ds_store_b128 v43, v[46:49] offset:304
	;; [unrolled: 2-line block ×8, first 2 shown]
	s_wait_loadcnt 0x0
	ds_store_b64 v43, v[74:75] offset:416
	s_cbranch_vccz .LBB16_7
; %bb.2:
	v_lshl_add_u32 v7, v42, 3, v37
                                        ; implicit-def: $vgpr41
                                        ; implicit-def: $vgpr38
	ds_load_b64 v[0:1], v7
	s_wait_dscnt 0x0
	v_cmp_ngt_f32_e64 s0, |v0|, |v1|
	s_and_saveexec_b32 s1, s0
	s_delay_alu instid0(SALU_CYCLE_1)
	s_xor_b32 s0, exec_lo, s1
	s_cbranch_execz .LBB16_4
; %bb.3:
	v_div_scale_f32 v9, null, v1, v1, v0
	v_div_scale_f32 v15, vcc_lo, v0, v1, v0
	s_delay_alu instid0(VALU_DEP_2) | instskip(SKIP_1) | instid1(TRANS32_DEP_1)
	v_rcp_f32_e32 v11, v9
	v_nop
	v_fma_f32 v13, -v9, v11, 1.0
	s_delay_alu instid0(VALU_DEP_1) | instskip(NEXT) | instid1(VALU_DEP_1)
	v_fmac_f32_e32 v11, v13, v11
	v_mul_f32_e32 v13, v15, v11
	s_delay_alu instid0(VALU_DEP_1) | instskip(NEXT) | instid1(VALU_DEP_1)
	v_fma_f32 v17, -v9, v13, v15
	v_fmac_f32_e32 v13, v17, v11
	s_delay_alu instid0(VALU_DEP_1) | instskip(NEXT) | instid1(VALU_DEP_1)
	v_fma_f32 v9, -v9, v13, v15
	v_div_fmas_f32 v9, v9, v11, v13
	s_delay_alu instid0(VALU_DEP_1) | instskip(NEXT) | instid1(VALU_DEP_1)
	v_div_fixup_f32 v9, v9, v1, v0
	v_fmac_f32_e32 v1, v0, v9
	s_delay_alu instid0(VALU_DEP_1) | instskip(NEXT) | instid1(VALU_DEP_1)
	v_div_scale_f32 v0, null, v1, v1, -1.0
	v_rcp_f32_e32 v11, v0
	v_nop
	s_delay_alu instid0(TRANS32_DEP_1) | instskip(NEXT) | instid1(VALU_DEP_1)
	v_fma_f32 v13, -v0, v11, 1.0
	v_fmac_f32_e32 v11, v13, v11
	v_div_scale_f32 v13, vcc_lo, -1.0, v1, -1.0
	s_delay_alu instid0(VALU_DEP_1) | instskip(NEXT) | instid1(VALU_DEP_1)
	v_mul_f32_e32 v15, v13, v11
	v_fma_f32 v17, -v0, v15, v13
	s_delay_alu instid0(VALU_DEP_1) | instskip(NEXT) | instid1(VALU_DEP_1)
	v_fmac_f32_e32 v15, v17, v11
	v_fma_f32 v0, -v0, v15, v13
	s_delay_alu instid0(VALU_DEP_1) | instskip(NEXT) | instid1(VALU_DEP_1)
	v_div_fmas_f32 v0, v0, v11, v15
	v_div_fixup_f32 v41, v0, v1, -1.0
                                        ; implicit-def: $vgpr0_vgpr1
	s_delay_alu instid0(VALU_DEP_1) | instskip(NEXT) | instid1(VALU_DEP_1)
	v_mul_f32_e32 v38, v9, v41
	v_xor_b32_e32 v40, 0x80000000, v38
.LBB16_4:
	s_and_not1_saveexec_b32 s0, s0
	s_cbranch_execz .LBB16_6
; %bb.5:
	v_div_scale_f32 v9, null, v0, v0, v1
	v_div_scale_f32 v15, vcc_lo, v1, v0, v1
	s_delay_alu instid0(VALU_DEP_2) | instskip(SKIP_1) | instid1(TRANS32_DEP_1)
	v_rcp_f32_e32 v11, v9
	v_nop
	v_fma_f32 v13, -v9, v11, 1.0
	s_delay_alu instid0(VALU_DEP_1) | instskip(NEXT) | instid1(VALU_DEP_1)
	v_fmac_f32_e32 v11, v13, v11
	v_mul_f32_e32 v13, v15, v11
	s_delay_alu instid0(VALU_DEP_1) | instskip(NEXT) | instid1(VALU_DEP_1)
	v_fma_f32 v17, -v9, v13, v15
	v_fmac_f32_e32 v13, v17, v11
	s_delay_alu instid0(VALU_DEP_1) | instskip(NEXT) | instid1(VALU_DEP_1)
	v_fma_f32 v9, -v9, v13, v15
	v_div_fmas_f32 v9, v9, v11, v13
	s_delay_alu instid0(VALU_DEP_1) | instskip(NEXT) | instid1(VALU_DEP_1)
	v_div_fixup_f32 v9, v9, v0, v1
	v_fmac_f32_e32 v0, v1, v9
	s_delay_alu instid0(VALU_DEP_1) | instskip(SKIP_1) | instid1(VALU_DEP_2)
	v_div_scale_f32 v1, null, v0, v0, 1.0
	v_div_scale_f32 v15, vcc_lo, 1.0, v0, 1.0
	v_rcp_f32_e32 v11, v1
	v_nop
	s_delay_alu instid0(TRANS32_DEP_1) | instskip(NEXT) | instid1(VALU_DEP_1)
	v_fma_f32 v13, -v1, v11, 1.0
	v_fmac_f32_e32 v11, v13, v11
	s_delay_alu instid0(VALU_DEP_1) | instskip(NEXT) | instid1(VALU_DEP_1)
	v_mul_f32_e32 v13, v15, v11
	v_fma_f32 v17, -v1, v13, v15
	s_delay_alu instid0(VALU_DEP_1) | instskip(NEXT) | instid1(VALU_DEP_1)
	v_fmac_f32_e32 v13, v17, v11
	v_fma_f32 v1, -v1, v13, v15
	s_delay_alu instid0(VALU_DEP_1) | instskip(NEXT) | instid1(VALU_DEP_1)
	v_div_fmas_f32 v1, v1, v11, v13
	v_div_fixup_f32 v40, v1, v0, 1.0
	s_delay_alu instid0(VALU_DEP_1)
	v_xor_b32_e32 v38, 0x80000000, v40
	v_mul_f32_e64 v41, v9, -v40
.LBB16_6:
	s_or_b32 exec_lo, exec_lo, s0
	s_delay_alu instid0(VALU_DEP_1)
	v_xor_b32_e32 v39, 0x80000000, v41
	s_mov_b32 s0, 0
	ds_store_b64 v7, v[40:41]
	ds_store_b64 v36, v[38:39]
.LBB16_7:
	s_and_b32 vcc_lo, exec_lo, s0
	s_cbranch_vccz .LBB16_9
; %bb.8:
	s_mov_b64 s[0:1], 0xbf800000
	s_delay_alu instid0(SALU_CYCLE_1)
	v_mov_b64_e32 v[0:1], s[0:1]
	ds_store_b64 v36, v[0:1]
.LBB16_9:
	v_dual_ashrrev_i32 v7, 31, v6 :: v_dual_ashrrev_i32 v9, 31, v8
	v_dual_ashrrev_i32 v11, 31, v10 :: v_dual_ashrrev_i32 v13, 31, v12
	;; [unrolled: 1-line block ×7, first 2 shown]
	v_dual_ashrrev_i32 v35, 31, v34 :: v_dual_add_nc_u32 v39, v37, v36
	v_add_nc_u32_e32 v38, 0x90, v36
	s_cmp_eq_u32 s4, 0x79
	s_cbranch_scc1 .LBB16_13
; %bb.10:
	ds_load_b64 v[0:1], v37 offset:120
	v_cmp_eq_u32_e64 s0, 16, v42
	s_wait_dscnt 0x0
	ds_store_b64 v38, v[0:1]
	s_wait_dscnt 0x0
	s_barrier_signal -1
	s_barrier_wait -1
	s_and_saveexec_b32 s1, s0
	s_cbranch_execz .LBB16_17
; %bb.11:
	s_and_b32 vcc_lo, exec_lo, s5
	s_cbranch_vccz .LBB16_14
; %bb.12:
	ds_load_b64 v[0:1], v39
	ds_load_b64 v[40:41], v38
	s_wait_dscnt 0x0
	v_pk_mul_f32 v[46:47], v[40:41], v[0:1] op_sel:[1,1] op_sel_hi:[0,1]
	v_pk_mul_f32 v[48:49], v[40:41], v[0:1] op_sel_hi:[1,0]
	s_delay_alu instid0(VALU_DEP_2) | instskip(NEXT) | instid1(VALU_DEP_2)
	v_pk_fma_f32 v[0:1], v[40:41], v[0:1], v[46:47] op_sel_hi:[1,0,1]
	v_sub_f32_e32 v0, v48, v46
	s_cbranch_execz .LBB16_15
	s_branch .LBB16_16
.LBB16_13:
	s_mov_b32 s1, 0
                                        ; implicit-def: $vgpr41
                                        ; implicit-def: $vgpr45
	s_cbranch_execnz .LBB16_166
	s_branch .LBB16_321
.LBB16_14:
                                        ; implicit-def: $vgpr1
.LBB16_15:
	ds_load_b64 v[0:1], v38
.LBB16_16:
	s_wait_dscnt 0x0
	v_dual_mov_b32 v40, 0 :: v_dual_mov_b32 v46, v1
	v_mov_b32_e32 v47, v0
	ds_load_b64 v[40:41], v40 offset:120
	s_wait_dscnt 0x0
	v_pk_mul_f32 v[46:47], v[46:47], v[40:41] op_sel:[0,1]
	s_delay_alu instid0(VALU_DEP_1) | instskip(SKIP_1) | instid1(VALU_DEP_2)
	v_pk_fma_f32 v[48:49], v[0:1], v[40:41], v[46:47] op_sel_hi:[1,0,1]
	v_pk_fma_f32 v[0:1], v[0:1], v[40:41], v[46:47] neg_lo:[0,0,1] neg_hi:[0,0,1]
	v_mov_b32_e32 v1, v49
	ds_store_b64 v37, v[0:1] offset:120
.LBB16_17:
	s_or_b32 exec_lo, exec_lo, s1
	ds_load_b64 v[0:1], v37 offset:112
	v_cmp_lt_u32_e64 s1, 14, v42
	s_wait_dscnt 0x0
	ds_store_b64 v38, v[0:1]
	s_wait_dscnt 0x0
	s_barrier_signal -1
	s_barrier_wait -1
	s_and_saveexec_b32 s4, s1
	s_cbranch_execz .LBB16_25
; %bb.18:
	s_and_not1_b32 vcc_lo, exec_lo, s5
	s_cbranch_vccnz .LBB16_20
; %bb.19:
	ds_load_b64 v[0:1], v39
	ds_load_b64 v[40:41], v38
	s_wait_dscnt 0x0
	v_pk_mul_f32 v[46:47], v[40:41], v[0:1] op_sel:[1,1] op_sel_hi:[0,1]
	s_delay_alu instid0(VALU_DEP_1) | instskip(SKIP_1) | instid1(VALU_DEP_2)
	v_pk_fma_f32 v[48:49], v[40:41], v[0:1], v[46:47] op_sel_hi:[1,0,1]
	v_pk_fma_f32 v[0:1], v[40:41], v[0:1], v[46:47] neg_lo:[0,0,1] neg_hi:[0,0,1]
	v_mov_b32_e32 v1, v49
	s_cbranch_execz .LBB16_21
	s_branch .LBB16_22
.LBB16_20:
                                        ; implicit-def: $vgpr0_vgpr1
.LBB16_21:
	ds_load_b64 v[0:1], v38
.LBB16_22:
	s_and_saveexec_b32 s6, s0
	s_cbranch_execz .LBB16_24
; %bb.23:
	v_mov_b32_e32 v45, 0
	ds_load_b64 v[40:41], v37 offset:120
	ds_load_b64 v[46:47], v45 offset:264
	s_wait_dscnt 0x0
	v_pk_mul_f32 v[48:49], v[46:47], v[40:41] op_sel:[1,1] op_sel_hi:[0,1]
	s_delay_alu instid0(VALU_DEP_1) | instskip(SKIP_1) | instid1(VALU_DEP_2)
	v_pk_fma_f32 v[50:51], v[46:47], v[40:41], v[48:49] op_sel_hi:[1,0,1]
	v_pk_fma_f32 v[40:41], v[46:47], v[40:41], v[48:49] neg_lo:[0,0,1] neg_hi:[0,0,1]
	v_mov_b32_e32 v41, v51
	s_delay_alu instid0(VALU_DEP_1)
	v_pk_add_f32 v[0:1], v[0:1], v[40:41]
.LBB16_24:
	s_or_b32 exec_lo, exec_lo, s6
	v_mov_b32_e32 v40, 0
	ds_load_b64 v[40:41], v40 offset:112
	s_wait_dscnt 0x0
	v_pk_mul_f32 v[46:47], v[0:1], v[40:41] op_sel:[1,1] op_sel_hi:[0,1]
	s_delay_alu instid0(VALU_DEP_1) | instskip(SKIP_1) | instid1(VALU_DEP_2)
	v_pk_fma_f32 v[48:49], v[0:1], v[40:41], v[46:47] op_sel_hi:[1,0,1]
	v_pk_fma_f32 v[0:1], v[0:1], v[40:41], v[46:47] neg_lo:[0,0,1] neg_hi:[0,0,1]
	v_mov_b32_e32 v1, v49
	ds_store_b64 v37, v[0:1] offset:112
.LBB16_25:
	s_or_b32 exec_lo, exec_lo, s4
	ds_load_b64 v[0:1], v37 offset:104
	v_cmp_lt_u32_e64 s0, 13, v42
	s_wait_dscnt 0x0
	ds_store_b64 v38, v[0:1]
	s_wait_dscnt 0x0
	s_barrier_signal -1
	s_barrier_wait -1
	s_and_saveexec_b32 s4, s0
	s_cbranch_execz .LBB16_35
; %bb.26:
	s_and_not1_b32 vcc_lo, exec_lo, s5
	s_cbranch_vccnz .LBB16_28
; %bb.27:
	ds_load_b64 v[0:1], v39
	ds_load_b64 v[40:41], v38
	s_wait_dscnt 0x0
	v_pk_mul_f32 v[46:47], v[40:41], v[0:1] op_sel:[1,1] op_sel_hi:[0,1]
	s_delay_alu instid0(VALU_DEP_1) | instskip(SKIP_1) | instid1(VALU_DEP_2)
	v_pk_fma_f32 v[48:49], v[40:41], v[0:1], v[46:47] op_sel_hi:[1,0,1]
	v_pk_fma_f32 v[0:1], v[40:41], v[0:1], v[46:47] neg_lo:[0,0,1] neg_hi:[0,0,1]
	v_mov_b32_e32 v1, v49
	s_cbranch_execz .LBB16_29
	s_branch .LBB16_30
.LBB16_28:
                                        ; implicit-def: $vgpr0_vgpr1
.LBB16_29:
	ds_load_b64 v[0:1], v38
.LBB16_30:
	s_and_saveexec_b32 s6, s1
	s_cbranch_execz .LBB16_34
; %bb.31:
	s_movk_i32 s1, 0x88
	v_add_nc_u32_e32 v41, -14, v42
	v_mad_u32 v40, v44, s1, 0x190
	s_movk_i32 s7, 0x100
	s_mov_b32 s1, 0
.LBB16_32:                              ; =>This Inner Loop Header: Depth=1
	s_delay_alu instid0(VALU_DEP_2)
	v_dual_mov_b32 v45, s7 :: v_dual_add_nc_u32 v41, -1, v41
	s_add_co_i32 s7, s7, 8
	ds_load_b64 v[46:47], v40
	ds_load_b64 v[48:49], v45
	v_add_nc_u32_e32 v40, 8, v40
	v_cmp_eq_u32_e32 vcc_lo, 0, v41
	s_or_b32 s1, vcc_lo, s1
	s_wait_dscnt 0x0
	v_pk_mul_f32 v[50:51], v[48:49], v[46:47] op_sel:[1,1] op_sel_hi:[0,1]
	s_delay_alu instid0(VALU_DEP_1) | instskip(SKIP_1) | instid1(VALU_DEP_2)
	v_pk_fma_f32 v[52:53], v[48:49], v[46:47], v[50:51] op_sel_hi:[1,0,1]
	v_pk_fma_f32 v[46:47], v[48:49], v[46:47], v[50:51] neg_lo:[0,0,1] neg_hi:[0,0,1]
	v_mov_b32_e32 v47, v53
	s_delay_alu instid0(VALU_DEP_1)
	v_pk_add_f32 v[0:1], v[0:1], v[46:47]
	s_and_not1_b32 exec_lo, exec_lo, s1
	s_cbranch_execnz .LBB16_32
; %bb.33:
	s_or_b32 exec_lo, exec_lo, s1
.LBB16_34:
	s_delay_alu instid0(SALU_CYCLE_1) | instskip(SKIP_4) | instid1(VALU_DEP_1)
	s_or_b32 exec_lo, exec_lo, s6
	v_mov_b32_e32 v40, 0
	ds_load_b64 v[40:41], v40 offset:104
	s_wait_dscnt 0x0
	v_pk_mul_f32 v[46:47], v[0:1], v[40:41] op_sel:[1,1] op_sel_hi:[0,1]
	v_pk_fma_f32 v[48:49], v[0:1], v[40:41], v[46:47] op_sel_hi:[1,0,1]
	v_pk_fma_f32 v[0:1], v[0:1], v[40:41], v[46:47] neg_lo:[0,0,1] neg_hi:[0,0,1]
	s_delay_alu instid0(VALU_DEP_2)
	v_mov_b32_e32 v1, v49
	ds_store_b64 v37, v[0:1] offset:104
.LBB16_35:
	s_or_b32 exec_lo, exec_lo, s4
	ds_load_b64 v[0:1], v37 offset:96
	v_cmp_lt_u32_e64 s1, 12, v42
	s_wait_dscnt 0x0
	ds_store_b64 v38, v[0:1]
	s_wait_dscnt 0x0
	s_barrier_signal -1
	s_barrier_wait -1
	s_and_saveexec_b32 s4, s1
	s_cbranch_execz .LBB16_45
; %bb.36:
	s_and_not1_b32 vcc_lo, exec_lo, s5
	s_cbranch_vccnz .LBB16_38
; %bb.37:
	ds_load_b64 v[0:1], v39
	ds_load_b64 v[40:41], v38
	s_wait_dscnt 0x0
	v_pk_mul_f32 v[46:47], v[40:41], v[0:1] op_sel:[1,1] op_sel_hi:[0,1]
	s_delay_alu instid0(VALU_DEP_1) | instskip(SKIP_1) | instid1(VALU_DEP_2)
	v_pk_fma_f32 v[48:49], v[40:41], v[0:1], v[46:47] op_sel_hi:[1,0,1]
	v_pk_fma_f32 v[0:1], v[40:41], v[0:1], v[46:47] neg_lo:[0,0,1] neg_hi:[0,0,1]
	v_mov_b32_e32 v1, v49
	s_cbranch_execz .LBB16_39
	s_branch .LBB16_40
.LBB16_38:
                                        ; implicit-def: $vgpr0_vgpr1
.LBB16_39:
	ds_load_b64 v[0:1], v38
.LBB16_40:
	s_and_saveexec_b32 s6, s0
	s_cbranch_execz .LBB16_44
; %bb.41:
	s_movk_i32 s0, 0x88
	v_add_nc_u32_e32 v41, -13, v42
	v_mad_u32 v40, v44, s0, 0x188
	s_movk_i32 s7, 0xf8
	s_mov_b32 s0, 0
.LBB16_42:                              ; =>This Inner Loop Header: Depth=1
	s_delay_alu instid0(VALU_DEP_2)
	v_dual_mov_b32 v45, s7 :: v_dual_add_nc_u32 v41, -1, v41
	s_add_co_i32 s7, s7, 8
	ds_load_b64 v[46:47], v40
	ds_load_b64 v[48:49], v45
	v_add_nc_u32_e32 v40, 8, v40
	v_cmp_eq_u32_e32 vcc_lo, 0, v41
	s_or_b32 s0, vcc_lo, s0
	s_wait_dscnt 0x0
	v_pk_mul_f32 v[50:51], v[48:49], v[46:47] op_sel:[1,1] op_sel_hi:[0,1]
	s_delay_alu instid0(VALU_DEP_1) | instskip(SKIP_1) | instid1(VALU_DEP_2)
	v_pk_fma_f32 v[52:53], v[48:49], v[46:47], v[50:51] op_sel_hi:[1,0,1]
	v_pk_fma_f32 v[46:47], v[48:49], v[46:47], v[50:51] neg_lo:[0,0,1] neg_hi:[0,0,1]
	v_mov_b32_e32 v47, v53
	s_delay_alu instid0(VALU_DEP_1)
	v_pk_add_f32 v[0:1], v[0:1], v[46:47]
	s_and_not1_b32 exec_lo, exec_lo, s0
	s_cbranch_execnz .LBB16_42
; %bb.43:
	s_or_b32 exec_lo, exec_lo, s0
.LBB16_44:
	s_delay_alu instid0(SALU_CYCLE_1) | instskip(SKIP_4) | instid1(VALU_DEP_1)
	s_or_b32 exec_lo, exec_lo, s6
	v_mov_b32_e32 v40, 0
	ds_load_b64 v[40:41], v40 offset:96
	s_wait_dscnt 0x0
	v_pk_mul_f32 v[46:47], v[0:1], v[40:41] op_sel:[1,1] op_sel_hi:[0,1]
	v_pk_fma_f32 v[48:49], v[0:1], v[40:41], v[46:47] op_sel_hi:[1,0,1]
	v_pk_fma_f32 v[0:1], v[0:1], v[40:41], v[46:47] neg_lo:[0,0,1] neg_hi:[0,0,1]
	s_delay_alu instid0(VALU_DEP_2)
	v_mov_b32_e32 v1, v49
	ds_store_b64 v37, v[0:1] offset:96
.LBB16_45:
	s_or_b32 exec_lo, exec_lo, s4
	ds_load_b64 v[0:1], v37 offset:88
	v_cmp_lt_u32_e64 s0, 11, v42
	s_wait_dscnt 0x0
	ds_store_b64 v38, v[0:1]
	s_wait_dscnt 0x0
	s_barrier_signal -1
	s_barrier_wait -1
	s_and_saveexec_b32 s4, s0
	s_cbranch_execz .LBB16_55
; %bb.46:
	s_and_not1_b32 vcc_lo, exec_lo, s5
	s_cbranch_vccnz .LBB16_48
; %bb.47:
	ds_load_b64 v[0:1], v39
	ds_load_b64 v[40:41], v38
	s_wait_dscnt 0x0
	v_pk_mul_f32 v[46:47], v[40:41], v[0:1] op_sel:[1,1] op_sel_hi:[0,1]
	s_delay_alu instid0(VALU_DEP_1) | instskip(SKIP_1) | instid1(VALU_DEP_2)
	v_pk_fma_f32 v[48:49], v[40:41], v[0:1], v[46:47] op_sel_hi:[1,0,1]
	v_pk_fma_f32 v[0:1], v[40:41], v[0:1], v[46:47] neg_lo:[0,0,1] neg_hi:[0,0,1]
	v_mov_b32_e32 v1, v49
	s_cbranch_execz .LBB16_49
	s_branch .LBB16_50
.LBB16_48:
                                        ; implicit-def: $vgpr0_vgpr1
.LBB16_49:
	ds_load_b64 v[0:1], v38
.LBB16_50:
	s_and_saveexec_b32 s6, s1
	s_cbranch_execz .LBB16_54
; %bb.51:
	s_movk_i32 s1, 0x88
	v_add_nc_u32_e32 v41, -12, v42
	v_mad_u32 v40, v44, s1, 0x180
	s_movk_i32 s7, 0xf0
	s_mov_b32 s1, 0
.LBB16_52:                              ; =>This Inner Loop Header: Depth=1
	s_delay_alu instid0(VALU_DEP_2)
	v_dual_mov_b32 v45, s7 :: v_dual_add_nc_u32 v41, -1, v41
	s_add_co_i32 s7, s7, 8
	ds_load_b64 v[46:47], v40
	ds_load_b64 v[48:49], v45
	v_add_nc_u32_e32 v40, 8, v40
	v_cmp_eq_u32_e32 vcc_lo, 0, v41
	s_or_b32 s1, vcc_lo, s1
	s_wait_dscnt 0x0
	v_pk_mul_f32 v[50:51], v[48:49], v[46:47] op_sel:[1,1] op_sel_hi:[0,1]
	s_delay_alu instid0(VALU_DEP_1) | instskip(SKIP_1) | instid1(VALU_DEP_2)
	v_pk_fma_f32 v[52:53], v[48:49], v[46:47], v[50:51] op_sel_hi:[1,0,1]
	v_pk_fma_f32 v[46:47], v[48:49], v[46:47], v[50:51] neg_lo:[0,0,1] neg_hi:[0,0,1]
	v_mov_b32_e32 v47, v53
	s_delay_alu instid0(VALU_DEP_1)
	v_pk_add_f32 v[0:1], v[0:1], v[46:47]
	s_and_not1_b32 exec_lo, exec_lo, s1
	s_cbranch_execnz .LBB16_52
; %bb.53:
	s_or_b32 exec_lo, exec_lo, s1
.LBB16_54:
	s_delay_alu instid0(SALU_CYCLE_1) | instskip(SKIP_4) | instid1(VALU_DEP_1)
	s_or_b32 exec_lo, exec_lo, s6
	v_mov_b32_e32 v40, 0
	ds_load_b64 v[40:41], v40 offset:88
	s_wait_dscnt 0x0
	v_pk_mul_f32 v[46:47], v[0:1], v[40:41] op_sel:[1,1] op_sel_hi:[0,1]
	v_pk_fma_f32 v[48:49], v[0:1], v[40:41], v[46:47] op_sel_hi:[1,0,1]
	v_pk_fma_f32 v[0:1], v[0:1], v[40:41], v[46:47] neg_lo:[0,0,1] neg_hi:[0,0,1]
	s_delay_alu instid0(VALU_DEP_2)
	v_mov_b32_e32 v1, v49
	ds_store_b64 v37, v[0:1] offset:88
.LBB16_55:
	s_or_b32 exec_lo, exec_lo, s4
	ds_load_b64 v[0:1], v37 offset:80
	v_cmp_lt_u32_e64 s1, 10, v42
	s_wait_dscnt 0x0
	ds_store_b64 v38, v[0:1]
	s_wait_dscnt 0x0
	s_barrier_signal -1
	s_barrier_wait -1
	s_and_saveexec_b32 s4, s1
	s_cbranch_execz .LBB16_65
; %bb.56:
	s_and_not1_b32 vcc_lo, exec_lo, s5
	s_cbranch_vccnz .LBB16_58
; %bb.57:
	ds_load_b64 v[0:1], v39
	ds_load_b64 v[40:41], v38
	s_wait_dscnt 0x0
	v_pk_mul_f32 v[46:47], v[40:41], v[0:1] op_sel:[1,1] op_sel_hi:[0,1]
	s_delay_alu instid0(VALU_DEP_1) | instskip(SKIP_1) | instid1(VALU_DEP_2)
	v_pk_fma_f32 v[48:49], v[40:41], v[0:1], v[46:47] op_sel_hi:[1,0,1]
	v_pk_fma_f32 v[0:1], v[40:41], v[0:1], v[46:47] neg_lo:[0,0,1] neg_hi:[0,0,1]
	v_mov_b32_e32 v1, v49
	s_cbranch_execz .LBB16_59
	s_branch .LBB16_60
.LBB16_58:
                                        ; implicit-def: $vgpr0_vgpr1
.LBB16_59:
	ds_load_b64 v[0:1], v38
.LBB16_60:
	s_and_saveexec_b32 s6, s0
	s_cbranch_execz .LBB16_64
; %bb.61:
	s_movk_i32 s0, 0x88
	v_add_nc_u32_e32 v41, -11, v42
	v_mad_u32 v40, v44, s0, 0x178
	s_movk_i32 s7, 0xe8
	s_mov_b32 s0, 0
.LBB16_62:                              ; =>This Inner Loop Header: Depth=1
	s_delay_alu instid0(VALU_DEP_2)
	v_dual_mov_b32 v45, s7 :: v_dual_add_nc_u32 v41, -1, v41
	s_add_co_i32 s7, s7, 8
	ds_load_b64 v[46:47], v40
	ds_load_b64 v[48:49], v45
	v_add_nc_u32_e32 v40, 8, v40
	v_cmp_eq_u32_e32 vcc_lo, 0, v41
	s_or_b32 s0, vcc_lo, s0
	s_wait_dscnt 0x0
	v_pk_mul_f32 v[50:51], v[48:49], v[46:47] op_sel:[1,1] op_sel_hi:[0,1]
	s_delay_alu instid0(VALU_DEP_1) | instskip(SKIP_1) | instid1(VALU_DEP_2)
	v_pk_fma_f32 v[52:53], v[48:49], v[46:47], v[50:51] op_sel_hi:[1,0,1]
	v_pk_fma_f32 v[46:47], v[48:49], v[46:47], v[50:51] neg_lo:[0,0,1] neg_hi:[0,0,1]
	v_mov_b32_e32 v47, v53
	s_delay_alu instid0(VALU_DEP_1)
	v_pk_add_f32 v[0:1], v[0:1], v[46:47]
	s_and_not1_b32 exec_lo, exec_lo, s0
	s_cbranch_execnz .LBB16_62
; %bb.63:
	s_or_b32 exec_lo, exec_lo, s0
.LBB16_64:
	s_delay_alu instid0(SALU_CYCLE_1) | instskip(SKIP_4) | instid1(VALU_DEP_1)
	s_or_b32 exec_lo, exec_lo, s6
	v_mov_b32_e32 v40, 0
	ds_load_b64 v[40:41], v40 offset:80
	s_wait_dscnt 0x0
	v_pk_mul_f32 v[46:47], v[0:1], v[40:41] op_sel:[1,1] op_sel_hi:[0,1]
	v_pk_fma_f32 v[48:49], v[0:1], v[40:41], v[46:47] op_sel_hi:[1,0,1]
	v_pk_fma_f32 v[0:1], v[0:1], v[40:41], v[46:47] neg_lo:[0,0,1] neg_hi:[0,0,1]
	s_delay_alu instid0(VALU_DEP_2)
	v_mov_b32_e32 v1, v49
	ds_store_b64 v37, v[0:1] offset:80
.LBB16_65:
	s_or_b32 exec_lo, exec_lo, s4
	ds_load_b64 v[0:1], v37 offset:72
	v_cmp_lt_u32_e64 s0, 9, v42
	s_wait_dscnt 0x0
	ds_store_b64 v38, v[0:1]
	s_wait_dscnt 0x0
	s_barrier_signal -1
	s_barrier_wait -1
	s_and_saveexec_b32 s4, s0
	s_cbranch_execz .LBB16_75
; %bb.66:
	s_and_not1_b32 vcc_lo, exec_lo, s5
	s_cbranch_vccnz .LBB16_68
; %bb.67:
	ds_load_b64 v[0:1], v39
	ds_load_b64 v[40:41], v38
	s_wait_dscnt 0x0
	v_pk_mul_f32 v[46:47], v[40:41], v[0:1] op_sel:[1,1] op_sel_hi:[0,1]
	s_delay_alu instid0(VALU_DEP_1) | instskip(SKIP_1) | instid1(VALU_DEP_2)
	v_pk_fma_f32 v[48:49], v[40:41], v[0:1], v[46:47] op_sel_hi:[1,0,1]
	v_pk_fma_f32 v[0:1], v[40:41], v[0:1], v[46:47] neg_lo:[0,0,1] neg_hi:[0,0,1]
	v_mov_b32_e32 v1, v49
	s_cbranch_execz .LBB16_69
	s_branch .LBB16_70
.LBB16_68:
                                        ; implicit-def: $vgpr0_vgpr1
.LBB16_69:
	ds_load_b64 v[0:1], v38
.LBB16_70:
	s_and_saveexec_b32 s6, s1
	s_cbranch_execz .LBB16_74
; %bb.71:
	s_movk_i32 s1, 0x88
	v_add_nc_u32_e32 v41, -10, v42
	v_mad_u32 v40, v44, s1, 0x170
	s_movk_i32 s7, 0xe0
	s_mov_b32 s1, 0
.LBB16_72:                              ; =>This Inner Loop Header: Depth=1
	s_delay_alu instid0(VALU_DEP_2)
	v_dual_mov_b32 v45, s7 :: v_dual_add_nc_u32 v41, -1, v41
	s_add_co_i32 s7, s7, 8
	ds_load_b64 v[46:47], v40
	ds_load_b64 v[48:49], v45
	v_add_nc_u32_e32 v40, 8, v40
	v_cmp_eq_u32_e32 vcc_lo, 0, v41
	s_or_b32 s1, vcc_lo, s1
	s_wait_dscnt 0x0
	v_pk_mul_f32 v[50:51], v[48:49], v[46:47] op_sel:[1,1] op_sel_hi:[0,1]
	s_delay_alu instid0(VALU_DEP_1) | instskip(SKIP_1) | instid1(VALU_DEP_2)
	v_pk_fma_f32 v[52:53], v[48:49], v[46:47], v[50:51] op_sel_hi:[1,0,1]
	v_pk_fma_f32 v[46:47], v[48:49], v[46:47], v[50:51] neg_lo:[0,0,1] neg_hi:[0,0,1]
	v_mov_b32_e32 v47, v53
	s_delay_alu instid0(VALU_DEP_1)
	v_pk_add_f32 v[0:1], v[0:1], v[46:47]
	s_and_not1_b32 exec_lo, exec_lo, s1
	s_cbranch_execnz .LBB16_72
; %bb.73:
	s_or_b32 exec_lo, exec_lo, s1
.LBB16_74:
	s_delay_alu instid0(SALU_CYCLE_1) | instskip(SKIP_4) | instid1(VALU_DEP_1)
	s_or_b32 exec_lo, exec_lo, s6
	v_mov_b32_e32 v40, 0
	ds_load_b64 v[40:41], v40 offset:72
	s_wait_dscnt 0x0
	v_pk_mul_f32 v[46:47], v[0:1], v[40:41] op_sel:[1,1] op_sel_hi:[0,1]
	v_pk_fma_f32 v[48:49], v[0:1], v[40:41], v[46:47] op_sel_hi:[1,0,1]
	v_pk_fma_f32 v[0:1], v[0:1], v[40:41], v[46:47] neg_lo:[0,0,1] neg_hi:[0,0,1]
	s_delay_alu instid0(VALU_DEP_2)
	v_mov_b32_e32 v1, v49
	ds_store_b64 v37, v[0:1] offset:72
.LBB16_75:
	s_or_b32 exec_lo, exec_lo, s4
	ds_load_b64 v[0:1], v37 offset:64
	v_cmp_lt_u32_e64 s1, 8, v42
	s_wait_dscnt 0x0
	ds_store_b64 v38, v[0:1]
	s_wait_dscnt 0x0
	s_barrier_signal -1
	s_barrier_wait -1
	s_and_saveexec_b32 s4, s1
	s_cbranch_execz .LBB16_85
; %bb.76:
	s_and_not1_b32 vcc_lo, exec_lo, s5
	s_cbranch_vccnz .LBB16_78
; %bb.77:
	ds_load_b64 v[0:1], v39
	ds_load_b64 v[40:41], v38
	s_wait_dscnt 0x0
	v_pk_mul_f32 v[46:47], v[40:41], v[0:1] op_sel:[1,1] op_sel_hi:[0,1]
	s_delay_alu instid0(VALU_DEP_1) | instskip(SKIP_1) | instid1(VALU_DEP_2)
	v_pk_fma_f32 v[48:49], v[40:41], v[0:1], v[46:47] op_sel_hi:[1,0,1]
	v_pk_fma_f32 v[0:1], v[40:41], v[0:1], v[46:47] neg_lo:[0,0,1] neg_hi:[0,0,1]
	v_mov_b32_e32 v1, v49
	s_cbranch_execz .LBB16_79
	s_branch .LBB16_80
.LBB16_78:
                                        ; implicit-def: $vgpr0_vgpr1
.LBB16_79:
	ds_load_b64 v[0:1], v38
.LBB16_80:
	s_and_saveexec_b32 s6, s0
	s_cbranch_execz .LBB16_84
; %bb.81:
	s_movk_i32 s0, 0x88
	v_add_nc_u32_e32 v41, -9, v42
	v_mad_u32 v40, v44, s0, 0x168
	s_movk_i32 s7, 0xd8
	s_mov_b32 s0, 0
.LBB16_82:                              ; =>This Inner Loop Header: Depth=1
	s_delay_alu instid0(VALU_DEP_2)
	v_dual_mov_b32 v45, s7 :: v_dual_add_nc_u32 v41, -1, v41
	s_add_co_i32 s7, s7, 8
	ds_load_b64 v[46:47], v40
	ds_load_b64 v[48:49], v45
	v_add_nc_u32_e32 v40, 8, v40
	v_cmp_eq_u32_e32 vcc_lo, 0, v41
	s_or_b32 s0, vcc_lo, s0
	s_wait_dscnt 0x0
	v_pk_mul_f32 v[50:51], v[48:49], v[46:47] op_sel:[1,1] op_sel_hi:[0,1]
	s_delay_alu instid0(VALU_DEP_1) | instskip(SKIP_1) | instid1(VALU_DEP_2)
	v_pk_fma_f32 v[52:53], v[48:49], v[46:47], v[50:51] op_sel_hi:[1,0,1]
	v_pk_fma_f32 v[46:47], v[48:49], v[46:47], v[50:51] neg_lo:[0,0,1] neg_hi:[0,0,1]
	v_mov_b32_e32 v47, v53
	s_delay_alu instid0(VALU_DEP_1)
	v_pk_add_f32 v[0:1], v[0:1], v[46:47]
	s_and_not1_b32 exec_lo, exec_lo, s0
	s_cbranch_execnz .LBB16_82
; %bb.83:
	s_or_b32 exec_lo, exec_lo, s0
.LBB16_84:
	s_delay_alu instid0(SALU_CYCLE_1) | instskip(SKIP_4) | instid1(VALU_DEP_1)
	s_or_b32 exec_lo, exec_lo, s6
	v_mov_b32_e32 v40, 0
	ds_load_b64 v[40:41], v40 offset:64
	s_wait_dscnt 0x0
	v_pk_mul_f32 v[46:47], v[0:1], v[40:41] op_sel:[1,1] op_sel_hi:[0,1]
	v_pk_fma_f32 v[48:49], v[0:1], v[40:41], v[46:47] op_sel_hi:[1,0,1]
	v_pk_fma_f32 v[0:1], v[0:1], v[40:41], v[46:47] neg_lo:[0,0,1] neg_hi:[0,0,1]
	s_delay_alu instid0(VALU_DEP_2)
	v_mov_b32_e32 v1, v49
	ds_store_b64 v37, v[0:1] offset:64
.LBB16_85:
	s_or_b32 exec_lo, exec_lo, s4
	ds_load_b64 v[0:1], v37 offset:56
	v_cmp_lt_u32_e64 s0, 7, v42
	s_wait_dscnt 0x0
	ds_store_b64 v38, v[0:1]
	s_wait_dscnt 0x0
	s_barrier_signal -1
	s_barrier_wait -1
	s_and_saveexec_b32 s4, s0
	s_cbranch_execz .LBB16_95
; %bb.86:
	s_and_not1_b32 vcc_lo, exec_lo, s5
	s_cbranch_vccnz .LBB16_88
; %bb.87:
	ds_load_b64 v[0:1], v39
	ds_load_b64 v[40:41], v38
	s_wait_dscnt 0x0
	v_pk_mul_f32 v[46:47], v[40:41], v[0:1] op_sel:[1,1] op_sel_hi:[0,1]
	s_delay_alu instid0(VALU_DEP_1) | instskip(SKIP_1) | instid1(VALU_DEP_2)
	v_pk_fma_f32 v[48:49], v[40:41], v[0:1], v[46:47] op_sel_hi:[1,0,1]
	v_pk_fma_f32 v[0:1], v[40:41], v[0:1], v[46:47] neg_lo:[0,0,1] neg_hi:[0,0,1]
	v_mov_b32_e32 v1, v49
	s_cbranch_execz .LBB16_89
	s_branch .LBB16_90
.LBB16_88:
                                        ; implicit-def: $vgpr0_vgpr1
.LBB16_89:
	ds_load_b64 v[0:1], v38
.LBB16_90:
	s_and_saveexec_b32 s6, s1
	s_cbranch_execz .LBB16_94
; %bb.91:
	s_movk_i32 s1, 0x88
	v_add_nc_u32_e32 v41, -8, v42
	v_mad_u32 v40, v44, s1, 0x160
	s_movk_i32 s7, 0xd0
	s_mov_b32 s1, 0
.LBB16_92:                              ; =>This Inner Loop Header: Depth=1
	s_delay_alu instid0(VALU_DEP_2)
	v_dual_mov_b32 v45, s7 :: v_dual_add_nc_u32 v41, -1, v41
	s_add_co_i32 s7, s7, 8
	ds_load_b64 v[46:47], v40
	ds_load_b64 v[48:49], v45
	v_add_nc_u32_e32 v40, 8, v40
	v_cmp_eq_u32_e32 vcc_lo, 0, v41
	s_or_b32 s1, vcc_lo, s1
	s_wait_dscnt 0x0
	v_pk_mul_f32 v[50:51], v[48:49], v[46:47] op_sel:[1,1] op_sel_hi:[0,1]
	s_delay_alu instid0(VALU_DEP_1) | instskip(SKIP_1) | instid1(VALU_DEP_2)
	v_pk_fma_f32 v[52:53], v[48:49], v[46:47], v[50:51] op_sel_hi:[1,0,1]
	v_pk_fma_f32 v[46:47], v[48:49], v[46:47], v[50:51] neg_lo:[0,0,1] neg_hi:[0,0,1]
	v_mov_b32_e32 v47, v53
	s_delay_alu instid0(VALU_DEP_1)
	v_pk_add_f32 v[0:1], v[0:1], v[46:47]
	s_and_not1_b32 exec_lo, exec_lo, s1
	s_cbranch_execnz .LBB16_92
; %bb.93:
	s_or_b32 exec_lo, exec_lo, s1
.LBB16_94:
	s_delay_alu instid0(SALU_CYCLE_1) | instskip(SKIP_4) | instid1(VALU_DEP_1)
	s_or_b32 exec_lo, exec_lo, s6
	v_mov_b32_e32 v40, 0
	ds_load_b64 v[40:41], v40 offset:56
	s_wait_dscnt 0x0
	v_pk_mul_f32 v[46:47], v[0:1], v[40:41] op_sel:[1,1] op_sel_hi:[0,1]
	v_pk_fma_f32 v[48:49], v[0:1], v[40:41], v[46:47] op_sel_hi:[1,0,1]
	v_pk_fma_f32 v[0:1], v[0:1], v[40:41], v[46:47] neg_lo:[0,0,1] neg_hi:[0,0,1]
	s_delay_alu instid0(VALU_DEP_2)
	v_mov_b32_e32 v1, v49
	ds_store_b64 v37, v[0:1] offset:56
.LBB16_95:
	s_or_b32 exec_lo, exec_lo, s4
	ds_load_b64 v[0:1], v37 offset:48
	v_cmp_lt_u32_e64 s1, 6, v42
	s_wait_dscnt 0x0
	ds_store_b64 v38, v[0:1]
	s_wait_dscnt 0x0
	s_barrier_signal -1
	s_barrier_wait -1
	s_and_saveexec_b32 s4, s1
	s_cbranch_execz .LBB16_105
; %bb.96:
	s_and_not1_b32 vcc_lo, exec_lo, s5
	s_cbranch_vccnz .LBB16_98
; %bb.97:
	ds_load_b64 v[0:1], v39
	ds_load_b64 v[40:41], v38
	s_wait_dscnt 0x0
	v_pk_mul_f32 v[46:47], v[40:41], v[0:1] op_sel:[1,1] op_sel_hi:[0,1]
	s_delay_alu instid0(VALU_DEP_1) | instskip(SKIP_1) | instid1(VALU_DEP_2)
	v_pk_fma_f32 v[48:49], v[40:41], v[0:1], v[46:47] op_sel_hi:[1,0,1]
	v_pk_fma_f32 v[0:1], v[40:41], v[0:1], v[46:47] neg_lo:[0,0,1] neg_hi:[0,0,1]
	v_mov_b32_e32 v1, v49
	s_cbranch_execz .LBB16_99
	s_branch .LBB16_100
.LBB16_98:
                                        ; implicit-def: $vgpr0_vgpr1
.LBB16_99:
	ds_load_b64 v[0:1], v38
.LBB16_100:
	s_and_saveexec_b32 s6, s0
	s_cbranch_execz .LBB16_104
; %bb.101:
	s_movk_i32 s0, 0x88
	v_add_nc_u32_e32 v41, -7, v42
	v_mad_u32 v40, v44, s0, 0x158
	s_movk_i32 s7, 0xc8
	s_mov_b32 s0, 0
.LBB16_102:                             ; =>This Inner Loop Header: Depth=1
	s_delay_alu instid0(VALU_DEP_2)
	v_dual_mov_b32 v45, s7 :: v_dual_add_nc_u32 v41, -1, v41
	s_add_co_i32 s7, s7, 8
	ds_load_b64 v[46:47], v40
	ds_load_b64 v[48:49], v45
	v_add_nc_u32_e32 v40, 8, v40
	v_cmp_eq_u32_e32 vcc_lo, 0, v41
	s_or_b32 s0, vcc_lo, s0
	s_wait_dscnt 0x0
	v_pk_mul_f32 v[50:51], v[48:49], v[46:47] op_sel:[1,1] op_sel_hi:[0,1]
	s_delay_alu instid0(VALU_DEP_1) | instskip(SKIP_1) | instid1(VALU_DEP_2)
	v_pk_fma_f32 v[52:53], v[48:49], v[46:47], v[50:51] op_sel_hi:[1,0,1]
	v_pk_fma_f32 v[46:47], v[48:49], v[46:47], v[50:51] neg_lo:[0,0,1] neg_hi:[0,0,1]
	v_mov_b32_e32 v47, v53
	s_delay_alu instid0(VALU_DEP_1)
	v_pk_add_f32 v[0:1], v[0:1], v[46:47]
	s_and_not1_b32 exec_lo, exec_lo, s0
	s_cbranch_execnz .LBB16_102
; %bb.103:
	s_or_b32 exec_lo, exec_lo, s0
.LBB16_104:
	s_delay_alu instid0(SALU_CYCLE_1) | instskip(SKIP_4) | instid1(VALU_DEP_1)
	s_or_b32 exec_lo, exec_lo, s6
	v_mov_b32_e32 v40, 0
	ds_load_b64 v[40:41], v40 offset:48
	s_wait_dscnt 0x0
	v_pk_mul_f32 v[46:47], v[0:1], v[40:41] op_sel:[1,1] op_sel_hi:[0,1]
	v_pk_fma_f32 v[48:49], v[0:1], v[40:41], v[46:47] op_sel_hi:[1,0,1]
	v_pk_fma_f32 v[0:1], v[0:1], v[40:41], v[46:47] neg_lo:[0,0,1] neg_hi:[0,0,1]
	s_delay_alu instid0(VALU_DEP_2)
	v_mov_b32_e32 v1, v49
	ds_store_b64 v37, v[0:1] offset:48
.LBB16_105:
	s_or_b32 exec_lo, exec_lo, s4
	ds_load_b64 v[0:1], v37 offset:40
	v_cmp_lt_u32_e64 s0, 5, v42
	s_wait_dscnt 0x0
	ds_store_b64 v38, v[0:1]
	s_wait_dscnt 0x0
	s_barrier_signal -1
	s_barrier_wait -1
	s_and_saveexec_b32 s4, s0
	s_cbranch_execz .LBB16_115
; %bb.106:
	s_and_not1_b32 vcc_lo, exec_lo, s5
	s_cbranch_vccnz .LBB16_108
; %bb.107:
	ds_load_b64 v[0:1], v39
	ds_load_b64 v[40:41], v38
	s_wait_dscnt 0x0
	v_pk_mul_f32 v[46:47], v[40:41], v[0:1] op_sel:[1,1] op_sel_hi:[0,1]
	s_delay_alu instid0(VALU_DEP_1) | instskip(SKIP_1) | instid1(VALU_DEP_2)
	v_pk_fma_f32 v[48:49], v[40:41], v[0:1], v[46:47] op_sel_hi:[1,0,1]
	v_pk_fma_f32 v[0:1], v[40:41], v[0:1], v[46:47] neg_lo:[0,0,1] neg_hi:[0,0,1]
	v_mov_b32_e32 v1, v49
	s_cbranch_execz .LBB16_109
	s_branch .LBB16_110
.LBB16_108:
                                        ; implicit-def: $vgpr0_vgpr1
.LBB16_109:
	ds_load_b64 v[0:1], v38
.LBB16_110:
	s_and_saveexec_b32 s6, s1
	s_cbranch_execz .LBB16_114
; %bb.111:
	s_movk_i32 s1, 0x88
	v_add_nc_u32_e32 v41, -6, v42
	v_mad_u32 v40, v44, s1, 0x150
	s_movk_i32 s7, 0xc0
	s_mov_b32 s1, 0
.LBB16_112:                             ; =>This Inner Loop Header: Depth=1
	s_delay_alu instid0(VALU_DEP_2)
	v_dual_mov_b32 v45, s7 :: v_dual_add_nc_u32 v41, -1, v41
	s_add_co_i32 s7, s7, 8
	ds_load_b64 v[46:47], v40
	ds_load_b64 v[48:49], v45
	v_add_nc_u32_e32 v40, 8, v40
	v_cmp_eq_u32_e32 vcc_lo, 0, v41
	s_or_b32 s1, vcc_lo, s1
	s_wait_dscnt 0x0
	v_pk_mul_f32 v[50:51], v[48:49], v[46:47] op_sel:[1,1] op_sel_hi:[0,1]
	s_delay_alu instid0(VALU_DEP_1) | instskip(SKIP_1) | instid1(VALU_DEP_2)
	v_pk_fma_f32 v[52:53], v[48:49], v[46:47], v[50:51] op_sel_hi:[1,0,1]
	v_pk_fma_f32 v[46:47], v[48:49], v[46:47], v[50:51] neg_lo:[0,0,1] neg_hi:[0,0,1]
	v_mov_b32_e32 v47, v53
	s_delay_alu instid0(VALU_DEP_1)
	v_pk_add_f32 v[0:1], v[0:1], v[46:47]
	s_and_not1_b32 exec_lo, exec_lo, s1
	s_cbranch_execnz .LBB16_112
; %bb.113:
	s_or_b32 exec_lo, exec_lo, s1
.LBB16_114:
	s_delay_alu instid0(SALU_CYCLE_1) | instskip(SKIP_4) | instid1(VALU_DEP_1)
	s_or_b32 exec_lo, exec_lo, s6
	v_mov_b32_e32 v40, 0
	ds_load_b64 v[40:41], v40 offset:40
	s_wait_dscnt 0x0
	v_pk_mul_f32 v[46:47], v[0:1], v[40:41] op_sel:[1,1] op_sel_hi:[0,1]
	v_pk_fma_f32 v[48:49], v[0:1], v[40:41], v[46:47] op_sel_hi:[1,0,1]
	v_pk_fma_f32 v[0:1], v[0:1], v[40:41], v[46:47] neg_lo:[0,0,1] neg_hi:[0,0,1]
	s_delay_alu instid0(VALU_DEP_2)
	v_mov_b32_e32 v1, v49
	ds_store_b64 v37, v[0:1] offset:40
.LBB16_115:
	s_or_b32 exec_lo, exec_lo, s4
	ds_load_b64 v[0:1], v37 offset:32
	v_cmp_lt_u32_e64 s1, 4, v42
	s_wait_dscnt 0x0
	ds_store_b64 v38, v[0:1]
	s_wait_dscnt 0x0
	s_barrier_signal -1
	s_barrier_wait -1
	s_and_saveexec_b32 s4, s1
	s_cbranch_execz .LBB16_125
; %bb.116:
	s_and_not1_b32 vcc_lo, exec_lo, s5
	s_cbranch_vccnz .LBB16_118
; %bb.117:
	ds_load_b64 v[0:1], v39
	ds_load_b64 v[40:41], v38
	s_wait_dscnt 0x0
	v_pk_mul_f32 v[46:47], v[40:41], v[0:1] op_sel:[1,1] op_sel_hi:[0,1]
	s_delay_alu instid0(VALU_DEP_1) | instskip(SKIP_1) | instid1(VALU_DEP_2)
	v_pk_fma_f32 v[48:49], v[40:41], v[0:1], v[46:47] op_sel_hi:[1,0,1]
	v_pk_fma_f32 v[0:1], v[40:41], v[0:1], v[46:47] neg_lo:[0,0,1] neg_hi:[0,0,1]
	v_mov_b32_e32 v1, v49
	s_cbranch_execz .LBB16_119
	s_branch .LBB16_120
.LBB16_118:
                                        ; implicit-def: $vgpr0_vgpr1
.LBB16_119:
	ds_load_b64 v[0:1], v38
.LBB16_120:
	s_and_saveexec_b32 s6, s0
	s_cbranch_execz .LBB16_124
; %bb.121:
	s_movk_i32 s0, 0x88
	v_add_nc_u32_e32 v41, -5, v42
	v_mad_u32 v40, v44, s0, 0x148
	s_movk_i32 s7, 0xb8
	s_mov_b32 s0, 0
.LBB16_122:                             ; =>This Inner Loop Header: Depth=1
	s_delay_alu instid0(VALU_DEP_2)
	v_dual_mov_b32 v45, s7 :: v_dual_add_nc_u32 v41, -1, v41
	s_add_co_i32 s7, s7, 8
	ds_load_b64 v[46:47], v40
	ds_load_b64 v[48:49], v45
	v_add_nc_u32_e32 v40, 8, v40
	v_cmp_eq_u32_e32 vcc_lo, 0, v41
	s_or_b32 s0, vcc_lo, s0
	s_wait_dscnt 0x0
	v_pk_mul_f32 v[50:51], v[48:49], v[46:47] op_sel:[1,1] op_sel_hi:[0,1]
	s_delay_alu instid0(VALU_DEP_1) | instskip(SKIP_1) | instid1(VALU_DEP_2)
	v_pk_fma_f32 v[52:53], v[48:49], v[46:47], v[50:51] op_sel_hi:[1,0,1]
	v_pk_fma_f32 v[46:47], v[48:49], v[46:47], v[50:51] neg_lo:[0,0,1] neg_hi:[0,0,1]
	v_mov_b32_e32 v47, v53
	s_delay_alu instid0(VALU_DEP_1)
	v_pk_add_f32 v[0:1], v[0:1], v[46:47]
	s_and_not1_b32 exec_lo, exec_lo, s0
	s_cbranch_execnz .LBB16_122
; %bb.123:
	s_or_b32 exec_lo, exec_lo, s0
.LBB16_124:
	s_delay_alu instid0(SALU_CYCLE_1) | instskip(SKIP_4) | instid1(VALU_DEP_1)
	s_or_b32 exec_lo, exec_lo, s6
	v_mov_b32_e32 v40, 0
	ds_load_b64 v[40:41], v40 offset:32
	s_wait_dscnt 0x0
	v_pk_mul_f32 v[46:47], v[0:1], v[40:41] op_sel:[1,1] op_sel_hi:[0,1]
	v_pk_fma_f32 v[48:49], v[0:1], v[40:41], v[46:47] op_sel_hi:[1,0,1]
	v_pk_fma_f32 v[0:1], v[0:1], v[40:41], v[46:47] neg_lo:[0,0,1] neg_hi:[0,0,1]
	s_delay_alu instid0(VALU_DEP_2)
	v_mov_b32_e32 v1, v49
	ds_store_b64 v37, v[0:1] offset:32
.LBB16_125:
	s_or_b32 exec_lo, exec_lo, s4
	ds_load_b64 v[0:1], v37 offset:24
	v_cmp_lt_u32_e64 s0, 3, v42
	s_wait_dscnt 0x0
	ds_store_b64 v38, v[0:1]
	s_wait_dscnt 0x0
	s_barrier_signal -1
	s_barrier_wait -1
	s_and_saveexec_b32 s4, s0
	s_cbranch_execz .LBB16_135
; %bb.126:
	s_and_not1_b32 vcc_lo, exec_lo, s5
	s_cbranch_vccnz .LBB16_128
; %bb.127:
	ds_load_b64 v[0:1], v39
	ds_load_b64 v[40:41], v38
	s_wait_dscnt 0x0
	v_pk_mul_f32 v[46:47], v[40:41], v[0:1] op_sel:[1,1] op_sel_hi:[0,1]
	s_delay_alu instid0(VALU_DEP_1) | instskip(SKIP_1) | instid1(VALU_DEP_2)
	v_pk_fma_f32 v[48:49], v[40:41], v[0:1], v[46:47] op_sel_hi:[1,0,1]
	v_pk_fma_f32 v[0:1], v[40:41], v[0:1], v[46:47] neg_lo:[0,0,1] neg_hi:[0,0,1]
	v_mov_b32_e32 v1, v49
	s_cbranch_execz .LBB16_129
	s_branch .LBB16_130
.LBB16_128:
                                        ; implicit-def: $vgpr0_vgpr1
.LBB16_129:
	ds_load_b64 v[0:1], v38
.LBB16_130:
	s_and_saveexec_b32 s6, s1
	s_cbranch_execz .LBB16_134
; %bb.131:
	s_movk_i32 s1, 0x88
	v_add_nc_u32_e32 v41, -4, v42
	v_mad_u32 v40, v44, s1, 0x140
	s_movk_i32 s7, 0xb0
	s_mov_b32 s1, 0
.LBB16_132:                             ; =>This Inner Loop Header: Depth=1
	s_delay_alu instid0(VALU_DEP_2)
	v_dual_mov_b32 v45, s7 :: v_dual_add_nc_u32 v41, -1, v41
	s_add_co_i32 s7, s7, 8
	ds_load_b64 v[46:47], v40
	ds_load_b64 v[48:49], v45
	v_add_nc_u32_e32 v40, 8, v40
	v_cmp_eq_u32_e32 vcc_lo, 0, v41
	s_or_b32 s1, vcc_lo, s1
	s_wait_dscnt 0x0
	v_pk_mul_f32 v[50:51], v[48:49], v[46:47] op_sel:[1,1] op_sel_hi:[0,1]
	s_delay_alu instid0(VALU_DEP_1) | instskip(SKIP_1) | instid1(VALU_DEP_2)
	v_pk_fma_f32 v[52:53], v[48:49], v[46:47], v[50:51] op_sel_hi:[1,0,1]
	v_pk_fma_f32 v[46:47], v[48:49], v[46:47], v[50:51] neg_lo:[0,0,1] neg_hi:[0,0,1]
	v_mov_b32_e32 v47, v53
	s_delay_alu instid0(VALU_DEP_1)
	v_pk_add_f32 v[0:1], v[0:1], v[46:47]
	s_and_not1_b32 exec_lo, exec_lo, s1
	s_cbranch_execnz .LBB16_132
; %bb.133:
	s_or_b32 exec_lo, exec_lo, s1
.LBB16_134:
	s_delay_alu instid0(SALU_CYCLE_1) | instskip(SKIP_4) | instid1(VALU_DEP_1)
	s_or_b32 exec_lo, exec_lo, s6
	v_mov_b32_e32 v40, 0
	ds_load_b64 v[40:41], v40 offset:24
	s_wait_dscnt 0x0
	v_pk_mul_f32 v[46:47], v[0:1], v[40:41] op_sel:[1,1] op_sel_hi:[0,1]
	v_pk_fma_f32 v[48:49], v[0:1], v[40:41], v[46:47] op_sel_hi:[1,0,1]
	v_pk_fma_f32 v[0:1], v[0:1], v[40:41], v[46:47] neg_lo:[0,0,1] neg_hi:[0,0,1]
	s_delay_alu instid0(VALU_DEP_2)
	v_mov_b32_e32 v1, v49
	ds_store_b64 v37, v[0:1] offset:24
.LBB16_135:
	s_or_b32 exec_lo, exec_lo, s4
	ds_load_b64 v[0:1], v37 offset:16
	v_cmp_lt_u32_e64 s1, 2, v42
	s_wait_dscnt 0x0
	ds_store_b64 v38, v[0:1]
	s_wait_dscnt 0x0
	s_barrier_signal -1
	s_barrier_wait -1
	s_and_saveexec_b32 s4, s1
	s_cbranch_execz .LBB16_145
; %bb.136:
	s_and_not1_b32 vcc_lo, exec_lo, s5
	s_cbranch_vccnz .LBB16_138
; %bb.137:
	ds_load_b64 v[0:1], v39
	ds_load_b64 v[40:41], v38
	s_wait_dscnt 0x0
	v_pk_mul_f32 v[46:47], v[40:41], v[0:1] op_sel:[1,1] op_sel_hi:[0,1]
	s_delay_alu instid0(VALU_DEP_1) | instskip(SKIP_1) | instid1(VALU_DEP_2)
	v_pk_fma_f32 v[48:49], v[40:41], v[0:1], v[46:47] op_sel_hi:[1,0,1]
	v_pk_fma_f32 v[0:1], v[40:41], v[0:1], v[46:47] neg_lo:[0,0,1] neg_hi:[0,0,1]
	v_mov_b32_e32 v1, v49
	s_cbranch_execz .LBB16_139
	s_branch .LBB16_140
.LBB16_138:
                                        ; implicit-def: $vgpr0_vgpr1
.LBB16_139:
	ds_load_b64 v[0:1], v38
.LBB16_140:
	s_and_saveexec_b32 s6, s0
	s_cbranch_execz .LBB16_144
; %bb.141:
	s_movk_i32 s0, 0x88
	v_add_nc_u32_e32 v41, -3, v42
	v_mad_u32 v40, v44, s0, 0x138
	s_movk_i32 s7, 0xa8
	s_mov_b32 s0, 0
.LBB16_142:                             ; =>This Inner Loop Header: Depth=1
	s_delay_alu instid0(VALU_DEP_2)
	v_dual_mov_b32 v45, s7 :: v_dual_add_nc_u32 v41, -1, v41
	s_add_co_i32 s7, s7, 8
	ds_load_b64 v[46:47], v40
	ds_load_b64 v[48:49], v45
	v_add_nc_u32_e32 v40, 8, v40
	v_cmp_eq_u32_e32 vcc_lo, 0, v41
	s_or_b32 s0, vcc_lo, s0
	s_wait_dscnt 0x0
	v_pk_mul_f32 v[50:51], v[48:49], v[46:47] op_sel:[1,1] op_sel_hi:[0,1]
	s_delay_alu instid0(VALU_DEP_1) | instskip(SKIP_1) | instid1(VALU_DEP_2)
	v_pk_fma_f32 v[52:53], v[48:49], v[46:47], v[50:51] op_sel_hi:[1,0,1]
	v_pk_fma_f32 v[46:47], v[48:49], v[46:47], v[50:51] neg_lo:[0,0,1] neg_hi:[0,0,1]
	v_mov_b32_e32 v47, v53
	s_delay_alu instid0(VALU_DEP_1)
	v_pk_add_f32 v[0:1], v[0:1], v[46:47]
	s_and_not1_b32 exec_lo, exec_lo, s0
	s_cbranch_execnz .LBB16_142
; %bb.143:
	s_or_b32 exec_lo, exec_lo, s0
.LBB16_144:
	s_delay_alu instid0(SALU_CYCLE_1) | instskip(SKIP_4) | instid1(VALU_DEP_1)
	s_or_b32 exec_lo, exec_lo, s6
	v_mov_b32_e32 v40, 0
	ds_load_b64 v[40:41], v40 offset:16
	s_wait_dscnt 0x0
	v_pk_mul_f32 v[46:47], v[0:1], v[40:41] op_sel:[1,1] op_sel_hi:[0,1]
	v_pk_fma_f32 v[48:49], v[0:1], v[40:41], v[46:47] op_sel_hi:[1,0,1]
	v_pk_fma_f32 v[0:1], v[0:1], v[40:41], v[46:47] neg_lo:[0,0,1] neg_hi:[0,0,1]
	s_delay_alu instid0(VALU_DEP_2)
	v_mov_b32_e32 v1, v49
	ds_store_b64 v37, v[0:1] offset:16
.LBB16_145:
	s_or_b32 exec_lo, exec_lo, s4
	ds_load_b64 v[0:1], v37 offset:8
	v_cmp_lt_u32_e64 s0, 1, v42
	s_wait_dscnt 0x0
	ds_store_b64 v38, v[0:1]
	s_wait_dscnt 0x0
	s_barrier_signal -1
	s_barrier_wait -1
	s_and_saveexec_b32 s4, s0
	s_cbranch_execz .LBB16_155
; %bb.146:
	s_and_not1_b32 vcc_lo, exec_lo, s5
	s_cbranch_vccnz .LBB16_148
; %bb.147:
	ds_load_b64 v[0:1], v39
	ds_load_b64 v[40:41], v38
	s_wait_dscnt 0x0
	v_pk_mul_f32 v[46:47], v[40:41], v[0:1] op_sel:[1,1] op_sel_hi:[0,1]
	s_delay_alu instid0(VALU_DEP_1) | instskip(SKIP_1) | instid1(VALU_DEP_2)
	v_pk_fma_f32 v[48:49], v[40:41], v[0:1], v[46:47] op_sel_hi:[1,0,1]
	v_pk_fma_f32 v[0:1], v[40:41], v[0:1], v[46:47] neg_lo:[0,0,1] neg_hi:[0,0,1]
	v_mov_b32_e32 v1, v49
	s_cbranch_execz .LBB16_149
	s_branch .LBB16_150
.LBB16_148:
                                        ; implicit-def: $vgpr0_vgpr1
.LBB16_149:
	ds_load_b64 v[0:1], v38
.LBB16_150:
	s_and_saveexec_b32 s6, s1
	s_cbranch_execz .LBB16_154
; %bb.151:
	s_movk_i32 s1, 0x88
	v_add_nc_u32_e32 v41, -2, v42
	v_mad_u32 v40, v44, s1, 0x130
	s_movk_i32 s7, 0xa0
	s_mov_b32 s1, 0
.LBB16_152:                             ; =>This Inner Loop Header: Depth=1
	s_delay_alu instid0(VALU_DEP_2)
	v_dual_mov_b32 v45, s7 :: v_dual_add_nc_u32 v41, -1, v41
	s_add_co_i32 s7, s7, 8
	ds_load_b64 v[46:47], v40
	ds_load_b64 v[48:49], v45
	v_add_nc_u32_e32 v40, 8, v40
	v_cmp_eq_u32_e32 vcc_lo, 0, v41
	s_or_b32 s1, vcc_lo, s1
	s_wait_dscnt 0x0
	v_pk_mul_f32 v[50:51], v[48:49], v[46:47] op_sel:[1,1] op_sel_hi:[0,1]
	s_delay_alu instid0(VALU_DEP_1) | instskip(SKIP_1) | instid1(VALU_DEP_2)
	v_pk_fma_f32 v[52:53], v[48:49], v[46:47], v[50:51] op_sel_hi:[1,0,1]
	v_pk_fma_f32 v[46:47], v[48:49], v[46:47], v[50:51] neg_lo:[0,0,1] neg_hi:[0,0,1]
	v_mov_b32_e32 v47, v53
	s_delay_alu instid0(VALU_DEP_1)
	v_pk_add_f32 v[0:1], v[0:1], v[46:47]
	s_and_not1_b32 exec_lo, exec_lo, s1
	s_cbranch_execnz .LBB16_152
; %bb.153:
	s_or_b32 exec_lo, exec_lo, s1
.LBB16_154:
	s_delay_alu instid0(SALU_CYCLE_1) | instskip(SKIP_4) | instid1(VALU_DEP_1)
	s_or_b32 exec_lo, exec_lo, s6
	v_mov_b32_e32 v40, 0
	ds_load_b64 v[40:41], v40 offset:8
	s_wait_dscnt 0x0
	v_pk_mul_f32 v[46:47], v[0:1], v[40:41] op_sel:[1,1] op_sel_hi:[0,1]
	v_pk_fma_f32 v[48:49], v[0:1], v[40:41], v[46:47] op_sel_hi:[1,0,1]
	v_pk_fma_f32 v[0:1], v[0:1], v[40:41], v[46:47] neg_lo:[0,0,1] neg_hi:[0,0,1]
	s_delay_alu instid0(VALU_DEP_2)
	v_mov_b32_e32 v1, v49
	ds_store_b64 v37, v[0:1] offset:8
.LBB16_155:
	s_or_b32 exec_lo, exec_lo, s4
	ds_load_b64 v[0:1], v37
	s_mov_b32 s4, 0
	s_mov_b32 s1, 0
	s_mov_b32 s6, exec_lo
                                        ; implicit-def: $vgpr41
                                        ; implicit-def: $vgpr45
	s_wait_dscnt 0x0
	ds_store_b64 v38, v[0:1]
	s_wait_dscnt 0x0
	s_barrier_signal -1
	s_barrier_wait -1
	v_cmpx_ne_u32_e32 0, v42
	s_cbranch_execz .LBB16_165
; %bb.156:
	s_and_not1_b32 vcc_lo, exec_lo, s5
	s_cbranch_vccnz .LBB16_158
; %bb.157:
	ds_load_b64 v[40:41], v39
	ds_load_b64 v[46:47], v38
	s_wait_dscnt 0x0
	v_dual_mul_f32 v0, v47, v41 :: v_dual_mul_f32 v1, v46, v41
	s_delay_alu instid0(VALU_DEP_1)
	v_dual_fma_f32 v0, v46, v40, -v0 :: v_dual_fmac_f32 v1, v47, v40
	s_and_not1_b32 vcc_lo, exec_lo, s1
	s_cbranch_vccz .LBB16_159
	s_branch .LBB16_160
.LBB16_158:
                                        ; implicit-def: $vgpr0
.LBB16_159:
	ds_load_b64 v[0:1], v38
.LBB16_160:
	s_and_saveexec_b32 s1, s0
	s_cbranch_execz .LBB16_164
; %bb.161:
	s_movk_i32 s0, 0x88
	v_add_nc_u32_e32 v41, -1, v42
	v_mad_u32 v40, v44, s0, 0x128
	s_movk_i32 s7, 0x98
	s_mov_b32 s0, 0
.LBB16_162:                             ; =>This Inner Loop Header: Depth=1
	v_mov_b32_e32 v46, s7
	s_add_co_i32 s7, s7, 8
	ds_load_b64 v[44:45], v40
	ds_load_b64 v[46:47], v46
	s_wait_dscnt 0x0
	v_dual_mul_f32 v48, v47, v45 :: v_dual_mul_f32 v45, v46, v45
	s_delay_alu instid0(VALU_DEP_1) | instskip(NEXT) | instid1(VALU_DEP_2)
	v_dual_fma_f32 v46, v46, v44, -v48 :: v_dual_add_nc_u32 v41, -1, v41
	v_fmac_f32_e32 v45, v47, v44
	s_delay_alu instid0(VALU_DEP_2) | instskip(NEXT) | instid1(VALU_DEP_3)
	v_dual_add_nc_u32 v40, 8, v40 :: v_dual_add_f32 v0, v0, v46
	v_cmp_eq_u32_e32 vcc_lo, 0, v41
	s_delay_alu instid0(VALU_DEP_3) | instskip(SKIP_1) | instid1(SALU_CYCLE_1)
	v_add_f32_e32 v1, v1, v45
	s_or_b32 s0, vcc_lo, s0
	s_and_not1_b32 exec_lo, exec_lo, s0
	s_cbranch_execnz .LBB16_162
; %bb.163:
	s_or_b32 exec_lo, exec_lo, s0
.LBB16_164:
	s_delay_alu instid0(SALU_CYCLE_1)
	s_or_b32 exec_lo, exec_lo, s1
	v_mov_b32_e32 v40, 0
	s_mov_b32 s1, exec_lo
	ds_load_b64 v[40:41], v40
	s_wait_dscnt 0x0
	v_dual_mul_f32 v44, v1, v41 :: v_dual_mul_f32 v41, v0, v41
	s_delay_alu instid0(VALU_DEP_1) | instskip(NEXT) | instid1(VALU_DEP_2)
	v_dual_fma_f32 v0, v0, v40, -v44 :: v_dual_add_nc_u32 v45, 4, v37
	v_fmac_f32_e32 v41, v1, v40
	ds_store_b32 v37, v0
.LBB16_165:
	s_or_b32 exec_lo, exec_lo, s6
	s_delay_alu instid0(SALU_CYCLE_1)
	s_and_b32 vcc_lo, exec_lo, s4
	s_cbranch_vccz .LBB16_321
.LBB16_166:
	ds_load_b64 v[0:1], v37 offset:8
	v_cmp_eq_u32_e64 s0, 0, v42
	s_wait_dscnt 0x0
	ds_store_b64 v38, v[0:1]
	s_wait_dscnt 0x0
	s_barrier_signal -1
	s_barrier_wait -1
	s_and_saveexec_b32 s4, s0
	s_cbranch_execz .LBB16_172
; %bb.167:
	s_and_b32 vcc_lo, exec_lo, s5
	s_cbranch_vccz .LBB16_169
; %bb.168:
	ds_load_b64 v[0:1], v39
	ds_load_b64 v[40:41], v38
	s_wait_dscnt 0x0
	v_pk_mul_f32 v[44:45], v[40:41], v[0:1] op_sel:[1,1] op_sel_hi:[0,1]
	v_pk_mul_f32 v[46:47], v[40:41], v[0:1] op_sel_hi:[1,0]
	s_delay_alu instid0(VALU_DEP_2) | instskip(NEXT) | instid1(VALU_DEP_2)
	v_pk_fma_f32 v[0:1], v[40:41], v[0:1], v[44:45] op_sel_hi:[1,0,1]
	v_sub_f32_e32 v0, v46, v44
	s_cbranch_execz .LBB16_170
	s_branch .LBB16_171
.LBB16_169:
                                        ; implicit-def: $vgpr1
.LBB16_170:
	ds_load_b64 v[0:1], v38
.LBB16_171:
	s_wait_dscnt 0x0
	v_dual_mov_b32 v40, 0 :: v_dual_mov_b32 v44, v1
	v_mov_b32_e32 v45, v0
	ds_load_b64 v[40:41], v40 offset:8
	s_wait_dscnt 0x0
	v_pk_mul_f32 v[44:45], v[44:45], v[40:41] op_sel:[0,1]
	s_delay_alu instid0(VALU_DEP_1) | instskip(SKIP_1) | instid1(VALU_DEP_2)
	v_pk_fma_f32 v[46:47], v[0:1], v[40:41], v[44:45] op_sel_hi:[1,0,1]
	v_pk_fma_f32 v[0:1], v[0:1], v[40:41], v[44:45] neg_lo:[0,0,1] neg_hi:[0,0,1]
	v_mov_b32_e32 v1, v47
	ds_store_b64 v37, v[0:1] offset:8
.LBB16_172:
	s_or_b32 exec_lo, exec_lo, s4
	ds_load_b64 v[0:1], v37 offset:16
	v_cndmask_b32_e64 v40, 0, 1, s5
	s_mov_b32 s4, exec_lo
	s_wait_dscnt 0x0
	ds_store_b64 v38, v[0:1]
	s_wait_dscnt 0x0
	s_barrier_signal -1
	s_barrier_wait -1
	v_cmpx_gt_u32_e32 2, v42
	s_cbranch_execz .LBB16_180
; %bb.173:
	s_and_not1_b32 vcc_lo, exec_lo, s5
	s_cbranch_vccnz .LBB16_175
; %bb.174:
	ds_load_b64 v[0:1], v39
	ds_load_b64 v[44:45], v38
	s_wait_dscnt 0x0
	v_pk_mul_f32 v[46:47], v[44:45], v[0:1] op_sel:[1,1] op_sel_hi:[0,1]
	s_delay_alu instid0(VALU_DEP_1) | instskip(SKIP_1) | instid1(VALU_DEP_2)
	v_pk_fma_f32 v[48:49], v[44:45], v[0:1], v[46:47] op_sel_hi:[1,0,1]
	v_pk_fma_f32 v[0:1], v[44:45], v[0:1], v[46:47] neg_lo:[0,0,1] neg_hi:[0,0,1]
	v_mov_b32_e32 v1, v49
	s_cbranch_execz .LBB16_176
	s_branch .LBB16_177
.LBB16_175:
                                        ; implicit-def: $vgpr0_vgpr1
.LBB16_176:
	ds_load_b64 v[0:1], v38
.LBB16_177:
	s_and_saveexec_b32 s5, s0
	s_cbranch_execz .LBB16_179
; %bb.178:
	v_mov_b32_e32 v41, 0
	ds_load_b64 v[44:45], v37 offset:8
	ds_load_b64 v[46:47], v41 offset:152
	s_wait_dscnt 0x0
	v_pk_mul_f32 v[48:49], v[46:47], v[44:45] op_sel:[1,1] op_sel_hi:[0,1]
	s_delay_alu instid0(VALU_DEP_1) | instskip(SKIP_1) | instid1(VALU_DEP_2)
	v_pk_fma_f32 v[50:51], v[46:47], v[44:45], v[48:49] op_sel_hi:[1,0,1]
	v_pk_fma_f32 v[44:45], v[46:47], v[44:45], v[48:49] neg_lo:[0,0,1] neg_hi:[0,0,1]
	v_mov_b32_e32 v45, v51
	s_delay_alu instid0(VALU_DEP_1)
	v_pk_add_f32 v[0:1], v[0:1], v[44:45]
.LBB16_179:
	s_or_b32 exec_lo, exec_lo, s5
	v_mov_b32_e32 v41, 0
	ds_load_b64 v[44:45], v41 offset:16
	s_wait_dscnt 0x0
	v_pk_mul_f32 v[46:47], v[0:1], v[44:45] op_sel:[1,1] op_sel_hi:[0,1]
	s_delay_alu instid0(VALU_DEP_1) | instskip(SKIP_1) | instid1(VALU_DEP_2)
	v_pk_fma_f32 v[48:49], v[0:1], v[44:45], v[46:47] op_sel_hi:[1,0,1]
	v_pk_fma_f32 v[0:1], v[0:1], v[44:45], v[46:47] neg_lo:[0,0,1] neg_hi:[0,0,1]
	v_mov_b32_e32 v1, v49
	ds_store_b64 v37, v[0:1] offset:16
.LBB16_180:
	s_or_b32 exec_lo, exec_lo, s4
	ds_load_b64 v[0:1], v37 offset:24
	s_mov_b32 s4, exec_lo
	s_wait_dscnt 0x0
	ds_store_b64 v38, v[0:1]
	s_wait_dscnt 0x0
	s_barrier_signal -1
	s_barrier_wait -1
	v_cmpx_gt_u32_e32 3, v42
	s_cbranch_execz .LBB16_190
; %bb.181:
	v_cmp_ne_u32_e32 vcc_lo, 1, v40
	s_cbranch_vccnz .LBB16_183
; %bb.182:
	ds_load_b64 v[0:1], v39
	ds_load_b64 v[44:45], v38
	s_wait_dscnt 0x0
	v_pk_mul_f32 v[46:47], v[44:45], v[0:1] op_sel:[1,1] op_sel_hi:[0,1]
	s_delay_alu instid0(VALU_DEP_1) | instskip(SKIP_1) | instid1(VALU_DEP_2)
	v_pk_fma_f32 v[48:49], v[44:45], v[0:1], v[46:47] op_sel_hi:[1,0,1]
	v_pk_fma_f32 v[0:1], v[44:45], v[0:1], v[46:47] neg_lo:[0,0,1] neg_hi:[0,0,1]
	v_mov_b32_e32 v1, v49
	s_cbranch_execz .LBB16_184
	s_branch .LBB16_185
.LBB16_183:
                                        ; implicit-def: $vgpr0_vgpr1
.LBB16_184:
	ds_load_b64 v[0:1], v38
.LBB16_185:
	s_mov_b32 s5, exec_lo
	v_cmpx_ne_u32_e32 2, v42
	s_cbranch_execz .LBB16_189
; %bb.186:
	ds_load_b64 v[44:45], v39 offset:8
	ds_load_b64 v[46:47], v38 offset:8
	s_wait_dscnt 0x0
	v_pk_mul_f32 v[48:49], v[46:47], v[44:45] op_sel:[1,1] op_sel_hi:[0,1]
	s_delay_alu instid0(VALU_DEP_1) | instskip(SKIP_1) | instid1(VALU_DEP_2)
	v_pk_fma_f32 v[50:51], v[46:47], v[44:45], v[48:49] op_sel_hi:[1,0,1]
	v_pk_fma_f32 v[44:45], v[46:47], v[44:45], v[48:49] neg_lo:[0,0,1] neg_hi:[0,0,1]
	v_mov_b32_e32 v45, v51
	s_delay_alu instid0(VALU_DEP_1)
	v_pk_add_f32 v[0:1], v[0:1], v[44:45]
	s_and_saveexec_b32 s6, s0
	s_cbranch_execz .LBB16_188
; %bb.187:
	v_mov_b32_e32 v41, 0
	ds_load_b64 v[44:45], v41 offset:160
	ds_load_b64 v[46:47], v37 offset:16
	s_wait_dscnt 0x0
	v_pk_mul_f32 v[48:49], v[44:45], v[46:47] op_sel:[1,1] op_sel_hi:[0,1]
	s_delay_alu instid0(VALU_DEP_1) | instskip(SKIP_1) | instid1(VALU_DEP_2)
	v_pk_fma_f32 v[50:51], v[44:45], v[46:47], v[48:49] op_sel_hi:[1,0,1]
	v_pk_fma_f32 v[44:45], v[44:45], v[46:47], v[48:49] neg_lo:[0,0,1] neg_hi:[0,0,1]
	v_mov_b32_e32 v45, v51
	s_delay_alu instid0(VALU_DEP_1)
	v_pk_add_f32 v[0:1], v[0:1], v[44:45]
.LBB16_188:
	s_or_b32 exec_lo, exec_lo, s6
.LBB16_189:
	s_delay_alu instid0(SALU_CYCLE_1) | instskip(SKIP_4) | instid1(VALU_DEP_1)
	s_or_b32 exec_lo, exec_lo, s5
	v_mov_b32_e32 v41, 0
	ds_load_b64 v[44:45], v41 offset:24
	s_wait_dscnt 0x0
	v_pk_mul_f32 v[46:47], v[0:1], v[44:45] op_sel:[1,1] op_sel_hi:[0,1]
	v_pk_fma_f32 v[48:49], v[0:1], v[44:45], v[46:47] op_sel_hi:[1,0,1]
	v_pk_fma_f32 v[0:1], v[0:1], v[44:45], v[46:47] neg_lo:[0,0,1] neg_hi:[0,0,1]
	s_delay_alu instid0(VALU_DEP_2)
	v_mov_b32_e32 v1, v49
	ds_store_b64 v37, v[0:1] offset:24
.LBB16_190:
	s_or_b32 exec_lo, exec_lo, s4
	ds_load_b64 v[0:1], v37 offset:32
	s_mov_b32 s0, exec_lo
	s_wait_dscnt 0x0
	ds_store_b64 v38, v[0:1]
	s_wait_dscnt 0x0
	s_barrier_signal -1
	s_barrier_wait -1
	v_cmpx_gt_u32_e32 4, v42
	s_cbranch_execz .LBB16_200
; %bb.191:
	v_cmp_ne_u32_e32 vcc_lo, 1, v40
	s_cbranch_vccnz .LBB16_193
; %bb.192:
	ds_load_b64 v[0:1], v39
	ds_load_b64 v[44:45], v38
	s_wait_dscnt 0x0
	v_pk_mul_f32 v[46:47], v[44:45], v[0:1] op_sel:[1,1] op_sel_hi:[0,1]
	s_delay_alu instid0(VALU_DEP_1) | instskip(SKIP_1) | instid1(VALU_DEP_2)
	v_pk_fma_f32 v[48:49], v[44:45], v[0:1], v[46:47] op_sel_hi:[1,0,1]
	v_pk_fma_f32 v[0:1], v[44:45], v[0:1], v[46:47] neg_lo:[0,0,1] neg_hi:[0,0,1]
	v_mov_b32_e32 v1, v49
	s_cbranch_execz .LBB16_194
	s_branch .LBB16_195
.LBB16_193:
                                        ; implicit-def: $vgpr0_vgpr1
.LBB16_194:
	ds_load_b64 v[0:1], v38
.LBB16_195:
	s_mov_b32 s4, exec_lo
	v_cmpx_ne_u32_e32 3, v42
	s_cbranch_execz .LBB16_199
; %bb.196:
	v_add_nc_u32_e32 v41, 0x98, v36
	v_add3_u32 v44, v43, v36, 0x128
	v_mov_b32_e32 v45, v42
	s_mov_b32 s5, 0
.LBB16_197:                             ; =>This Inner Loop Header: Depth=1
	ds_load_b64 v[46:47], v44
	ds_load_b64 v[48:49], v41
	v_dual_add_nc_u32 v41, 8, v41 :: v_dual_add_nc_u32 v44, 8, v44
	s_wait_dscnt 0x0
	v_pk_mul_f32 v[50:51], v[48:49], v[46:47] op_sel:[1,1] op_sel_hi:[0,1]
	s_delay_alu instid0(VALU_DEP_1) | instskip(SKIP_2) | instid1(VALU_DEP_3)
	v_pk_fma_f32 v[52:53], v[48:49], v[46:47], v[50:51] op_sel_hi:[1,0,1]
	v_add_nc_u32_e32 v45, 1, v45
	v_pk_fma_f32 v[46:47], v[48:49], v[46:47], v[50:51] neg_lo:[0,0,1] neg_hi:[0,0,1]
	v_mov_b32_e32 v47, v53
	s_delay_alu instid0(VALU_DEP_3) | instskip(NEXT) | instid1(VALU_DEP_2)
	v_cmp_lt_u32_e32 vcc_lo, 2, v45
	v_pk_add_f32 v[0:1], v[0:1], v[46:47]
	s_or_b32 s5, vcc_lo, s5
	s_delay_alu instid0(SALU_CYCLE_1)
	s_and_not1_b32 exec_lo, exec_lo, s5
	s_cbranch_execnz .LBB16_197
; %bb.198:
	s_or_b32 exec_lo, exec_lo, s5
.LBB16_199:
	s_delay_alu instid0(SALU_CYCLE_1) | instskip(SKIP_4) | instid1(VALU_DEP_1)
	s_or_b32 exec_lo, exec_lo, s4
	v_mov_b32_e32 v41, 0
	ds_load_b64 v[44:45], v41 offset:32
	s_wait_dscnt 0x0
	v_pk_mul_f32 v[46:47], v[0:1], v[44:45] op_sel:[1,1] op_sel_hi:[0,1]
	v_pk_fma_f32 v[48:49], v[0:1], v[44:45], v[46:47] op_sel_hi:[1,0,1]
	v_pk_fma_f32 v[0:1], v[0:1], v[44:45], v[46:47] neg_lo:[0,0,1] neg_hi:[0,0,1]
	s_delay_alu instid0(VALU_DEP_2)
	v_mov_b32_e32 v1, v49
	ds_store_b64 v37, v[0:1] offset:32
.LBB16_200:
	s_or_b32 exec_lo, exec_lo, s0
	ds_load_b64 v[0:1], v37 offset:40
	s_mov_b32 s0, exec_lo
	s_wait_dscnt 0x0
	ds_store_b64 v38, v[0:1]
	s_wait_dscnt 0x0
	s_barrier_signal -1
	s_barrier_wait -1
	v_cmpx_gt_u32_e32 5, v42
	s_cbranch_execz .LBB16_210
; %bb.201:
	v_cmp_ne_u32_e32 vcc_lo, 1, v40
	s_cbranch_vccnz .LBB16_203
; %bb.202:
	ds_load_b64 v[0:1], v39
	ds_load_b64 v[44:45], v38
	s_wait_dscnt 0x0
	v_pk_mul_f32 v[46:47], v[44:45], v[0:1] op_sel:[1,1] op_sel_hi:[0,1]
	s_delay_alu instid0(VALU_DEP_1) | instskip(SKIP_1) | instid1(VALU_DEP_2)
	v_pk_fma_f32 v[48:49], v[44:45], v[0:1], v[46:47] op_sel_hi:[1,0,1]
	v_pk_fma_f32 v[0:1], v[44:45], v[0:1], v[46:47] neg_lo:[0,0,1] neg_hi:[0,0,1]
	v_mov_b32_e32 v1, v49
	s_cbranch_execz .LBB16_204
	s_branch .LBB16_205
.LBB16_203:
                                        ; implicit-def: $vgpr0_vgpr1
.LBB16_204:
	ds_load_b64 v[0:1], v38
.LBB16_205:
	s_mov_b32 s4, exec_lo
	v_cmpx_ne_u32_e32 4, v42
	s_cbranch_execz .LBB16_209
; %bb.206:
	v_add_nc_u32_e32 v41, 0x98, v36
	v_add3_u32 v44, v43, v36, 0x128
	v_mov_b32_e32 v45, v42
	s_mov_b32 s5, 0
.LBB16_207:                             ; =>This Inner Loop Header: Depth=1
	ds_load_b64 v[46:47], v44
	ds_load_b64 v[48:49], v41
	v_dual_add_nc_u32 v41, 8, v41 :: v_dual_add_nc_u32 v44, 8, v44
	s_wait_dscnt 0x0
	v_pk_mul_f32 v[50:51], v[48:49], v[46:47] op_sel:[1,1] op_sel_hi:[0,1]
	s_delay_alu instid0(VALU_DEP_1) | instskip(SKIP_2) | instid1(VALU_DEP_3)
	v_pk_fma_f32 v[52:53], v[48:49], v[46:47], v[50:51] op_sel_hi:[1,0,1]
	v_add_nc_u32_e32 v45, 1, v45
	v_pk_fma_f32 v[46:47], v[48:49], v[46:47], v[50:51] neg_lo:[0,0,1] neg_hi:[0,0,1]
	v_mov_b32_e32 v47, v53
	s_delay_alu instid0(VALU_DEP_3) | instskip(NEXT) | instid1(VALU_DEP_2)
	v_cmp_lt_u32_e32 vcc_lo, 3, v45
	v_pk_add_f32 v[0:1], v[0:1], v[46:47]
	s_or_b32 s5, vcc_lo, s5
	s_delay_alu instid0(SALU_CYCLE_1)
	s_and_not1_b32 exec_lo, exec_lo, s5
	s_cbranch_execnz .LBB16_207
; %bb.208:
	s_or_b32 exec_lo, exec_lo, s5
.LBB16_209:
	s_delay_alu instid0(SALU_CYCLE_1) | instskip(SKIP_4) | instid1(VALU_DEP_1)
	s_or_b32 exec_lo, exec_lo, s4
	v_mov_b32_e32 v41, 0
	ds_load_b64 v[44:45], v41 offset:40
	s_wait_dscnt 0x0
	v_pk_mul_f32 v[46:47], v[0:1], v[44:45] op_sel:[1,1] op_sel_hi:[0,1]
	v_pk_fma_f32 v[48:49], v[0:1], v[44:45], v[46:47] op_sel_hi:[1,0,1]
	v_pk_fma_f32 v[0:1], v[0:1], v[44:45], v[46:47] neg_lo:[0,0,1] neg_hi:[0,0,1]
	s_delay_alu instid0(VALU_DEP_2)
	v_mov_b32_e32 v1, v49
	ds_store_b64 v37, v[0:1] offset:40
.LBB16_210:
	s_or_b32 exec_lo, exec_lo, s0
	ds_load_b64 v[0:1], v37 offset:48
	s_mov_b32 s0, exec_lo
	s_wait_dscnt 0x0
	ds_store_b64 v38, v[0:1]
	s_wait_dscnt 0x0
	s_barrier_signal -1
	s_barrier_wait -1
	v_cmpx_gt_u32_e32 6, v42
	s_cbranch_execz .LBB16_220
; %bb.211:
	v_cmp_ne_u32_e32 vcc_lo, 1, v40
	s_cbranch_vccnz .LBB16_213
; %bb.212:
	ds_load_b64 v[0:1], v39
	ds_load_b64 v[44:45], v38
	s_wait_dscnt 0x0
	v_pk_mul_f32 v[46:47], v[44:45], v[0:1] op_sel:[1,1] op_sel_hi:[0,1]
	s_delay_alu instid0(VALU_DEP_1) | instskip(SKIP_1) | instid1(VALU_DEP_2)
	v_pk_fma_f32 v[48:49], v[44:45], v[0:1], v[46:47] op_sel_hi:[1,0,1]
	v_pk_fma_f32 v[0:1], v[44:45], v[0:1], v[46:47] neg_lo:[0,0,1] neg_hi:[0,0,1]
	v_mov_b32_e32 v1, v49
	s_cbranch_execz .LBB16_214
	s_branch .LBB16_215
.LBB16_213:
                                        ; implicit-def: $vgpr0_vgpr1
.LBB16_214:
	ds_load_b64 v[0:1], v38
.LBB16_215:
	s_mov_b32 s4, exec_lo
	v_cmpx_ne_u32_e32 5, v42
	s_cbranch_execz .LBB16_219
; %bb.216:
	v_add_nc_u32_e32 v41, 0x98, v36
	v_add3_u32 v44, v43, v36, 0x128
	v_mov_b32_e32 v45, v42
	s_mov_b32 s5, 0
.LBB16_217:                             ; =>This Inner Loop Header: Depth=1
	ds_load_b64 v[46:47], v44
	ds_load_b64 v[48:49], v41
	v_dual_add_nc_u32 v41, 8, v41 :: v_dual_add_nc_u32 v44, 8, v44
	s_wait_dscnt 0x0
	v_pk_mul_f32 v[50:51], v[48:49], v[46:47] op_sel:[1,1] op_sel_hi:[0,1]
	s_delay_alu instid0(VALU_DEP_1) | instskip(SKIP_2) | instid1(VALU_DEP_3)
	v_pk_fma_f32 v[52:53], v[48:49], v[46:47], v[50:51] op_sel_hi:[1,0,1]
	v_add_nc_u32_e32 v45, 1, v45
	v_pk_fma_f32 v[46:47], v[48:49], v[46:47], v[50:51] neg_lo:[0,0,1] neg_hi:[0,0,1]
	v_mov_b32_e32 v47, v53
	s_delay_alu instid0(VALU_DEP_3) | instskip(NEXT) | instid1(VALU_DEP_2)
	v_cmp_lt_u32_e32 vcc_lo, 4, v45
	v_pk_add_f32 v[0:1], v[0:1], v[46:47]
	s_or_b32 s5, vcc_lo, s5
	s_delay_alu instid0(SALU_CYCLE_1)
	s_and_not1_b32 exec_lo, exec_lo, s5
	s_cbranch_execnz .LBB16_217
; %bb.218:
	s_or_b32 exec_lo, exec_lo, s5
.LBB16_219:
	s_delay_alu instid0(SALU_CYCLE_1) | instskip(SKIP_4) | instid1(VALU_DEP_1)
	s_or_b32 exec_lo, exec_lo, s4
	v_mov_b32_e32 v41, 0
	ds_load_b64 v[44:45], v41 offset:48
	s_wait_dscnt 0x0
	v_pk_mul_f32 v[46:47], v[0:1], v[44:45] op_sel:[1,1] op_sel_hi:[0,1]
	v_pk_fma_f32 v[48:49], v[0:1], v[44:45], v[46:47] op_sel_hi:[1,0,1]
	v_pk_fma_f32 v[0:1], v[0:1], v[44:45], v[46:47] neg_lo:[0,0,1] neg_hi:[0,0,1]
	s_delay_alu instid0(VALU_DEP_2)
	v_mov_b32_e32 v1, v49
	ds_store_b64 v37, v[0:1] offset:48
.LBB16_220:
	s_or_b32 exec_lo, exec_lo, s0
	ds_load_b64 v[0:1], v37 offset:56
	s_mov_b32 s0, exec_lo
	s_wait_dscnt 0x0
	ds_store_b64 v38, v[0:1]
	s_wait_dscnt 0x0
	s_barrier_signal -1
	s_barrier_wait -1
	v_cmpx_gt_u32_e32 7, v42
	s_cbranch_execz .LBB16_230
; %bb.221:
	v_cmp_ne_u32_e32 vcc_lo, 1, v40
	s_cbranch_vccnz .LBB16_223
; %bb.222:
	ds_load_b64 v[0:1], v39
	ds_load_b64 v[44:45], v38
	s_wait_dscnt 0x0
	v_pk_mul_f32 v[46:47], v[44:45], v[0:1] op_sel:[1,1] op_sel_hi:[0,1]
	s_delay_alu instid0(VALU_DEP_1) | instskip(SKIP_1) | instid1(VALU_DEP_2)
	v_pk_fma_f32 v[48:49], v[44:45], v[0:1], v[46:47] op_sel_hi:[1,0,1]
	v_pk_fma_f32 v[0:1], v[44:45], v[0:1], v[46:47] neg_lo:[0,0,1] neg_hi:[0,0,1]
	v_mov_b32_e32 v1, v49
	s_cbranch_execz .LBB16_224
	s_branch .LBB16_225
.LBB16_223:
                                        ; implicit-def: $vgpr0_vgpr1
.LBB16_224:
	ds_load_b64 v[0:1], v38
.LBB16_225:
	s_mov_b32 s4, exec_lo
	v_cmpx_ne_u32_e32 6, v42
	s_cbranch_execz .LBB16_229
; %bb.226:
	v_add_nc_u32_e32 v41, 0x98, v36
	v_add3_u32 v44, v43, v36, 0x128
	v_mov_b32_e32 v45, v42
	s_mov_b32 s5, 0
.LBB16_227:                             ; =>This Inner Loop Header: Depth=1
	ds_load_b64 v[46:47], v44
	ds_load_b64 v[48:49], v41
	v_dual_add_nc_u32 v41, 8, v41 :: v_dual_add_nc_u32 v44, 8, v44
	s_wait_dscnt 0x0
	v_pk_mul_f32 v[50:51], v[48:49], v[46:47] op_sel:[1,1] op_sel_hi:[0,1]
	s_delay_alu instid0(VALU_DEP_1) | instskip(SKIP_2) | instid1(VALU_DEP_3)
	v_pk_fma_f32 v[52:53], v[48:49], v[46:47], v[50:51] op_sel_hi:[1,0,1]
	v_add_nc_u32_e32 v45, 1, v45
	v_pk_fma_f32 v[46:47], v[48:49], v[46:47], v[50:51] neg_lo:[0,0,1] neg_hi:[0,0,1]
	v_mov_b32_e32 v47, v53
	s_delay_alu instid0(VALU_DEP_3) | instskip(NEXT) | instid1(VALU_DEP_2)
	v_cmp_lt_u32_e32 vcc_lo, 5, v45
	v_pk_add_f32 v[0:1], v[0:1], v[46:47]
	s_or_b32 s5, vcc_lo, s5
	s_delay_alu instid0(SALU_CYCLE_1)
	s_and_not1_b32 exec_lo, exec_lo, s5
	s_cbranch_execnz .LBB16_227
; %bb.228:
	s_or_b32 exec_lo, exec_lo, s5
.LBB16_229:
	s_delay_alu instid0(SALU_CYCLE_1) | instskip(SKIP_4) | instid1(VALU_DEP_1)
	s_or_b32 exec_lo, exec_lo, s4
	v_mov_b32_e32 v41, 0
	ds_load_b64 v[44:45], v41 offset:56
	s_wait_dscnt 0x0
	v_pk_mul_f32 v[46:47], v[0:1], v[44:45] op_sel:[1,1] op_sel_hi:[0,1]
	v_pk_fma_f32 v[48:49], v[0:1], v[44:45], v[46:47] op_sel_hi:[1,0,1]
	v_pk_fma_f32 v[0:1], v[0:1], v[44:45], v[46:47] neg_lo:[0,0,1] neg_hi:[0,0,1]
	s_delay_alu instid0(VALU_DEP_2)
	v_mov_b32_e32 v1, v49
	ds_store_b64 v37, v[0:1] offset:56
.LBB16_230:
	s_or_b32 exec_lo, exec_lo, s0
	ds_load_b64 v[0:1], v37 offset:64
	s_mov_b32 s0, exec_lo
	s_wait_dscnt 0x0
	ds_store_b64 v38, v[0:1]
	s_wait_dscnt 0x0
	s_barrier_signal -1
	s_barrier_wait -1
	v_cmpx_gt_u32_e32 8, v42
	s_cbranch_execz .LBB16_240
; %bb.231:
	v_cmp_ne_u32_e32 vcc_lo, 1, v40
	s_cbranch_vccnz .LBB16_233
; %bb.232:
	ds_load_b64 v[0:1], v39
	ds_load_b64 v[44:45], v38
	s_wait_dscnt 0x0
	v_pk_mul_f32 v[46:47], v[44:45], v[0:1] op_sel:[1,1] op_sel_hi:[0,1]
	s_delay_alu instid0(VALU_DEP_1) | instskip(SKIP_1) | instid1(VALU_DEP_2)
	v_pk_fma_f32 v[48:49], v[44:45], v[0:1], v[46:47] op_sel_hi:[1,0,1]
	v_pk_fma_f32 v[0:1], v[44:45], v[0:1], v[46:47] neg_lo:[0,0,1] neg_hi:[0,0,1]
	v_mov_b32_e32 v1, v49
	s_cbranch_execz .LBB16_234
	s_branch .LBB16_235
.LBB16_233:
                                        ; implicit-def: $vgpr0_vgpr1
.LBB16_234:
	ds_load_b64 v[0:1], v38
.LBB16_235:
	s_mov_b32 s4, exec_lo
	v_cmpx_ne_u32_e32 7, v42
	s_cbranch_execz .LBB16_239
; %bb.236:
	v_add_nc_u32_e32 v41, 0x98, v36
	v_add3_u32 v44, v43, v36, 0x128
	v_mov_b32_e32 v45, v42
	s_mov_b32 s5, 0
.LBB16_237:                             ; =>This Inner Loop Header: Depth=1
	ds_load_b64 v[46:47], v44
	ds_load_b64 v[48:49], v41
	v_dual_add_nc_u32 v41, 8, v41 :: v_dual_add_nc_u32 v44, 8, v44
	s_wait_dscnt 0x0
	v_pk_mul_f32 v[50:51], v[48:49], v[46:47] op_sel:[1,1] op_sel_hi:[0,1]
	s_delay_alu instid0(VALU_DEP_1) | instskip(SKIP_2) | instid1(VALU_DEP_3)
	v_pk_fma_f32 v[52:53], v[48:49], v[46:47], v[50:51] op_sel_hi:[1,0,1]
	v_add_nc_u32_e32 v45, 1, v45
	v_pk_fma_f32 v[46:47], v[48:49], v[46:47], v[50:51] neg_lo:[0,0,1] neg_hi:[0,0,1]
	v_mov_b32_e32 v47, v53
	s_delay_alu instid0(VALU_DEP_3) | instskip(NEXT) | instid1(VALU_DEP_2)
	v_cmp_lt_u32_e32 vcc_lo, 6, v45
	v_pk_add_f32 v[0:1], v[0:1], v[46:47]
	s_or_b32 s5, vcc_lo, s5
	s_delay_alu instid0(SALU_CYCLE_1)
	s_and_not1_b32 exec_lo, exec_lo, s5
	s_cbranch_execnz .LBB16_237
; %bb.238:
	s_or_b32 exec_lo, exec_lo, s5
.LBB16_239:
	s_delay_alu instid0(SALU_CYCLE_1) | instskip(SKIP_4) | instid1(VALU_DEP_1)
	s_or_b32 exec_lo, exec_lo, s4
	v_mov_b32_e32 v41, 0
	ds_load_b64 v[44:45], v41 offset:64
	s_wait_dscnt 0x0
	v_pk_mul_f32 v[46:47], v[0:1], v[44:45] op_sel:[1,1] op_sel_hi:[0,1]
	v_pk_fma_f32 v[48:49], v[0:1], v[44:45], v[46:47] op_sel_hi:[1,0,1]
	v_pk_fma_f32 v[0:1], v[0:1], v[44:45], v[46:47] neg_lo:[0,0,1] neg_hi:[0,0,1]
	s_delay_alu instid0(VALU_DEP_2)
	v_mov_b32_e32 v1, v49
	ds_store_b64 v37, v[0:1] offset:64
.LBB16_240:
	s_or_b32 exec_lo, exec_lo, s0
	ds_load_b64 v[0:1], v37 offset:72
	s_mov_b32 s0, exec_lo
	s_wait_dscnt 0x0
	ds_store_b64 v38, v[0:1]
	s_wait_dscnt 0x0
	s_barrier_signal -1
	s_barrier_wait -1
	v_cmpx_gt_u32_e32 9, v42
	s_cbranch_execz .LBB16_250
; %bb.241:
	v_cmp_ne_u32_e32 vcc_lo, 1, v40
	s_cbranch_vccnz .LBB16_243
; %bb.242:
	ds_load_b64 v[0:1], v39
	ds_load_b64 v[44:45], v38
	s_wait_dscnt 0x0
	v_pk_mul_f32 v[46:47], v[44:45], v[0:1] op_sel:[1,1] op_sel_hi:[0,1]
	s_delay_alu instid0(VALU_DEP_1) | instskip(SKIP_1) | instid1(VALU_DEP_2)
	v_pk_fma_f32 v[48:49], v[44:45], v[0:1], v[46:47] op_sel_hi:[1,0,1]
	v_pk_fma_f32 v[0:1], v[44:45], v[0:1], v[46:47] neg_lo:[0,0,1] neg_hi:[0,0,1]
	v_mov_b32_e32 v1, v49
	s_cbranch_execz .LBB16_244
	s_branch .LBB16_245
.LBB16_243:
                                        ; implicit-def: $vgpr0_vgpr1
.LBB16_244:
	ds_load_b64 v[0:1], v38
.LBB16_245:
	s_mov_b32 s4, exec_lo
	v_cmpx_ne_u32_e32 8, v42
	s_cbranch_execz .LBB16_249
; %bb.246:
	v_add_nc_u32_e32 v41, 0x98, v36
	v_add3_u32 v44, v43, v36, 0x128
	v_mov_b32_e32 v45, v42
	s_mov_b32 s5, 0
.LBB16_247:                             ; =>This Inner Loop Header: Depth=1
	ds_load_b64 v[46:47], v44
	ds_load_b64 v[48:49], v41
	v_dual_add_nc_u32 v41, 8, v41 :: v_dual_add_nc_u32 v44, 8, v44
	s_wait_dscnt 0x0
	v_pk_mul_f32 v[50:51], v[48:49], v[46:47] op_sel:[1,1] op_sel_hi:[0,1]
	s_delay_alu instid0(VALU_DEP_1) | instskip(SKIP_2) | instid1(VALU_DEP_3)
	v_pk_fma_f32 v[52:53], v[48:49], v[46:47], v[50:51] op_sel_hi:[1,0,1]
	v_add_nc_u32_e32 v45, 1, v45
	v_pk_fma_f32 v[46:47], v[48:49], v[46:47], v[50:51] neg_lo:[0,0,1] neg_hi:[0,0,1]
	v_mov_b32_e32 v47, v53
	s_delay_alu instid0(VALU_DEP_3) | instskip(NEXT) | instid1(VALU_DEP_2)
	v_cmp_lt_u32_e32 vcc_lo, 7, v45
	v_pk_add_f32 v[0:1], v[0:1], v[46:47]
	s_or_b32 s5, vcc_lo, s5
	s_delay_alu instid0(SALU_CYCLE_1)
	s_and_not1_b32 exec_lo, exec_lo, s5
	s_cbranch_execnz .LBB16_247
; %bb.248:
	s_or_b32 exec_lo, exec_lo, s5
.LBB16_249:
	s_delay_alu instid0(SALU_CYCLE_1) | instskip(SKIP_4) | instid1(VALU_DEP_1)
	s_or_b32 exec_lo, exec_lo, s4
	v_mov_b32_e32 v41, 0
	ds_load_b64 v[44:45], v41 offset:72
	s_wait_dscnt 0x0
	v_pk_mul_f32 v[46:47], v[0:1], v[44:45] op_sel:[1,1] op_sel_hi:[0,1]
	v_pk_fma_f32 v[48:49], v[0:1], v[44:45], v[46:47] op_sel_hi:[1,0,1]
	v_pk_fma_f32 v[0:1], v[0:1], v[44:45], v[46:47] neg_lo:[0,0,1] neg_hi:[0,0,1]
	s_delay_alu instid0(VALU_DEP_2)
	v_mov_b32_e32 v1, v49
	ds_store_b64 v37, v[0:1] offset:72
.LBB16_250:
	s_or_b32 exec_lo, exec_lo, s0
	ds_load_b64 v[0:1], v37 offset:80
	s_mov_b32 s0, exec_lo
	s_wait_dscnt 0x0
	ds_store_b64 v38, v[0:1]
	s_wait_dscnt 0x0
	s_barrier_signal -1
	s_barrier_wait -1
	v_cmpx_gt_u32_e32 10, v42
	s_cbranch_execz .LBB16_260
; %bb.251:
	v_cmp_ne_u32_e32 vcc_lo, 1, v40
	s_cbranch_vccnz .LBB16_253
; %bb.252:
	ds_load_b64 v[0:1], v39
	ds_load_b64 v[44:45], v38
	s_wait_dscnt 0x0
	v_pk_mul_f32 v[46:47], v[44:45], v[0:1] op_sel:[1,1] op_sel_hi:[0,1]
	s_delay_alu instid0(VALU_DEP_1) | instskip(SKIP_1) | instid1(VALU_DEP_2)
	v_pk_fma_f32 v[48:49], v[44:45], v[0:1], v[46:47] op_sel_hi:[1,0,1]
	v_pk_fma_f32 v[0:1], v[44:45], v[0:1], v[46:47] neg_lo:[0,0,1] neg_hi:[0,0,1]
	v_mov_b32_e32 v1, v49
	s_cbranch_execz .LBB16_254
	s_branch .LBB16_255
.LBB16_253:
                                        ; implicit-def: $vgpr0_vgpr1
.LBB16_254:
	ds_load_b64 v[0:1], v38
.LBB16_255:
	s_mov_b32 s4, exec_lo
	v_cmpx_ne_u32_e32 9, v42
	s_cbranch_execz .LBB16_259
; %bb.256:
	v_add_nc_u32_e32 v41, 0x98, v36
	v_add3_u32 v44, v43, v36, 0x128
	v_mov_b32_e32 v45, v42
	s_mov_b32 s5, 0
.LBB16_257:                             ; =>This Inner Loop Header: Depth=1
	ds_load_b64 v[46:47], v44
	ds_load_b64 v[48:49], v41
	v_dual_add_nc_u32 v41, 8, v41 :: v_dual_add_nc_u32 v44, 8, v44
	s_wait_dscnt 0x0
	v_pk_mul_f32 v[50:51], v[48:49], v[46:47] op_sel:[1,1] op_sel_hi:[0,1]
	s_delay_alu instid0(VALU_DEP_1) | instskip(SKIP_2) | instid1(VALU_DEP_3)
	v_pk_fma_f32 v[52:53], v[48:49], v[46:47], v[50:51] op_sel_hi:[1,0,1]
	v_add_nc_u32_e32 v45, 1, v45
	v_pk_fma_f32 v[46:47], v[48:49], v[46:47], v[50:51] neg_lo:[0,0,1] neg_hi:[0,0,1]
	v_mov_b32_e32 v47, v53
	s_delay_alu instid0(VALU_DEP_3) | instskip(NEXT) | instid1(VALU_DEP_2)
	v_cmp_lt_u32_e32 vcc_lo, 8, v45
	v_pk_add_f32 v[0:1], v[0:1], v[46:47]
	s_or_b32 s5, vcc_lo, s5
	s_delay_alu instid0(SALU_CYCLE_1)
	s_and_not1_b32 exec_lo, exec_lo, s5
	s_cbranch_execnz .LBB16_257
; %bb.258:
	s_or_b32 exec_lo, exec_lo, s5
.LBB16_259:
	s_delay_alu instid0(SALU_CYCLE_1) | instskip(SKIP_4) | instid1(VALU_DEP_1)
	s_or_b32 exec_lo, exec_lo, s4
	v_mov_b32_e32 v41, 0
	ds_load_b64 v[44:45], v41 offset:80
	s_wait_dscnt 0x0
	v_pk_mul_f32 v[46:47], v[0:1], v[44:45] op_sel:[1,1] op_sel_hi:[0,1]
	v_pk_fma_f32 v[48:49], v[0:1], v[44:45], v[46:47] op_sel_hi:[1,0,1]
	v_pk_fma_f32 v[0:1], v[0:1], v[44:45], v[46:47] neg_lo:[0,0,1] neg_hi:[0,0,1]
	s_delay_alu instid0(VALU_DEP_2)
	v_mov_b32_e32 v1, v49
	ds_store_b64 v37, v[0:1] offset:80
.LBB16_260:
	s_or_b32 exec_lo, exec_lo, s0
	ds_load_b64 v[0:1], v37 offset:88
	s_mov_b32 s0, exec_lo
	s_wait_dscnt 0x0
	ds_store_b64 v38, v[0:1]
	s_wait_dscnt 0x0
	s_barrier_signal -1
	s_barrier_wait -1
	v_cmpx_gt_u32_e32 11, v42
	s_cbranch_execz .LBB16_270
; %bb.261:
	v_cmp_ne_u32_e32 vcc_lo, 1, v40
	s_cbranch_vccnz .LBB16_263
; %bb.262:
	ds_load_b64 v[0:1], v39
	ds_load_b64 v[44:45], v38
	s_wait_dscnt 0x0
	v_pk_mul_f32 v[46:47], v[44:45], v[0:1] op_sel:[1,1] op_sel_hi:[0,1]
	s_delay_alu instid0(VALU_DEP_1) | instskip(SKIP_1) | instid1(VALU_DEP_2)
	v_pk_fma_f32 v[48:49], v[44:45], v[0:1], v[46:47] op_sel_hi:[1,0,1]
	v_pk_fma_f32 v[0:1], v[44:45], v[0:1], v[46:47] neg_lo:[0,0,1] neg_hi:[0,0,1]
	v_mov_b32_e32 v1, v49
	s_cbranch_execz .LBB16_264
	s_branch .LBB16_265
.LBB16_263:
                                        ; implicit-def: $vgpr0_vgpr1
.LBB16_264:
	ds_load_b64 v[0:1], v38
.LBB16_265:
	s_mov_b32 s4, exec_lo
	v_cmpx_ne_u32_e32 10, v42
	s_cbranch_execz .LBB16_269
; %bb.266:
	v_add_nc_u32_e32 v41, 0x98, v36
	v_add3_u32 v44, v43, v36, 0x128
	v_mov_b32_e32 v45, v42
	s_mov_b32 s5, 0
.LBB16_267:                             ; =>This Inner Loop Header: Depth=1
	ds_load_b64 v[46:47], v44
	ds_load_b64 v[48:49], v41
	v_dual_add_nc_u32 v41, 8, v41 :: v_dual_add_nc_u32 v44, 8, v44
	s_wait_dscnt 0x0
	v_pk_mul_f32 v[50:51], v[48:49], v[46:47] op_sel:[1,1] op_sel_hi:[0,1]
	s_delay_alu instid0(VALU_DEP_1) | instskip(SKIP_2) | instid1(VALU_DEP_3)
	v_pk_fma_f32 v[52:53], v[48:49], v[46:47], v[50:51] op_sel_hi:[1,0,1]
	v_add_nc_u32_e32 v45, 1, v45
	v_pk_fma_f32 v[46:47], v[48:49], v[46:47], v[50:51] neg_lo:[0,0,1] neg_hi:[0,0,1]
	v_mov_b32_e32 v47, v53
	s_delay_alu instid0(VALU_DEP_3) | instskip(NEXT) | instid1(VALU_DEP_2)
	v_cmp_lt_u32_e32 vcc_lo, 9, v45
	v_pk_add_f32 v[0:1], v[0:1], v[46:47]
	s_or_b32 s5, vcc_lo, s5
	s_delay_alu instid0(SALU_CYCLE_1)
	s_and_not1_b32 exec_lo, exec_lo, s5
	s_cbranch_execnz .LBB16_267
; %bb.268:
	s_or_b32 exec_lo, exec_lo, s5
.LBB16_269:
	s_delay_alu instid0(SALU_CYCLE_1) | instskip(SKIP_4) | instid1(VALU_DEP_1)
	s_or_b32 exec_lo, exec_lo, s4
	v_mov_b32_e32 v41, 0
	ds_load_b64 v[44:45], v41 offset:88
	s_wait_dscnt 0x0
	v_pk_mul_f32 v[46:47], v[0:1], v[44:45] op_sel:[1,1] op_sel_hi:[0,1]
	v_pk_fma_f32 v[48:49], v[0:1], v[44:45], v[46:47] op_sel_hi:[1,0,1]
	v_pk_fma_f32 v[0:1], v[0:1], v[44:45], v[46:47] neg_lo:[0,0,1] neg_hi:[0,0,1]
	s_delay_alu instid0(VALU_DEP_2)
	v_mov_b32_e32 v1, v49
	ds_store_b64 v37, v[0:1] offset:88
.LBB16_270:
	s_or_b32 exec_lo, exec_lo, s0
	ds_load_b64 v[0:1], v37 offset:96
	s_mov_b32 s0, exec_lo
	s_wait_dscnt 0x0
	ds_store_b64 v38, v[0:1]
	s_wait_dscnt 0x0
	s_barrier_signal -1
	s_barrier_wait -1
	v_cmpx_gt_u32_e32 12, v42
	s_cbranch_execz .LBB16_280
; %bb.271:
	v_cmp_ne_u32_e32 vcc_lo, 1, v40
	s_cbranch_vccnz .LBB16_273
; %bb.272:
	ds_load_b64 v[0:1], v39
	ds_load_b64 v[44:45], v38
	s_wait_dscnt 0x0
	v_pk_mul_f32 v[46:47], v[44:45], v[0:1] op_sel:[1,1] op_sel_hi:[0,1]
	s_delay_alu instid0(VALU_DEP_1) | instskip(SKIP_1) | instid1(VALU_DEP_2)
	v_pk_fma_f32 v[48:49], v[44:45], v[0:1], v[46:47] op_sel_hi:[1,0,1]
	v_pk_fma_f32 v[0:1], v[44:45], v[0:1], v[46:47] neg_lo:[0,0,1] neg_hi:[0,0,1]
	v_mov_b32_e32 v1, v49
	s_cbranch_execz .LBB16_274
	s_branch .LBB16_275
.LBB16_273:
                                        ; implicit-def: $vgpr0_vgpr1
.LBB16_274:
	ds_load_b64 v[0:1], v38
.LBB16_275:
	s_mov_b32 s4, exec_lo
	v_cmpx_ne_u32_e32 11, v42
	s_cbranch_execz .LBB16_279
; %bb.276:
	v_add_nc_u32_e32 v41, 0x98, v36
	v_add3_u32 v44, v43, v36, 0x128
	v_mov_b32_e32 v45, v42
	s_mov_b32 s5, 0
.LBB16_277:                             ; =>This Inner Loop Header: Depth=1
	ds_load_b64 v[46:47], v44
	ds_load_b64 v[48:49], v41
	v_dual_add_nc_u32 v41, 8, v41 :: v_dual_add_nc_u32 v44, 8, v44
	s_wait_dscnt 0x0
	v_pk_mul_f32 v[50:51], v[48:49], v[46:47] op_sel:[1,1] op_sel_hi:[0,1]
	s_delay_alu instid0(VALU_DEP_1) | instskip(SKIP_2) | instid1(VALU_DEP_3)
	v_pk_fma_f32 v[52:53], v[48:49], v[46:47], v[50:51] op_sel_hi:[1,0,1]
	v_add_nc_u32_e32 v45, 1, v45
	v_pk_fma_f32 v[46:47], v[48:49], v[46:47], v[50:51] neg_lo:[0,0,1] neg_hi:[0,0,1]
	v_mov_b32_e32 v47, v53
	s_delay_alu instid0(VALU_DEP_3) | instskip(NEXT) | instid1(VALU_DEP_2)
	v_cmp_lt_u32_e32 vcc_lo, 10, v45
	v_pk_add_f32 v[0:1], v[0:1], v[46:47]
	s_or_b32 s5, vcc_lo, s5
	s_delay_alu instid0(SALU_CYCLE_1)
	s_and_not1_b32 exec_lo, exec_lo, s5
	s_cbranch_execnz .LBB16_277
; %bb.278:
	s_or_b32 exec_lo, exec_lo, s5
.LBB16_279:
	s_delay_alu instid0(SALU_CYCLE_1) | instskip(SKIP_4) | instid1(VALU_DEP_1)
	s_or_b32 exec_lo, exec_lo, s4
	v_mov_b32_e32 v41, 0
	ds_load_b64 v[44:45], v41 offset:96
	s_wait_dscnt 0x0
	v_pk_mul_f32 v[46:47], v[0:1], v[44:45] op_sel:[1,1] op_sel_hi:[0,1]
	v_pk_fma_f32 v[48:49], v[0:1], v[44:45], v[46:47] op_sel_hi:[1,0,1]
	v_pk_fma_f32 v[0:1], v[0:1], v[44:45], v[46:47] neg_lo:[0,0,1] neg_hi:[0,0,1]
	s_delay_alu instid0(VALU_DEP_2)
	v_mov_b32_e32 v1, v49
	ds_store_b64 v37, v[0:1] offset:96
.LBB16_280:
	s_or_b32 exec_lo, exec_lo, s0
	ds_load_b64 v[0:1], v37 offset:104
	s_mov_b32 s0, exec_lo
	s_wait_dscnt 0x0
	ds_store_b64 v38, v[0:1]
	s_wait_dscnt 0x0
	s_barrier_signal -1
	s_barrier_wait -1
	v_cmpx_gt_u32_e32 13, v42
	s_cbranch_execz .LBB16_290
; %bb.281:
	v_cmp_ne_u32_e32 vcc_lo, 1, v40
	s_cbranch_vccnz .LBB16_283
; %bb.282:
	ds_load_b64 v[0:1], v39
	ds_load_b64 v[44:45], v38
	s_wait_dscnt 0x0
	v_pk_mul_f32 v[46:47], v[44:45], v[0:1] op_sel:[1,1] op_sel_hi:[0,1]
	s_delay_alu instid0(VALU_DEP_1) | instskip(SKIP_1) | instid1(VALU_DEP_2)
	v_pk_fma_f32 v[48:49], v[44:45], v[0:1], v[46:47] op_sel_hi:[1,0,1]
	v_pk_fma_f32 v[0:1], v[44:45], v[0:1], v[46:47] neg_lo:[0,0,1] neg_hi:[0,0,1]
	v_mov_b32_e32 v1, v49
	s_cbranch_execz .LBB16_284
	s_branch .LBB16_285
.LBB16_283:
                                        ; implicit-def: $vgpr0_vgpr1
.LBB16_284:
	ds_load_b64 v[0:1], v38
.LBB16_285:
	s_mov_b32 s4, exec_lo
	v_cmpx_ne_u32_e32 12, v42
	s_cbranch_execz .LBB16_289
; %bb.286:
	v_add_nc_u32_e32 v41, 0x98, v36
	v_add3_u32 v44, v43, v36, 0x128
	v_mov_b32_e32 v45, v42
	s_mov_b32 s5, 0
.LBB16_287:                             ; =>This Inner Loop Header: Depth=1
	ds_load_b64 v[46:47], v44
	ds_load_b64 v[48:49], v41
	v_dual_add_nc_u32 v41, 8, v41 :: v_dual_add_nc_u32 v44, 8, v44
	s_wait_dscnt 0x0
	v_pk_mul_f32 v[50:51], v[48:49], v[46:47] op_sel:[1,1] op_sel_hi:[0,1]
	s_delay_alu instid0(VALU_DEP_1) | instskip(SKIP_2) | instid1(VALU_DEP_3)
	v_pk_fma_f32 v[52:53], v[48:49], v[46:47], v[50:51] op_sel_hi:[1,0,1]
	v_add_nc_u32_e32 v45, 1, v45
	v_pk_fma_f32 v[46:47], v[48:49], v[46:47], v[50:51] neg_lo:[0,0,1] neg_hi:[0,0,1]
	v_mov_b32_e32 v47, v53
	s_delay_alu instid0(VALU_DEP_3) | instskip(NEXT) | instid1(VALU_DEP_2)
	v_cmp_lt_u32_e32 vcc_lo, 11, v45
	v_pk_add_f32 v[0:1], v[0:1], v[46:47]
	s_or_b32 s5, vcc_lo, s5
	s_delay_alu instid0(SALU_CYCLE_1)
	s_and_not1_b32 exec_lo, exec_lo, s5
	s_cbranch_execnz .LBB16_287
; %bb.288:
	s_or_b32 exec_lo, exec_lo, s5
.LBB16_289:
	s_delay_alu instid0(SALU_CYCLE_1) | instskip(SKIP_4) | instid1(VALU_DEP_1)
	s_or_b32 exec_lo, exec_lo, s4
	v_mov_b32_e32 v41, 0
	ds_load_b64 v[44:45], v41 offset:104
	s_wait_dscnt 0x0
	v_pk_mul_f32 v[46:47], v[0:1], v[44:45] op_sel:[1,1] op_sel_hi:[0,1]
	v_pk_fma_f32 v[48:49], v[0:1], v[44:45], v[46:47] op_sel_hi:[1,0,1]
	v_pk_fma_f32 v[0:1], v[0:1], v[44:45], v[46:47] neg_lo:[0,0,1] neg_hi:[0,0,1]
	s_delay_alu instid0(VALU_DEP_2)
	v_mov_b32_e32 v1, v49
	ds_store_b64 v37, v[0:1] offset:104
.LBB16_290:
	s_or_b32 exec_lo, exec_lo, s0
	ds_load_b64 v[0:1], v37 offset:112
	s_mov_b32 s0, exec_lo
	s_wait_dscnt 0x0
	ds_store_b64 v38, v[0:1]
	s_wait_dscnt 0x0
	s_barrier_signal -1
	s_barrier_wait -1
	v_cmpx_gt_u32_e32 14, v42
	s_cbranch_execz .LBB16_300
; %bb.291:
	v_cmp_ne_u32_e32 vcc_lo, 1, v40
	s_cbranch_vccnz .LBB16_293
; %bb.292:
	ds_load_b64 v[0:1], v39
	ds_load_b64 v[44:45], v38
	s_wait_dscnt 0x0
	v_pk_mul_f32 v[46:47], v[44:45], v[0:1] op_sel:[1,1] op_sel_hi:[0,1]
	s_delay_alu instid0(VALU_DEP_1) | instskip(SKIP_1) | instid1(VALU_DEP_2)
	v_pk_fma_f32 v[48:49], v[44:45], v[0:1], v[46:47] op_sel_hi:[1,0,1]
	v_pk_fma_f32 v[0:1], v[44:45], v[0:1], v[46:47] neg_lo:[0,0,1] neg_hi:[0,0,1]
	v_mov_b32_e32 v1, v49
	s_cbranch_execz .LBB16_294
	s_branch .LBB16_295
.LBB16_293:
                                        ; implicit-def: $vgpr0_vgpr1
.LBB16_294:
	ds_load_b64 v[0:1], v38
.LBB16_295:
	s_mov_b32 s4, exec_lo
	v_cmpx_ne_u32_e32 13, v42
	s_cbranch_execz .LBB16_299
; %bb.296:
	v_add_nc_u32_e32 v41, 0x98, v36
	v_add3_u32 v44, v43, v36, 0x128
	v_mov_b32_e32 v45, v42
	s_mov_b32 s5, 0
.LBB16_297:                             ; =>This Inner Loop Header: Depth=1
	ds_load_b64 v[46:47], v44
	ds_load_b64 v[48:49], v41
	v_dual_add_nc_u32 v41, 8, v41 :: v_dual_add_nc_u32 v44, 8, v44
	s_wait_dscnt 0x0
	v_pk_mul_f32 v[50:51], v[48:49], v[46:47] op_sel:[1,1] op_sel_hi:[0,1]
	s_delay_alu instid0(VALU_DEP_1) | instskip(SKIP_2) | instid1(VALU_DEP_3)
	v_pk_fma_f32 v[52:53], v[48:49], v[46:47], v[50:51] op_sel_hi:[1,0,1]
	v_add_nc_u32_e32 v45, 1, v45
	v_pk_fma_f32 v[46:47], v[48:49], v[46:47], v[50:51] neg_lo:[0,0,1] neg_hi:[0,0,1]
	v_mov_b32_e32 v47, v53
	s_delay_alu instid0(VALU_DEP_3) | instskip(NEXT) | instid1(VALU_DEP_2)
	v_cmp_lt_u32_e32 vcc_lo, 12, v45
	v_pk_add_f32 v[0:1], v[0:1], v[46:47]
	s_or_b32 s5, vcc_lo, s5
	s_delay_alu instid0(SALU_CYCLE_1)
	s_and_not1_b32 exec_lo, exec_lo, s5
	s_cbranch_execnz .LBB16_297
; %bb.298:
	s_or_b32 exec_lo, exec_lo, s5
.LBB16_299:
	s_delay_alu instid0(SALU_CYCLE_1) | instskip(SKIP_4) | instid1(VALU_DEP_1)
	s_or_b32 exec_lo, exec_lo, s4
	v_mov_b32_e32 v41, 0
	ds_load_b64 v[44:45], v41 offset:112
	s_wait_dscnt 0x0
	v_pk_mul_f32 v[46:47], v[0:1], v[44:45] op_sel:[1,1] op_sel_hi:[0,1]
	v_pk_fma_f32 v[48:49], v[0:1], v[44:45], v[46:47] op_sel_hi:[1,0,1]
	v_pk_fma_f32 v[0:1], v[0:1], v[44:45], v[46:47] neg_lo:[0,0,1] neg_hi:[0,0,1]
	s_delay_alu instid0(VALU_DEP_2)
	v_mov_b32_e32 v1, v49
	ds_store_b64 v37, v[0:1] offset:112
.LBB16_300:
	s_or_b32 exec_lo, exec_lo, s0
	ds_load_b64 v[0:1], v37 offset:120
	v_cmp_gt_u32_e64 s0, 15, v42
	s_wait_dscnt 0x0
	ds_store_b64 v38, v[0:1]
	s_wait_dscnt 0x0
	s_barrier_signal -1
	s_barrier_wait -1
	s_and_saveexec_b32 s4, s0
	s_cbranch_execz .LBB16_310
; %bb.301:
	v_cmp_ne_u32_e32 vcc_lo, 1, v40
	s_cbranch_vccnz .LBB16_303
; %bb.302:
	ds_load_b64 v[0:1], v39
	ds_load_b64 v[44:45], v38
	s_wait_dscnt 0x0
	v_pk_mul_f32 v[46:47], v[44:45], v[0:1] op_sel:[1,1] op_sel_hi:[0,1]
	s_delay_alu instid0(VALU_DEP_1) | instskip(SKIP_1) | instid1(VALU_DEP_2)
	v_pk_fma_f32 v[48:49], v[44:45], v[0:1], v[46:47] op_sel_hi:[1,0,1]
	v_pk_fma_f32 v[0:1], v[44:45], v[0:1], v[46:47] neg_lo:[0,0,1] neg_hi:[0,0,1]
	v_mov_b32_e32 v1, v49
	s_cbranch_execz .LBB16_304
	s_branch .LBB16_305
.LBB16_303:
                                        ; implicit-def: $vgpr0_vgpr1
.LBB16_304:
	ds_load_b64 v[0:1], v38
.LBB16_305:
	s_mov_b32 s5, exec_lo
	v_cmpx_ne_u32_e32 14, v42
	s_cbranch_execz .LBB16_309
; %bb.306:
	v_add_nc_u32_e32 v41, 0x98, v36
	v_add3_u32 v44, v43, v36, 0x128
	v_mov_b32_e32 v45, v42
	s_mov_b32 s6, 0
.LBB16_307:                             ; =>This Inner Loop Header: Depth=1
	ds_load_b64 v[46:47], v44
	ds_load_b64 v[48:49], v41
	v_dual_add_nc_u32 v41, 8, v41 :: v_dual_add_nc_u32 v44, 8, v44
	s_wait_dscnt 0x0
	v_pk_mul_f32 v[50:51], v[48:49], v[46:47] op_sel:[1,1] op_sel_hi:[0,1]
	s_delay_alu instid0(VALU_DEP_1) | instskip(SKIP_2) | instid1(VALU_DEP_3)
	v_pk_fma_f32 v[52:53], v[48:49], v[46:47], v[50:51] op_sel_hi:[1,0,1]
	v_add_nc_u32_e32 v45, 1, v45
	v_pk_fma_f32 v[46:47], v[48:49], v[46:47], v[50:51] neg_lo:[0,0,1] neg_hi:[0,0,1]
	v_mov_b32_e32 v47, v53
	s_delay_alu instid0(VALU_DEP_3) | instskip(NEXT) | instid1(VALU_DEP_2)
	v_cmp_lt_u32_e32 vcc_lo, 13, v45
	v_pk_add_f32 v[0:1], v[0:1], v[46:47]
	s_or_b32 s6, vcc_lo, s6
	s_delay_alu instid0(SALU_CYCLE_1)
	s_and_not1_b32 exec_lo, exec_lo, s6
	s_cbranch_execnz .LBB16_307
; %bb.308:
	s_or_b32 exec_lo, exec_lo, s6
.LBB16_309:
	s_delay_alu instid0(SALU_CYCLE_1) | instskip(SKIP_4) | instid1(VALU_DEP_1)
	s_or_b32 exec_lo, exec_lo, s5
	v_mov_b32_e32 v41, 0
	ds_load_b64 v[44:45], v41 offset:120
	s_wait_dscnt 0x0
	v_pk_mul_f32 v[46:47], v[0:1], v[44:45] op_sel:[1,1] op_sel_hi:[0,1]
	v_pk_fma_f32 v[48:49], v[0:1], v[44:45], v[46:47] op_sel_hi:[1,0,1]
	v_pk_fma_f32 v[0:1], v[0:1], v[44:45], v[46:47] neg_lo:[0,0,1] neg_hi:[0,0,1]
	s_delay_alu instid0(VALU_DEP_2)
	v_mov_b32_e32 v1, v49
	ds_store_b64 v37, v[0:1] offset:120
.LBB16_310:
	s_or_b32 exec_lo, exec_lo, s4
	ds_load_b64 v[0:1], v37 offset:128
	s_mov_b32 s4, exec_lo
                                        ; implicit-def: $vgpr41
                                        ; implicit-def: $vgpr45
	s_wait_dscnt 0x0
	ds_store_b64 v38, v[0:1]
	s_wait_dscnt 0x0
	s_barrier_signal -1
	s_barrier_wait -1
	v_cmpx_ne_u32_e32 16, v42
	s_cbranch_execz .LBB16_320
; %bb.311:
	v_cmp_ne_u32_e32 vcc_lo, 1, v40
	s_cbranch_vccnz .LBB16_313
; %bb.312:
	ds_load_b64 v[40:41], v39
	ds_load_b64 v[44:45], v38
	s_wait_dscnt 0x0
	v_dual_mul_f32 v0, v45, v41 :: v_dual_mul_f32 v1, v44, v41
	s_delay_alu instid0(VALU_DEP_1)
	v_dual_fma_f32 v0, v44, v40, -v0 :: v_dual_fmac_f32 v1, v45, v40
	s_cbranch_execz .LBB16_314
	s_branch .LBB16_315
.LBB16_313:
                                        ; implicit-def: $vgpr1
.LBB16_314:
	ds_load_b64 v[0:1], v38
.LBB16_315:
	s_and_saveexec_b32 s5, s0
	s_cbranch_execz .LBB16_319
; %bb.316:
	v_add_nc_u32_e32 v38, 0x98, v36
	v_add3_u32 v36, v43, v36, 0x128
	s_mov_b32 s0, 0
.LBB16_317:                             ; =>This Inner Loop Header: Depth=1
	ds_load_b64 v[40:41], v36
	ds_load_b64 v[44:45], v38
	s_wait_dscnt 0x0
	v_dual_mul_f32 v39, v45, v41 :: v_dual_add_nc_u32 v38, 8, v38
	v_dual_mul_f32 v41, v44, v41 :: v_dual_add_nc_u32 v42, 1, v42
	s_delay_alu instid0(VALU_DEP_1) | instskip(NEXT) | instid1(VALU_DEP_2)
	v_dual_fma_f32 v39, v44, v40, -v39 :: v_dual_fmac_f32 v41, v45, v40
	v_cmp_lt_u32_e32 vcc_lo, 14, v42
	s_delay_alu instid0(VALU_DEP_2) | instskip(NEXT) | instid1(VALU_DEP_3)
	v_dual_add_nc_u32 v36, 8, v36 :: v_dual_add_f32 v0, v0, v39
	v_add_f32_e32 v1, v1, v41
	s_or_b32 s0, vcc_lo, s0
	s_delay_alu instid0(SALU_CYCLE_1)
	s_and_not1_b32 exec_lo, exec_lo, s0
	s_cbranch_execnz .LBB16_317
; %bb.318:
	s_or_b32 exec_lo, exec_lo, s0
.LBB16_319:
	s_delay_alu instid0(SALU_CYCLE_1)
	s_or_b32 exec_lo, exec_lo, s5
	v_mov_b32_e32 v36, 0
	s_or_b32 s1, s1, exec_lo
	v_add_nc_u32_e32 v45, 0x84, v37
	ds_load_b64 v[38:39], v36 offset:128
	s_wait_dscnt 0x0
	v_dual_mul_f32 v36, v1, v39 :: v_dual_mul_f32 v41, v0, v39
	s_delay_alu instid0(VALU_DEP_1)
	v_dual_fma_f32 v0, v0, v38, -v36 :: v_dual_fmac_f32 v41, v1, v38
	ds_store_b32 v37, v0 offset:128
.LBB16_320:
	s_or_b32 exec_lo, exec_lo, s4
.LBB16_321:
	v_lshl_add_u64 v[0:1], v[6:7], 3, s[2:3]
	v_lshl_add_u64 v[6:7], v[8:9], 3, s[2:3]
	;; [unrolled: 1-line block ×15, first 2 shown]
	s_and_saveexec_b32 s0, s1
; %bb.322:
	ds_store_b32 v45, v41
; %bb.323:
	s_or_b32 exec_lo, exec_lo, s0
	ds_load_b128 v[38:41], v37
	ds_load_b128 v[42:45], v37 offset:16
	ds_load_b128 v[46:49], v37 offset:32
	ds_load_b128 v[50:53], v37 offset:48
	ds_load_b128 v[54:57], v37 offset:64
	ds_load_b128 v[58:61], v37 offset:80
	ds_load_b128 v[62:65], v37 offset:96
	ds_load_b128 v[66:69], v37 offset:112
	ds_load_b64 v[34:35], v37 offset:128
	s_wait_dscnt 0x8
	s_clause 0x1
	global_store_b64 v[2:3], v[38:39], off
	global_store_b64 v[4:5], v[40:41], off
	s_wait_dscnt 0x7
	s_clause 0x1
	global_store_b64 v[0:1], v[42:43], off
	global_store_b64 v[6:7], v[44:45], off
	;; [unrolled: 4-line block ×8, first 2 shown]
	s_wait_dscnt 0x0
	global_store_b64 v[32:33], v[34:35], off
.LBB16_324:
	s_sendmsg sendmsg(MSG_DEALLOC_VGPRS)
	s_endpgm
	.section	.rodata,"a",@progbits
	.p2align	6, 0x0
	.amdhsa_kernel _ZN9rocsolver6v33100L18trti2_kernel_smallILi17E19rocblas_complex_numIfEPS3_EEv13rocblas_fill_17rocblas_diagonal_T1_iil
		.amdhsa_group_segment_fixed_size 8992
		.amdhsa_private_segment_fixed_size 0
		.amdhsa_kernarg_size 32
		.amdhsa_user_sgpr_count 4
		.amdhsa_user_sgpr_dispatch_ptr 1
		.amdhsa_user_sgpr_queue_ptr 0
		.amdhsa_user_sgpr_kernarg_segment_ptr 1
		.amdhsa_user_sgpr_dispatch_id 0
		.amdhsa_user_sgpr_kernarg_preload_length 0
		.amdhsa_user_sgpr_kernarg_preload_offset 0
		.amdhsa_user_sgpr_private_segment_size 0
		.amdhsa_wavefront_size32 1
		.amdhsa_uses_dynamic_stack 0
		.amdhsa_enable_private_segment 0
		.amdhsa_system_sgpr_workgroup_id_x 1
		.amdhsa_system_sgpr_workgroup_id_y 0
		.amdhsa_system_sgpr_workgroup_id_z 0
		.amdhsa_system_sgpr_workgroup_info 0
		.amdhsa_system_vgpr_workitem_id 2
		.amdhsa_next_free_vgpr 76
		.amdhsa_next_free_sgpr 14
		.amdhsa_named_barrier_count 0
		.amdhsa_reserve_vcc 1
		.amdhsa_float_round_mode_32 0
		.amdhsa_float_round_mode_16_64 0
		.amdhsa_float_denorm_mode_32 3
		.amdhsa_float_denorm_mode_16_64 3
		.amdhsa_fp16_overflow 0
		.amdhsa_memory_ordered 1
		.amdhsa_forward_progress 1
		.amdhsa_inst_pref_size 95
		.amdhsa_round_robin_scheduling 0
		.amdhsa_exception_fp_ieee_invalid_op 0
		.amdhsa_exception_fp_denorm_src 0
		.amdhsa_exception_fp_ieee_div_zero 0
		.amdhsa_exception_fp_ieee_overflow 0
		.amdhsa_exception_fp_ieee_underflow 0
		.amdhsa_exception_fp_ieee_inexact 0
		.amdhsa_exception_int_div_zero 0
	.end_amdhsa_kernel
	.section	.text._ZN9rocsolver6v33100L18trti2_kernel_smallILi17E19rocblas_complex_numIfEPS3_EEv13rocblas_fill_17rocblas_diagonal_T1_iil,"axG",@progbits,_ZN9rocsolver6v33100L18trti2_kernel_smallILi17E19rocblas_complex_numIfEPS3_EEv13rocblas_fill_17rocblas_diagonal_T1_iil,comdat
.Lfunc_end16:
	.size	_ZN9rocsolver6v33100L18trti2_kernel_smallILi17E19rocblas_complex_numIfEPS3_EEv13rocblas_fill_17rocblas_diagonal_T1_iil, .Lfunc_end16-_ZN9rocsolver6v33100L18trti2_kernel_smallILi17E19rocblas_complex_numIfEPS3_EEv13rocblas_fill_17rocblas_diagonal_T1_iil
                                        ; -- End function
	.set _ZN9rocsolver6v33100L18trti2_kernel_smallILi17E19rocblas_complex_numIfEPS3_EEv13rocblas_fill_17rocblas_diagonal_T1_iil.num_vgpr, 76
	.set _ZN9rocsolver6v33100L18trti2_kernel_smallILi17E19rocblas_complex_numIfEPS3_EEv13rocblas_fill_17rocblas_diagonal_T1_iil.num_agpr, 0
	.set _ZN9rocsolver6v33100L18trti2_kernel_smallILi17E19rocblas_complex_numIfEPS3_EEv13rocblas_fill_17rocblas_diagonal_T1_iil.numbered_sgpr, 14
	.set _ZN9rocsolver6v33100L18trti2_kernel_smallILi17E19rocblas_complex_numIfEPS3_EEv13rocblas_fill_17rocblas_diagonal_T1_iil.num_named_barrier, 0
	.set _ZN9rocsolver6v33100L18trti2_kernel_smallILi17E19rocblas_complex_numIfEPS3_EEv13rocblas_fill_17rocblas_diagonal_T1_iil.private_seg_size, 0
	.set _ZN9rocsolver6v33100L18trti2_kernel_smallILi17E19rocblas_complex_numIfEPS3_EEv13rocblas_fill_17rocblas_diagonal_T1_iil.uses_vcc, 1
	.set _ZN9rocsolver6v33100L18trti2_kernel_smallILi17E19rocblas_complex_numIfEPS3_EEv13rocblas_fill_17rocblas_diagonal_T1_iil.uses_flat_scratch, 0
	.set _ZN9rocsolver6v33100L18trti2_kernel_smallILi17E19rocblas_complex_numIfEPS3_EEv13rocblas_fill_17rocblas_diagonal_T1_iil.has_dyn_sized_stack, 0
	.set _ZN9rocsolver6v33100L18trti2_kernel_smallILi17E19rocblas_complex_numIfEPS3_EEv13rocblas_fill_17rocblas_diagonal_T1_iil.has_recursion, 0
	.set _ZN9rocsolver6v33100L18trti2_kernel_smallILi17E19rocblas_complex_numIfEPS3_EEv13rocblas_fill_17rocblas_diagonal_T1_iil.has_indirect_call, 0
	.section	.AMDGPU.csdata,"",@progbits
; Kernel info:
; codeLenInByte = 12092
; TotalNumSgprs: 16
; NumVgprs: 76
; ScratchSize: 0
; MemoryBound: 0
; FloatMode: 240
; IeeeMode: 1
; LDSByteSize: 8992 bytes/workgroup (compile time only)
; SGPRBlocks: 0
; VGPRBlocks: 4
; NumSGPRsForWavesPerEU: 16
; NumVGPRsForWavesPerEU: 76
; NamedBarCnt: 0
; Occupancy: 9
; WaveLimiterHint : 0
; COMPUTE_PGM_RSRC2:SCRATCH_EN: 0
; COMPUTE_PGM_RSRC2:USER_SGPR: 4
; COMPUTE_PGM_RSRC2:TRAP_HANDLER: 0
; COMPUTE_PGM_RSRC2:TGID_X_EN: 1
; COMPUTE_PGM_RSRC2:TGID_Y_EN: 0
; COMPUTE_PGM_RSRC2:TGID_Z_EN: 0
; COMPUTE_PGM_RSRC2:TIDIG_COMP_CNT: 2
	.section	.text._ZN9rocsolver6v33100L18trti2_kernel_smallILi18E19rocblas_complex_numIfEPS3_EEv13rocblas_fill_17rocblas_diagonal_T1_iil,"axG",@progbits,_ZN9rocsolver6v33100L18trti2_kernel_smallILi18E19rocblas_complex_numIfEPS3_EEv13rocblas_fill_17rocblas_diagonal_T1_iil,comdat
	.globl	_ZN9rocsolver6v33100L18trti2_kernel_smallILi18E19rocblas_complex_numIfEPS3_EEv13rocblas_fill_17rocblas_diagonal_T1_iil ; -- Begin function _ZN9rocsolver6v33100L18trti2_kernel_smallILi18E19rocblas_complex_numIfEPS3_EEv13rocblas_fill_17rocblas_diagonal_T1_iil
	.p2align	8
	.type	_ZN9rocsolver6v33100L18trti2_kernel_smallILi18E19rocblas_complex_numIfEPS3_EEv13rocblas_fill_17rocblas_diagonal_T1_iil,@function
_ZN9rocsolver6v33100L18trti2_kernel_smallILi18E19rocblas_complex_numIfEPS3_EEv13rocblas_fill_17rocblas_diagonal_T1_iil: ; @_ZN9rocsolver6v33100L18trti2_kernel_smallILi18E19rocblas_complex_numIfEPS3_EEv13rocblas_fill_17rocblas_diagonal_T1_iil
; %bb.0:
	v_and_b32_e32 v44, 0x3ff, v0
	s_mov_b32 s4, exec_lo
	s_delay_alu instid0(VALU_DEP_1)
	v_cmpx_gt_u32_e32 18, v44
	s_cbranch_execz .LBB17_344
; %bb.1:
	s_load_b256 s[4:11], s[2:3], 0x0
	s_getreg_b32 s12, hwreg(HW_REG_IB_STS2, 6, 4)
	s_wait_xcnt 0x0
	s_load_b64 s[2:3], s[0:1], 0x4
	s_wait_xcnt 0x0
	s_bfe_u32 s0, ttmp6, 0x4000c
	s_and_b32 s1, ttmp6, 15
	s_add_co_i32 s0, s0, 1
	v_bfe_u32 v1, v0, 10, 10
	s_mul_i32 s0, ttmp9, s0
	v_bfe_u32 v0, v0, 20, 10
	s_add_co_i32 s0, s1, s0
	v_lshlrev_b32_e32 v38, 3, v44
	s_wait_kmcnt 0x0
	v_add3_u32 v6, s9, s9, v44
	s_ashr_i32 s1, s8, 31
	s_lshr_b32 s2, s2, 16
	s_cmp_eq_u32 s12, 0
	s_mul_i32 s2, s2, s3
	v_add_nc_u32_e32 v8, s9, v6
	s_cselect_b32 s12, ttmp9, s0
	s_mov_b32 s0, s8
	s_ashr_i32 s13, s12, 31
	s_lshl_b64 s[0:1], s[0:1], 3
	v_add_nc_u32_e32 v10, s9, v8
	s_mul_u64 s[10:11], s[10:11], s[12:13]
	v_mul_u32_u24_e32 v1, s3, v1
	s_lshl_b64 s[10:11], s[10:11], 3
	v_mul_u32_u24_e32 v7, s2, v44
	v_add_nc_u32_e32 v12, s9, v10
	s_add_nc_u64 s[6:7], s[6:7], s[10:11]
	s_delay_alu instid0(SALU_CYCLE_1) | instskip(SKIP_1) | instid1(VALU_DEP_1)
	s_add_nc_u64 s[6:7], s[6:7], s[0:1]
	s_mov_b32 s0, s9
	v_add_nc_u32_e32 v14, s9, v12
	s_ashr_i32 s1, s9, 31
	v_add3_u32 v46, v7, v1, v0
	s_cmp_lg_u32 s5, 0x84
	s_delay_alu instid0(VALU_DEP_2) | instskip(SKIP_1) | instid1(SALU_CYCLE_1)
	v_add_nc_u32_e32 v16, s9, v14
	s_cselect_b32 s3, -1, 0
	s_and_b32 vcc_lo, exec_lo, s3
	s_delay_alu instid0(VALU_DEP_1) | instskip(NEXT) | instid1(VALU_DEP_1)
	v_add_nc_u32_e32 v18, s9, v16
	v_dual_mov_b32 v39, 0 :: v_dual_add_nc_u32 v20, s9, v18
	s_delay_alu instid0(VALU_DEP_1) | instskip(NEXT) | instid1(VALU_DEP_2)
	v_add_nc_u32_e32 v22, s9, v20
	v_add_nc_u64_e32 v[2:3], s[6:7], v[38:39]
	v_mul_lo_u32 v39, 0x90, v46
	s_delay_alu instid0(VALU_DEP_3) | instskip(NEXT) | instid1(VALU_DEP_3)
	v_add_nc_u32_e32 v24, s9, v22
	v_lshl_add_u64 v[4:5], s[0:1], 3, v[2:3]
	s_mov_b32 s0, -1
	s_delay_alu instid0(VALU_DEP_2)
	v_add_nc_u32_e32 v26, s9, v24
	s_clause 0x7
	global_load_b64 v[40:41], v44, s[6:7] scale_offset
	global_load_b64 v[42:43], v[4:5], off
	global_load_b64 v[48:49], v6, s[6:7] scale_offset
	global_load_b64 v[50:51], v8, s[6:7] scale_offset
	;; [unrolled: 1-line block ×6, first 2 shown]
	v_add_nc_u32_e32 v45, 0x120, v39
	v_add_nc_u32_e32 v28, s9, v26
	s_delay_alu instid0(VALU_DEP_1)
	v_add_nc_u32_e32 v30, s9, v28
	s_clause 0x3
	global_load_b64 v[60:61], v18, s[6:7] scale_offset
	global_load_b64 v[62:63], v20, s[6:7] scale_offset
	;; [unrolled: 1-line block ×4, first 2 shown]
	v_add_nc_u32_e32 v32, s9, v30
	s_delay_alu instid0(VALU_DEP_1) | instskip(NEXT) | instid1(VALU_DEP_1)
	v_add_nc_u32_e32 v34, s9, v32
	v_add_nc_u32_e32 v36, s9, v34
	s_clause 0x5
	global_load_b64 v[68:69], v26, s[6:7] scale_offset
	global_load_b64 v[70:71], v28, s[6:7] scale_offset
	;; [unrolled: 1-line block ×6, first 2 shown]
	s_wait_loadcnt 0x10
	ds_store_b128 v39, v[40:43] offset:288
	s_wait_loadcnt 0xe
	ds_store_b128 v39, v[48:51] offset:304
	;; [unrolled: 2-line block ×9, first 2 shown]
	s_cbranch_vccz .LBB17_7
; %bb.2:
	v_lshl_add_u32 v7, v44, 3, v45
                                        ; implicit-def: $vgpr43
                                        ; implicit-def: $vgpr40
	ds_load_b64 v[0:1], v7
	s_wait_dscnt 0x0
	v_cmp_ngt_f32_e64 s0, |v0|, |v1|
	s_and_saveexec_b32 s1, s0
	s_delay_alu instid0(SALU_CYCLE_1)
	s_xor_b32 s0, exec_lo, s1
	s_cbranch_execz .LBB17_4
; %bb.3:
	v_div_scale_f32 v9, null, v1, v1, v0
	v_div_scale_f32 v15, vcc_lo, v0, v1, v0
	s_delay_alu instid0(VALU_DEP_2) | instskip(SKIP_1) | instid1(TRANS32_DEP_1)
	v_rcp_f32_e32 v11, v9
	v_nop
	v_fma_f32 v13, -v9, v11, 1.0
	s_delay_alu instid0(VALU_DEP_1) | instskip(NEXT) | instid1(VALU_DEP_1)
	v_fmac_f32_e32 v11, v13, v11
	v_mul_f32_e32 v13, v15, v11
	s_delay_alu instid0(VALU_DEP_1) | instskip(NEXT) | instid1(VALU_DEP_1)
	v_fma_f32 v17, -v9, v13, v15
	v_fmac_f32_e32 v13, v17, v11
	s_delay_alu instid0(VALU_DEP_1) | instskip(NEXT) | instid1(VALU_DEP_1)
	v_fma_f32 v9, -v9, v13, v15
	v_div_fmas_f32 v9, v9, v11, v13
	s_delay_alu instid0(VALU_DEP_1) | instskip(NEXT) | instid1(VALU_DEP_1)
	v_div_fixup_f32 v9, v9, v1, v0
	v_fmac_f32_e32 v1, v0, v9
	s_delay_alu instid0(VALU_DEP_1) | instskip(NEXT) | instid1(VALU_DEP_1)
	v_div_scale_f32 v0, null, v1, v1, -1.0
	v_rcp_f32_e32 v11, v0
	v_nop
	s_delay_alu instid0(TRANS32_DEP_1) | instskip(NEXT) | instid1(VALU_DEP_1)
	v_fma_f32 v13, -v0, v11, 1.0
	v_fmac_f32_e32 v11, v13, v11
	v_div_scale_f32 v13, vcc_lo, -1.0, v1, -1.0
	s_delay_alu instid0(VALU_DEP_1) | instskip(NEXT) | instid1(VALU_DEP_1)
	v_mul_f32_e32 v15, v13, v11
	v_fma_f32 v17, -v0, v15, v13
	s_delay_alu instid0(VALU_DEP_1) | instskip(NEXT) | instid1(VALU_DEP_1)
	v_fmac_f32_e32 v15, v17, v11
	v_fma_f32 v0, -v0, v15, v13
	s_delay_alu instid0(VALU_DEP_1) | instskip(NEXT) | instid1(VALU_DEP_1)
	v_div_fmas_f32 v0, v0, v11, v15
	v_div_fixup_f32 v43, v0, v1, -1.0
                                        ; implicit-def: $vgpr0_vgpr1
	s_delay_alu instid0(VALU_DEP_1) | instskip(NEXT) | instid1(VALU_DEP_1)
	v_mul_f32_e32 v40, v9, v43
	v_xor_b32_e32 v42, 0x80000000, v40
.LBB17_4:
	s_and_not1_saveexec_b32 s0, s0
	s_cbranch_execz .LBB17_6
; %bb.5:
	v_div_scale_f32 v9, null, v0, v0, v1
	v_div_scale_f32 v15, vcc_lo, v1, v0, v1
	s_delay_alu instid0(VALU_DEP_2) | instskip(SKIP_1) | instid1(TRANS32_DEP_1)
	v_rcp_f32_e32 v11, v9
	v_nop
	v_fma_f32 v13, -v9, v11, 1.0
	s_delay_alu instid0(VALU_DEP_1) | instskip(NEXT) | instid1(VALU_DEP_1)
	v_fmac_f32_e32 v11, v13, v11
	v_mul_f32_e32 v13, v15, v11
	s_delay_alu instid0(VALU_DEP_1) | instskip(NEXT) | instid1(VALU_DEP_1)
	v_fma_f32 v17, -v9, v13, v15
	v_fmac_f32_e32 v13, v17, v11
	s_delay_alu instid0(VALU_DEP_1) | instskip(NEXT) | instid1(VALU_DEP_1)
	v_fma_f32 v9, -v9, v13, v15
	v_div_fmas_f32 v9, v9, v11, v13
	s_delay_alu instid0(VALU_DEP_1) | instskip(NEXT) | instid1(VALU_DEP_1)
	v_div_fixup_f32 v9, v9, v0, v1
	v_fmac_f32_e32 v0, v1, v9
	s_delay_alu instid0(VALU_DEP_1) | instskip(SKIP_1) | instid1(VALU_DEP_2)
	v_div_scale_f32 v1, null, v0, v0, 1.0
	v_div_scale_f32 v15, vcc_lo, 1.0, v0, 1.0
	v_rcp_f32_e32 v11, v1
	v_nop
	s_delay_alu instid0(TRANS32_DEP_1) | instskip(NEXT) | instid1(VALU_DEP_1)
	v_fma_f32 v13, -v1, v11, 1.0
	v_fmac_f32_e32 v11, v13, v11
	s_delay_alu instid0(VALU_DEP_1) | instskip(NEXT) | instid1(VALU_DEP_1)
	v_mul_f32_e32 v13, v15, v11
	v_fma_f32 v17, -v1, v13, v15
	s_delay_alu instid0(VALU_DEP_1) | instskip(NEXT) | instid1(VALU_DEP_1)
	v_fmac_f32_e32 v13, v17, v11
	v_fma_f32 v1, -v1, v13, v15
	s_delay_alu instid0(VALU_DEP_1) | instskip(NEXT) | instid1(VALU_DEP_1)
	v_div_fmas_f32 v1, v1, v11, v13
	v_div_fixup_f32 v42, v1, v0, 1.0
	s_delay_alu instid0(VALU_DEP_1)
	v_xor_b32_e32 v40, 0x80000000, v42
	v_mul_f32_e64 v43, v9, -v42
.LBB17_6:
	s_or_b32 exec_lo, exec_lo, s0
	s_delay_alu instid0(VALU_DEP_1)
	v_xor_b32_e32 v41, 0x80000000, v43
	s_mov_b32 s0, 0
	ds_store_b64 v7, v[42:43]
	ds_store_b64 v38, v[40:41]
.LBB17_7:
	s_and_b32 vcc_lo, exec_lo, s0
	s_cbranch_vccz .LBB17_9
; %bb.8:
	s_mov_b64 s[0:1], 0xbf800000
	s_delay_alu instid0(SALU_CYCLE_1)
	v_mov_b64_e32 v[0:1], s[0:1]
	ds_store_b64 v38, v[0:1]
.LBB17_9:
	v_dual_ashrrev_i32 v7, 31, v6 :: v_dual_ashrrev_i32 v9, 31, v8
	v_dual_ashrrev_i32 v11, 31, v10 :: v_dual_ashrrev_i32 v13, 31, v12
	;; [unrolled: 1-line block ×8, first 2 shown]
	v_add_nc_u32_e32 v40, 0x90, v38
	v_add_nc_u32_e32 v41, v45, v38
	s_cmp_eq_u32 s4, 0x79
	s_cbranch_scc1 .LBB17_13
; %bb.10:
	ds_load_b64 v[0:1], v45 offset:128
	v_cmp_eq_u32_e64 s0, 17, v44
	s_wait_dscnt 0x0
	ds_store_b64 v40, v[0:1]
	s_wait_dscnt 0x0
	s_barrier_signal -1
	s_barrier_wait -1
	s_and_saveexec_b32 s1, s0
	s_cbranch_execz .LBB17_17
; %bb.11:
	s_and_b32 vcc_lo, exec_lo, s3
	s_cbranch_vccz .LBB17_14
; %bb.12:
	ds_load_b64 v[0:1], v41
	ds_load_b64 v[42:43], v40
	s_wait_dscnt 0x0
	v_pk_mul_f32 v[48:49], v[42:43], v[0:1] op_sel:[1,1] op_sel_hi:[0,1]
	v_pk_mul_f32 v[50:51], v[42:43], v[0:1] op_sel_hi:[1,0]
	s_delay_alu instid0(VALU_DEP_2) | instskip(NEXT) | instid1(VALU_DEP_2)
	v_pk_fma_f32 v[0:1], v[42:43], v[0:1], v[48:49] op_sel_hi:[1,0,1]
	v_sub_f32_e32 v0, v50, v48
	s_cbranch_execz .LBB17_15
	s_branch .LBB17_16
.LBB17_13:
	s_mov_b32 s1, 0
                                        ; implicit-def: $vgpr43
                                        ; implicit-def: $vgpr47
	s_cbranch_execnz .LBB17_176
	s_branch .LBB17_341
.LBB17_14:
                                        ; implicit-def: $vgpr1
.LBB17_15:
	ds_load_b64 v[0:1], v40
.LBB17_16:
	s_wait_dscnt 0x0
	v_dual_mov_b32 v42, 0 :: v_dual_mov_b32 v48, v1
	v_mov_b32_e32 v49, v0
	ds_load_b64 v[42:43], v42 offset:128
	s_wait_dscnt 0x0
	v_pk_mul_f32 v[48:49], v[48:49], v[42:43] op_sel:[0,1]
	s_delay_alu instid0(VALU_DEP_1) | instskip(SKIP_1) | instid1(VALU_DEP_2)
	v_pk_fma_f32 v[50:51], v[0:1], v[42:43], v[48:49] op_sel_hi:[1,0,1]
	v_pk_fma_f32 v[0:1], v[0:1], v[42:43], v[48:49] neg_lo:[0,0,1] neg_hi:[0,0,1]
	v_mov_b32_e32 v1, v51
	ds_store_b64 v45, v[0:1] offset:128
.LBB17_17:
	s_or_b32 exec_lo, exec_lo, s1
	ds_load_b64 v[0:1], v45 offset:120
	v_cmp_lt_u32_e64 s1, 15, v44
	s_wait_dscnt 0x0
	ds_store_b64 v40, v[0:1]
	s_wait_dscnt 0x0
	s_barrier_signal -1
	s_barrier_wait -1
	s_and_saveexec_b32 s2, s1
	s_cbranch_execz .LBB17_25
; %bb.18:
	s_and_not1_b32 vcc_lo, exec_lo, s3
	s_cbranch_vccnz .LBB17_20
; %bb.19:
	ds_load_b64 v[0:1], v41
	ds_load_b64 v[42:43], v40
	s_wait_dscnt 0x0
	v_pk_mul_f32 v[48:49], v[42:43], v[0:1] op_sel:[1,1] op_sel_hi:[0,1]
	s_delay_alu instid0(VALU_DEP_1) | instskip(SKIP_1) | instid1(VALU_DEP_2)
	v_pk_fma_f32 v[50:51], v[42:43], v[0:1], v[48:49] op_sel_hi:[1,0,1]
	v_pk_fma_f32 v[0:1], v[42:43], v[0:1], v[48:49] neg_lo:[0,0,1] neg_hi:[0,0,1]
	v_mov_b32_e32 v1, v51
	s_cbranch_execz .LBB17_21
	s_branch .LBB17_22
.LBB17_20:
                                        ; implicit-def: $vgpr0_vgpr1
.LBB17_21:
	ds_load_b64 v[0:1], v40
.LBB17_22:
	s_and_saveexec_b32 s4, s0
	s_cbranch_execz .LBB17_24
; %bb.23:
	v_mov_b32_e32 v47, 0
	ds_load_b64 v[42:43], v45 offset:128
	ds_load_b64 v[48:49], v47 offset:272
	s_wait_dscnt 0x0
	v_pk_mul_f32 v[50:51], v[48:49], v[42:43] op_sel:[1,1] op_sel_hi:[0,1]
	s_delay_alu instid0(VALU_DEP_1) | instskip(SKIP_1) | instid1(VALU_DEP_2)
	v_pk_fma_f32 v[52:53], v[48:49], v[42:43], v[50:51] op_sel_hi:[1,0,1]
	v_pk_fma_f32 v[42:43], v[48:49], v[42:43], v[50:51] neg_lo:[0,0,1] neg_hi:[0,0,1]
	v_mov_b32_e32 v43, v53
	s_delay_alu instid0(VALU_DEP_1)
	v_pk_add_f32 v[0:1], v[0:1], v[42:43]
.LBB17_24:
	s_or_b32 exec_lo, exec_lo, s4
	v_mov_b32_e32 v42, 0
	ds_load_b64 v[42:43], v42 offset:120
	s_wait_dscnt 0x0
	v_pk_mul_f32 v[48:49], v[0:1], v[42:43] op_sel:[1,1] op_sel_hi:[0,1]
	s_delay_alu instid0(VALU_DEP_1) | instskip(SKIP_1) | instid1(VALU_DEP_2)
	v_pk_fma_f32 v[50:51], v[0:1], v[42:43], v[48:49] op_sel_hi:[1,0,1]
	v_pk_fma_f32 v[0:1], v[0:1], v[42:43], v[48:49] neg_lo:[0,0,1] neg_hi:[0,0,1]
	v_mov_b32_e32 v1, v51
	ds_store_b64 v45, v[0:1] offset:120
.LBB17_25:
	s_or_b32 exec_lo, exec_lo, s2
	ds_load_b64 v[0:1], v45 offset:112
	v_cmp_lt_u32_e64 s0, 14, v44
	s_wait_dscnt 0x0
	ds_store_b64 v40, v[0:1]
	s_wait_dscnt 0x0
	s_barrier_signal -1
	s_barrier_wait -1
	s_and_saveexec_b32 s2, s0
	s_cbranch_execz .LBB17_35
; %bb.26:
	s_and_not1_b32 vcc_lo, exec_lo, s3
	s_cbranch_vccnz .LBB17_28
; %bb.27:
	ds_load_b64 v[0:1], v41
	ds_load_b64 v[42:43], v40
	s_wait_dscnt 0x0
	v_pk_mul_f32 v[48:49], v[42:43], v[0:1] op_sel:[1,1] op_sel_hi:[0,1]
	s_delay_alu instid0(VALU_DEP_1) | instskip(SKIP_1) | instid1(VALU_DEP_2)
	v_pk_fma_f32 v[50:51], v[42:43], v[0:1], v[48:49] op_sel_hi:[1,0,1]
	v_pk_fma_f32 v[0:1], v[42:43], v[0:1], v[48:49] neg_lo:[0,0,1] neg_hi:[0,0,1]
	v_mov_b32_e32 v1, v51
	s_cbranch_execz .LBB17_29
	s_branch .LBB17_30
.LBB17_28:
                                        ; implicit-def: $vgpr0_vgpr1
.LBB17_29:
	ds_load_b64 v[0:1], v40
.LBB17_30:
	s_and_saveexec_b32 s4, s1
	s_cbranch_execz .LBB17_34
; %bb.31:
	s_movk_i32 s1, 0x90
	v_add_nc_u32_e32 v43, -15, v44
	v_mad_u32 v42, v46, s1, 0x198
	s_movk_i32 s5, 0x108
	s_mov_b32 s1, 0
.LBB17_32:                              ; =>This Inner Loop Header: Depth=1
	s_delay_alu instid0(VALU_DEP_2)
	v_dual_mov_b32 v47, s5 :: v_dual_add_nc_u32 v43, -1, v43
	s_add_co_i32 s5, s5, 8
	ds_load_b64 v[48:49], v42
	ds_load_b64 v[50:51], v47
	v_add_nc_u32_e32 v42, 8, v42
	v_cmp_eq_u32_e32 vcc_lo, 0, v43
	s_or_b32 s1, vcc_lo, s1
	s_wait_dscnt 0x0
	v_pk_mul_f32 v[52:53], v[50:51], v[48:49] op_sel:[1,1] op_sel_hi:[0,1]
	s_delay_alu instid0(VALU_DEP_1) | instskip(SKIP_1) | instid1(VALU_DEP_2)
	v_pk_fma_f32 v[54:55], v[50:51], v[48:49], v[52:53] op_sel_hi:[1,0,1]
	v_pk_fma_f32 v[48:49], v[50:51], v[48:49], v[52:53] neg_lo:[0,0,1] neg_hi:[0,0,1]
	v_mov_b32_e32 v49, v55
	s_delay_alu instid0(VALU_DEP_1)
	v_pk_add_f32 v[0:1], v[0:1], v[48:49]
	s_and_not1_b32 exec_lo, exec_lo, s1
	s_cbranch_execnz .LBB17_32
; %bb.33:
	s_or_b32 exec_lo, exec_lo, s1
.LBB17_34:
	s_delay_alu instid0(SALU_CYCLE_1) | instskip(SKIP_4) | instid1(VALU_DEP_1)
	s_or_b32 exec_lo, exec_lo, s4
	v_mov_b32_e32 v42, 0
	ds_load_b64 v[42:43], v42 offset:112
	s_wait_dscnt 0x0
	v_pk_mul_f32 v[48:49], v[0:1], v[42:43] op_sel:[1,1] op_sel_hi:[0,1]
	v_pk_fma_f32 v[50:51], v[0:1], v[42:43], v[48:49] op_sel_hi:[1,0,1]
	v_pk_fma_f32 v[0:1], v[0:1], v[42:43], v[48:49] neg_lo:[0,0,1] neg_hi:[0,0,1]
	s_delay_alu instid0(VALU_DEP_2)
	v_mov_b32_e32 v1, v51
	ds_store_b64 v45, v[0:1] offset:112
.LBB17_35:
	s_or_b32 exec_lo, exec_lo, s2
	ds_load_b64 v[0:1], v45 offset:104
	v_cmp_lt_u32_e64 s1, 13, v44
	s_wait_dscnt 0x0
	ds_store_b64 v40, v[0:1]
	s_wait_dscnt 0x0
	s_barrier_signal -1
	s_barrier_wait -1
	s_and_saveexec_b32 s2, s1
	s_cbranch_execz .LBB17_45
; %bb.36:
	s_and_not1_b32 vcc_lo, exec_lo, s3
	s_cbranch_vccnz .LBB17_38
; %bb.37:
	ds_load_b64 v[0:1], v41
	ds_load_b64 v[42:43], v40
	s_wait_dscnt 0x0
	v_pk_mul_f32 v[48:49], v[42:43], v[0:1] op_sel:[1,1] op_sel_hi:[0,1]
	s_delay_alu instid0(VALU_DEP_1) | instskip(SKIP_1) | instid1(VALU_DEP_2)
	v_pk_fma_f32 v[50:51], v[42:43], v[0:1], v[48:49] op_sel_hi:[1,0,1]
	v_pk_fma_f32 v[0:1], v[42:43], v[0:1], v[48:49] neg_lo:[0,0,1] neg_hi:[0,0,1]
	v_mov_b32_e32 v1, v51
	s_cbranch_execz .LBB17_39
	s_branch .LBB17_40
.LBB17_38:
                                        ; implicit-def: $vgpr0_vgpr1
.LBB17_39:
	ds_load_b64 v[0:1], v40
.LBB17_40:
	s_and_saveexec_b32 s4, s0
	s_cbranch_execz .LBB17_44
; %bb.41:
	s_movk_i32 s0, 0x90
	v_add_nc_u32_e32 v43, -14, v44
	v_mad_u32 v42, v46, s0, 0x190
	s_movk_i32 s5, 0x100
	s_mov_b32 s0, 0
.LBB17_42:                              ; =>This Inner Loop Header: Depth=1
	s_delay_alu instid0(VALU_DEP_2)
	v_dual_mov_b32 v47, s5 :: v_dual_add_nc_u32 v43, -1, v43
	s_add_co_i32 s5, s5, 8
	ds_load_b64 v[48:49], v42
	ds_load_b64 v[50:51], v47
	v_add_nc_u32_e32 v42, 8, v42
	v_cmp_eq_u32_e32 vcc_lo, 0, v43
	s_or_b32 s0, vcc_lo, s0
	s_wait_dscnt 0x0
	v_pk_mul_f32 v[52:53], v[50:51], v[48:49] op_sel:[1,1] op_sel_hi:[0,1]
	s_delay_alu instid0(VALU_DEP_1) | instskip(SKIP_1) | instid1(VALU_DEP_2)
	v_pk_fma_f32 v[54:55], v[50:51], v[48:49], v[52:53] op_sel_hi:[1,0,1]
	v_pk_fma_f32 v[48:49], v[50:51], v[48:49], v[52:53] neg_lo:[0,0,1] neg_hi:[0,0,1]
	v_mov_b32_e32 v49, v55
	s_delay_alu instid0(VALU_DEP_1)
	v_pk_add_f32 v[0:1], v[0:1], v[48:49]
	s_and_not1_b32 exec_lo, exec_lo, s0
	s_cbranch_execnz .LBB17_42
; %bb.43:
	s_or_b32 exec_lo, exec_lo, s0
.LBB17_44:
	s_delay_alu instid0(SALU_CYCLE_1) | instskip(SKIP_4) | instid1(VALU_DEP_1)
	s_or_b32 exec_lo, exec_lo, s4
	v_mov_b32_e32 v42, 0
	ds_load_b64 v[42:43], v42 offset:104
	s_wait_dscnt 0x0
	v_pk_mul_f32 v[48:49], v[0:1], v[42:43] op_sel:[1,1] op_sel_hi:[0,1]
	v_pk_fma_f32 v[50:51], v[0:1], v[42:43], v[48:49] op_sel_hi:[1,0,1]
	v_pk_fma_f32 v[0:1], v[0:1], v[42:43], v[48:49] neg_lo:[0,0,1] neg_hi:[0,0,1]
	s_delay_alu instid0(VALU_DEP_2)
	v_mov_b32_e32 v1, v51
	ds_store_b64 v45, v[0:1] offset:104
.LBB17_45:
	s_or_b32 exec_lo, exec_lo, s2
	ds_load_b64 v[0:1], v45 offset:96
	v_cmp_lt_u32_e64 s0, 12, v44
	s_wait_dscnt 0x0
	ds_store_b64 v40, v[0:1]
	s_wait_dscnt 0x0
	s_barrier_signal -1
	s_barrier_wait -1
	s_and_saveexec_b32 s2, s0
	s_cbranch_execz .LBB17_55
; %bb.46:
	s_and_not1_b32 vcc_lo, exec_lo, s3
	s_cbranch_vccnz .LBB17_48
; %bb.47:
	ds_load_b64 v[0:1], v41
	ds_load_b64 v[42:43], v40
	s_wait_dscnt 0x0
	v_pk_mul_f32 v[48:49], v[42:43], v[0:1] op_sel:[1,1] op_sel_hi:[0,1]
	s_delay_alu instid0(VALU_DEP_1) | instskip(SKIP_1) | instid1(VALU_DEP_2)
	v_pk_fma_f32 v[50:51], v[42:43], v[0:1], v[48:49] op_sel_hi:[1,0,1]
	v_pk_fma_f32 v[0:1], v[42:43], v[0:1], v[48:49] neg_lo:[0,0,1] neg_hi:[0,0,1]
	v_mov_b32_e32 v1, v51
	s_cbranch_execz .LBB17_49
	s_branch .LBB17_50
.LBB17_48:
                                        ; implicit-def: $vgpr0_vgpr1
.LBB17_49:
	ds_load_b64 v[0:1], v40
.LBB17_50:
	s_and_saveexec_b32 s4, s1
	s_cbranch_execz .LBB17_54
; %bb.51:
	s_movk_i32 s1, 0x90
	v_add_nc_u32_e32 v43, -13, v44
	v_mad_u32 v42, v46, s1, 0x188
	s_movk_i32 s5, 0xf8
	s_mov_b32 s1, 0
.LBB17_52:                              ; =>This Inner Loop Header: Depth=1
	s_delay_alu instid0(VALU_DEP_2)
	v_dual_mov_b32 v47, s5 :: v_dual_add_nc_u32 v43, -1, v43
	s_add_co_i32 s5, s5, 8
	ds_load_b64 v[48:49], v42
	ds_load_b64 v[50:51], v47
	v_add_nc_u32_e32 v42, 8, v42
	v_cmp_eq_u32_e32 vcc_lo, 0, v43
	s_or_b32 s1, vcc_lo, s1
	s_wait_dscnt 0x0
	v_pk_mul_f32 v[52:53], v[50:51], v[48:49] op_sel:[1,1] op_sel_hi:[0,1]
	s_delay_alu instid0(VALU_DEP_1) | instskip(SKIP_1) | instid1(VALU_DEP_2)
	v_pk_fma_f32 v[54:55], v[50:51], v[48:49], v[52:53] op_sel_hi:[1,0,1]
	v_pk_fma_f32 v[48:49], v[50:51], v[48:49], v[52:53] neg_lo:[0,0,1] neg_hi:[0,0,1]
	v_mov_b32_e32 v49, v55
	s_delay_alu instid0(VALU_DEP_1)
	v_pk_add_f32 v[0:1], v[0:1], v[48:49]
	s_and_not1_b32 exec_lo, exec_lo, s1
	s_cbranch_execnz .LBB17_52
; %bb.53:
	s_or_b32 exec_lo, exec_lo, s1
.LBB17_54:
	s_delay_alu instid0(SALU_CYCLE_1) | instskip(SKIP_4) | instid1(VALU_DEP_1)
	s_or_b32 exec_lo, exec_lo, s4
	v_mov_b32_e32 v42, 0
	ds_load_b64 v[42:43], v42 offset:96
	s_wait_dscnt 0x0
	v_pk_mul_f32 v[48:49], v[0:1], v[42:43] op_sel:[1,1] op_sel_hi:[0,1]
	v_pk_fma_f32 v[50:51], v[0:1], v[42:43], v[48:49] op_sel_hi:[1,0,1]
	v_pk_fma_f32 v[0:1], v[0:1], v[42:43], v[48:49] neg_lo:[0,0,1] neg_hi:[0,0,1]
	s_delay_alu instid0(VALU_DEP_2)
	v_mov_b32_e32 v1, v51
	ds_store_b64 v45, v[0:1] offset:96
.LBB17_55:
	s_or_b32 exec_lo, exec_lo, s2
	ds_load_b64 v[0:1], v45 offset:88
	v_cmp_lt_u32_e64 s1, 11, v44
	s_wait_dscnt 0x0
	ds_store_b64 v40, v[0:1]
	s_wait_dscnt 0x0
	s_barrier_signal -1
	s_barrier_wait -1
	s_and_saveexec_b32 s2, s1
	s_cbranch_execz .LBB17_65
; %bb.56:
	s_and_not1_b32 vcc_lo, exec_lo, s3
	s_cbranch_vccnz .LBB17_58
; %bb.57:
	ds_load_b64 v[0:1], v41
	ds_load_b64 v[42:43], v40
	s_wait_dscnt 0x0
	v_pk_mul_f32 v[48:49], v[42:43], v[0:1] op_sel:[1,1] op_sel_hi:[0,1]
	s_delay_alu instid0(VALU_DEP_1) | instskip(SKIP_1) | instid1(VALU_DEP_2)
	v_pk_fma_f32 v[50:51], v[42:43], v[0:1], v[48:49] op_sel_hi:[1,0,1]
	v_pk_fma_f32 v[0:1], v[42:43], v[0:1], v[48:49] neg_lo:[0,0,1] neg_hi:[0,0,1]
	v_mov_b32_e32 v1, v51
	s_cbranch_execz .LBB17_59
	s_branch .LBB17_60
.LBB17_58:
                                        ; implicit-def: $vgpr0_vgpr1
.LBB17_59:
	ds_load_b64 v[0:1], v40
.LBB17_60:
	s_and_saveexec_b32 s4, s0
	s_cbranch_execz .LBB17_64
; %bb.61:
	s_movk_i32 s0, 0x90
	v_add_nc_u32_e32 v43, -12, v44
	v_mad_u32 v42, v46, s0, 0x180
	s_movk_i32 s5, 0xf0
	s_mov_b32 s0, 0
.LBB17_62:                              ; =>This Inner Loop Header: Depth=1
	s_delay_alu instid0(VALU_DEP_2)
	v_dual_mov_b32 v47, s5 :: v_dual_add_nc_u32 v43, -1, v43
	s_add_co_i32 s5, s5, 8
	ds_load_b64 v[48:49], v42
	ds_load_b64 v[50:51], v47
	v_add_nc_u32_e32 v42, 8, v42
	v_cmp_eq_u32_e32 vcc_lo, 0, v43
	s_or_b32 s0, vcc_lo, s0
	s_wait_dscnt 0x0
	v_pk_mul_f32 v[52:53], v[50:51], v[48:49] op_sel:[1,1] op_sel_hi:[0,1]
	s_delay_alu instid0(VALU_DEP_1) | instskip(SKIP_1) | instid1(VALU_DEP_2)
	v_pk_fma_f32 v[54:55], v[50:51], v[48:49], v[52:53] op_sel_hi:[1,0,1]
	v_pk_fma_f32 v[48:49], v[50:51], v[48:49], v[52:53] neg_lo:[0,0,1] neg_hi:[0,0,1]
	v_mov_b32_e32 v49, v55
	s_delay_alu instid0(VALU_DEP_1)
	v_pk_add_f32 v[0:1], v[0:1], v[48:49]
	s_and_not1_b32 exec_lo, exec_lo, s0
	s_cbranch_execnz .LBB17_62
; %bb.63:
	s_or_b32 exec_lo, exec_lo, s0
.LBB17_64:
	s_delay_alu instid0(SALU_CYCLE_1) | instskip(SKIP_4) | instid1(VALU_DEP_1)
	s_or_b32 exec_lo, exec_lo, s4
	v_mov_b32_e32 v42, 0
	ds_load_b64 v[42:43], v42 offset:88
	s_wait_dscnt 0x0
	v_pk_mul_f32 v[48:49], v[0:1], v[42:43] op_sel:[1,1] op_sel_hi:[0,1]
	v_pk_fma_f32 v[50:51], v[0:1], v[42:43], v[48:49] op_sel_hi:[1,0,1]
	v_pk_fma_f32 v[0:1], v[0:1], v[42:43], v[48:49] neg_lo:[0,0,1] neg_hi:[0,0,1]
	s_delay_alu instid0(VALU_DEP_2)
	v_mov_b32_e32 v1, v51
	ds_store_b64 v45, v[0:1] offset:88
.LBB17_65:
	s_or_b32 exec_lo, exec_lo, s2
	ds_load_b64 v[0:1], v45 offset:80
	v_cmp_lt_u32_e64 s0, 10, v44
	s_wait_dscnt 0x0
	ds_store_b64 v40, v[0:1]
	s_wait_dscnt 0x0
	s_barrier_signal -1
	s_barrier_wait -1
	s_and_saveexec_b32 s2, s0
	s_cbranch_execz .LBB17_75
; %bb.66:
	s_and_not1_b32 vcc_lo, exec_lo, s3
	s_cbranch_vccnz .LBB17_68
; %bb.67:
	ds_load_b64 v[0:1], v41
	ds_load_b64 v[42:43], v40
	s_wait_dscnt 0x0
	v_pk_mul_f32 v[48:49], v[42:43], v[0:1] op_sel:[1,1] op_sel_hi:[0,1]
	s_delay_alu instid0(VALU_DEP_1) | instskip(SKIP_1) | instid1(VALU_DEP_2)
	v_pk_fma_f32 v[50:51], v[42:43], v[0:1], v[48:49] op_sel_hi:[1,0,1]
	v_pk_fma_f32 v[0:1], v[42:43], v[0:1], v[48:49] neg_lo:[0,0,1] neg_hi:[0,0,1]
	v_mov_b32_e32 v1, v51
	s_cbranch_execz .LBB17_69
	s_branch .LBB17_70
.LBB17_68:
                                        ; implicit-def: $vgpr0_vgpr1
.LBB17_69:
	ds_load_b64 v[0:1], v40
.LBB17_70:
	s_and_saveexec_b32 s4, s1
	s_cbranch_execz .LBB17_74
; %bb.71:
	s_movk_i32 s1, 0x90
	v_add_nc_u32_e32 v43, -11, v44
	v_mad_u32 v42, v46, s1, 0x178
	s_movk_i32 s5, 0xe8
	s_mov_b32 s1, 0
.LBB17_72:                              ; =>This Inner Loop Header: Depth=1
	s_delay_alu instid0(VALU_DEP_2)
	v_dual_mov_b32 v47, s5 :: v_dual_add_nc_u32 v43, -1, v43
	s_add_co_i32 s5, s5, 8
	ds_load_b64 v[48:49], v42
	ds_load_b64 v[50:51], v47
	v_add_nc_u32_e32 v42, 8, v42
	v_cmp_eq_u32_e32 vcc_lo, 0, v43
	s_or_b32 s1, vcc_lo, s1
	s_wait_dscnt 0x0
	v_pk_mul_f32 v[52:53], v[50:51], v[48:49] op_sel:[1,1] op_sel_hi:[0,1]
	s_delay_alu instid0(VALU_DEP_1) | instskip(SKIP_1) | instid1(VALU_DEP_2)
	v_pk_fma_f32 v[54:55], v[50:51], v[48:49], v[52:53] op_sel_hi:[1,0,1]
	v_pk_fma_f32 v[48:49], v[50:51], v[48:49], v[52:53] neg_lo:[0,0,1] neg_hi:[0,0,1]
	v_mov_b32_e32 v49, v55
	s_delay_alu instid0(VALU_DEP_1)
	v_pk_add_f32 v[0:1], v[0:1], v[48:49]
	s_and_not1_b32 exec_lo, exec_lo, s1
	s_cbranch_execnz .LBB17_72
; %bb.73:
	s_or_b32 exec_lo, exec_lo, s1
.LBB17_74:
	s_delay_alu instid0(SALU_CYCLE_1) | instskip(SKIP_4) | instid1(VALU_DEP_1)
	s_or_b32 exec_lo, exec_lo, s4
	v_mov_b32_e32 v42, 0
	ds_load_b64 v[42:43], v42 offset:80
	s_wait_dscnt 0x0
	v_pk_mul_f32 v[48:49], v[0:1], v[42:43] op_sel:[1,1] op_sel_hi:[0,1]
	v_pk_fma_f32 v[50:51], v[0:1], v[42:43], v[48:49] op_sel_hi:[1,0,1]
	v_pk_fma_f32 v[0:1], v[0:1], v[42:43], v[48:49] neg_lo:[0,0,1] neg_hi:[0,0,1]
	s_delay_alu instid0(VALU_DEP_2)
	v_mov_b32_e32 v1, v51
	ds_store_b64 v45, v[0:1] offset:80
.LBB17_75:
	s_or_b32 exec_lo, exec_lo, s2
	ds_load_b64 v[0:1], v45 offset:72
	v_cmp_lt_u32_e64 s1, 9, v44
	s_wait_dscnt 0x0
	ds_store_b64 v40, v[0:1]
	s_wait_dscnt 0x0
	s_barrier_signal -1
	s_barrier_wait -1
	s_and_saveexec_b32 s2, s1
	s_cbranch_execz .LBB17_85
; %bb.76:
	s_and_not1_b32 vcc_lo, exec_lo, s3
	s_cbranch_vccnz .LBB17_78
; %bb.77:
	ds_load_b64 v[0:1], v41
	ds_load_b64 v[42:43], v40
	s_wait_dscnt 0x0
	v_pk_mul_f32 v[48:49], v[42:43], v[0:1] op_sel:[1,1] op_sel_hi:[0,1]
	s_delay_alu instid0(VALU_DEP_1) | instskip(SKIP_1) | instid1(VALU_DEP_2)
	v_pk_fma_f32 v[50:51], v[42:43], v[0:1], v[48:49] op_sel_hi:[1,0,1]
	v_pk_fma_f32 v[0:1], v[42:43], v[0:1], v[48:49] neg_lo:[0,0,1] neg_hi:[0,0,1]
	v_mov_b32_e32 v1, v51
	s_cbranch_execz .LBB17_79
	s_branch .LBB17_80
.LBB17_78:
                                        ; implicit-def: $vgpr0_vgpr1
.LBB17_79:
	ds_load_b64 v[0:1], v40
.LBB17_80:
	s_and_saveexec_b32 s4, s0
	s_cbranch_execz .LBB17_84
; %bb.81:
	s_movk_i32 s0, 0x90
	v_add_nc_u32_e32 v43, -10, v44
	v_mad_u32 v42, v46, s0, 0x170
	s_movk_i32 s5, 0xe0
	s_mov_b32 s0, 0
.LBB17_82:                              ; =>This Inner Loop Header: Depth=1
	s_delay_alu instid0(VALU_DEP_2)
	v_dual_mov_b32 v47, s5 :: v_dual_add_nc_u32 v43, -1, v43
	s_add_co_i32 s5, s5, 8
	ds_load_b64 v[48:49], v42
	ds_load_b64 v[50:51], v47
	v_add_nc_u32_e32 v42, 8, v42
	v_cmp_eq_u32_e32 vcc_lo, 0, v43
	s_or_b32 s0, vcc_lo, s0
	s_wait_dscnt 0x0
	v_pk_mul_f32 v[52:53], v[50:51], v[48:49] op_sel:[1,1] op_sel_hi:[0,1]
	s_delay_alu instid0(VALU_DEP_1) | instskip(SKIP_1) | instid1(VALU_DEP_2)
	v_pk_fma_f32 v[54:55], v[50:51], v[48:49], v[52:53] op_sel_hi:[1,0,1]
	v_pk_fma_f32 v[48:49], v[50:51], v[48:49], v[52:53] neg_lo:[0,0,1] neg_hi:[0,0,1]
	v_mov_b32_e32 v49, v55
	s_delay_alu instid0(VALU_DEP_1)
	v_pk_add_f32 v[0:1], v[0:1], v[48:49]
	s_and_not1_b32 exec_lo, exec_lo, s0
	s_cbranch_execnz .LBB17_82
; %bb.83:
	s_or_b32 exec_lo, exec_lo, s0
.LBB17_84:
	s_delay_alu instid0(SALU_CYCLE_1) | instskip(SKIP_4) | instid1(VALU_DEP_1)
	s_or_b32 exec_lo, exec_lo, s4
	v_mov_b32_e32 v42, 0
	ds_load_b64 v[42:43], v42 offset:72
	s_wait_dscnt 0x0
	v_pk_mul_f32 v[48:49], v[0:1], v[42:43] op_sel:[1,1] op_sel_hi:[0,1]
	v_pk_fma_f32 v[50:51], v[0:1], v[42:43], v[48:49] op_sel_hi:[1,0,1]
	v_pk_fma_f32 v[0:1], v[0:1], v[42:43], v[48:49] neg_lo:[0,0,1] neg_hi:[0,0,1]
	s_delay_alu instid0(VALU_DEP_2)
	v_mov_b32_e32 v1, v51
	ds_store_b64 v45, v[0:1] offset:72
.LBB17_85:
	s_or_b32 exec_lo, exec_lo, s2
	ds_load_b64 v[0:1], v45 offset:64
	v_cmp_lt_u32_e64 s0, 8, v44
	s_wait_dscnt 0x0
	ds_store_b64 v40, v[0:1]
	s_wait_dscnt 0x0
	s_barrier_signal -1
	s_barrier_wait -1
	s_and_saveexec_b32 s2, s0
	s_cbranch_execz .LBB17_95
; %bb.86:
	s_and_not1_b32 vcc_lo, exec_lo, s3
	s_cbranch_vccnz .LBB17_88
; %bb.87:
	ds_load_b64 v[0:1], v41
	ds_load_b64 v[42:43], v40
	s_wait_dscnt 0x0
	v_pk_mul_f32 v[48:49], v[42:43], v[0:1] op_sel:[1,1] op_sel_hi:[0,1]
	s_delay_alu instid0(VALU_DEP_1) | instskip(SKIP_1) | instid1(VALU_DEP_2)
	v_pk_fma_f32 v[50:51], v[42:43], v[0:1], v[48:49] op_sel_hi:[1,0,1]
	v_pk_fma_f32 v[0:1], v[42:43], v[0:1], v[48:49] neg_lo:[0,0,1] neg_hi:[0,0,1]
	v_mov_b32_e32 v1, v51
	s_cbranch_execz .LBB17_89
	s_branch .LBB17_90
.LBB17_88:
                                        ; implicit-def: $vgpr0_vgpr1
.LBB17_89:
	ds_load_b64 v[0:1], v40
.LBB17_90:
	s_and_saveexec_b32 s4, s1
	s_cbranch_execz .LBB17_94
; %bb.91:
	s_movk_i32 s1, 0x90
	v_add_nc_u32_e32 v43, -9, v44
	v_mad_u32 v42, v46, s1, 0x168
	s_movk_i32 s5, 0xd8
	s_mov_b32 s1, 0
.LBB17_92:                              ; =>This Inner Loop Header: Depth=1
	s_delay_alu instid0(VALU_DEP_2)
	v_dual_mov_b32 v47, s5 :: v_dual_add_nc_u32 v43, -1, v43
	s_add_co_i32 s5, s5, 8
	ds_load_b64 v[48:49], v42
	ds_load_b64 v[50:51], v47
	v_add_nc_u32_e32 v42, 8, v42
	v_cmp_eq_u32_e32 vcc_lo, 0, v43
	s_or_b32 s1, vcc_lo, s1
	s_wait_dscnt 0x0
	v_pk_mul_f32 v[52:53], v[50:51], v[48:49] op_sel:[1,1] op_sel_hi:[0,1]
	s_delay_alu instid0(VALU_DEP_1) | instskip(SKIP_1) | instid1(VALU_DEP_2)
	v_pk_fma_f32 v[54:55], v[50:51], v[48:49], v[52:53] op_sel_hi:[1,0,1]
	v_pk_fma_f32 v[48:49], v[50:51], v[48:49], v[52:53] neg_lo:[0,0,1] neg_hi:[0,0,1]
	v_mov_b32_e32 v49, v55
	s_delay_alu instid0(VALU_DEP_1)
	v_pk_add_f32 v[0:1], v[0:1], v[48:49]
	s_and_not1_b32 exec_lo, exec_lo, s1
	s_cbranch_execnz .LBB17_92
; %bb.93:
	s_or_b32 exec_lo, exec_lo, s1
.LBB17_94:
	s_delay_alu instid0(SALU_CYCLE_1) | instskip(SKIP_4) | instid1(VALU_DEP_1)
	s_or_b32 exec_lo, exec_lo, s4
	v_mov_b32_e32 v42, 0
	ds_load_b64 v[42:43], v42 offset:64
	s_wait_dscnt 0x0
	v_pk_mul_f32 v[48:49], v[0:1], v[42:43] op_sel:[1,1] op_sel_hi:[0,1]
	v_pk_fma_f32 v[50:51], v[0:1], v[42:43], v[48:49] op_sel_hi:[1,0,1]
	v_pk_fma_f32 v[0:1], v[0:1], v[42:43], v[48:49] neg_lo:[0,0,1] neg_hi:[0,0,1]
	s_delay_alu instid0(VALU_DEP_2)
	v_mov_b32_e32 v1, v51
	ds_store_b64 v45, v[0:1] offset:64
.LBB17_95:
	s_or_b32 exec_lo, exec_lo, s2
	ds_load_b64 v[0:1], v45 offset:56
	v_cmp_lt_u32_e64 s1, 7, v44
	s_wait_dscnt 0x0
	ds_store_b64 v40, v[0:1]
	s_wait_dscnt 0x0
	s_barrier_signal -1
	s_barrier_wait -1
	s_and_saveexec_b32 s2, s1
	s_cbranch_execz .LBB17_105
; %bb.96:
	s_and_not1_b32 vcc_lo, exec_lo, s3
	s_cbranch_vccnz .LBB17_98
; %bb.97:
	ds_load_b64 v[0:1], v41
	ds_load_b64 v[42:43], v40
	s_wait_dscnt 0x0
	v_pk_mul_f32 v[48:49], v[42:43], v[0:1] op_sel:[1,1] op_sel_hi:[0,1]
	s_delay_alu instid0(VALU_DEP_1) | instskip(SKIP_1) | instid1(VALU_DEP_2)
	v_pk_fma_f32 v[50:51], v[42:43], v[0:1], v[48:49] op_sel_hi:[1,0,1]
	v_pk_fma_f32 v[0:1], v[42:43], v[0:1], v[48:49] neg_lo:[0,0,1] neg_hi:[0,0,1]
	v_mov_b32_e32 v1, v51
	s_cbranch_execz .LBB17_99
	s_branch .LBB17_100
.LBB17_98:
                                        ; implicit-def: $vgpr0_vgpr1
.LBB17_99:
	ds_load_b64 v[0:1], v40
.LBB17_100:
	s_and_saveexec_b32 s4, s0
	s_cbranch_execz .LBB17_104
; %bb.101:
	s_movk_i32 s0, 0x90
	v_add_nc_u32_e32 v43, -8, v44
	v_mad_u32 v42, v46, s0, 0x160
	s_movk_i32 s5, 0xd0
	s_mov_b32 s0, 0
.LBB17_102:                             ; =>This Inner Loop Header: Depth=1
	s_delay_alu instid0(VALU_DEP_2)
	v_dual_mov_b32 v47, s5 :: v_dual_add_nc_u32 v43, -1, v43
	s_add_co_i32 s5, s5, 8
	ds_load_b64 v[48:49], v42
	ds_load_b64 v[50:51], v47
	v_add_nc_u32_e32 v42, 8, v42
	v_cmp_eq_u32_e32 vcc_lo, 0, v43
	s_or_b32 s0, vcc_lo, s0
	s_wait_dscnt 0x0
	v_pk_mul_f32 v[52:53], v[50:51], v[48:49] op_sel:[1,1] op_sel_hi:[0,1]
	s_delay_alu instid0(VALU_DEP_1) | instskip(SKIP_1) | instid1(VALU_DEP_2)
	v_pk_fma_f32 v[54:55], v[50:51], v[48:49], v[52:53] op_sel_hi:[1,0,1]
	v_pk_fma_f32 v[48:49], v[50:51], v[48:49], v[52:53] neg_lo:[0,0,1] neg_hi:[0,0,1]
	v_mov_b32_e32 v49, v55
	s_delay_alu instid0(VALU_DEP_1)
	v_pk_add_f32 v[0:1], v[0:1], v[48:49]
	s_and_not1_b32 exec_lo, exec_lo, s0
	s_cbranch_execnz .LBB17_102
; %bb.103:
	s_or_b32 exec_lo, exec_lo, s0
.LBB17_104:
	s_delay_alu instid0(SALU_CYCLE_1) | instskip(SKIP_4) | instid1(VALU_DEP_1)
	s_or_b32 exec_lo, exec_lo, s4
	v_mov_b32_e32 v42, 0
	ds_load_b64 v[42:43], v42 offset:56
	s_wait_dscnt 0x0
	v_pk_mul_f32 v[48:49], v[0:1], v[42:43] op_sel:[1,1] op_sel_hi:[0,1]
	v_pk_fma_f32 v[50:51], v[0:1], v[42:43], v[48:49] op_sel_hi:[1,0,1]
	v_pk_fma_f32 v[0:1], v[0:1], v[42:43], v[48:49] neg_lo:[0,0,1] neg_hi:[0,0,1]
	s_delay_alu instid0(VALU_DEP_2)
	v_mov_b32_e32 v1, v51
	ds_store_b64 v45, v[0:1] offset:56
.LBB17_105:
	s_or_b32 exec_lo, exec_lo, s2
	ds_load_b64 v[0:1], v45 offset:48
	v_cmp_lt_u32_e64 s0, 6, v44
	s_wait_dscnt 0x0
	ds_store_b64 v40, v[0:1]
	s_wait_dscnt 0x0
	s_barrier_signal -1
	s_barrier_wait -1
	s_and_saveexec_b32 s2, s0
	s_cbranch_execz .LBB17_115
; %bb.106:
	s_and_not1_b32 vcc_lo, exec_lo, s3
	s_cbranch_vccnz .LBB17_108
; %bb.107:
	ds_load_b64 v[0:1], v41
	ds_load_b64 v[42:43], v40
	s_wait_dscnt 0x0
	v_pk_mul_f32 v[48:49], v[42:43], v[0:1] op_sel:[1,1] op_sel_hi:[0,1]
	s_delay_alu instid0(VALU_DEP_1) | instskip(SKIP_1) | instid1(VALU_DEP_2)
	v_pk_fma_f32 v[50:51], v[42:43], v[0:1], v[48:49] op_sel_hi:[1,0,1]
	v_pk_fma_f32 v[0:1], v[42:43], v[0:1], v[48:49] neg_lo:[0,0,1] neg_hi:[0,0,1]
	v_mov_b32_e32 v1, v51
	s_cbranch_execz .LBB17_109
	s_branch .LBB17_110
.LBB17_108:
                                        ; implicit-def: $vgpr0_vgpr1
.LBB17_109:
	ds_load_b64 v[0:1], v40
.LBB17_110:
	s_and_saveexec_b32 s4, s1
	s_cbranch_execz .LBB17_114
; %bb.111:
	s_movk_i32 s1, 0x90
	v_add_nc_u32_e32 v43, -7, v44
	v_mad_u32 v42, v46, s1, 0x158
	s_movk_i32 s5, 0xc8
	s_mov_b32 s1, 0
.LBB17_112:                             ; =>This Inner Loop Header: Depth=1
	s_delay_alu instid0(VALU_DEP_2)
	v_dual_mov_b32 v47, s5 :: v_dual_add_nc_u32 v43, -1, v43
	s_add_co_i32 s5, s5, 8
	ds_load_b64 v[48:49], v42
	ds_load_b64 v[50:51], v47
	v_add_nc_u32_e32 v42, 8, v42
	v_cmp_eq_u32_e32 vcc_lo, 0, v43
	s_or_b32 s1, vcc_lo, s1
	s_wait_dscnt 0x0
	v_pk_mul_f32 v[52:53], v[50:51], v[48:49] op_sel:[1,1] op_sel_hi:[0,1]
	s_delay_alu instid0(VALU_DEP_1) | instskip(SKIP_1) | instid1(VALU_DEP_2)
	v_pk_fma_f32 v[54:55], v[50:51], v[48:49], v[52:53] op_sel_hi:[1,0,1]
	v_pk_fma_f32 v[48:49], v[50:51], v[48:49], v[52:53] neg_lo:[0,0,1] neg_hi:[0,0,1]
	v_mov_b32_e32 v49, v55
	s_delay_alu instid0(VALU_DEP_1)
	v_pk_add_f32 v[0:1], v[0:1], v[48:49]
	s_and_not1_b32 exec_lo, exec_lo, s1
	s_cbranch_execnz .LBB17_112
; %bb.113:
	s_or_b32 exec_lo, exec_lo, s1
.LBB17_114:
	s_delay_alu instid0(SALU_CYCLE_1) | instskip(SKIP_4) | instid1(VALU_DEP_1)
	s_or_b32 exec_lo, exec_lo, s4
	v_mov_b32_e32 v42, 0
	ds_load_b64 v[42:43], v42 offset:48
	s_wait_dscnt 0x0
	v_pk_mul_f32 v[48:49], v[0:1], v[42:43] op_sel:[1,1] op_sel_hi:[0,1]
	v_pk_fma_f32 v[50:51], v[0:1], v[42:43], v[48:49] op_sel_hi:[1,0,1]
	v_pk_fma_f32 v[0:1], v[0:1], v[42:43], v[48:49] neg_lo:[0,0,1] neg_hi:[0,0,1]
	s_delay_alu instid0(VALU_DEP_2)
	v_mov_b32_e32 v1, v51
	ds_store_b64 v45, v[0:1] offset:48
.LBB17_115:
	s_or_b32 exec_lo, exec_lo, s2
	ds_load_b64 v[0:1], v45 offset:40
	v_cmp_lt_u32_e64 s1, 5, v44
	s_wait_dscnt 0x0
	ds_store_b64 v40, v[0:1]
	s_wait_dscnt 0x0
	s_barrier_signal -1
	s_barrier_wait -1
	s_and_saveexec_b32 s2, s1
	s_cbranch_execz .LBB17_125
; %bb.116:
	s_and_not1_b32 vcc_lo, exec_lo, s3
	s_cbranch_vccnz .LBB17_118
; %bb.117:
	ds_load_b64 v[0:1], v41
	ds_load_b64 v[42:43], v40
	s_wait_dscnt 0x0
	v_pk_mul_f32 v[48:49], v[42:43], v[0:1] op_sel:[1,1] op_sel_hi:[0,1]
	s_delay_alu instid0(VALU_DEP_1) | instskip(SKIP_1) | instid1(VALU_DEP_2)
	v_pk_fma_f32 v[50:51], v[42:43], v[0:1], v[48:49] op_sel_hi:[1,0,1]
	v_pk_fma_f32 v[0:1], v[42:43], v[0:1], v[48:49] neg_lo:[0,0,1] neg_hi:[0,0,1]
	v_mov_b32_e32 v1, v51
	s_cbranch_execz .LBB17_119
	s_branch .LBB17_120
.LBB17_118:
                                        ; implicit-def: $vgpr0_vgpr1
.LBB17_119:
	ds_load_b64 v[0:1], v40
.LBB17_120:
	s_and_saveexec_b32 s4, s0
	s_cbranch_execz .LBB17_124
; %bb.121:
	s_movk_i32 s0, 0x90
	v_add_nc_u32_e32 v43, -6, v44
	v_mad_u32 v42, v46, s0, 0x150
	s_movk_i32 s5, 0xc0
	s_mov_b32 s0, 0
.LBB17_122:                             ; =>This Inner Loop Header: Depth=1
	s_delay_alu instid0(VALU_DEP_2)
	v_dual_mov_b32 v47, s5 :: v_dual_add_nc_u32 v43, -1, v43
	s_add_co_i32 s5, s5, 8
	ds_load_b64 v[48:49], v42
	ds_load_b64 v[50:51], v47
	v_add_nc_u32_e32 v42, 8, v42
	v_cmp_eq_u32_e32 vcc_lo, 0, v43
	s_or_b32 s0, vcc_lo, s0
	s_wait_dscnt 0x0
	v_pk_mul_f32 v[52:53], v[50:51], v[48:49] op_sel:[1,1] op_sel_hi:[0,1]
	s_delay_alu instid0(VALU_DEP_1) | instskip(SKIP_1) | instid1(VALU_DEP_2)
	v_pk_fma_f32 v[54:55], v[50:51], v[48:49], v[52:53] op_sel_hi:[1,0,1]
	v_pk_fma_f32 v[48:49], v[50:51], v[48:49], v[52:53] neg_lo:[0,0,1] neg_hi:[0,0,1]
	v_mov_b32_e32 v49, v55
	s_delay_alu instid0(VALU_DEP_1)
	v_pk_add_f32 v[0:1], v[0:1], v[48:49]
	s_and_not1_b32 exec_lo, exec_lo, s0
	s_cbranch_execnz .LBB17_122
; %bb.123:
	s_or_b32 exec_lo, exec_lo, s0
.LBB17_124:
	s_delay_alu instid0(SALU_CYCLE_1) | instskip(SKIP_4) | instid1(VALU_DEP_1)
	s_or_b32 exec_lo, exec_lo, s4
	v_mov_b32_e32 v42, 0
	ds_load_b64 v[42:43], v42 offset:40
	s_wait_dscnt 0x0
	v_pk_mul_f32 v[48:49], v[0:1], v[42:43] op_sel:[1,1] op_sel_hi:[0,1]
	v_pk_fma_f32 v[50:51], v[0:1], v[42:43], v[48:49] op_sel_hi:[1,0,1]
	v_pk_fma_f32 v[0:1], v[0:1], v[42:43], v[48:49] neg_lo:[0,0,1] neg_hi:[0,0,1]
	s_delay_alu instid0(VALU_DEP_2)
	v_mov_b32_e32 v1, v51
	ds_store_b64 v45, v[0:1] offset:40
.LBB17_125:
	s_or_b32 exec_lo, exec_lo, s2
	ds_load_b64 v[0:1], v45 offset:32
	v_cmp_lt_u32_e64 s0, 4, v44
	s_wait_dscnt 0x0
	ds_store_b64 v40, v[0:1]
	s_wait_dscnt 0x0
	s_barrier_signal -1
	s_barrier_wait -1
	s_and_saveexec_b32 s2, s0
	s_cbranch_execz .LBB17_135
; %bb.126:
	s_and_not1_b32 vcc_lo, exec_lo, s3
	s_cbranch_vccnz .LBB17_128
; %bb.127:
	ds_load_b64 v[0:1], v41
	ds_load_b64 v[42:43], v40
	s_wait_dscnt 0x0
	v_pk_mul_f32 v[48:49], v[42:43], v[0:1] op_sel:[1,1] op_sel_hi:[0,1]
	s_delay_alu instid0(VALU_DEP_1) | instskip(SKIP_1) | instid1(VALU_DEP_2)
	v_pk_fma_f32 v[50:51], v[42:43], v[0:1], v[48:49] op_sel_hi:[1,0,1]
	v_pk_fma_f32 v[0:1], v[42:43], v[0:1], v[48:49] neg_lo:[0,0,1] neg_hi:[0,0,1]
	v_mov_b32_e32 v1, v51
	s_cbranch_execz .LBB17_129
	s_branch .LBB17_130
.LBB17_128:
                                        ; implicit-def: $vgpr0_vgpr1
.LBB17_129:
	ds_load_b64 v[0:1], v40
.LBB17_130:
	s_and_saveexec_b32 s4, s1
	s_cbranch_execz .LBB17_134
; %bb.131:
	s_movk_i32 s1, 0x90
	v_add_nc_u32_e32 v43, -5, v44
	v_mad_u32 v42, v46, s1, 0x148
	s_movk_i32 s5, 0xb8
	s_mov_b32 s1, 0
.LBB17_132:                             ; =>This Inner Loop Header: Depth=1
	s_delay_alu instid0(VALU_DEP_2)
	v_dual_mov_b32 v47, s5 :: v_dual_add_nc_u32 v43, -1, v43
	s_add_co_i32 s5, s5, 8
	ds_load_b64 v[48:49], v42
	ds_load_b64 v[50:51], v47
	v_add_nc_u32_e32 v42, 8, v42
	v_cmp_eq_u32_e32 vcc_lo, 0, v43
	s_or_b32 s1, vcc_lo, s1
	s_wait_dscnt 0x0
	v_pk_mul_f32 v[52:53], v[50:51], v[48:49] op_sel:[1,1] op_sel_hi:[0,1]
	s_delay_alu instid0(VALU_DEP_1) | instskip(SKIP_1) | instid1(VALU_DEP_2)
	v_pk_fma_f32 v[54:55], v[50:51], v[48:49], v[52:53] op_sel_hi:[1,0,1]
	v_pk_fma_f32 v[48:49], v[50:51], v[48:49], v[52:53] neg_lo:[0,0,1] neg_hi:[0,0,1]
	v_mov_b32_e32 v49, v55
	s_delay_alu instid0(VALU_DEP_1)
	v_pk_add_f32 v[0:1], v[0:1], v[48:49]
	s_and_not1_b32 exec_lo, exec_lo, s1
	s_cbranch_execnz .LBB17_132
; %bb.133:
	s_or_b32 exec_lo, exec_lo, s1
.LBB17_134:
	s_delay_alu instid0(SALU_CYCLE_1) | instskip(SKIP_4) | instid1(VALU_DEP_1)
	s_or_b32 exec_lo, exec_lo, s4
	v_mov_b32_e32 v42, 0
	ds_load_b64 v[42:43], v42 offset:32
	s_wait_dscnt 0x0
	v_pk_mul_f32 v[48:49], v[0:1], v[42:43] op_sel:[1,1] op_sel_hi:[0,1]
	v_pk_fma_f32 v[50:51], v[0:1], v[42:43], v[48:49] op_sel_hi:[1,0,1]
	v_pk_fma_f32 v[0:1], v[0:1], v[42:43], v[48:49] neg_lo:[0,0,1] neg_hi:[0,0,1]
	s_delay_alu instid0(VALU_DEP_2)
	v_mov_b32_e32 v1, v51
	ds_store_b64 v45, v[0:1] offset:32
.LBB17_135:
	s_or_b32 exec_lo, exec_lo, s2
	ds_load_b64 v[0:1], v45 offset:24
	v_cmp_lt_u32_e64 s1, 3, v44
	s_wait_dscnt 0x0
	ds_store_b64 v40, v[0:1]
	s_wait_dscnt 0x0
	s_barrier_signal -1
	s_barrier_wait -1
	s_and_saveexec_b32 s2, s1
	s_cbranch_execz .LBB17_145
; %bb.136:
	s_and_not1_b32 vcc_lo, exec_lo, s3
	s_cbranch_vccnz .LBB17_138
; %bb.137:
	ds_load_b64 v[0:1], v41
	ds_load_b64 v[42:43], v40
	s_wait_dscnt 0x0
	v_pk_mul_f32 v[48:49], v[42:43], v[0:1] op_sel:[1,1] op_sel_hi:[0,1]
	s_delay_alu instid0(VALU_DEP_1) | instskip(SKIP_1) | instid1(VALU_DEP_2)
	v_pk_fma_f32 v[50:51], v[42:43], v[0:1], v[48:49] op_sel_hi:[1,0,1]
	v_pk_fma_f32 v[0:1], v[42:43], v[0:1], v[48:49] neg_lo:[0,0,1] neg_hi:[0,0,1]
	v_mov_b32_e32 v1, v51
	s_cbranch_execz .LBB17_139
	s_branch .LBB17_140
.LBB17_138:
                                        ; implicit-def: $vgpr0_vgpr1
.LBB17_139:
	ds_load_b64 v[0:1], v40
.LBB17_140:
	s_and_saveexec_b32 s4, s0
	s_cbranch_execz .LBB17_144
; %bb.141:
	s_movk_i32 s0, 0x90
	v_add_nc_u32_e32 v43, -4, v44
	v_mad_u32 v42, v46, s0, 0x140
	s_movk_i32 s5, 0xb0
	s_mov_b32 s0, 0
.LBB17_142:                             ; =>This Inner Loop Header: Depth=1
	s_delay_alu instid0(VALU_DEP_2)
	v_dual_mov_b32 v47, s5 :: v_dual_add_nc_u32 v43, -1, v43
	s_add_co_i32 s5, s5, 8
	ds_load_b64 v[48:49], v42
	ds_load_b64 v[50:51], v47
	v_add_nc_u32_e32 v42, 8, v42
	v_cmp_eq_u32_e32 vcc_lo, 0, v43
	s_or_b32 s0, vcc_lo, s0
	s_wait_dscnt 0x0
	v_pk_mul_f32 v[52:53], v[50:51], v[48:49] op_sel:[1,1] op_sel_hi:[0,1]
	s_delay_alu instid0(VALU_DEP_1) | instskip(SKIP_1) | instid1(VALU_DEP_2)
	v_pk_fma_f32 v[54:55], v[50:51], v[48:49], v[52:53] op_sel_hi:[1,0,1]
	v_pk_fma_f32 v[48:49], v[50:51], v[48:49], v[52:53] neg_lo:[0,0,1] neg_hi:[0,0,1]
	v_mov_b32_e32 v49, v55
	s_delay_alu instid0(VALU_DEP_1)
	v_pk_add_f32 v[0:1], v[0:1], v[48:49]
	s_and_not1_b32 exec_lo, exec_lo, s0
	s_cbranch_execnz .LBB17_142
; %bb.143:
	s_or_b32 exec_lo, exec_lo, s0
.LBB17_144:
	s_delay_alu instid0(SALU_CYCLE_1) | instskip(SKIP_4) | instid1(VALU_DEP_1)
	s_or_b32 exec_lo, exec_lo, s4
	v_mov_b32_e32 v42, 0
	ds_load_b64 v[42:43], v42 offset:24
	s_wait_dscnt 0x0
	v_pk_mul_f32 v[48:49], v[0:1], v[42:43] op_sel:[1,1] op_sel_hi:[0,1]
	v_pk_fma_f32 v[50:51], v[0:1], v[42:43], v[48:49] op_sel_hi:[1,0,1]
	v_pk_fma_f32 v[0:1], v[0:1], v[42:43], v[48:49] neg_lo:[0,0,1] neg_hi:[0,0,1]
	s_delay_alu instid0(VALU_DEP_2)
	v_mov_b32_e32 v1, v51
	ds_store_b64 v45, v[0:1] offset:24
.LBB17_145:
	s_or_b32 exec_lo, exec_lo, s2
	ds_load_b64 v[0:1], v45 offset:16
	v_cmp_lt_u32_e64 s2, 2, v44
	s_wait_dscnt 0x0
	ds_store_b64 v40, v[0:1]
	s_wait_dscnt 0x0
	s_barrier_signal -1
	s_barrier_wait -1
	s_and_saveexec_b32 s0, s2
	s_cbranch_execz .LBB17_155
; %bb.146:
	s_and_not1_b32 vcc_lo, exec_lo, s3
	s_cbranch_vccnz .LBB17_148
; %bb.147:
	ds_load_b64 v[0:1], v41
	ds_load_b64 v[42:43], v40
	s_wait_dscnt 0x0
	v_pk_mul_f32 v[48:49], v[42:43], v[0:1] op_sel:[1,1] op_sel_hi:[0,1]
	s_delay_alu instid0(VALU_DEP_1) | instskip(SKIP_1) | instid1(VALU_DEP_2)
	v_pk_fma_f32 v[50:51], v[42:43], v[0:1], v[48:49] op_sel_hi:[1,0,1]
	v_pk_fma_f32 v[0:1], v[42:43], v[0:1], v[48:49] neg_lo:[0,0,1] neg_hi:[0,0,1]
	v_mov_b32_e32 v1, v51
	s_cbranch_execz .LBB17_149
	s_branch .LBB17_150
.LBB17_148:
                                        ; implicit-def: $vgpr0_vgpr1
.LBB17_149:
	ds_load_b64 v[0:1], v40
.LBB17_150:
	s_and_saveexec_b32 s4, s1
	s_cbranch_execz .LBB17_154
; %bb.151:
	s_movk_i32 s1, 0x90
	v_add_nc_u32_e32 v43, -3, v44
	v_mad_u32 v42, v46, s1, 0x138
	s_movk_i32 s5, 0xa8
	s_mov_b32 s1, 0
.LBB17_152:                             ; =>This Inner Loop Header: Depth=1
	s_delay_alu instid0(VALU_DEP_2)
	v_dual_mov_b32 v47, s5 :: v_dual_add_nc_u32 v43, -1, v43
	s_add_co_i32 s5, s5, 8
	ds_load_b64 v[48:49], v42
	ds_load_b64 v[50:51], v47
	v_add_nc_u32_e32 v42, 8, v42
	v_cmp_eq_u32_e32 vcc_lo, 0, v43
	s_or_b32 s1, vcc_lo, s1
	s_wait_dscnt 0x0
	v_pk_mul_f32 v[52:53], v[50:51], v[48:49] op_sel:[1,1] op_sel_hi:[0,1]
	s_delay_alu instid0(VALU_DEP_1) | instskip(SKIP_1) | instid1(VALU_DEP_2)
	v_pk_fma_f32 v[54:55], v[50:51], v[48:49], v[52:53] op_sel_hi:[1,0,1]
	v_pk_fma_f32 v[48:49], v[50:51], v[48:49], v[52:53] neg_lo:[0,0,1] neg_hi:[0,0,1]
	v_mov_b32_e32 v49, v55
	s_delay_alu instid0(VALU_DEP_1)
	v_pk_add_f32 v[0:1], v[0:1], v[48:49]
	s_and_not1_b32 exec_lo, exec_lo, s1
	s_cbranch_execnz .LBB17_152
; %bb.153:
	s_or_b32 exec_lo, exec_lo, s1
.LBB17_154:
	s_delay_alu instid0(SALU_CYCLE_1) | instskip(SKIP_4) | instid1(VALU_DEP_1)
	s_or_b32 exec_lo, exec_lo, s4
	v_mov_b32_e32 v42, 0
	ds_load_b64 v[42:43], v42 offset:16
	s_wait_dscnt 0x0
	v_pk_mul_f32 v[48:49], v[0:1], v[42:43] op_sel:[1,1] op_sel_hi:[0,1]
	v_pk_fma_f32 v[50:51], v[0:1], v[42:43], v[48:49] op_sel_hi:[1,0,1]
	v_pk_fma_f32 v[0:1], v[0:1], v[42:43], v[48:49] neg_lo:[0,0,1] neg_hi:[0,0,1]
	s_delay_alu instid0(VALU_DEP_2)
	v_mov_b32_e32 v1, v51
	ds_store_b64 v45, v[0:1] offset:16
.LBB17_155:
	s_or_b32 exec_lo, exec_lo, s0
	ds_load_b64 v[0:1], v45 offset:8
	v_cmp_lt_u32_e64 s0, 1, v44
	s_wait_dscnt 0x0
	ds_store_b64 v40, v[0:1]
	s_wait_dscnt 0x0
	s_barrier_signal -1
	s_barrier_wait -1
	s_and_saveexec_b32 s1, s0
	s_cbranch_execz .LBB17_165
; %bb.156:
	s_and_not1_b32 vcc_lo, exec_lo, s3
	s_cbranch_vccnz .LBB17_158
; %bb.157:
	ds_load_b64 v[0:1], v41
	ds_load_b64 v[42:43], v40
	s_wait_dscnt 0x0
	v_pk_mul_f32 v[48:49], v[42:43], v[0:1] op_sel:[1,1] op_sel_hi:[0,1]
	s_delay_alu instid0(VALU_DEP_1) | instskip(SKIP_1) | instid1(VALU_DEP_2)
	v_pk_fma_f32 v[50:51], v[42:43], v[0:1], v[48:49] op_sel_hi:[1,0,1]
	v_pk_fma_f32 v[0:1], v[42:43], v[0:1], v[48:49] neg_lo:[0,0,1] neg_hi:[0,0,1]
	v_mov_b32_e32 v1, v51
	s_cbranch_execz .LBB17_159
	s_branch .LBB17_160
.LBB17_158:
                                        ; implicit-def: $vgpr0_vgpr1
.LBB17_159:
	ds_load_b64 v[0:1], v40
.LBB17_160:
	s_and_saveexec_b32 s4, s2
	s_cbranch_execz .LBB17_164
; %bb.161:
	s_movk_i32 s2, 0x90
	v_add_nc_u32_e32 v43, -2, v44
	v_mad_u32 v42, v46, s2, 0x130
	s_movk_i32 s5, 0xa0
	s_mov_b32 s2, 0
.LBB17_162:                             ; =>This Inner Loop Header: Depth=1
	s_delay_alu instid0(VALU_DEP_2)
	v_dual_mov_b32 v47, s5 :: v_dual_add_nc_u32 v43, -1, v43
	s_add_co_i32 s5, s5, 8
	ds_load_b64 v[48:49], v42
	ds_load_b64 v[50:51], v47
	v_add_nc_u32_e32 v42, 8, v42
	v_cmp_eq_u32_e32 vcc_lo, 0, v43
	s_or_b32 s2, vcc_lo, s2
	s_wait_dscnt 0x0
	v_pk_mul_f32 v[52:53], v[50:51], v[48:49] op_sel:[1,1] op_sel_hi:[0,1]
	s_delay_alu instid0(VALU_DEP_1) | instskip(SKIP_1) | instid1(VALU_DEP_2)
	v_pk_fma_f32 v[54:55], v[50:51], v[48:49], v[52:53] op_sel_hi:[1,0,1]
	v_pk_fma_f32 v[48:49], v[50:51], v[48:49], v[52:53] neg_lo:[0,0,1] neg_hi:[0,0,1]
	v_mov_b32_e32 v49, v55
	s_delay_alu instid0(VALU_DEP_1)
	v_pk_add_f32 v[0:1], v[0:1], v[48:49]
	s_and_not1_b32 exec_lo, exec_lo, s2
	s_cbranch_execnz .LBB17_162
; %bb.163:
	s_or_b32 exec_lo, exec_lo, s2
.LBB17_164:
	s_delay_alu instid0(SALU_CYCLE_1) | instskip(SKIP_4) | instid1(VALU_DEP_1)
	s_or_b32 exec_lo, exec_lo, s4
	v_mov_b32_e32 v42, 0
	ds_load_b64 v[42:43], v42 offset:8
	s_wait_dscnt 0x0
	v_pk_mul_f32 v[48:49], v[0:1], v[42:43] op_sel:[1,1] op_sel_hi:[0,1]
	v_pk_fma_f32 v[50:51], v[0:1], v[42:43], v[48:49] op_sel_hi:[1,0,1]
	v_pk_fma_f32 v[0:1], v[0:1], v[42:43], v[48:49] neg_lo:[0,0,1] neg_hi:[0,0,1]
	s_delay_alu instid0(VALU_DEP_2)
	v_mov_b32_e32 v1, v51
	ds_store_b64 v45, v[0:1] offset:8
.LBB17_165:
	s_or_b32 exec_lo, exec_lo, s1
	ds_load_b64 v[0:1], v45
	s_mov_b32 s2, 0
	s_mov_b32 s1, 0
	s_mov_b32 s4, exec_lo
                                        ; implicit-def: $vgpr43
                                        ; implicit-def: $vgpr47
	s_wait_dscnt 0x0
	ds_store_b64 v40, v[0:1]
	s_wait_dscnt 0x0
	s_barrier_signal -1
	s_barrier_wait -1
	v_cmpx_ne_u32_e32 0, v44
	s_cbranch_execz .LBB17_175
; %bb.166:
	s_and_not1_b32 vcc_lo, exec_lo, s3
	s_cbranch_vccnz .LBB17_168
; %bb.167:
	ds_load_b64 v[42:43], v41
	ds_load_b64 v[48:49], v40
	s_wait_dscnt 0x0
	v_dual_mul_f32 v0, v49, v43 :: v_dual_mul_f32 v1, v48, v43
	s_delay_alu instid0(VALU_DEP_1)
	v_dual_fma_f32 v0, v48, v42, -v0 :: v_dual_fmac_f32 v1, v49, v42
	s_and_not1_b32 vcc_lo, exec_lo, s1
	s_cbranch_vccz .LBB17_169
	s_branch .LBB17_170
.LBB17_168:
                                        ; implicit-def: $vgpr0
.LBB17_169:
	ds_load_b64 v[0:1], v40
.LBB17_170:
	s_and_saveexec_b32 s1, s0
	s_cbranch_execz .LBB17_174
; %bb.171:
	s_movk_i32 s0, 0x90
	v_add_nc_u32_e32 v43, -1, v44
	v_mad_u32 v42, v46, s0, 0x128
	s_movk_i32 s5, 0x98
	s_mov_b32 s0, 0
.LBB17_172:                             ; =>This Inner Loop Header: Depth=1
	v_mov_b32_e32 v48, s5
	s_add_co_i32 s5, s5, 8
	ds_load_b64 v[46:47], v42
	ds_load_b64 v[48:49], v48
	s_wait_dscnt 0x0
	v_dual_mul_f32 v50, v49, v47 :: v_dual_mul_f32 v47, v48, v47
	s_delay_alu instid0(VALU_DEP_1) | instskip(NEXT) | instid1(VALU_DEP_2)
	v_dual_fma_f32 v48, v48, v46, -v50 :: v_dual_add_nc_u32 v43, -1, v43
	v_fmac_f32_e32 v47, v49, v46
	s_delay_alu instid0(VALU_DEP_2) | instskip(NEXT) | instid1(VALU_DEP_3)
	v_dual_add_nc_u32 v42, 8, v42 :: v_dual_add_f32 v0, v0, v48
	v_cmp_eq_u32_e32 vcc_lo, 0, v43
	s_delay_alu instid0(VALU_DEP_3) | instskip(SKIP_1) | instid1(SALU_CYCLE_1)
	v_add_f32_e32 v1, v1, v47
	s_or_b32 s0, vcc_lo, s0
	s_and_not1_b32 exec_lo, exec_lo, s0
	s_cbranch_execnz .LBB17_172
; %bb.173:
	s_or_b32 exec_lo, exec_lo, s0
.LBB17_174:
	s_delay_alu instid0(SALU_CYCLE_1)
	s_or_b32 exec_lo, exec_lo, s1
	v_mov_b32_e32 v42, 0
	s_mov_b32 s1, exec_lo
	v_add_nc_u32_e32 v47, 4, v45
	ds_load_b64 v[42:43], v42
	s_wait_dscnt 0x0
	v_dual_mul_f32 v46, v1, v43 :: v_dual_mul_f32 v43, v0, v43
	s_delay_alu instid0(VALU_DEP_1)
	v_dual_fma_f32 v0, v0, v42, -v46 :: v_dual_fmac_f32 v43, v1, v42
	ds_store_b32 v45, v0
.LBB17_175:
	s_or_b32 exec_lo, exec_lo, s4
	s_delay_alu instid0(SALU_CYCLE_1)
	s_and_b32 vcc_lo, exec_lo, s2
	s_cbranch_vccz .LBB17_341
.LBB17_176:
	ds_load_b64 v[0:1], v45 offset:8
	v_cmp_eq_u32_e64 s0, 0, v44
	s_wait_dscnt 0x0
	ds_store_b64 v40, v[0:1]
	s_wait_dscnt 0x0
	s_barrier_signal -1
	s_barrier_wait -1
	s_and_saveexec_b32 s2, s0
	s_cbranch_execz .LBB17_182
; %bb.177:
	s_and_b32 vcc_lo, exec_lo, s3
	s_cbranch_vccz .LBB17_179
; %bb.178:
	ds_load_b64 v[0:1], v41
	ds_load_b64 v[42:43], v40
	s_wait_dscnt 0x0
	v_pk_mul_f32 v[46:47], v[42:43], v[0:1] op_sel:[1,1] op_sel_hi:[0,1]
	v_pk_mul_f32 v[48:49], v[42:43], v[0:1] op_sel_hi:[1,0]
	s_delay_alu instid0(VALU_DEP_2) | instskip(NEXT) | instid1(VALU_DEP_2)
	v_pk_fma_f32 v[0:1], v[42:43], v[0:1], v[46:47] op_sel_hi:[1,0,1]
	v_sub_f32_e32 v0, v48, v46
	s_cbranch_execz .LBB17_180
	s_branch .LBB17_181
.LBB17_179:
                                        ; implicit-def: $vgpr1
.LBB17_180:
	ds_load_b64 v[0:1], v40
.LBB17_181:
	s_wait_dscnt 0x0
	v_dual_mov_b32 v42, 0 :: v_dual_mov_b32 v46, v1
	v_mov_b32_e32 v47, v0
	ds_load_b64 v[42:43], v42 offset:8
	s_wait_dscnt 0x0
	v_pk_mul_f32 v[46:47], v[46:47], v[42:43] op_sel:[0,1]
	s_delay_alu instid0(VALU_DEP_1) | instskip(SKIP_1) | instid1(VALU_DEP_2)
	v_pk_fma_f32 v[48:49], v[0:1], v[42:43], v[46:47] op_sel_hi:[1,0,1]
	v_pk_fma_f32 v[0:1], v[0:1], v[42:43], v[46:47] neg_lo:[0,0,1] neg_hi:[0,0,1]
	v_mov_b32_e32 v1, v49
	ds_store_b64 v45, v[0:1] offset:8
.LBB17_182:
	s_or_b32 exec_lo, exec_lo, s2
	ds_load_b64 v[0:1], v45 offset:16
	v_cndmask_b32_e64 v42, 0, 1, s3
	s_mov_b32 s2, exec_lo
	s_wait_dscnt 0x0
	ds_store_b64 v40, v[0:1]
	s_wait_dscnt 0x0
	s_barrier_signal -1
	s_barrier_wait -1
	v_cmpx_gt_u32_e32 2, v44
	s_cbranch_execz .LBB17_190
; %bb.183:
	s_and_not1_b32 vcc_lo, exec_lo, s3
	s_cbranch_vccnz .LBB17_185
; %bb.184:
	ds_load_b64 v[0:1], v41
	ds_load_b64 v[46:47], v40
	s_wait_dscnt 0x0
	v_pk_mul_f32 v[48:49], v[46:47], v[0:1] op_sel:[1,1] op_sel_hi:[0,1]
	s_delay_alu instid0(VALU_DEP_1) | instskip(SKIP_1) | instid1(VALU_DEP_2)
	v_pk_fma_f32 v[50:51], v[46:47], v[0:1], v[48:49] op_sel_hi:[1,0,1]
	v_pk_fma_f32 v[0:1], v[46:47], v[0:1], v[48:49] neg_lo:[0,0,1] neg_hi:[0,0,1]
	v_mov_b32_e32 v1, v51
	s_cbranch_execz .LBB17_186
	s_branch .LBB17_187
.LBB17_185:
                                        ; implicit-def: $vgpr0_vgpr1
.LBB17_186:
	ds_load_b64 v[0:1], v40
.LBB17_187:
	s_and_saveexec_b32 s3, s0
	s_cbranch_execz .LBB17_189
; %bb.188:
	v_mov_b32_e32 v43, 0
	ds_load_b64 v[46:47], v45 offset:8
	ds_load_b64 v[48:49], v43 offset:152
	s_wait_dscnt 0x0
	v_pk_mul_f32 v[50:51], v[48:49], v[46:47] op_sel:[1,1] op_sel_hi:[0,1]
	s_delay_alu instid0(VALU_DEP_1) | instskip(SKIP_1) | instid1(VALU_DEP_2)
	v_pk_fma_f32 v[52:53], v[48:49], v[46:47], v[50:51] op_sel_hi:[1,0,1]
	v_pk_fma_f32 v[46:47], v[48:49], v[46:47], v[50:51] neg_lo:[0,0,1] neg_hi:[0,0,1]
	v_mov_b32_e32 v47, v53
	s_delay_alu instid0(VALU_DEP_1)
	v_pk_add_f32 v[0:1], v[0:1], v[46:47]
.LBB17_189:
	s_or_b32 exec_lo, exec_lo, s3
	v_mov_b32_e32 v43, 0
	ds_load_b64 v[46:47], v43 offset:16
	s_wait_dscnt 0x0
	v_pk_mul_f32 v[48:49], v[0:1], v[46:47] op_sel:[1,1] op_sel_hi:[0,1]
	s_delay_alu instid0(VALU_DEP_1) | instskip(SKIP_1) | instid1(VALU_DEP_2)
	v_pk_fma_f32 v[50:51], v[0:1], v[46:47], v[48:49] op_sel_hi:[1,0,1]
	v_pk_fma_f32 v[0:1], v[0:1], v[46:47], v[48:49] neg_lo:[0,0,1] neg_hi:[0,0,1]
	v_mov_b32_e32 v1, v51
	ds_store_b64 v45, v[0:1] offset:16
.LBB17_190:
	s_or_b32 exec_lo, exec_lo, s2
	ds_load_b64 v[0:1], v45 offset:24
	s_mov_b32 s2, exec_lo
	s_wait_dscnt 0x0
	ds_store_b64 v40, v[0:1]
	s_wait_dscnt 0x0
	s_barrier_signal -1
	s_barrier_wait -1
	v_cmpx_gt_u32_e32 3, v44
	s_cbranch_execz .LBB17_200
; %bb.191:
	v_cmp_ne_u32_e32 vcc_lo, 1, v42
	s_cbranch_vccnz .LBB17_193
; %bb.192:
	ds_load_b64 v[0:1], v41
	ds_load_b64 v[46:47], v40
	s_wait_dscnt 0x0
	v_pk_mul_f32 v[48:49], v[46:47], v[0:1] op_sel:[1,1] op_sel_hi:[0,1]
	s_delay_alu instid0(VALU_DEP_1) | instskip(SKIP_1) | instid1(VALU_DEP_2)
	v_pk_fma_f32 v[50:51], v[46:47], v[0:1], v[48:49] op_sel_hi:[1,0,1]
	v_pk_fma_f32 v[0:1], v[46:47], v[0:1], v[48:49] neg_lo:[0,0,1] neg_hi:[0,0,1]
	v_mov_b32_e32 v1, v51
	s_cbranch_execz .LBB17_194
	s_branch .LBB17_195
.LBB17_193:
                                        ; implicit-def: $vgpr0_vgpr1
.LBB17_194:
	ds_load_b64 v[0:1], v40
.LBB17_195:
	s_mov_b32 s3, exec_lo
	v_cmpx_ne_u32_e32 2, v44
	s_cbranch_execz .LBB17_199
; %bb.196:
	ds_load_b64 v[46:47], v41 offset:8
	ds_load_b64 v[48:49], v40 offset:8
	s_wait_dscnt 0x0
	v_pk_mul_f32 v[50:51], v[48:49], v[46:47] op_sel:[1,1] op_sel_hi:[0,1]
	s_delay_alu instid0(VALU_DEP_1) | instskip(SKIP_1) | instid1(VALU_DEP_2)
	v_pk_fma_f32 v[52:53], v[48:49], v[46:47], v[50:51] op_sel_hi:[1,0,1]
	v_pk_fma_f32 v[46:47], v[48:49], v[46:47], v[50:51] neg_lo:[0,0,1] neg_hi:[0,0,1]
	v_mov_b32_e32 v47, v53
	s_delay_alu instid0(VALU_DEP_1)
	v_pk_add_f32 v[0:1], v[0:1], v[46:47]
	s_and_saveexec_b32 s4, s0
	s_cbranch_execz .LBB17_198
; %bb.197:
	v_mov_b32_e32 v43, 0
	ds_load_b64 v[46:47], v43 offset:160
	ds_load_b64 v[48:49], v45 offset:16
	s_wait_dscnt 0x0
	v_pk_mul_f32 v[50:51], v[46:47], v[48:49] op_sel:[1,1] op_sel_hi:[0,1]
	s_delay_alu instid0(VALU_DEP_1) | instskip(SKIP_1) | instid1(VALU_DEP_2)
	v_pk_fma_f32 v[52:53], v[46:47], v[48:49], v[50:51] op_sel_hi:[1,0,1]
	v_pk_fma_f32 v[46:47], v[46:47], v[48:49], v[50:51] neg_lo:[0,0,1] neg_hi:[0,0,1]
	v_mov_b32_e32 v47, v53
	s_delay_alu instid0(VALU_DEP_1)
	v_pk_add_f32 v[0:1], v[0:1], v[46:47]
.LBB17_198:
	s_or_b32 exec_lo, exec_lo, s4
.LBB17_199:
	s_delay_alu instid0(SALU_CYCLE_1) | instskip(SKIP_4) | instid1(VALU_DEP_1)
	s_or_b32 exec_lo, exec_lo, s3
	v_mov_b32_e32 v43, 0
	ds_load_b64 v[46:47], v43 offset:24
	s_wait_dscnt 0x0
	v_pk_mul_f32 v[48:49], v[0:1], v[46:47] op_sel:[1,1] op_sel_hi:[0,1]
	v_pk_fma_f32 v[50:51], v[0:1], v[46:47], v[48:49] op_sel_hi:[1,0,1]
	v_pk_fma_f32 v[0:1], v[0:1], v[46:47], v[48:49] neg_lo:[0,0,1] neg_hi:[0,0,1]
	s_delay_alu instid0(VALU_DEP_2)
	v_mov_b32_e32 v1, v51
	ds_store_b64 v45, v[0:1] offset:24
.LBB17_200:
	s_or_b32 exec_lo, exec_lo, s2
	ds_load_b64 v[0:1], v45 offset:32
	s_mov_b32 s0, exec_lo
	s_wait_dscnt 0x0
	ds_store_b64 v40, v[0:1]
	s_wait_dscnt 0x0
	s_barrier_signal -1
	s_barrier_wait -1
	v_cmpx_gt_u32_e32 4, v44
	s_cbranch_execz .LBB17_210
; %bb.201:
	v_cmp_ne_u32_e32 vcc_lo, 1, v42
	s_cbranch_vccnz .LBB17_203
; %bb.202:
	ds_load_b64 v[0:1], v41
	ds_load_b64 v[46:47], v40
	s_wait_dscnt 0x0
	v_pk_mul_f32 v[48:49], v[46:47], v[0:1] op_sel:[1,1] op_sel_hi:[0,1]
	s_delay_alu instid0(VALU_DEP_1) | instskip(SKIP_1) | instid1(VALU_DEP_2)
	v_pk_fma_f32 v[50:51], v[46:47], v[0:1], v[48:49] op_sel_hi:[1,0,1]
	v_pk_fma_f32 v[0:1], v[46:47], v[0:1], v[48:49] neg_lo:[0,0,1] neg_hi:[0,0,1]
	v_mov_b32_e32 v1, v51
	s_cbranch_execz .LBB17_204
	s_branch .LBB17_205
.LBB17_203:
                                        ; implicit-def: $vgpr0_vgpr1
.LBB17_204:
	ds_load_b64 v[0:1], v40
.LBB17_205:
	s_mov_b32 s2, exec_lo
	v_cmpx_ne_u32_e32 3, v44
	s_cbranch_execz .LBB17_209
; %bb.206:
	v_add_nc_u32_e32 v43, 0x98, v38
	v_add3_u32 v46, v39, v38, 0x128
	v_mov_b32_e32 v47, v44
	s_mov_b32 s3, 0
.LBB17_207:                             ; =>This Inner Loop Header: Depth=1
	ds_load_b64 v[48:49], v46
	ds_load_b64 v[50:51], v43
	v_dual_add_nc_u32 v43, 8, v43 :: v_dual_add_nc_u32 v46, 8, v46
	s_wait_dscnt 0x0
	v_pk_mul_f32 v[52:53], v[50:51], v[48:49] op_sel:[1,1] op_sel_hi:[0,1]
	s_delay_alu instid0(VALU_DEP_1) | instskip(SKIP_2) | instid1(VALU_DEP_3)
	v_pk_fma_f32 v[54:55], v[50:51], v[48:49], v[52:53] op_sel_hi:[1,0,1]
	v_add_nc_u32_e32 v47, 1, v47
	v_pk_fma_f32 v[48:49], v[50:51], v[48:49], v[52:53] neg_lo:[0,0,1] neg_hi:[0,0,1]
	v_mov_b32_e32 v49, v55
	s_delay_alu instid0(VALU_DEP_3) | instskip(NEXT) | instid1(VALU_DEP_2)
	v_cmp_lt_u32_e32 vcc_lo, 2, v47
	v_pk_add_f32 v[0:1], v[0:1], v[48:49]
	s_or_b32 s3, vcc_lo, s3
	s_delay_alu instid0(SALU_CYCLE_1)
	s_and_not1_b32 exec_lo, exec_lo, s3
	s_cbranch_execnz .LBB17_207
; %bb.208:
	s_or_b32 exec_lo, exec_lo, s3
.LBB17_209:
	s_delay_alu instid0(SALU_CYCLE_1) | instskip(SKIP_4) | instid1(VALU_DEP_1)
	s_or_b32 exec_lo, exec_lo, s2
	v_mov_b32_e32 v43, 0
	ds_load_b64 v[46:47], v43 offset:32
	s_wait_dscnt 0x0
	v_pk_mul_f32 v[48:49], v[0:1], v[46:47] op_sel:[1,1] op_sel_hi:[0,1]
	v_pk_fma_f32 v[50:51], v[0:1], v[46:47], v[48:49] op_sel_hi:[1,0,1]
	v_pk_fma_f32 v[0:1], v[0:1], v[46:47], v[48:49] neg_lo:[0,0,1] neg_hi:[0,0,1]
	s_delay_alu instid0(VALU_DEP_2)
	v_mov_b32_e32 v1, v51
	ds_store_b64 v45, v[0:1] offset:32
.LBB17_210:
	s_or_b32 exec_lo, exec_lo, s0
	ds_load_b64 v[0:1], v45 offset:40
	s_mov_b32 s0, exec_lo
	s_wait_dscnt 0x0
	ds_store_b64 v40, v[0:1]
	s_wait_dscnt 0x0
	s_barrier_signal -1
	s_barrier_wait -1
	v_cmpx_gt_u32_e32 5, v44
	s_cbranch_execz .LBB17_220
; %bb.211:
	v_cmp_ne_u32_e32 vcc_lo, 1, v42
	s_cbranch_vccnz .LBB17_213
; %bb.212:
	ds_load_b64 v[0:1], v41
	ds_load_b64 v[46:47], v40
	s_wait_dscnt 0x0
	v_pk_mul_f32 v[48:49], v[46:47], v[0:1] op_sel:[1,1] op_sel_hi:[0,1]
	s_delay_alu instid0(VALU_DEP_1) | instskip(SKIP_1) | instid1(VALU_DEP_2)
	v_pk_fma_f32 v[50:51], v[46:47], v[0:1], v[48:49] op_sel_hi:[1,0,1]
	v_pk_fma_f32 v[0:1], v[46:47], v[0:1], v[48:49] neg_lo:[0,0,1] neg_hi:[0,0,1]
	v_mov_b32_e32 v1, v51
	s_cbranch_execz .LBB17_214
	s_branch .LBB17_215
.LBB17_213:
                                        ; implicit-def: $vgpr0_vgpr1
.LBB17_214:
	ds_load_b64 v[0:1], v40
.LBB17_215:
	s_mov_b32 s2, exec_lo
	v_cmpx_ne_u32_e32 4, v44
	s_cbranch_execz .LBB17_219
; %bb.216:
	v_add_nc_u32_e32 v43, 0x98, v38
	v_add3_u32 v46, v39, v38, 0x128
	v_mov_b32_e32 v47, v44
	s_mov_b32 s3, 0
.LBB17_217:                             ; =>This Inner Loop Header: Depth=1
	ds_load_b64 v[48:49], v46
	ds_load_b64 v[50:51], v43
	v_dual_add_nc_u32 v43, 8, v43 :: v_dual_add_nc_u32 v46, 8, v46
	s_wait_dscnt 0x0
	v_pk_mul_f32 v[52:53], v[50:51], v[48:49] op_sel:[1,1] op_sel_hi:[0,1]
	s_delay_alu instid0(VALU_DEP_1) | instskip(SKIP_2) | instid1(VALU_DEP_3)
	v_pk_fma_f32 v[54:55], v[50:51], v[48:49], v[52:53] op_sel_hi:[1,0,1]
	v_add_nc_u32_e32 v47, 1, v47
	v_pk_fma_f32 v[48:49], v[50:51], v[48:49], v[52:53] neg_lo:[0,0,1] neg_hi:[0,0,1]
	v_mov_b32_e32 v49, v55
	s_delay_alu instid0(VALU_DEP_3) | instskip(NEXT) | instid1(VALU_DEP_2)
	v_cmp_lt_u32_e32 vcc_lo, 3, v47
	v_pk_add_f32 v[0:1], v[0:1], v[48:49]
	s_or_b32 s3, vcc_lo, s3
	s_delay_alu instid0(SALU_CYCLE_1)
	s_and_not1_b32 exec_lo, exec_lo, s3
	s_cbranch_execnz .LBB17_217
; %bb.218:
	s_or_b32 exec_lo, exec_lo, s3
.LBB17_219:
	s_delay_alu instid0(SALU_CYCLE_1) | instskip(SKIP_4) | instid1(VALU_DEP_1)
	s_or_b32 exec_lo, exec_lo, s2
	v_mov_b32_e32 v43, 0
	ds_load_b64 v[46:47], v43 offset:40
	s_wait_dscnt 0x0
	v_pk_mul_f32 v[48:49], v[0:1], v[46:47] op_sel:[1,1] op_sel_hi:[0,1]
	v_pk_fma_f32 v[50:51], v[0:1], v[46:47], v[48:49] op_sel_hi:[1,0,1]
	v_pk_fma_f32 v[0:1], v[0:1], v[46:47], v[48:49] neg_lo:[0,0,1] neg_hi:[0,0,1]
	s_delay_alu instid0(VALU_DEP_2)
	v_mov_b32_e32 v1, v51
	ds_store_b64 v45, v[0:1] offset:40
.LBB17_220:
	s_or_b32 exec_lo, exec_lo, s0
	ds_load_b64 v[0:1], v45 offset:48
	s_mov_b32 s0, exec_lo
	s_wait_dscnt 0x0
	ds_store_b64 v40, v[0:1]
	s_wait_dscnt 0x0
	s_barrier_signal -1
	s_barrier_wait -1
	v_cmpx_gt_u32_e32 6, v44
	s_cbranch_execz .LBB17_230
; %bb.221:
	v_cmp_ne_u32_e32 vcc_lo, 1, v42
	s_cbranch_vccnz .LBB17_223
; %bb.222:
	ds_load_b64 v[0:1], v41
	ds_load_b64 v[46:47], v40
	s_wait_dscnt 0x0
	v_pk_mul_f32 v[48:49], v[46:47], v[0:1] op_sel:[1,1] op_sel_hi:[0,1]
	s_delay_alu instid0(VALU_DEP_1) | instskip(SKIP_1) | instid1(VALU_DEP_2)
	v_pk_fma_f32 v[50:51], v[46:47], v[0:1], v[48:49] op_sel_hi:[1,0,1]
	v_pk_fma_f32 v[0:1], v[46:47], v[0:1], v[48:49] neg_lo:[0,0,1] neg_hi:[0,0,1]
	v_mov_b32_e32 v1, v51
	s_cbranch_execz .LBB17_224
	s_branch .LBB17_225
.LBB17_223:
                                        ; implicit-def: $vgpr0_vgpr1
.LBB17_224:
	ds_load_b64 v[0:1], v40
.LBB17_225:
	s_mov_b32 s2, exec_lo
	v_cmpx_ne_u32_e32 5, v44
	s_cbranch_execz .LBB17_229
; %bb.226:
	v_add_nc_u32_e32 v43, 0x98, v38
	v_add3_u32 v46, v39, v38, 0x128
	v_mov_b32_e32 v47, v44
	s_mov_b32 s3, 0
.LBB17_227:                             ; =>This Inner Loop Header: Depth=1
	ds_load_b64 v[48:49], v46
	ds_load_b64 v[50:51], v43
	v_dual_add_nc_u32 v43, 8, v43 :: v_dual_add_nc_u32 v46, 8, v46
	s_wait_dscnt 0x0
	v_pk_mul_f32 v[52:53], v[50:51], v[48:49] op_sel:[1,1] op_sel_hi:[0,1]
	s_delay_alu instid0(VALU_DEP_1) | instskip(SKIP_2) | instid1(VALU_DEP_3)
	v_pk_fma_f32 v[54:55], v[50:51], v[48:49], v[52:53] op_sel_hi:[1,0,1]
	v_add_nc_u32_e32 v47, 1, v47
	v_pk_fma_f32 v[48:49], v[50:51], v[48:49], v[52:53] neg_lo:[0,0,1] neg_hi:[0,0,1]
	v_mov_b32_e32 v49, v55
	s_delay_alu instid0(VALU_DEP_3) | instskip(NEXT) | instid1(VALU_DEP_2)
	v_cmp_lt_u32_e32 vcc_lo, 4, v47
	v_pk_add_f32 v[0:1], v[0:1], v[48:49]
	s_or_b32 s3, vcc_lo, s3
	s_delay_alu instid0(SALU_CYCLE_1)
	s_and_not1_b32 exec_lo, exec_lo, s3
	s_cbranch_execnz .LBB17_227
; %bb.228:
	s_or_b32 exec_lo, exec_lo, s3
.LBB17_229:
	s_delay_alu instid0(SALU_CYCLE_1) | instskip(SKIP_4) | instid1(VALU_DEP_1)
	s_or_b32 exec_lo, exec_lo, s2
	v_mov_b32_e32 v43, 0
	ds_load_b64 v[46:47], v43 offset:48
	s_wait_dscnt 0x0
	v_pk_mul_f32 v[48:49], v[0:1], v[46:47] op_sel:[1,1] op_sel_hi:[0,1]
	v_pk_fma_f32 v[50:51], v[0:1], v[46:47], v[48:49] op_sel_hi:[1,0,1]
	v_pk_fma_f32 v[0:1], v[0:1], v[46:47], v[48:49] neg_lo:[0,0,1] neg_hi:[0,0,1]
	s_delay_alu instid0(VALU_DEP_2)
	v_mov_b32_e32 v1, v51
	ds_store_b64 v45, v[0:1] offset:48
.LBB17_230:
	s_or_b32 exec_lo, exec_lo, s0
	ds_load_b64 v[0:1], v45 offset:56
	s_mov_b32 s0, exec_lo
	s_wait_dscnt 0x0
	ds_store_b64 v40, v[0:1]
	s_wait_dscnt 0x0
	s_barrier_signal -1
	s_barrier_wait -1
	v_cmpx_gt_u32_e32 7, v44
	s_cbranch_execz .LBB17_240
; %bb.231:
	v_cmp_ne_u32_e32 vcc_lo, 1, v42
	s_cbranch_vccnz .LBB17_233
; %bb.232:
	ds_load_b64 v[0:1], v41
	ds_load_b64 v[46:47], v40
	s_wait_dscnt 0x0
	v_pk_mul_f32 v[48:49], v[46:47], v[0:1] op_sel:[1,1] op_sel_hi:[0,1]
	s_delay_alu instid0(VALU_DEP_1) | instskip(SKIP_1) | instid1(VALU_DEP_2)
	v_pk_fma_f32 v[50:51], v[46:47], v[0:1], v[48:49] op_sel_hi:[1,0,1]
	v_pk_fma_f32 v[0:1], v[46:47], v[0:1], v[48:49] neg_lo:[0,0,1] neg_hi:[0,0,1]
	v_mov_b32_e32 v1, v51
	s_cbranch_execz .LBB17_234
	s_branch .LBB17_235
.LBB17_233:
                                        ; implicit-def: $vgpr0_vgpr1
.LBB17_234:
	ds_load_b64 v[0:1], v40
.LBB17_235:
	s_mov_b32 s2, exec_lo
	v_cmpx_ne_u32_e32 6, v44
	s_cbranch_execz .LBB17_239
; %bb.236:
	v_add_nc_u32_e32 v43, 0x98, v38
	v_add3_u32 v46, v39, v38, 0x128
	v_mov_b32_e32 v47, v44
	s_mov_b32 s3, 0
.LBB17_237:                             ; =>This Inner Loop Header: Depth=1
	ds_load_b64 v[48:49], v46
	ds_load_b64 v[50:51], v43
	v_dual_add_nc_u32 v43, 8, v43 :: v_dual_add_nc_u32 v46, 8, v46
	s_wait_dscnt 0x0
	v_pk_mul_f32 v[52:53], v[50:51], v[48:49] op_sel:[1,1] op_sel_hi:[0,1]
	s_delay_alu instid0(VALU_DEP_1) | instskip(SKIP_2) | instid1(VALU_DEP_3)
	v_pk_fma_f32 v[54:55], v[50:51], v[48:49], v[52:53] op_sel_hi:[1,0,1]
	v_add_nc_u32_e32 v47, 1, v47
	v_pk_fma_f32 v[48:49], v[50:51], v[48:49], v[52:53] neg_lo:[0,0,1] neg_hi:[0,0,1]
	v_mov_b32_e32 v49, v55
	s_delay_alu instid0(VALU_DEP_3) | instskip(NEXT) | instid1(VALU_DEP_2)
	v_cmp_lt_u32_e32 vcc_lo, 5, v47
	v_pk_add_f32 v[0:1], v[0:1], v[48:49]
	s_or_b32 s3, vcc_lo, s3
	s_delay_alu instid0(SALU_CYCLE_1)
	s_and_not1_b32 exec_lo, exec_lo, s3
	s_cbranch_execnz .LBB17_237
; %bb.238:
	s_or_b32 exec_lo, exec_lo, s3
.LBB17_239:
	s_delay_alu instid0(SALU_CYCLE_1) | instskip(SKIP_4) | instid1(VALU_DEP_1)
	s_or_b32 exec_lo, exec_lo, s2
	v_mov_b32_e32 v43, 0
	ds_load_b64 v[46:47], v43 offset:56
	s_wait_dscnt 0x0
	v_pk_mul_f32 v[48:49], v[0:1], v[46:47] op_sel:[1,1] op_sel_hi:[0,1]
	v_pk_fma_f32 v[50:51], v[0:1], v[46:47], v[48:49] op_sel_hi:[1,0,1]
	v_pk_fma_f32 v[0:1], v[0:1], v[46:47], v[48:49] neg_lo:[0,0,1] neg_hi:[0,0,1]
	s_delay_alu instid0(VALU_DEP_2)
	v_mov_b32_e32 v1, v51
	ds_store_b64 v45, v[0:1] offset:56
.LBB17_240:
	s_or_b32 exec_lo, exec_lo, s0
	ds_load_b64 v[0:1], v45 offset:64
	s_mov_b32 s0, exec_lo
	s_wait_dscnt 0x0
	ds_store_b64 v40, v[0:1]
	s_wait_dscnt 0x0
	s_barrier_signal -1
	s_barrier_wait -1
	v_cmpx_gt_u32_e32 8, v44
	s_cbranch_execz .LBB17_250
; %bb.241:
	v_cmp_ne_u32_e32 vcc_lo, 1, v42
	s_cbranch_vccnz .LBB17_243
; %bb.242:
	ds_load_b64 v[0:1], v41
	ds_load_b64 v[46:47], v40
	s_wait_dscnt 0x0
	v_pk_mul_f32 v[48:49], v[46:47], v[0:1] op_sel:[1,1] op_sel_hi:[0,1]
	s_delay_alu instid0(VALU_DEP_1) | instskip(SKIP_1) | instid1(VALU_DEP_2)
	v_pk_fma_f32 v[50:51], v[46:47], v[0:1], v[48:49] op_sel_hi:[1,0,1]
	v_pk_fma_f32 v[0:1], v[46:47], v[0:1], v[48:49] neg_lo:[0,0,1] neg_hi:[0,0,1]
	v_mov_b32_e32 v1, v51
	s_cbranch_execz .LBB17_244
	s_branch .LBB17_245
.LBB17_243:
                                        ; implicit-def: $vgpr0_vgpr1
.LBB17_244:
	ds_load_b64 v[0:1], v40
.LBB17_245:
	s_mov_b32 s2, exec_lo
	v_cmpx_ne_u32_e32 7, v44
	s_cbranch_execz .LBB17_249
; %bb.246:
	v_add_nc_u32_e32 v43, 0x98, v38
	v_add3_u32 v46, v39, v38, 0x128
	v_mov_b32_e32 v47, v44
	s_mov_b32 s3, 0
.LBB17_247:                             ; =>This Inner Loop Header: Depth=1
	ds_load_b64 v[48:49], v46
	ds_load_b64 v[50:51], v43
	v_dual_add_nc_u32 v43, 8, v43 :: v_dual_add_nc_u32 v46, 8, v46
	s_wait_dscnt 0x0
	v_pk_mul_f32 v[52:53], v[50:51], v[48:49] op_sel:[1,1] op_sel_hi:[0,1]
	s_delay_alu instid0(VALU_DEP_1) | instskip(SKIP_2) | instid1(VALU_DEP_3)
	v_pk_fma_f32 v[54:55], v[50:51], v[48:49], v[52:53] op_sel_hi:[1,0,1]
	v_add_nc_u32_e32 v47, 1, v47
	v_pk_fma_f32 v[48:49], v[50:51], v[48:49], v[52:53] neg_lo:[0,0,1] neg_hi:[0,0,1]
	v_mov_b32_e32 v49, v55
	s_delay_alu instid0(VALU_DEP_3) | instskip(NEXT) | instid1(VALU_DEP_2)
	v_cmp_lt_u32_e32 vcc_lo, 6, v47
	v_pk_add_f32 v[0:1], v[0:1], v[48:49]
	s_or_b32 s3, vcc_lo, s3
	s_delay_alu instid0(SALU_CYCLE_1)
	s_and_not1_b32 exec_lo, exec_lo, s3
	s_cbranch_execnz .LBB17_247
; %bb.248:
	s_or_b32 exec_lo, exec_lo, s3
.LBB17_249:
	s_delay_alu instid0(SALU_CYCLE_1) | instskip(SKIP_4) | instid1(VALU_DEP_1)
	s_or_b32 exec_lo, exec_lo, s2
	v_mov_b32_e32 v43, 0
	ds_load_b64 v[46:47], v43 offset:64
	s_wait_dscnt 0x0
	v_pk_mul_f32 v[48:49], v[0:1], v[46:47] op_sel:[1,1] op_sel_hi:[0,1]
	v_pk_fma_f32 v[50:51], v[0:1], v[46:47], v[48:49] op_sel_hi:[1,0,1]
	v_pk_fma_f32 v[0:1], v[0:1], v[46:47], v[48:49] neg_lo:[0,0,1] neg_hi:[0,0,1]
	s_delay_alu instid0(VALU_DEP_2)
	v_mov_b32_e32 v1, v51
	ds_store_b64 v45, v[0:1] offset:64
.LBB17_250:
	s_or_b32 exec_lo, exec_lo, s0
	ds_load_b64 v[0:1], v45 offset:72
	s_mov_b32 s0, exec_lo
	s_wait_dscnt 0x0
	ds_store_b64 v40, v[0:1]
	s_wait_dscnt 0x0
	s_barrier_signal -1
	s_barrier_wait -1
	v_cmpx_gt_u32_e32 9, v44
	s_cbranch_execz .LBB17_260
; %bb.251:
	v_cmp_ne_u32_e32 vcc_lo, 1, v42
	s_cbranch_vccnz .LBB17_253
; %bb.252:
	ds_load_b64 v[0:1], v41
	ds_load_b64 v[46:47], v40
	s_wait_dscnt 0x0
	v_pk_mul_f32 v[48:49], v[46:47], v[0:1] op_sel:[1,1] op_sel_hi:[0,1]
	s_delay_alu instid0(VALU_DEP_1) | instskip(SKIP_1) | instid1(VALU_DEP_2)
	v_pk_fma_f32 v[50:51], v[46:47], v[0:1], v[48:49] op_sel_hi:[1,0,1]
	v_pk_fma_f32 v[0:1], v[46:47], v[0:1], v[48:49] neg_lo:[0,0,1] neg_hi:[0,0,1]
	v_mov_b32_e32 v1, v51
	s_cbranch_execz .LBB17_254
	s_branch .LBB17_255
.LBB17_253:
                                        ; implicit-def: $vgpr0_vgpr1
.LBB17_254:
	ds_load_b64 v[0:1], v40
.LBB17_255:
	s_mov_b32 s2, exec_lo
	v_cmpx_ne_u32_e32 8, v44
	s_cbranch_execz .LBB17_259
; %bb.256:
	v_add_nc_u32_e32 v43, 0x98, v38
	v_add3_u32 v46, v39, v38, 0x128
	v_mov_b32_e32 v47, v44
	s_mov_b32 s3, 0
.LBB17_257:                             ; =>This Inner Loop Header: Depth=1
	ds_load_b64 v[48:49], v46
	ds_load_b64 v[50:51], v43
	v_dual_add_nc_u32 v43, 8, v43 :: v_dual_add_nc_u32 v46, 8, v46
	s_wait_dscnt 0x0
	v_pk_mul_f32 v[52:53], v[50:51], v[48:49] op_sel:[1,1] op_sel_hi:[0,1]
	s_delay_alu instid0(VALU_DEP_1) | instskip(SKIP_2) | instid1(VALU_DEP_3)
	v_pk_fma_f32 v[54:55], v[50:51], v[48:49], v[52:53] op_sel_hi:[1,0,1]
	v_add_nc_u32_e32 v47, 1, v47
	v_pk_fma_f32 v[48:49], v[50:51], v[48:49], v[52:53] neg_lo:[0,0,1] neg_hi:[0,0,1]
	v_mov_b32_e32 v49, v55
	s_delay_alu instid0(VALU_DEP_3) | instskip(NEXT) | instid1(VALU_DEP_2)
	v_cmp_lt_u32_e32 vcc_lo, 7, v47
	v_pk_add_f32 v[0:1], v[0:1], v[48:49]
	s_or_b32 s3, vcc_lo, s3
	s_delay_alu instid0(SALU_CYCLE_1)
	s_and_not1_b32 exec_lo, exec_lo, s3
	s_cbranch_execnz .LBB17_257
; %bb.258:
	s_or_b32 exec_lo, exec_lo, s3
.LBB17_259:
	s_delay_alu instid0(SALU_CYCLE_1) | instskip(SKIP_4) | instid1(VALU_DEP_1)
	s_or_b32 exec_lo, exec_lo, s2
	v_mov_b32_e32 v43, 0
	ds_load_b64 v[46:47], v43 offset:72
	s_wait_dscnt 0x0
	v_pk_mul_f32 v[48:49], v[0:1], v[46:47] op_sel:[1,1] op_sel_hi:[0,1]
	v_pk_fma_f32 v[50:51], v[0:1], v[46:47], v[48:49] op_sel_hi:[1,0,1]
	v_pk_fma_f32 v[0:1], v[0:1], v[46:47], v[48:49] neg_lo:[0,0,1] neg_hi:[0,0,1]
	s_delay_alu instid0(VALU_DEP_2)
	v_mov_b32_e32 v1, v51
	ds_store_b64 v45, v[0:1] offset:72
.LBB17_260:
	s_or_b32 exec_lo, exec_lo, s0
	ds_load_b64 v[0:1], v45 offset:80
	s_mov_b32 s0, exec_lo
	s_wait_dscnt 0x0
	ds_store_b64 v40, v[0:1]
	s_wait_dscnt 0x0
	s_barrier_signal -1
	s_barrier_wait -1
	v_cmpx_gt_u32_e32 10, v44
	s_cbranch_execz .LBB17_270
; %bb.261:
	v_cmp_ne_u32_e32 vcc_lo, 1, v42
	s_cbranch_vccnz .LBB17_263
; %bb.262:
	ds_load_b64 v[0:1], v41
	ds_load_b64 v[46:47], v40
	s_wait_dscnt 0x0
	v_pk_mul_f32 v[48:49], v[46:47], v[0:1] op_sel:[1,1] op_sel_hi:[0,1]
	s_delay_alu instid0(VALU_DEP_1) | instskip(SKIP_1) | instid1(VALU_DEP_2)
	v_pk_fma_f32 v[50:51], v[46:47], v[0:1], v[48:49] op_sel_hi:[1,0,1]
	v_pk_fma_f32 v[0:1], v[46:47], v[0:1], v[48:49] neg_lo:[0,0,1] neg_hi:[0,0,1]
	v_mov_b32_e32 v1, v51
	s_cbranch_execz .LBB17_264
	s_branch .LBB17_265
.LBB17_263:
                                        ; implicit-def: $vgpr0_vgpr1
.LBB17_264:
	ds_load_b64 v[0:1], v40
.LBB17_265:
	s_mov_b32 s2, exec_lo
	v_cmpx_ne_u32_e32 9, v44
	s_cbranch_execz .LBB17_269
; %bb.266:
	v_add_nc_u32_e32 v43, 0x98, v38
	v_add3_u32 v46, v39, v38, 0x128
	v_mov_b32_e32 v47, v44
	s_mov_b32 s3, 0
.LBB17_267:                             ; =>This Inner Loop Header: Depth=1
	ds_load_b64 v[48:49], v46
	ds_load_b64 v[50:51], v43
	v_dual_add_nc_u32 v43, 8, v43 :: v_dual_add_nc_u32 v46, 8, v46
	s_wait_dscnt 0x0
	v_pk_mul_f32 v[52:53], v[50:51], v[48:49] op_sel:[1,1] op_sel_hi:[0,1]
	s_delay_alu instid0(VALU_DEP_1) | instskip(SKIP_2) | instid1(VALU_DEP_3)
	v_pk_fma_f32 v[54:55], v[50:51], v[48:49], v[52:53] op_sel_hi:[1,0,1]
	v_add_nc_u32_e32 v47, 1, v47
	v_pk_fma_f32 v[48:49], v[50:51], v[48:49], v[52:53] neg_lo:[0,0,1] neg_hi:[0,0,1]
	v_mov_b32_e32 v49, v55
	s_delay_alu instid0(VALU_DEP_3) | instskip(NEXT) | instid1(VALU_DEP_2)
	v_cmp_lt_u32_e32 vcc_lo, 8, v47
	v_pk_add_f32 v[0:1], v[0:1], v[48:49]
	s_or_b32 s3, vcc_lo, s3
	s_delay_alu instid0(SALU_CYCLE_1)
	s_and_not1_b32 exec_lo, exec_lo, s3
	s_cbranch_execnz .LBB17_267
; %bb.268:
	s_or_b32 exec_lo, exec_lo, s3
.LBB17_269:
	s_delay_alu instid0(SALU_CYCLE_1) | instskip(SKIP_4) | instid1(VALU_DEP_1)
	s_or_b32 exec_lo, exec_lo, s2
	v_mov_b32_e32 v43, 0
	ds_load_b64 v[46:47], v43 offset:80
	s_wait_dscnt 0x0
	v_pk_mul_f32 v[48:49], v[0:1], v[46:47] op_sel:[1,1] op_sel_hi:[0,1]
	v_pk_fma_f32 v[50:51], v[0:1], v[46:47], v[48:49] op_sel_hi:[1,0,1]
	v_pk_fma_f32 v[0:1], v[0:1], v[46:47], v[48:49] neg_lo:[0,0,1] neg_hi:[0,0,1]
	s_delay_alu instid0(VALU_DEP_2)
	v_mov_b32_e32 v1, v51
	ds_store_b64 v45, v[0:1] offset:80
.LBB17_270:
	s_or_b32 exec_lo, exec_lo, s0
	ds_load_b64 v[0:1], v45 offset:88
	s_mov_b32 s0, exec_lo
	s_wait_dscnt 0x0
	ds_store_b64 v40, v[0:1]
	s_wait_dscnt 0x0
	s_barrier_signal -1
	s_barrier_wait -1
	v_cmpx_gt_u32_e32 11, v44
	s_cbranch_execz .LBB17_280
; %bb.271:
	v_cmp_ne_u32_e32 vcc_lo, 1, v42
	s_cbranch_vccnz .LBB17_273
; %bb.272:
	ds_load_b64 v[0:1], v41
	ds_load_b64 v[46:47], v40
	s_wait_dscnt 0x0
	v_pk_mul_f32 v[48:49], v[46:47], v[0:1] op_sel:[1,1] op_sel_hi:[0,1]
	s_delay_alu instid0(VALU_DEP_1) | instskip(SKIP_1) | instid1(VALU_DEP_2)
	v_pk_fma_f32 v[50:51], v[46:47], v[0:1], v[48:49] op_sel_hi:[1,0,1]
	v_pk_fma_f32 v[0:1], v[46:47], v[0:1], v[48:49] neg_lo:[0,0,1] neg_hi:[0,0,1]
	v_mov_b32_e32 v1, v51
	s_cbranch_execz .LBB17_274
	s_branch .LBB17_275
.LBB17_273:
                                        ; implicit-def: $vgpr0_vgpr1
.LBB17_274:
	ds_load_b64 v[0:1], v40
.LBB17_275:
	s_mov_b32 s2, exec_lo
	v_cmpx_ne_u32_e32 10, v44
	s_cbranch_execz .LBB17_279
; %bb.276:
	v_add_nc_u32_e32 v43, 0x98, v38
	v_add3_u32 v46, v39, v38, 0x128
	v_mov_b32_e32 v47, v44
	s_mov_b32 s3, 0
.LBB17_277:                             ; =>This Inner Loop Header: Depth=1
	ds_load_b64 v[48:49], v46
	ds_load_b64 v[50:51], v43
	v_dual_add_nc_u32 v43, 8, v43 :: v_dual_add_nc_u32 v46, 8, v46
	s_wait_dscnt 0x0
	v_pk_mul_f32 v[52:53], v[50:51], v[48:49] op_sel:[1,1] op_sel_hi:[0,1]
	s_delay_alu instid0(VALU_DEP_1) | instskip(SKIP_2) | instid1(VALU_DEP_3)
	v_pk_fma_f32 v[54:55], v[50:51], v[48:49], v[52:53] op_sel_hi:[1,0,1]
	v_add_nc_u32_e32 v47, 1, v47
	v_pk_fma_f32 v[48:49], v[50:51], v[48:49], v[52:53] neg_lo:[0,0,1] neg_hi:[0,0,1]
	v_mov_b32_e32 v49, v55
	s_delay_alu instid0(VALU_DEP_3) | instskip(NEXT) | instid1(VALU_DEP_2)
	v_cmp_lt_u32_e32 vcc_lo, 9, v47
	v_pk_add_f32 v[0:1], v[0:1], v[48:49]
	s_or_b32 s3, vcc_lo, s3
	s_delay_alu instid0(SALU_CYCLE_1)
	s_and_not1_b32 exec_lo, exec_lo, s3
	s_cbranch_execnz .LBB17_277
; %bb.278:
	s_or_b32 exec_lo, exec_lo, s3
.LBB17_279:
	s_delay_alu instid0(SALU_CYCLE_1) | instskip(SKIP_4) | instid1(VALU_DEP_1)
	s_or_b32 exec_lo, exec_lo, s2
	v_mov_b32_e32 v43, 0
	ds_load_b64 v[46:47], v43 offset:88
	s_wait_dscnt 0x0
	v_pk_mul_f32 v[48:49], v[0:1], v[46:47] op_sel:[1,1] op_sel_hi:[0,1]
	v_pk_fma_f32 v[50:51], v[0:1], v[46:47], v[48:49] op_sel_hi:[1,0,1]
	v_pk_fma_f32 v[0:1], v[0:1], v[46:47], v[48:49] neg_lo:[0,0,1] neg_hi:[0,0,1]
	s_delay_alu instid0(VALU_DEP_2)
	v_mov_b32_e32 v1, v51
	ds_store_b64 v45, v[0:1] offset:88
.LBB17_280:
	s_or_b32 exec_lo, exec_lo, s0
	ds_load_b64 v[0:1], v45 offset:96
	s_mov_b32 s0, exec_lo
	s_wait_dscnt 0x0
	ds_store_b64 v40, v[0:1]
	s_wait_dscnt 0x0
	s_barrier_signal -1
	s_barrier_wait -1
	v_cmpx_gt_u32_e32 12, v44
	s_cbranch_execz .LBB17_290
; %bb.281:
	v_cmp_ne_u32_e32 vcc_lo, 1, v42
	s_cbranch_vccnz .LBB17_283
; %bb.282:
	ds_load_b64 v[0:1], v41
	ds_load_b64 v[46:47], v40
	s_wait_dscnt 0x0
	v_pk_mul_f32 v[48:49], v[46:47], v[0:1] op_sel:[1,1] op_sel_hi:[0,1]
	s_delay_alu instid0(VALU_DEP_1) | instskip(SKIP_1) | instid1(VALU_DEP_2)
	v_pk_fma_f32 v[50:51], v[46:47], v[0:1], v[48:49] op_sel_hi:[1,0,1]
	v_pk_fma_f32 v[0:1], v[46:47], v[0:1], v[48:49] neg_lo:[0,0,1] neg_hi:[0,0,1]
	v_mov_b32_e32 v1, v51
	s_cbranch_execz .LBB17_284
	s_branch .LBB17_285
.LBB17_283:
                                        ; implicit-def: $vgpr0_vgpr1
.LBB17_284:
	ds_load_b64 v[0:1], v40
.LBB17_285:
	s_mov_b32 s2, exec_lo
	v_cmpx_ne_u32_e32 11, v44
	s_cbranch_execz .LBB17_289
; %bb.286:
	v_add_nc_u32_e32 v43, 0x98, v38
	v_add3_u32 v46, v39, v38, 0x128
	v_mov_b32_e32 v47, v44
	s_mov_b32 s3, 0
.LBB17_287:                             ; =>This Inner Loop Header: Depth=1
	ds_load_b64 v[48:49], v46
	ds_load_b64 v[50:51], v43
	v_dual_add_nc_u32 v43, 8, v43 :: v_dual_add_nc_u32 v46, 8, v46
	s_wait_dscnt 0x0
	v_pk_mul_f32 v[52:53], v[50:51], v[48:49] op_sel:[1,1] op_sel_hi:[0,1]
	s_delay_alu instid0(VALU_DEP_1) | instskip(SKIP_2) | instid1(VALU_DEP_3)
	v_pk_fma_f32 v[54:55], v[50:51], v[48:49], v[52:53] op_sel_hi:[1,0,1]
	v_add_nc_u32_e32 v47, 1, v47
	v_pk_fma_f32 v[48:49], v[50:51], v[48:49], v[52:53] neg_lo:[0,0,1] neg_hi:[0,0,1]
	v_mov_b32_e32 v49, v55
	s_delay_alu instid0(VALU_DEP_3) | instskip(NEXT) | instid1(VALU_DEP_2)
	v_cmp_lt_u32_e32 vcc_lo, 10, v47
	v_pk_add_f32 v[0:1], v[0:1], v[48:49]
	s_or_b32 s3, vcc_lo, s3
	s_delay_alu instid0(SALU_CYCLE_1)
	s_and_not1_b32 exec_lo, exec_lo, s3
	s_cbranch_execnz .LBB17_287
; %bb.288:
	s_or_b32 exec_lo, exec_lo, s3
.LBB17_289:
	s_delay_alu instid0(SALU_CYCLE_1) | instskip(SKIP_4) | instid1(VALU_DEP_1)
	s_or_b32 exec_lo, exec_lo, s2
	v_mov_b32_e32 v43, 0
	ds_load_b64 v[46:47], v43 offset:96
	s_wait_dscnt 0x0
	v_pk_mul_f32 v[48:49], v[0:1], v[46:47] op_sel:[1,1] op_sel_hi:[0,1]
	v_pk_fma_f32 v[50:51], v[0:1], v[46:47], v[48:49] op_sel_hi:[1,0,1]
	v_pk_fma_f32 v[0:1], v[0:1], v[46:47], v[48:49] neg_lo:[0,0,1] neg_hi:[0,0,1]
	s_delay_alu instid0(VALU_DEP_2)
	v_mov_b32_e32 v1, v51
	ds_store_b64 v45, v[0:1] offset:96
.LBB17_290:
	s_or_b32 exec_lo, exec_lo, s0
	ds_load_b64 v[0:1], v45 offset:104
	s_mov_b32 s0, exec_lo
	s_wait_dscnt 0x0
	ds_store_b64 v40, v[0:1]
	s_wait_dscnt 0x0
	s_barrier_signal -1
	s_barrier_wait -1
	v_cmpx_gt_u32_e32 13, v44
	s_cbranch_execz .LBB17_300
; %bb.291:
	v_cmp_ne_u32_e32 vcc_lo, 1, v42
	s_cbranch_vccnz .LBB17_293
; %bb.292:
	ds_load_b64 v[0:1], v41
	ds_load_b64 v[46:47], v40
	s_wait_dscnt 0x0
	v_pk_mul_f32 v[48:49], v[46:47], v[0:1] op_sel:[1,1] op_sel_hi:[0,1]
	s_delay_alu instid0(VALU_DEP_1) | instskip(SKIP_1) | instid1(VALU_DEP_2)
	v_pk_fma_f32 v[50:51], v[46:47], v[0:1], v[48:49] op_sel_hi:[1,0,1]
	v_pk_fma_f32 v[0:1], v[46:47], v[0:1], v[48:49] neg_lo:[0,0,1] neg_hi:[0,0,1]
	v_mov_b32_e32 v1, v51
	s_cbranch_execz .LBB17_294
	s_branch .LBB17_295
.LBB17_293:
                                        ; implicit-def: $vgpr0_vgpr1
.LBB17_294:
	ds_load_b64 v[0:1], v40
.LBB17_295:
	s_mov_b32 s2, exec_lo
	v_cmpx_ne_u32_e32 12, v44
	s_cbranch_execz .LBB17_299
; %bb.296:
	v_add_nc_u32_e32 v43, 0x98, v38
	v_add3_u32 v46, v39, v38, 0x128
	v_mov_b32_e32 v47, v44
	s_mov_b32 s3, 0
.LBB17_297:                             ; =>This Inner Loop Header: Depth=1
	ds_load_b64 v[48:49], v46
	ds_load_b64 v[50:51], v43
	v_dual_add_nc_u32 v43, 8, v43 :: v_dual_add_nc_u32 v46, 8, v46
	s_wait_dscnt 0x0
	v_pk_mul_f32 v[52:53], v[50:51], v[48:49] op_sel:[1,1] op_sel_hi:[0,1]
	s_delay_alu instid0(VALU_DEP_1) | instskip(SKIP_2) | instid1(VALU_DEP_3)
	v_pk_fma_f32 v[54:55], v[50:51], v[48:49], v[52:53] op_sel_hi:[1,0,1]
	v_add_nc_u32_e32 v47, 1, v47
	v_pk_fma_f32 v[48:49], v[50:51], v[48:49], v[52:53] neg_lo:[0,0,1] neg_hi:[0,0,1]
	v_mov_b32_e32 v49, v55
	s_delay_alu instid0(VALU_DEP_3) | instskip(NEXT) | instid1(VALU_DEP_2)
	v_cmp_lt_u32_e32 vcc_lo, 11, v47
	v_pk_add_f32 v[0:1], v[0:1], v[48:49]
	s_or_b32 s3, vcc_lo, s3
	s_delay_alu instid0(SALU_CYCLE_1)
	s_and_not1_b32 exec_lo, exec_lo, s3
	s_cbranch_execnz .LBB17_297
; %bb.298:
	s_or_b32 exec_lo, exec_lo, s3
.LBB17_299:
	s_delay_alu instid0(SALU_CYCLE_1) | instskip(SKIP_4) | instid1(VALU_DEP_1)
	s_or_b32 exec_lo, exec_lo, s2
	v_mov_b32_e32 v43, 0
	ds_load_b64 v[46:47], v43 offset:104
	s_wait_dscnt 0x0
	v_pk_mul_f32 v[48:49], v[0:1], v[46:47] op_sel:[1,1] op_sel_hi:[0,1]
	v_pk_fma_f32 v[50:51], v[0:1], v[46:47], v[48:49] op_sel_hi:[1,0,1]
	v_pk_fma_f32 v[0:1], v[0:1], v[46:47], v[48:49] neg_lo:[0,0,1] neg_hi:[0,0,1]
	s_delay_alu instid0(VALU_DEP_2)
	v_mov_b32_e32 v1, v51
	ds_store_b64 v45, v[0:1] offset:104
.LBB17_300:
	s_or_b32 exec_lo, exec_lo, s0
	ds_load_b64 v[0:1], v45 offset:112
	s_mov_b32 s0, exec_lo
	s_wait_dscnt 0x0
	ds_store_b64 v40, v[0:1]
	s_wait_dscnt 0x0
	s_barrier_signal -1
	s_barrier_wait -1
	v_cmpx_gt_u32_e32 14, v44
	s_cbranch_execz .LBB17_310
; %bb.301:
	v_cmp_ne_u32_e32 vcc_lo, 1, v42
	s_cbranch_vccnz .LBB17_303
; %bb.302:
	ds_load_b64 v[0:1], v41
	ds_load_b64 v[46:47], v40
	s_wait_dscnt 0x0
	v_pk_mul_f32 v[48:49], v[46:47], v[0:1] op_sel:[1,1] op_sel_hi:[0,1]
	s_delay_alu instid0(VALU_DEP_1) | instskip(SKIP_1) | instid1(VALU_DEP_2)
	v_pk_fma_f32 v[50:51], v[46:47], v[0:1], v[48:49] op_sel_hi:[1,0,1]
	v_pk_fma_f32 v[0:1], v[46:47], v[0:1], v[48:49] neg_lo:[0,0,1] neg_hi:[0,0,1]
	v_mov_b32_e32 v1, v51
	s_cbranch_execz .LBB17_304
	s_branch .LBB17_305
.LBB17_303:
                                        ; implicit-def: $vgpr0_vgpr1
.LBB17_304:
	ds_load_b64 v[0:1], v40
.LBB17_305:
	s_mov_b32 s2, exec_lo
	v_cmpx_ne_u32_e32 13, v44
	s_cbranch_execz .LBB17_309
; %bb.306:
	v_add_nc_u32_e32 v43, 0x98, v38
	v_add3_u32 v46, v39, v38, 0x128
	v_mov_b32_e32 v47, v44
	s_mov_b32 s3, 0
.LBB17_307:                             ; =>This Inner Loop Header: Depth=1
	ds_load_b64 v[48:49], v46
	ds_load_b64 v[50:51], v43
	v_dual_add_nc_u32 v43, 8, v43 :: v_dual_add_nc_u32 v46, 8, v46
	s_wait_dscnt 0x0
	v_pk_mul_f32 v[52:53], v[50:51], v[48:49] op_sel:[1,1] op_sel_hi:[0,1]
	s_delay_alu instid0(VALU_DEP_1) | instskip(SKIP_2) | instid1(VALU_DEP_3)
	v_pk_fma_f32 v[54:55], v[50:51], v[48:49], v[52:53] op_sel_hi:[1,0,1]
	v_add_nc_u32_e32 v47, 1, v47
	v_pk_fma_f32 v[48:49], v[50:51], v[48:49], v[52:53] neg_lo:[0,0,1] neg_hi:[0,0,1]
	v_mov_b32_e32 v49, v55
	s_delay_alu instid0(VALU_DEP_3) | instskip(NEXT) | instid1(VALU_DEP_2)
	v_cmp_lt_u32_e32 vcc_lo, 12, v47
	v_pk_add_f32 v[0:1], v[0:1], v[48:49]
	s_or_b32 s3, vcc_lo, s3
	s_delay_alu instid0(SALU_CYCLE_1)
	s_and_not1_b32 exec_lo, exec_lo, s3
	s_cbranch_execnz .LBB17_307
; %bb.308:
	s_or_b32 exec_lo, exec_lo, s3
.LBB17_309:
	s_delay_alu instid0(SALU_CYCLE_1) | instskip(SKIP_4) | instid1(VALU_DEP_1)
	s_or_b32 exec_lo, exec_lo, s2
	v_mov_b32_e32 v43, 0
	ds_load_b64 v[46:47], v43 offset:112
	s_wait_dscnt 0x0
	v_pk_mul_f32 v[48:49], v[0:1], v[46:47] op_sel:[1,1] op_sel_hi:[0,1]
	v_pk_fma_f32 v[50:51], v[0:1], v[46:47], v[48:49] op_sel_hi:[1,0,1]
	v_pk_fma_f32 v[0:1], v[0:1], v[46:47], v[48:49] neg_lo:[0,0,1] neg_hi:[0,0,1]
	s_delay_alu instid0(VALU_DEP_2)
	v_mov_b32_e32 v1, v51
	ds_store_b64 v45, v[0:1] offset:112
.LBB17_310:
	s_or_b32 exec_lo, exec_lo, s0
	ds_load_b64 v[0:1], v45 offset:120
	s_mov_b32 s0, exec_lo
	s_wait_dscnt 0x0
	ds_store_b64 v40, v[0:1]
	s_wait_dscnt 0x0
	s_barrier_signal -1
	s_barrier_wait -1
	v_cmpx_gt_u32_e32 15, v44
	s_cbranch_execz .LBB17_320
; %bb.311:
	v_cmp_ne_u32_e32 vcc_lo, 1, v42
	s_cbranch_vccnz .LBB17_313
; %bb.312:
	ds_load_b64 v[0:1], v41
	ds_load_b64 v[46:47], v40
	s_wait_dscnt 0x0
	v_pk_mul_f32 v[48:49], v[46:47], v[0:1] op_sel:[1,1] op_sel_hi:[0,1]
	s_delay_alu instid0(VALU_DEP_1) | instskip(SKIP_1) | instid1(VALU_DEP_2)
	v_pk_fma_f32 v[50:51], v[46:47], v[0:1], v[48:49] op_sel_hi:[1,0,1]
	v_pk_fma_f32 v[0:1], v[46:47], v[0:1], v[48:49] neg_lo:[0,0,1] neg_hi:[0,0,1]
	v_mov_b32_e32 v1, v51
	s_cbranch_execz .LBB17_314
	s_branch .LBB17_315
.LBB17_313:
                                        ; implicit-def: $vgpr0_vgpr1
.LBB17_314:
	ds_load_b64 v[0:1], v40
.LBB17_315:
	s_mov_b32 s2, exec_lo
	v_cmpx_ne_u32_e32 14, v44
	s_cbranch_execz .LBB17_319
; %bb.316:
	v_add_nc_u32_e32 v43, 0x98, v38
	v_add3_u32 v46, v39, v38, 0x128
	v_mov_b32_e32 v47, v44
	s_mov_b32 s3, 0
.LBB17_317:                             ; =>This Inner Loop Header: Depth=1
	ds_load_b64 v[48:49], v46
	ds_load_b64 v[50:51], v43
	v_dual_add_nc_u32 v43, 8, v43 :: v_dual_add_nc_u32 v46, 8, v46
	s_wait_dscnt 0x0
	v_pk_mul_f32 v[52:53], v[50:51], v[48:49] op_sel:[1,1] op_sel_hi:[0,1]
	s_delay_alu instid0(VALU_DEP_1) | instskip(SKIP_2) | instid1(VALU_DEP_3)
	v_pk_fma_f32 v[54:55], v[50:51], v[48:49], v[52:53] op_sel_hi:[1,0,1]
	v_add_nc_u32_e32 v47, 1, v47
	v_pk_fma_f32 v[48:49], v[50:51], v[48:49], v[52:53] neg_lo:[0,0,1] neg_hi:[0,0,1]
	v_mov_b32_e32 v49, v55
	s_delay_alu instid0(VALU_DEP_3) | instskip(NEXT) | instid1(VALU_DEP_2)
	v_cmp_lt_u32_e32 vcc_lo, 13, v47
	v_pk_add_f32 v[0:1], v[0:1], v[48:49]
	s_or_b32 s3, vcc_lo, s3
	s_delay_alu instid0(SALU_CYCLE_1)
	s_and_not1_b32 exec_lo, exec_lo, s3
	s_cbranch_execnz .LBB17_317
; %bb.318:
	s_or_b32 exec_lo, exec_lo, s3
.LBB17_319:
	s_delay_alu instid0(SALU_CYCLE_1) | instskip(SKIP_4) | instid1(VALU_DEP_1)
	s_or_b32 exec_lo, exec_lo, s2
	v_mov_b32_e32 v43, 0
	ds_load_b64 v[46:47], v43 offset:120
	s_wait_dscnt 0x0
	v_pk_mul_f32 v[48:49], v[0:1], v[46:47] op_sel:[1,1] op_sel_hi:[0,1]
	v_pk_fma_f32 v[50:51], v[0:1], v[46:47], v[48:49] op_sel_hi:[1,0,1]
	v_pk_fma_f32 v[0:1], v[0:1], v[46:47], v[48:49] neg_lo:[0,0,1] neg_hi:[0,0,1]
	s_delay_alu instid0(VALU_DEP_2)
	v_mov_b32_e32 v1, v51
	ds_store_b64 v45, v[0:1] offset:120
.LBB17_320:
	s_or_b32 exec_lo, exec_lo, s0
	ds_load_b64 v[0:1], v45 offset:128
	v_cmp_gt_u32_e64 s0, 16, v44
	s_wait_dscnt 0x0
	ds_store_b64 v40, v[0:1]
	s_wait_dscnt 0x0
	s_barrier_signal -1
	s_barrier_wait -1
	s_and_saveexec_b32 s2, s0
	s_cbranch_execz .LBB17_330
; %bb.321:
	v_cmp_ne_u32_e32 vcc_lo, 1, v42
	s_cbranch_vccnz .LBB17_323
; %bb.322:
	ds_load_b64 v[0:1], v41
	ds_load_b64 v[46:47], v40
	s_wait_dscnt 0x0
	v_pk_mul_f32 v[48:49], v[46:47], v[0:1] op_sel:[1,1] op_sel_hi:[0,1]
	s_delay_alu instid0(VALU_DEP_1) | instskip(SKIP_1) | instid1(VALU_DEP_2)
	v_pk_fma_f32 v[50:51], v[46:47], v[0:1], v[48:49] op_sel_hi:[1,0,1]
	v_pk_fma_f32 v[0:1], v[46:47], v[0:1], v[48:49] neg_lo:[0,0,1] neg_hi:[0,0,1]
	v_mov_b32_e32 v1, v51
	s_cbranch_execz .LBB17_324
	s_branch .LBB17_325
.LBB17_323:
                                        ; implicit-def: $vgpr0_vgpr1
.LBB17_324:
	ds_load_b64 v[0:1], v40
.LBB17_325:
	s_mov_b32 s3, exec_lo
	v_cmpx_ne_u32_e32 15, v44
	s_cbranch_execz .LBB17_329
; %bb.326:
	v_add_nc_u32_e32 v43, 0x98, v38
	v_add3_u32 v46, v39, v38, 0x128
	v_mov_b32_e32 v47, v44
	s_mov_b32 s4, 0
.LBB17_327:                             ; =>This Inner Loop Header: Depth=1
	ds_load_b64 v[48:49], v46
	ds_load_b64 v[50:51], v43
	v_dual_add_nc_u32 v43, 8, v43 :: v_dual_add_nc_u32 v46, 8, v46
	s_wait_dscnt 0x0
	v_pk_mul_f32 v[52:53], v[50:51], v[48:49] op_sel:[1,1] op_sel_hi:[0,1]
	s_delay_alu instid0(VALU_DEP_1) | instskip(SKIP_2) | instid1(VALU_DEP_3)
	v_pk_fma_f32 v[54:55], v[50:51], v[48:49], v[52:53] op_sel_hi:[1,0,1]
	v_add_nc_u32_e32 v47, 1, v47
	v_pk_fma_f32 v[48:49], v[50:51], v[48:49], v[52:53] neg_lo:[0,0,1] neg_hi:[0,0,1]
	v_mov_b32_e32 v49, v55
	s_delay_alu instid0(VALU_DEP_3) | instskip(NEXT) | instid1(VALU_DEP_2)
	v_cmp_lt_u32_e32 vcc_lo, 14, v47
	v_pk_add_f32 v[0:1], v[0:1], v[48:49]
	s_or_b32 s4, vcc_lo, s4
	s_delay_alu instid0(SALU_CYCLE_1)
	s_and_not1_b32 exec_lo, exec_lo, s4
	s_cbranch_execnz .LBB17_327
; %bb.328:
	s_or_b32 exec_lo, exec_lo, s4
.LBB17_329:
	s_delay_alu instid0(SALU_CYCLE_1) | instskip(SKIP_4) | instid1(VALU_DEP_1)
	s_or_b32 exec_lo, exec_lo, s3
	v_mov_b32_e32 v43, 0
	ds_load_b64 v[46:47], v43 offset:128
	s_wait_dscnt 0x0
	v_pk_mul_f32 v[48:49], v[0:1], v[46:47] op_sel:[1,1] op_sel_hi:[0,1]
	v_pk_fma_f32 v[50:51], v[0:1], v[46:47], v[48:49] op_sel_hi:[1,0,1]
	v_pk_fma_f32 v[0:1], v[0:1], v[46:47], v[48:49] neg_lo:[0,0,1] neg_hi:[0,0,1]
	s_delay_alu instid0(VALU_DEP_2)
	v_mov_b32_e32 v1, v51
	ds_store_b64 v45, v[0:1] offset:128
.LBB17_330:
	s_or_b32 exec_lo, exec_lo, s2
	ds_load_b64 v[0:1], v45 offset:136
	s_mov_b32 s2, exec_lo
                                        ; implicit-def: $vgpr43
                                        ; implicit-def: $vgpr47
	s_wait_dscnt 0x0
	ds_store_b64 v40, v[0:1]
	s_wait_dscnt 0x0
	s_barrier_signal -1
	s_barrier_wait -1
	v_cmpx_ne_u32_e32 17, v44
	s_cbranch_execz .LBB17_340
; %bb.331:
	v_cmp_ne_u32_e32 vcc_lo, 1, v42
	s_cbranch_vccnz .LBB17_333
; %bb.332:
	ds_load_b64 v[42:43], v41
	ds_load_b64 v[46:47], v40
	s_wait_dscnt 0x0
	v_dual_mul_f32 v0, v47, v43 :: v_dual_mul_f32 v1, v46, v43
	s_delay_alu instid0(VALU_DEP_1)
	v_dual_fma_f32 v0, v46, v42, -v0 :: v_dual_fmac_f32 v1, v47, v42
	s_cbranch_execz .LBB17_334
	s_branch .LBB17_335
.LBB17_333:
                                        ; implicit-def: $vgpr1
.LBB17_334:
	ds_load_b64 v[0:1], v40
.LBB17_335:
	s_and_saveexec_b32 s3, s0
	s_cbranch_execz .LBB17_339
; %bb.336:
	v_add_nc_u32_e32 v40, 0x98, v38
	v_add3_u32 v38, v39, v38, 0x128
	s_mov_b32 s0, 0
.LBB17_337:                             ; =>This Inner Loop Header: Depth=1
	ds_load_b64 v[42:43], v38
	ds_load_b64 v[46:47], v40
	s_wait_dscnt 0x0
	v_dual_mul_f32 v39, v47, v43 :: v_dual_add_nc_u32 v40, 8, v40
	v_dual_mul_f32 v41, v46, v43 :: v_dual_add_nc_u32 v44, 1, v44
	s_delay_alu instid0(VALU_DEP_1) | instskip(NEXT) | instid1(VALU_DEP_2)
	v_dual_fma_f32 v39, v46, v42, -v39 :: v_dual_fmac_f32 v41, v47, v42
	v_cmp_lt_u32_e32 vcc_lo, 15, v44
	s_delay_alu instid0(VALU_DEP_2) | instskip(NEXT) | instid1(VALU_DEP_3)
	v_dual_add_nc_u32 v38, 8, v38 :: v_dual_add_f32 v0, v0, v39
	v_add_f32_e32 v1, v1, v41
	s_or_b32 s0, vcc_lo, s0
	s_delay_alu instid0(SALU_CYCLE_1)
	s_and_not1_b32 exec_lo, exec_lo, s0
	s_cbranch_execnz .LBB17_337
; %bb.338:
	s_or_b32 exec_lo, exec_lo, s0
.LBB17_339:
	s_delay_alu instid0(SALU_CYCLE_1)
	s_or_b32 exec_lo, exec_lo, s3
	v_dual_mov_b32 v38, 0 :: v_dual_add_nc_u32 v47, 0x8c, v45
	s_or_b32 s1, s1, exec_lo
	ds_load_b64 v[38:39], v38 offset:136
	s_wait_dscnt 0x0
	v_dual_mul_f32 v40, v1, v39 :: v_dual_mul_f32 v43, v0, v39
	s_delay_alu instid0(VALU_DEP_1)
	v_dual_fma_f32 v0, v0, v38, -v40 :: v_dual_fmac_f32 v43, v1, v38
	ds_store_b32 v45, v0 offset:136
.LBB17_340:
	s_or_b32 exec_lo, exec_lo, s2
.LBB17_341:
	v_lshl_add_u64 v[38:39], v[6:7], 3, s[6:7]
	v_lshl_add_u64 v[8:9], v[8:9], 3, s[6:7]
	v_lshl_add_u64 v[10:11], v[10:11], 3, s[6:7]
	v_lshl_add_u64 v[12:13], v[12:13], 3, s[6:7]
	v_lshl_add_u64 v[14:15], v[14:15], 3, s[6:7]
	v_lshl_add_u64 v[16:17], v[16:17], 3, s[6:7]
	v_lshl_add_u64 v[18:19], v[18:19], 3, s[6:7]
	v_lshl_add_u64 v[20:21], v[20:21], 3, s[6:7]
	v_lshl_add_u64 v[22:23], v[22:23], 3, s[6:7]
	v_lshl_add_u64 v[24:25], v[24:25], 3, s[6:7]
	v_lshl_add_u64 v[26:27], v[26:27], 3, s[6:7]
	v_lshl_add_u64 v[28:29], v[28:29], 3, s[6:7]
	v_lshl_add_u64 v[30:31], v[30:31], 3, s[6:7]
	v_lshl_add_u64 v[32:33], v[32:33], 3, s[6:7]
	v_lshl_add_u64 v[0:1], v[34:35], 3, s[6:7]
	v_lshl_add_u64 v[6:7], v[36:37], 3, s[6:7]
	s_and_saveexec_b32 s0, s1
; %bb.342:
	ds_store_b32 v47, v43
; %bb.343:
	s_or_b32 exec_lo, exec_lo, s0
	ds_load_b128 v[34:37], v45
	ds_load_b128 v[40:43], v45 offset:16
	ds_load_b128 v[46:49], v45 offset:32
	;; [unrolled: 1-line block ×8, first 2 shown]
	s_wait_dscnt 0x8
	s_clause 0x1
	global_store_b64 v[2:3], v[34:35], off
	global_store_b64 v[4:5], v[36:37], off
	s_wait_dscnt 0x7
	s_clause 0x1
	global_store_b64 v[38:39], v[40:41], off
	global_store_b64 v[8:9], v[42:43], off
	;; [unrolled: 4-line block ×9, first 2 shown]
.LBB17_344:
	s_sendmsg sendmsg(MSG_DEALLOC_VGPRS)
	s_endpgm
	.section	.rodata,"a",@progbits
	.p2align	6, 0x0
	.amdhsa_kernel _ZN9rocsolver6v33100L18trti2_kernel_smallILi18E19rocblas_complex_numIfEPS3_EEv13rocblas_fill_17rocblas_diagonal_T1_iil
		.amdhsa_group_segment_fixed_size 9504
		.amdhsa_private_segment_fixed_size 0
		.amdhsa_kernarg_size 32
		.amdhsa_user_sgpr_count 4
		.amdhsa_user_sgpr_dispatch_ptr 1
		.amdhsa_user_sgpr_queue_ptr 0
		.amdhsa_user_sgpr_kernarg_segment_ptr 1
		.amdhsa_user_sgpr_dispatch_id 0
		.amdhsa_user_sgpr_kernarg_preload_length 0
		.amdhsa_user_sgpr_kernarg_preload_offset 0
		.amdhsa_user_sgpr_private_segment_size 0
		.amdhsa_wavefront_size32 1
		.amdhsa_uses_dynamic_stack 0
		.amdhsa_enable_private_segment 0
		.amdhsa_system_sgpr_workgroup_id_x 1
		.amdhsa_system_sgpr_workgroup_id_y 0
		.amdhsa_system_sgpr_workgroup_id_z 0
		.amdhsa_system_sgpr_workgroup_info 0
		.amdhsa_system_vgpr_workitem_id 2
		.amdhsa_next_free_vgpr 80
		.amdhsa_next_free_sgpr 14
		.amdhsa_named_barrier_count 0
		.amdhsa_reserve_vcc 1
		.amdhsa_float_round_mode_32 0
		.amdhsa_float_round_mode_16_64 0
		.amdhsa_float_denorm_mode_32 3
		.amdhsa_float_denorm_mode_16_64 3
		.amdhsa_fp16_overflow 0
		.amdhsa_memory_ordered 1
		.amdhsa_forward_progress 1
		.amdhsa_inst_pref_size 101
		.amdhsa_round_robin_scheduling 0
		.amdhsa_exception_fp_ieee_invalid_op 0
		.amdhsa_exception_fp_denorm_src 0
		.amdhsa_exception_fp_ieee_div_zero 0
		.amdhsa_exception_fp_ieee_overflow 0
		.amdhsa_exception_fp_ieee_underflow 0
		.amdhsa_exception_fp_ieee_inexact 0
		.amdhsa_exception_int_div_zero 0
	.end_amdhsa_kernel
	.section	.text._ZN9rocsolver6v33100L18trti2_kernel_smallILi18E19rocblas_complex_numIfEPS3_EEv13rocblas_fill_17rocblas_diagonal_T1_iil,"axG",@progbits,_ZN9rocsolver6v33100L18trti2_kernel_smallILi18E19rocblas_complex_numIfEPS3_EEv13rocblas_fill_17rocblas_diagonal_T1_iil,comdat
.Lfunc_end17:
	.size	_ZN9rocsolver6v33100L18trti2_kernel_smallILi18E19rocblas_complex_numIfEPS3_EEv13rocblas_fill_17rocblas_diagonal_T1_iil, .Lfunc_end17-_ZN9rocsolver6v33100L18trti2_kernel_smallILi18E19rocblas_complex_numIfEPS3_EEv13rocblas_fill_17rocblas_diagonal_T1_iil
                                        ; -- End function
	.set _ZN9rocsolver6v33100L18trti2_kernel_smallILi18E19rocblas_complex_numIfEPS3_EEv13rocblas_fill_17rocblas_diagonal_T1_iil.num_vgpr, 80
	.set _ZN9rocsolver6v33100L18trti2_kernel_smallILi18E19rocblas_complex_numIfEPS3_EEv13rocblas_fill_17rocblas_diagonal_T1_iil.num_agpr, 0
	.set _ZN9rocsolver6v33100L18trti2_kernel_smallILi18E19rocblas_complex_numIfEPS3_EEv13rocblas_fill_17rocblas_diagonal_T1_iil.numbered_sgpr, 14
	.set _ZN9rocsolver6v33100L18trti2_kernel_smallILi18E19rocblas_complex_numIfEPS3_EEv13rocblas_fill_17rocblas_diagonal_T1_iil.num_named_barrier, 0
	.set _ZN9rocsolver6v33100L18trti2_kernel_smallILi18E19rocblas_complex_numIfEPS3_EEv13rocblas_fill_17rocblas_diagonal_T1_iil.private_seg_size, 0
	.set _ZN9rocsolver6v33100L18trti2_kernel_smallILi18E19rocblas_complex_numIfEPS3_EEv13rocblas_fill_17rocblas_diagonal_T1_iil.uses_vcc, 1
	.set _ZN9rocsolver6v33100L18trti2_kernel_smallILi18E19rocblas_complex_numIfEPS3_EEv13rocblas_fill_17rocblas_diagonal_T1_iil.uses_flat_scratch, 0
	.set _ZN9rocsolver6v33100L18trti2_kernel_smallILi18E19rocblas_complex_numIfEPS3_EEv13rocblas_fill_17rocblas_diagonal_T1_iil.has_dyn_sized_stack, 0
	.set _ZN9rocsolver6v33100L18trti2_kernel_smallILi18E19rocblas_complex_numIfEPS3_EEv13rocblas_fill_17rocblas_diagonal_T1_iil.has_recursion, 0
	.set _ZN9rocsolver6v33100L18trti2_kernel_smallILi18E19rocblas_complex_numIfEPS3_EEv13rocblas_fill_17rocblas_diagonal_T1_iil.has_indirect_call, 0
	.section	.AMDGPU.csdata,"",@progbits
; Kernel info:
; codeLenInByte = 12812
; TotalNumSgprs: 16
; NumVgprs: 80
; ScratchSize: 0
; MemoryBound: 0
; FloatMode: 240
; IeeeMode: 1
; LDSByteSize: 9504 bytes/workgroup (compile time only)
; SGPRBlocks: 0
; VGPRBlocks: 4
; NumSGPRsForWavesPerEU: 16
; NumVGPRsForWavesPerEU: 80
; NamedBarCnt: 0
; Occupancy: 9
; WaveLimiterHint : 0
; COMPUTE_PGM_RSRC2:SCRATCH_EN: 0
; COMPUTE_PGM_RSRC2:USER_SGPR: 4
; COMPUTE_PGM_RSRC2:TRAP_HANDLER: 0
; COMPUTE_PGM_RSRC2:TGID_X_EN: 1
; COMPUTE_PGM_RSRC2:TGID_Y_EN: 0
; COMPUTE_PGM_RSRC2:TGID_Z_EN: 0
; COMPUTE_PGM_RSRC2:TIDIG_COMP_CNT: 2
	.section	.text._ZN9rocsolver6v33100L18trti2_kernel_smallILi19E19rocblas_complex_numIfEPS3_EEv13rocblas_fill_17rocblas_diagonal_T1_iil,"axG",@progbits,_ZN9rocsolver6v33100L18trti2_kernel_smallILi19E19rocblas_complex_numIfEPS3_EEv13rocblas_fill_17rocblas_diagonal_T1_iil,comdat
	.globl	_ZN9rocsolver6v33100L18trti2_kernel_smallILi19E19rocblas_complex_numIfEPS3_EEv13rocblas_fill_17rocblas_diagonal_T1_iil ; -- Begin function _ZN9rocsolver6v33100L18trti2_kernel_smallILi19E19rocblas_complex_numIfEPS3_EEv13rocblas_fill_17rocblas_diagonal_T1_iil
	.p2align	8
	.type	_ZN9rocsolver6v33100L18trti2_kernel_smallILi19E19rocblas_complex_numIfEPS3_EEv13rocblas_fill_17rocblas_diagonal_T1_iil,@function
_ZN9rocsolver6v33100L18trti2_kernel_smallILi19E19rocblas_complex_numIfEPS3_EEv13rocblas_fill_17rocblas_diagonal_T1_iil: ; @_ZN9rocsolver6v33100L18trti2_kernel_smallILi19E19rocblas_complex_numIfEPS3_EEv13rocblas_fill_17rocblas_diagonal_T1_iil
; %bb.0:
	v_and_b32_e32 v46, 0x3ff, v0
	s_mov_b32 s4, exec_lo
	s_delay_alu instid0(VALU_DEP_1)
	v_cmpx_gt_u32_e32 19, v46
	s_cbranch_execz .LBB18_364
; %bb.1:
	s_load_b256 s[4:11], s[2:3], 0x0
	s_load_b64 s[12:13], s[0:1], 0x4
	s_wait_xcnt 0x0
	s_bfe_u32 s0, ttmp6, 0x4000c
	s_and_b32 s1, ttmp6, 15
	s_add_co_i32 s0, s0, 1
	s_getreg_b32 s2, hwreg(HW_REG_IB_STS2, 6, 4)
	s_mul_i32 s0, ttmp9, s0
	v_bfe_u32 v1, v0, 10, 10
	s_add_co_i32 s0, s1, s0
	v_bfe_u32 v0, v0, 20, 10
	v_dual_mov_b32 v41, 0 :: v_dual_lshlrev_b32 v40, 3, v46
	s_wait_kmcnt 0x0
	v_add3_u32 v6, s9, s9, v46
	s_lshr_b32 s12, s12, 16
	s_ashr_i32 s1, s8, 31
	s_cmp_eq_u32 s2, 0
	s_mul_i32 s12, s12, s13
	v_add_nc_u32_e32 v8, s9, v6
	s_cselect_b32 s2, ttmp9, s0
	s_mov_b32 s0, s8
	s_ashr_i32 s3, s2, 31
	s_lshl_b64 s[0:1], s[0:1], 3
	v_add_nc_u32_e32 v10, s9, v8
	s_mul_u64 s[2:3], s[10:11], s[2:3]
	v_mul_u32_u24_e32 v1, s13, v1
	s_lshl_b64 s[2:3], s[2:3], 3
	v_mul_u32_u24_e32 v7, s12, v46
	v_add_nc_u32_e32 v12, s9, v10
	s_add_nc_u64 s[2:3], s[6:7], s[2:3]
	s_delay_alu instid0(SALU_CYCLE_1) | instskip(SKIP_1) | instid1(VALU_DEP_1)
	s_add_nc_u64 s[2:3], s[2:3], s[0:1]
	s_mov_b32 s0, s9
	v_add_nc_u32_e32 v14, s9, v12
	s_ashr_i32 s1, s9, 31
	v_add3_u32 v48, v7, v1, v0
	s_cmp_lg_u32 s5, 0x84
	v_add_nc_u64_e32 v[2:3], s[2:3], v[40:41]
	v_add_nc_u32_e32 v16, s9, v14
	s_cselect_b32 s5, -1, 0
	v_mul_lo_u32 v47, 0x98, v48
	s_and_b32 vcc_lo, exec_lo, s5
	s_delay_alu instid0(VALU_DEP_2) | instskip(NEXT) | instid1(VALU_DEP_4)
	v_add_nc_u32_e32 v18, s9, v16
	v_lshl_add_u64 v[4:5], s[0:1], 3, v[2:3]
	s_mov_b32 s0, -1
	s_clause 0x3
	global_load_b64 v[42:43], v46, s[2:3] scale_offset
	global_load_b64 v[44:45], v[4:5], off
	global_load_b64 v[50:51], v6, s[2:3] scale_offset
	global_load_b64 v[52:53], v8, s[2:3] scale_offset
	v_add_nc_u32_e32 v20, s9, v18
	s_clause 0x3
	global_load_b64 v[54:55], v10, s[2:3] scale_offset
	global_load_b64 v[56:57], v12, s[2:3] scale_offset
	;; [unrolled: 1-line block ×4, first 2 shown]
	v_add_nc_u32_e32 v41, 0x140, v47
	v_add_nc_u32_e32 v22, s9, v20
	s_delay_alu instid0(VALU_DEP_1) | instskip(NEXT) | instid1(VALU_DEP_1)
	v_add_nc_u32_e32 v24, s9, v22
	v_add_nc_u32_e32 v26, s9, v24
	s_delay_alu instid0(VALU_DEP_1) | instskip(NEXT) | instid1(VALU_DEP_1)
	v_add_nc_u32_e32 v28, s9, v26
	v_add_nc_u32_e32 v30, s9, v28
	s_clause 0x3
	global_load_b64 v[62:63], v18, s[2:3] scale_offset
	global_load_b64 v[64:65], v20, s[2:3] scale_offset
	;; [unrolled: 1-line block ×4, first 2 shown]
	v_add_nc_u32_e32 v32, s9, v30
	s_delay_alu instid0(VALU_DEP_1) | instskip(NEXT) | instid1(VALU_DEP_1)
	v_add_nc_u32_e32 v34, s9, v32
	v_add_nc_u32_e32 v36, s9, v34
	s_delay_alu instid0(VALU_DEP_1)
	v_add_nc_u32_e32 v38, s9, v36
	s_clause 0x6
	global_load_b64 v[70:71], v26, s[2:3] scale_offset
	global_load_b64 v[72:73], v28, s[2:3] scale_offset
	;; [unrolled: 1-line block ×7, first 2 shown]
	s_wait_loadcnt 0x11
	ds_store_b128 v47, v[42:45] offset:320
	s_wait_loadcnt 0xf
	ds_store_b128 v47, v[50:53] offset:336
	;; [unrolled: 2-line block ×9, first 2 shown]
	s_wait_loadcnt 0x0
	ds_store_b64 v47, v[82:83] offset:464
	s_cbranch_vccz .LBB18_7
; %bb.2:
	v_lshl_add_u32 v7, v46, 3, v41
                                        ; implicit-def: $vgpr45
                                        ; implicit-def: $vgpr42
	ds_load_b64 v[0:1], v7
	s_wait_dscnt 0x0
	v_cmp_ngt_f32_e64 s0, |v0|, |v1|
	s_and_saveexec_b32 s1, s0
	s_delay_alu instid0(SALU_CYCLE_1)
	s_xor_b32 s0, exec_lo, s1
	s_cbranch_execz .LBB18_4
; %bb.3:
	v_div_scale_f32 v9, null, v1, v1, v0
	v_div_scale_f32 v15, vcc_lo, v0, v1, v0
	s_delay_alu instid0(VALU_DEP_2) | instskip(SKIP_1) | instid1(TRANS32_DEP_1)
	v_rcp_f32_e32 v11, v9
	v_nop
	v_fma_f32 v13, -v9, v11, 1.0
	s_delay_alu instid0(VALU_DEP_1) | instskip(NEXT) | instid1(VALU_DEP_1)
	v_fmac_f32_e32 v11, v13, v11
	v_mul_f32_e32 v13, v15, v11
	s_delay_alu instid0(VALU_DEP_1) | instskip(NEXT) | instid1(VALU_DEP_1)
	v_fma_f32 v17, -v9, v13, v15
	v_fmac_f32_e32 v13, v17, v11
	s_delay_alu instid0(VALU_DEP_1) | instskip(NEXT) | instid1(VALU_DEP_1)
	v_fma_f32 v9, -v9, v13, v15
	v_div_fmas_f32 v9, v9, v11, v13
	s_delay_alu instid0(VALU_DEP_1) | instskip(NEXT) | instid1(VALU_DEP_1)
	v_div_fixup_f32 v9, v9, v1, v0
	v_fmac_f32_e32 v1, v0, v9
	s_delay_alu instid0(VALU_DEP_1) | instskip(NEXT) | instid1(VALU_DEP_1)
	v_div_scale_f32 v0, null, v1, v1, -1.0
	v_rcp_f32_e32 v11, v0
	v_nop
	s_delay_alu instid0(TRANS32_DEP_1) | instskip(NEXT) | instid1(VALU_DEP_1)
	v_fma_f32 v13, -v0, v11, 1.0
	v_fmac_f32_e32 v11, v13, v11
	v_div_scale_f32 v13, vcc_lo, -1.0, v1, -1.0
	s_delay_alu instid0(VALU_DEP_1) | instskip(NEXT) | instid1(VALU_DEP_1)
	v_mul_f32_e32 v15, v13, v11
	v_fma_f32 v17, -v0, v15, v13
	s_delay_alu instid0(VALU_DEP_1) | instskip(NEXT) | instid1(VALU_DEP_1)
	v_fmac_f32_e32 v15, v17, v11
	v_fma_f32 v0, -v0, v15, v13
	s_delay_alu instid0(VALU_DEP_1) | instskip(NEXT) | instid1(VALU_DEP_1)
	v_div_fmas_f32 v0, v0, v11, v15
	v_div_fixup_f32 v45, v0, v1, -1.0
                                        ; implicit-def: $vgpr0_vgpr1
	s_delay_alu instid0(VALU_DEP_1) | instskip(NEXT) | instid1(VALU_DEP_1)
	v_mul_f32_e32 v42, v9, v45
	v_xor_b32_e32 v44, 0x80000000, v42
.LBB18_4:
	s_and_not1_saveexec_b32 s0, s0
	s_cbranch_execz .LBB18_6
; %bb.5:
	v_div_scale_f32 v9, null, v0, v0, v1
	v_div_scale_f32 v15, vcc_lo, v1, v0, v1
	s_delay_alu instid0(VALU_DEP_2) | instskip(SKIP_1) | instid1(TRANS32_DEP_1)
	v_rcp_f32_e32 v11, v9
	v_nop
	v_fma_f32 v13, -v9, v11, 1.0
	s_delay_alu instid0(VALU_DEP_1) | instskip(NEXT) | instid1(VALU_DEP_1)
	v_fmac_f32_e32 v11, v13, v11
	v_mul_f32_e32 v13, v15, v11
	s_delay_alu instid0(VALU_DEP_1) | instskip(NEXT) | instid1(VALU_DEP_1)
	v_fma_f32 v17, -v9, v13, v15
	v_fmac_f32_e32 v13, v17, v11
	s_delay_alu instid0(VALU_DEP_1) | instskip(NEXT) | instid1(VALU_DEP_1)
	v_fma_f32 v9, -v9, v13, v15
	v_div_fmas_f32 v9, v9, v11, v13
	s_delay_alu instid0(VALU_DEP_1) | instskip(NEXT) | instid1(VALU_DEP_1)
	v_div_fixup_f32 v9, v9, v0, v1
	v_fmac_f32_e32 v0, v1, v9
	s_delay_alu instid0(VALU_DEP_1) | instskip(SKIP_1) | instid1(VALU_DEP_2)
	v_div_scale_f32 v1, null, v0, v0, 1.0
	v_div_scale_f32 v15, vcc_lo, 1.0, v0, 1.0
	v_rcp_f32_e32 v11, v1
	v_nop
	s_delay_alu instid0(TRANS32_DEP_1) | instskip(NEXT) | instid1(VALU_DEP_1)
	v_fma_f32 v13, -v1, v11, 1.0
	v_fmac_f32_e32 v11, v13, v11
	s_delay_alu instid0(VALU_DEP_1) | instskip(NEXT) | instid1(VALU_DEP_1)
	v_mul_f32_e32 v13, v15, v11
	v_fma_f32 v17, -v1, v13, v15
	s_delay_alu instid0(VALU_DEP_1) | instskip(NEXT) | instid1(VALU_DEP_1)
	v_fmac_f32_e32 v13, v17, v11
	v_fma_f32 v1, -v1, v13, v15
	s_delay_alu instid0(VALU_DEP_1) | instskip(NEXT) | instid1(VALU_DEP_1)
	v_div_fmas_f32 v1, v1, v11, v13
	v_div_fixup_f32 v44, v1, v0, 1.0
	s_delay_alu instid0(VALU_DEP_1)
	v_xor_b32_e32 v42, 0x80000000, v44
	v_mul_f32_e64 v45, v9, -v44
.LBB18_6:
	s_or_b32 exec_lo, exec_lo, s0
	s_delay_alu instid0(VALU_DEP_1)
	v_xor_b32_e32 v43, 0x80000000, v45
	s_mov_b32 s0, 0
	ds_store_b64 v7, v[44:45]
	ds_store_b64 v40, v[42:43]
.LBB18_7:
	s_and_b32 vcc_lo, exec_lo, s0
	s_cbranch_vccz .LBB18_9
; %bb.8:
	s_mov_b64 s[0:1], 0xbf800000
	s_delay_alu instid0(SALU_CYCLE_1)
	v_mov_b64_e32 v[0:1], s[0:1]
	ds_store_b64 v40, v[0:1]
.LBB18_9:
	v_dual_ashrrev_i32 v7, 31, v6 :: v_dual_ashrrev_i32 v9, 31, v8
	v_dual_ashrrev_i32 v11, 31, v10 :: v_dual_ashrrev_i32 v13, 31, v12
	;; [unrolled: 1-line block ×8, first 2 shown]
	v_dual_ashrrev_i32 v39, 31, v38 :: v_dual_add_nc_u32 v43, v41, v40
	v_add_nc_u32_e32 v42, 0xa0, v40
	s_cmp_eq_u32 s4, 0x79
	s_cbranch_scc1 .LBB18_13
; %bb.10:
	ds_load_b64 v[0:1], v41 offset:136
	v_cmp_eq_u32_e64 s0, 18, v46
	s_wait_dscnt 0x0
	ds_store_b64 v42, v[0:1]
	s_wait_dscnt 0x0
	s_barrier_signal -1
	s_barrier_wait -1
	s_and_saveexec_b32 s1, s0
	s_cbranch_execz .LBB18_17
; %bb.11:
	s_and_b32 vcc_lo, exec_lo, s5
	s_cbranch_vccz .LBB18_14
; %bb.12:
	ds_load_b64 v[0:1], v43
	ds_load_b64 v[44:45], v42
	s_wait_dscnt 0x0
	v_pk_mul_f32 v[50:51], v[44:45], v[0:1] op_sel:[1,1] op_sel_hi:[0,1]
	v_pk_mul_f32 v[52:53], v[44:45], v[0:1] op_sel_hi:[1,0]
	s_delay_alu instid0(VALU_DEP_2) | instskip(NEXT) | instid1(VALU_DEP_2)
	v_pk_fma_f32 v[0:1], v[44:45], v[0:1], v[50:51] op_sel_hi:[1,0,1]
	v_sub_f32_e32 v0, v52, v50
	s_cbranch_execz .LBB18_15
	s_branch .LBB18_16
.LBB18_13:
	s_mov_b32 s1, 0
                                        ; implicit-def: $vgpr45
                                        ; implicit-def: $vgpr49
	s_cbranch_execnz .LBB18_186
	s_branch .LBB18_361
.LBB18_14:
                                        ; implicit-def: $vgpr1
.LBB18_15:
	ds_load_b64 v[0:1], v42
.LBB18_16:
	s_wait_dscnt 0x0
	v_dual_mov_b32 v44, 0 :: v_dual_mov_b32 v50, v1
	v_mov_b32_e32 v51, v0
	ds_load_b64 v[44:45], v44 offset:136
	s_wait_dscnt 0x0
	v_pk_mul_f32 v[50:51], v[50:51], v[44:45] op_sel:[0,1]
	s_delay_alu instid0(VALU_DEP_1) | instskip(SKIP_1) | instid1(VALU_DEP_2)
	v_pk_fma_f32 v[52:53], v[0:1], v[44:45], v[50:51] op_sel_hi:[1,0,1]
	v_pk_fma_f32 v[0:1], v[0:1], v[44:45], v[50:51] neg_lo:[0,0,1] neg_hi:[0,0,1]
	v_mov_b32_e32 v1, v53
	ds_store_b64 v41, v[0:1] offset:136
.LBB18_17:
	s_or_b32 exec_lo, exec_lo, s1
	ds_load_b64 v[0:1], v41 offset:128
	v_cmp_lt_u32_e64 s1, 16, v46
	s_wait_dscnt 0x0
	ds_store_b64 v42, v[0:1]
	s_wait_dscnt 0x0
	s_barrier_signal -1
	s_barrier_wait -1
	s_and_saveexec_b32 s4, s1
	s_cbranch_execz .LBB18_25
; %bb.18:
	s_and_not1_b32 vcc_lo, exec_lo, s5
	s_cbranch_vccnz .LBB18_20
; %bb.19:
	ds_load_b64 v[0:1], v43
	ds_load_b64 v[44:45], v42
	s_wait_dscnt 0x0
	v_pk_mul_f32 v[50:51], v[44:45], v[0:1] op_sel:[1,1] op_sel_hi:[0,1]
	s_delay_alu instid0(VALU_DEP_1) | instskip(SKIP_1) | instid1(VALU_DEP_2)
	v_pk_fma_f32 v[52:53], v[44:45], v[0:1], v[50:51] op_sel_hi:[1,0,1]
	v_pk_fma_f32 v[0:1], v[44:45], v[0:1], v[50:51] neg_lo:[0,0,1] neg_hi:[0,0,1]
	v_mov_b32_e32 v1, v53
	s_cbranch_execz .LBB18_21
	s_branch .LBB18_22
.LBB18_20:
                                        ; implicit-def: $vgpr0_vgpr1
.LBB18_21:
	ds_load_b64 v[0:1], v42
.LBB18_22:
	s_and_saveexec_b32 s6, s0
	s_cbranch_execz .LBB18_24
; %bb.23:
	v_mov_b32_e32 v49, 0
	ds_load_b64 v[44:45], v41 offset:136
	ds_load_b64 v[50:51], v49 offset:296
	s_wait_dscnt 0x0
	v_pk_mul_f32 v[52:53], v[50:51], v[44:45] op_sel:[1,1] op_sel_hi:[0,1]
	s_delay_alu instid0(VALU_DEP_1) | instskip(SKIP_1) | instid1(VALU_DEP_2)
	v_pk_fma_f32 v[54:55], v[50:51], v[44:45], v[52:53] op_sel_hi:[1,0,1]
	v_pk_fma_f32 v[44:45], v[50:51], v[44:45], v[52:53] neg_lo:[0,0,1] neg_hi:[0,0,1]
	v_mov_b32_e32 v45, v55
	s_delay_alu instid0(VALU_DEP_1)
	v_pk_add_f32 v[0:1], v[0:1], v[44:45]
.LBB18_24:
	s_or_b32 exec_lo, exec_lo, s6
	v_mov_b32_e32 v44, 0
	ds_load_b64 v[44:45], v44 offset:128
	s_wait_dscnt 0x0
	v_pk_mul_f32 v[50:51], v[0:1], v[44:45] op_sel:[1,1] op_sel_hi:[0,1]
	s_delay_alu instid0(VALU_DEP_1) | instskip(SKIP_1) | instid1(VALU_DEP_2)
	v_pk_fma_f32 v[52:53], v[0:1], v[44:45], v[50:51] op_sel_hi:[1,0,1]
	v_pk_fma_f32 v[0:1], v[0:1], v[44:45], v[50:51] neg_lo:[0,0,1] neg_hi:[0,0,1]
	v_mov_b32_e32 v1, v53
	ds_store_b64 v41, v[0:1] offset:128
.LBB18_25:
	s_or_b32 exec_lo, exec_lo, s4
	ds_load_b64 v[0:1], v41 offset:120
	v_cmp_lt_u32_e64 s0, 15, v46
	s_wait_dscnt 0x0
	ds_store_b64 v42, v[0:1]
	s_wait_dscnt 0x0
	s_barrier_signal -1
	s_barrier_wait -1
	s_and_saveexec_b32 s4, s0
	s_cbranch_execz .LBB18_35
; %bb.26:
	s_and_not1_b32 vcc_lo, exec_lo, s5
	s_cbranch_vccnz .LBB18_28
; %bb.27:
	ds_load_b64 v[0:1], v43
	ds_load_b64 v[44:45], v42
	s_wait_dscnt 0x0
	v_pk_mul_f32 v[50:51], v[44:45], v[0:1] op_sel:[1,1] op_sel_hi:[0,1]
	s_delay_alu instid0(VALU_DEP_1) | instskip(SKIP_1) | instid1(VALU_DEP_2)
	v_pk_fma_f32 v[52:53], v[44:45], v[0:1], v[50:51] op_sel_hi:[1,0,1]
	v_pk_fma_f32 v[0:1], v[44:45], v[0:1], v[50:51] neg_lo:[0,0,1] neg_hi:[0,0,1]
	v_mov_b32_e32 v1, v53
	s_cbranch_execz .LBB18_29
	s_branch .LBB18_30
.LBB18_28:
                                        ; implicit-def: $vgpr0_vgpr1
.LBB18_29:
	ds_load_b64 v[0:1], v42
.LBB18_30:
	s_and_saveexec_b32 s6, s1
	s_cbranch_execz .LBB18_34
; %bb.31:
	s_movk_i32 s1, 0x98
	v_add_nc_u32_e32 v45, -16, v46
	v_mad_u32 v44, v48, s1, 0x1c0
	s_movk_i32 s7, 0x120
	s_mov_b32 s1, 0
.LBB18_32:                              ; =>This Inner Loop Header: Depth=1
	s_delay_alu instid0(VALU_DEP_2)
	v_dual_mov_b32 v49, s7 :: v_dual_add_nc_u32 v45, -1, v45
	s_add_co_i32 s7, s7, 8
	ds_load_b64 v[50:51], v44
	ds_load_b64 v[52:53], v49
	v_add_nc_u32_e32 v44, 8, v44
	v_cmp_eq_u32_e32 vcc_lo, 0, v45
	s_or_b32 s1, vcc_lo, s1
	s_wait_dscnt 0x0
	v_pk_mul_f32 v[54:55], v[52:53], v[50:51] op_sel:[1,1] op_sel_hi:[0,1]
	s_delay_alu instid0(VALU_DEP_1) | instskip(SKIP_1) | instid1(VALU_DEP_2)
	v_pk_fma_f32 v[56:57], v[52:53], v[50:51], v[54:55] op_sel_hi:[1,0,1]
	v_pk_fma_f32 v[50:51], v[52:53], v[50:51], v[54:55] neg_lo:[0,0,1] neg_hi:[0,0,1]
	v_mov_b32_e32 v51, v57
	s_delay_alu instid0(VALU_DEP_1)
	v_pk_add_f32 v[0:1], v[0:1], v[50:51]
	s_and_not1_b32 exec_lo, exec_lo, s1
	s_cbranch_execnz .LBB18_32
; %bb.33:
	s_or_b32 exec_lo, exec_lo, s1
.LBB18_34:
	s_delay_alu instid0(SALU_CYCLE_1) | instskip(SKIP_4) | instid1(VALU_DEP_1)
	s_or_b32 exec_lo, exec_lo, s6
	v_mov_b32_e32 v44, 0
	ds_load_b64 v[44:45], v44 offset:120
	s_wait_dscnt 0x0
	v_pk_mul_f32 v[50:51], v[0:1], v[44:45] op_sel:[1,1] op_sel_hi:[0,1]
	v_pk_fma_f32 v[52:53], v[0:1], v[44:45], v[50:51] op_sel_hi:[1,0,1]
	v_pk_fma_f32 v[0:1], v[0:1], v[44:45], v[50:51] neg_lo:[0,0,1] neg_hi:[0,0,1]
	s_delay_alu instid0(VALU_DEP_2)
	v_mov_b32_e32 v1, v53
	ds_store_b64 v41, v[0:1] offset:120
.LBB18_35:
	s_or_b32 exec_lo, exec_lo, s4
	ds_load_b64 v[0:1], v41 offset:112
	v_cmp_lt_u32_e64 s1, 14, v46
	s_wait_dscnt 0x0
	ds_store_b64 v42, v[0:1]
	s_wait_dscnt 0x0
	s_barrier_signal -1
	s_barrier_wait -1
	s_and_saveexec_b32 s4, s1
	s_cbranch_execz .LBB18_45
; %bb.36:
	s_and_not1_b32 vcc_lo, exec_lo, s5
	s_cbranch_vccnz .LBB18_38
; %bb.37:
	ds_load_b64 v[0:1], v43
	ds_load_b64 v[44:45], v42
	s_wait_dscnt 0x0
	v_pk_mul_f32 v[50:51], v[44:45], v[0:1] op_sel:[1,1] op_sel_hi:[0,1]
	s_delay_alu instid0(VALU_DEP_1) | instskip(SKIP_1) | instid1(VALU_DEP_2)
	v_pk_fma_f32 v[52:53], v[44:45], v[0:1], v[50:51] op_sel_hi:[1,0,1]
	v_pk_fma_f32 v[0:1], v[44:45], v[0:1], v[50:51] neg_lo:[0,0,1] neg_hi:[0,0,1]
	v_mov_b32_e32 v1, v53
	s_cbranch_execz .LBB18_39
	s_branch .LBB18_40
.LBB18_38:
                                        ; implicit-def: $vgpr0_vgpr1
.LBB18_39:
	ds_load_b64 v[0:1], v42
.LBB18_40:
	s_and_saveexec_b32 s6, s0
	s_cbranch_execz .LBB18_44
; %bb.41:
	s_movk_i32 s0, 0x98
	v_add_nc_u32_e32 v45, -15, v46
	v_mad_u32 v44, v48, s0, 0x1b8
	s_movk_i32 s7, 0x118
	s_mov_b32 s0, 0
.LBB18_42:                              ; =>This Inner Loop Header: Depth=1
	s_delay_alu instid0(VALU_DEP_2)
	v_dual_mov_b32 v49, s7 :: v_dual_add_nc_u32 v45, -1, v45
	s_add_co_i32 s7, s7, 8
	ds_load_b64 v[50:51], v44
	ds_load_b64 v[52:53], v49
	v_add_nc_u32_e32 v44, 8, v44
	v_cmp_eq_u32_e32 vcc_lo, 0, v45
	s_or_b32 s0, vcc_lo, s0
	s_wait_dscnt 0x0
	v_pk_mul_f32 v[54:55], v[52:53], v[50:51] op_sel:[1,1] op_sel_hi:[0,1]
	s_delay_alu instid0(VALU_DEP_1) | instskip(SKIP_1) | instid1(VALU_DEP_2)
	v_pk_fma_f32 v[56:57], v[52:53], v[50:51], v[54:55] op_sel_hi:[1,0,1]
	v_pk_fma_f32 v[50:51], v[52:53], v[50:51], v[54:55] neg_lo:[0,0,1] neg_hi:[0,0,1]
	v_mov_b32_e32 v51, v57
	s_delay_alu instid0(VALU_DEP_1)
	v_pk_add_f32 v[0:1], v[0:1], v[50:51]
	s_and_not1_b32 exec_lo, exec_lo, s0
	s_cbranch_execnz .LBB18_42
; %bb.43:
	s_or_b32 exec_lo, exec_lo, s0
.LBB18_44:
	s_delay_alu instid0(SALU_CYCLE_1) | instskip(SKIP_4) | instid1(VALU_DEP_1)
	s_or_b32 exec_lo, exec_lo, s6
	v_mov_b32_e32 v44, 0
	ds_load_b64 v[44:45], v44 offset:112
	s_wait_dscnt 0x0
	v_pk_mul_f32 v[50:51], v[0:1], v[44:45] op_sel:[1,1] op_sel_hi:[0,1]
	v_pk_fma_f32 v[52:53], v[0:1], v[44:45], v[50:51] op_sel_hi:[1,0,1]
	v_pk_fma_f32 v[0:1], v[0:1], v[44:45], v[50:51] neg_lo:[0,0,1] neg_hi:[0,0,1]
	s_delay_alu instid0(VALU_DEP_2)
	v_mov_b32_e32 v1, v53
	ds_store_b64 v41, v[0:1] offset:112
.LBB18_45:
	s_or_b32 exec_lo, exec_lo, s4
	ds_load_b64 v[0:1], v41 offset:104
	v_cmp_lt_u32_e64 s0, 13, v46
	s_wait_dscnt 0x0
	ds_store_b64 v42, v[0:1]
	s_wait_dscnt 0x0
	s_barrier_signal -1
	s_barrier_wait -1
	s_and_saveexec_b32 s4, s0
	s_cbranch_execz .LBB18_55
; %bb.46:
	s_and_not1_b32 vcc_lo, exec_lo, s5
	s_cbranch_vccnz .LBB18_48
; %bb.47:
	ds_load_b64 v[0:1], v43
	ds_load_b64 v[44:45], v42
	s_wait_dscnt 0x0
	v_pk_mul_f32 v[50:51], v[44:45], v[0:1] op_sel:[1,1] op_sel_hi:[0,1]
	s_delay_alu instid0(VALU_DEP_1) | instskip(SKIP_1) | instid1(VALU_DEP_2)
	v_pk_fma_f32 v[52:53], v[44:45], v[0:1], v[50:51] op_sel_hi:[1,0,1]
	v_pk_fma_f32 v[0:1], v[44:45], v[0:1], v[50:51] neg_lo:[0,0,1] neg_hi:[0,0,1]
	v_mov_b32_e32 v1, v53
	s_cbranch_execz .LBB18_49
	s_branch .LBB18_50
.LBB18_48:
                                        ; implicit-def: $vgpr0_vgpr1
.LBB18_49:
	ds_load_b64 v[0:1], v42
.LBB18_50:
	s_and_saveexec_b32 s6, s1
	s_cbranch_execz .LBB18_54
; %bb.51:
	s_movk_i32 s1, 0x98
	v_add_nc_u32_e32 v45, -14, v46
	v_mad_u32 v44, v48, s1, 0x1b0
	s_movk_i32 s7, 0x110
	s_mov_b32 s1, 0
.LBB18_52:                              ; =>This Inner Loop Header: Depth=1
	s_delay_alu instid0(VALU_DEP_2)
	v_dual_mov_b32 v49, s7 :: v_dual_add_nc_u32 v45, -1, v45
	s_add_co_i32 s7, s7, 8
	ds_load_b64 v[50:51], v44
	ds_load_b64 v[52:53], v49
	v_add_nc_u32_e32 v44, 8, v44
	v_cmp_eq_u32_e32 vcc_lo, 0, v45
	s_or_b32 s1, vcc_lo, s1
	s_wait_dscnt 0x0
	v_pk_mul_f32 v[54:55], v[52:53], v[50:51] op_sel:[1,1] op_sel_hi:[0,1]
	s_delay_alu instid0(VALU_DEP_1) | instskip(SKIP_1) | instid1(VALU_DEP_2)
	v_pk_fma_f32 v[56:57], v[52:53], v[50:51], v[54:55] op_sel_hi:[1,0,1]
	v_pk_fma_f32 v[50:51], v[52:53], v[50:51], v[54:55] neg_lo:[0,0,1] neg_hi:[0,0,1]
	v_mov_b32_e32 v51, v57
	s_delay_alu instid0(VALU_DEP_1)
	v_pk_add_f32 v[0:1], v[0:1], v[50:51]
	s_and_not1_b32 exec_lo, exec_lo, s1
	s_cbranch_execnz .LBB18_52
; %bb.53:
	s_or_b32 exec_lo, exec_lo, s1
.LBB18_54:
	s_delay_alu instid0(SALU_CYCLE_1) | instskip(SKIP_4) | instid1(VALU_DEP_1)
	s_or_b32 exec_lo, exec_lo, s6
	v_mov_b32_e32 v44, 0
	ds_load_b64 v[44:45], v44 offset:104
	s_wait_dscnt 0x0
	v_pk_mul_f32 v[50:51], v[0:1], v[44:45] op_sel:[1,1] op_sel_hi:[0,1]
	v_pk_fma_f32 v[52:53], v[0:1], v[44:45], v[50:51] op_sel_hi:[1,0,1]
	v_pk_fma_f32 v[0:1], v[0:1], v[44:45], v[50:51] neg_lo:[0,0,1] neg_hi:[0,0,1]
	s_delay_alu instid0(VALU_DEP_2)
	v_mov_b32_e32 v1, v53
	ds_store_b64 v41, v[0:1] offset:104
.LBB18_55:
	s_or_b32 exec_lo, exec_lo, s4
	ds_load_b64 v[0:1], v41 offset:96
	v_cmp_lt_u32_e64 s1, 12, v46
	s_wait_dscnt 0x0
	ds_store_b64 v42, v[0:1]
	s_wait_dscnt 0x0
	s_barrier_signal -1
	s_barrier_wait -1
	s_and_saveexec_b32 s4, s1
	s_cbranch_execz .LBB18_65
; %bb.56:
	s_and_not1_b32 vcc_lo, exec_lo, s5
	s_cbranch_vccnz .LBB18_58
; %bb.57:
	ds_load_b64 v[0:1], v43
	ds_load_b64 v[44:45], v42
	s_wait_dscnt 0x0
	v_pk_mul_f32 v[50:51], v[44:45], v[0:1] op_sel:[1,1] op_sel_hi:[0,1]
	s_delay_alu instid0(VALU_DEP_1) | instskip(SKIP_1) | instid1(VALU_DEP_2)
	v_pk_fma_f32 v[52:53], v[44:45], v[0:1], v[50:51] op_sel_hi:[1,0,1]
	v_pk_fma_f32 v[0:1], v[44:45], v[0:1], v[50:51] neg_lo:[0,0,1] neg_hi:[0,0,1]
	v_mov_b32_e32 v1, v53
	s_cbranch_execz .LBB18_59
	s_branch .LBB18_60
.LBB18_58:
                                        ; implicit-def: $vgpr0_vgpr1
.LBB18_59:
	ds_load_b64 v[0:1], v42
.LBB18_60:
	s_and_saveexec_b32 s6, s0
	s_cbranch_execz .LBB18_64
; %bb.61:
	s_movk_i32 s0, 0x98
	v_add_nc_u32_e32 v45, -13, v46
	v_mad_u32 v44, v48, s0, 0x1a8
	s_movk_i32 s7, 0x108
	s_mov_b32 s0, 0
.LBB18_62:                              ; =>This Inner Loop Header: Depth=1
	s_delay_alu instid0(VALU_DEP_2)
	v_dual_mov_b32 v49, s7 :: v_dual_add_nc_u32 v45, -1, v45
	s_add_co_i32 s7, s7, 8
	ds_load_b64 v[50:51], v44
	ds_load_b64 v[52:53], v49
	v_add_nc_u32_e32 v44, 8, v44
	v_cmp_eq_u32_e32 vcc_lo, 0, v45
	s_or_b32 s0, vcc_lo, s0
	s_wait_dscnt 0x0
	v_pk_mul_f32 v[54:55], v[52:53], v[50:51] op_sel:[1,1] op_sel_hi:[0,1]
	s_delay_alu instid0(VALU_DEP_1) | instskip(SKIP_1) | instid1(VALU_DEP_2)
	v_pk_fma_f32 v[56:57], v[52:53], v[50:51], v[54:55] op_sel_hi:[1,0,1]
	v_pk_fma_f32 v[50:51], v[52:53], v[50:51], v[54:55] neg_lo:[0,0,1] neg_hi:[0,0,1]
	v_mov_b32_e32 v51, v57
	s_delay_alu instid0(VALU_DEP_1)
	v_pk_add_f32 v[0:1], v[0:1], v[50:51]
	s_and_not1_b32 exec_lo, exec_lo, s0
	s_cbranch_execnz .LBB18_62
; %bb.63:
	s_or_b32 exec_lo, exec_lo, s0
.LBB18_64:
	s_delay_alu instid0(SALU_CYCLE_1) | instskip(SKIP_4) | instid1(VALU_DEP_1)
	s_or_b32 exec_lo, exec_lo, s6
	v_mov_b32_e32 v44, 0
	ds_load_b64 v[44:45], v44 offset:96
	s_wait_dscnt 0x0
	v_pk_mul_f32 v[50:51], v[0:1], v[44:45] op_sel:[1,1] op_sel_hi:[0,1]
	v_pk_fma_f32 v[52:53], v[0:1], v[44:45], v[50:51] op_sel_hi:[1,0,1]
	v_pk_fma_f32 v[0:1], v[0:1], v[44:45], v[50:51] neg_lo:[0,0,1] neg_hi:[0,0,1]
	s_delay_alu instid0(VALU_DEP_2)
	v_mov_b32_e32 v1, v53
	ds_store_b64 v41, v[0:1] offset:96
.LBB18_65:
	s_or_b32 exec_lo, exec_lo, s4
	ds_load_b64 v[0:1], v41 offset:88
	v_cmp_lt_u32_e64 s0, 11, v46
	s_wait_dscnt 0x0
	ds_store_b64 v42, v[0:1]
	s_wait_dscnt 0x0
	s_barrier_signal -1
	s_barrier_wait -1
	s_and_saveexec_b32 s4, s0
	s_cbranch_execz .LBB18_75
; %bb.66:
	s_and_not1_b32 vcc_lo, exec_lo, s5
	s_cbranch_vccnz .LBB18_68
; %bb.67:
	ds_load_b64 v[0:1], v43
	ds_load_b64 v[44:45], v42
	s_wait_dscnt 0x0
	v_pk_mul_f32 v[50:51], v[44:45], v[0:1] op_sel:[1,1] op_sel_hi:[0,1]
	s_delay_alu instid0(VALU_DEP_1) | instskip(SKIP_1) | instid1(VALU_DEP_2)
	v_pk_fma_f32 v[52:53], v[44:45], v[0:1], v[50:51] op_sel_hi:[1,0,1]
	v_pk_fma_f32 v[0:1], v[44:45], v[0:1], v[50:51] neg_lo:[0,0,1] neg_hi:[0,0,1]
	v_mov_b32_e32 v1, v53
	s_cbranch_execz .LBB18_69
	s_branch .LBB18_70
.LBB18_68:
                                        ; implicit-def: $vgpr0_vgpr1
.LBB18_69:
	ds_load_b64 v[0:1], v42
.LBB18_70:
	s_and_saveexec_b32 s6, s1
	s_cbranch_execz .LBB18_74
; %bb.71:
	s_movk_i32 s1, 0x98
	v_add_nc_u32_e32 v45, -12, v46
	v_mad_u32 v44, v48, s1, 0x1a0
	s_movk_i32 s7, 0x100
	s_mov_b32 s1, 0
.LBB18_72:                              ; =>This Inner Loop Header: Depth=1
	s_delay_alu instid0(VALU_DEP_2)
	v_dual_mov_b32 v49, s7 :: v_dual_add_nc_u32 v45, -1, v45
	s_add_co_i32 s7, s7, 8
	ds_load_b64 v[50:51], v44
	ds_load_b64 v[52:53], v49
	v_add_nc_u32_e32 v44, 8, v44
	v_cmp_eq_u32_e32 vcc_lo, 0, v45
	s_or_b32 s1, vcc_lo, s1
	s_wait_dscnt 0x0
	v_pk_mul_f32 v[54:55], v[52:53], v[50:51] op_sel:[1,1] op_sel_hi:[0,1]
	s_delay_alu instid0(VALU_DEP_1) | instskip(SKIP_1) | instid1(VALU_DEP_2)
	v_pk_fma_f32 v[56:57], v[52:53], v[50:51], v[54:55] op_sel_hi:[1,0,1]
	v_pk_fma_f32 v[50:51], v[52:53], v[50:51], v[54:55] neg_lo:[0,0,1] neg_hi:[0,0,1]
	v_mov_b32_e32 v51, v57
	s_delay_alu instid0(VALU_DEP_1)
	v_pk_add_f32 v[0:1], v[0:1], v[50:51]
	s_and_not1_b32 exec_lo, exec_lo, s1
	s_cbranch_execnz .LBB18_72
; %bb.73:
	s_or_b32 exec_lo, exec_lo, s1
.LBB18_74:
	s_delay_alu instid0(SALU_CYCLE_1) | instskip(SKIP_4) | instid1(VALU_DEP_1)
	s_or_b32 exec_lo, exec_lo, s6
	v_mov_b32_e32 v44, 0
	ds_load_b64 v[44:45], v44 offset:88
	s_wait_dscnt 0x0
	v_pk_mul_f32 v[50:51], v[0:1], v[44:45] op_sel:[1,1] op_sel_hi:[0,1]
	v_pk_fma_f32 v[52:53], v[0:1], v[44:45], v[50:51] op_sel_hi:[1,0,1]
	v_pk_fma_f32 v[0:1], v[0:1], v[44:45], v[50:51] neg_lo:[0,0,1] neg_hi:[0,0,1]
	s_delay_alu instid0(VALU_DEP_2)
	v_mov_b32_e32 v1, v53
	ds_store_b64 v41, v[0:1] offset:88
.LBB18_75:
	s_or_b32 exec_lo, exec_lo, s4
	ds_load_b64 v[0:1], v41 offset:80
	v_cmp_lt_u32_e64 s1, 10, v46
	s_wait_dscnt 0x0
	ds_store_b64 v42, v[0:1]
	s_wait_dscnt 0x0
	s_barrier_signal -1
	s_barrier_wait -1
	s_and_saveexec_b32 s4, s1
	s_cbranch_execz .LBB18_85
; %bb.76:
	s_and_not1_b32 vcc_lo, exec_lo, s5
	s_cbranch_vccnz .LBB18_78
; %bb.77:
	ds_load_b64 v[0:1], v43
	ds_load_b64 v[44:45], v42
	s_wait_dscnt 0x0
	v_pk_mul_f32 v[50:51], v[44:45], v[0:1] op_sel:[1,1] op_sel_hi:[0,1]
	s_delay_alu instid0(VALU_DEP_1) | instskip(SKIP_1) | instid1(VALU_DEP_2)
	v_pk_fma_f32 v[52:53], v[44:45], v[0:1], v[50:51] op_sel_hi:[1,0,1]
	v_pk_fma_f32 v[0:1], v[44:45], v[0:1], v[50:51] neg_lo:[0,0,1] neg_hi:[0,0,1]
	v_mov_b32_e32 v1, v53
	s_cbranch_execz .LBB18_79
	s_branch .LBB18_80
.LBB18_78:
                                        ; implicit-def: $vgpr0_vgpr1
.LBB18_79:
	ds_load_b64 v[0:1], v42
.LBB18_80:
	s_and_saveexec_b32 s6, s0
	s_cbranch_execz .LBB18_84
; %bb.81:
	s_movk_i32 s0, 0x98
	v_add_nc_u32_e32 v45, -11, v46
	v_mad_u32 v44, v48, s0, 0x198
	s_movk_i32 s7, 0xf8
	s_mov_b32 s0, 0
.LBB18_82:                              ; =>This Inner Loop Header: Depth=1
	s_delay_alu instid0(VALU_DEP_2)
	v_dual_mov_b32 v49, s7 :: v_dual_add_nc_u32 v45, -1, v45
	s_add_co_i32 s7, s7, 8
	ds_load_b64 v[50:51], v44
	ds_load_b64 v[52:53], v49
	v_add_nc_u32_e32 v44, 8, v44
	v_cmp_eq_u32_e32 vcc_lo, 0, v45
	s_or_b32 s0, vcc_lo, s0
	s_wait_dscnt 0x0
	v_pk_mul_f32 v[54:55], v[52:53], v[50:51] op_sel:[1,1] op_sel_hi:[0,1]
	s_delay_alu instid0(VALU_DEP_1) | instskip(SKIP_1) | instid1(VALU_DEP_2)
	v_pk_fma_f32 v[56:57], v[52:53], v[50:51], v[54:55] op_sel_hi:[1,0,1]
	v_pk_fma_f32 v[50:51], v[52:53], v[50:51], v[54:55] neg_lo:[0,0,1] neg_hi:[0,0,1]
	v_mov_b32_e32 v51, v57
	s_delay_alu instid0(VALU_DEP_1)
	v_pk_add_f32 v[0:1], v[0:1], v[50:51]
	s_and_not1_b32 exec_lo, exec_lo, s0
	s_cbranch_execnz .LBB18_82
; %bb.83:
	s_or_b32 exec_lo, exec_lo, s0
.LBB18_84:
	s_delay_alu instid0(SALU_CYCLE_1) | instskip(SKIP_4) | instid1(VALU_DEP_1)
	s_or_b32 exec_lo, exec_lo, s6
	v_mov_b32_e32 v44, 0
	ds_load_b64 v[44:45], v44 offset:80
	s_wait_dscnt 0x0
	v_pk_mul_f32 v[50:51], v[0:1], v[44:45] op_sel:[1,1] op_sel_hi:[0,1]
	v_pk_fma_f32 v[52:53], v[0:1], v[44:45], v[50:51] op_sel_hi:[1,0,1]
	v_pk_fma_f32 v[0:1], v[0:1], v[44:45], v[50:51] neg_lo:[0,0,1] neg_hi:[0,0,1]
	s_delay_alu instid0(VALU_DEP_2)
	v_mov_b32_e32 v1, v53
	ds_store_b64 v41, v[0:1] offset:80
.LBB18_85:
	s_or_b32 exec_lo, exec_lo, s4
	ds_load_b64 v[0:1], v41 offset:72
	v_cmp_lt_u32_e64 s0, 9, v46
	s_wait_dscnt 0x0
	ds_store_b64 v42, v[0:1]
	s_wait_dscnt 0x0
	s_barrier_signal -1
	s_barrier_wait -1
	s_and_saveexec_b32 s4, s0
	s_cbranch_execz .LBB18_95
; %bb.86:
	s_and_not1_b32 vcc_lo, exec_lo, s5
	s_cbranch_vccnz .LBB18_88
; %bb.87:
	ds_load_b64 v[0:1], v43
	ds_load_b64 v[44:45], v42
	s_wait_dscnt 0x0
	v_pk_mul_f32 v[50:51], v[44:45], v[0:1] op_sel:[1,1] op_sel_hi:[0,1]
	s_delay_alu instid0(VALU_DEP_1) | instskip(SKIP_1) | instid1(VALU_DEP_2)
	v_pk_fma_f32 v[52:53], v[44:45], v[0:1], v[50:51] op_sel_hi:[1,0,1]
	v_pk_fma_f32 v[0:1], v[44:45], v[0:1], v[50:51] neg_lo:[0,0,1] neg_hi:[0,0,1]
	v_mov_b32_e32 v1, v53
	s_cbranch_execz .LBB18_89
	s_branch .LBB18_90
.LBB18_88:
                                        ; implicit-def: $vgpr0_vgpr1
.LBB18_89:
	ds_load_b64 v[0:1], v42
.LBB18_90:
	s_and_saveexec_b32 s6, s1
	s_cbranch_execz .LBB18_94
; %bb.91:
	s_movk_i32 s1, 0x98
	v_add_nc_u32_e32 v45, -10, v46
	v_mad_u32 v44, v48, s1, 0x190
	s_movk_i32 s7, 0xf0
	s_mov_b32 s1, 0
.LBB18_92:                              ; =>This Inner Loop Header: Depth=1
	s_delay_alu instid0(VALU_DEP_2)
	v_dual_mov_b32 v49, s7 :: v_dual_add_nc_u32 v45, -1, v45
	s_add_co_i32 s7, s7, 8
	ds_load_b64 v[50:51], v44
	ds_load_b64 v[52:53], v49
	v_add_nc_u32_e32 v44, 8, v44
	v_cmp_eq_u32_e32 vcc_lo, 0, v45
	s_or_b32 s1, vcc_lo, s1
	s_wait_dscnt 0x0
	v_pk_mul_f32 v[54:55], v[52:53], v[50:51] op_sel:[1,1] op_sel_hi:[0,1]
	s_delay_alu instid0(VALU_DEP_1) | instskip(SKIP_1) | instid1(VALU_DEP_2)
	v_pk_fma_f32 v[56:57], v[52:53], v[50:51], v[54:55] op_sel_hi:[1,0,1]
	v_pk_fma_f32 v[50:51], v[52:53], v[50:51], v[54:55] neg_lo:[0,0,1] neg_hi:[0,0,1]
	v_mov_b32_e32 v51, v57
	s_delay_alu instid0(VALU_DEP_1)
	v_pk_add_f32 v[0:1], v[0:1], v[50:51]
	s_and_not1_b32 exec_lo, exec_lo, s1
	s_cbranch_execnz .LBB18_92
; %bb.93:
	s_or_b32 exec_lo, exec_lo, s1
.LBB18_94:
	s_delay_alu instid0(SALU_CYCLE_1) | instskip(SKIP_4) | instid1(VALU_DEP_1)
	s_or_b32 exec_lo, exec_lo, s6
	v_mov_b32_e32 v44, 0
	ds_load_b64 v[44:45], v44 offset:72
	s_wait_dscnt 0x0
	v_pk_mul_f32 v[50:51], v[0:1], v[44:45] op_sel:[1,1] op_sel_hi:[0,1]
	v_pk_fma_f32 v[52:53], v[0:1], v[44:45], v[50:51] op_sel_hi:[1,0,1]
	v_pk_fma_f32 v[0:1], v[0:1], v[44:45], v[50:51] neg_lo:[0,0,1] neg_hi:[0,0,1]
	s_delay_alu instid0(VALU_DEP_2)
	v_mov_b32_e32 v1, v53
	ds_store_b64 v41, v[0:1] offset:72
.LBB18_95:
	s_or_b32 exec_lo, exec_lo, s4
	ds_load_b64 v[0:1], v41 offset:64
	v_cmp_lt_u32_e64 s1, 8, v46
	s_wait_dscnt 0x0
	ds_store_b64 v42, v[0:1]
	s_wait_dscnt 0x0
	s_barrier_signal -1
	s_barrier_wait -1
	s_and_saveexec_b32 s4, s1
	s_cbranch_execz .LBB18_105
; %bb.96:
	s_and_not1_b32 vcc_lo, exec_lo, s5
	s_cbranch_vccnz .LBB18_98
; %bb.97:
	ds_load_b64 v[0:1], v43
	ds_load_b64 v[44:45], v42
	s_wait_dscnt 0x0
	v_pk_mul_f32 v[50:51], v[44:45], v[0:1] op_sel:[1,1] op_sel_hi:[0,1]
	s_delay_alu instid0(VALU_DEP_1) | instskip(SKIP_1) | instid1(VALU_DEP_2)
	v_pk_fma_f32 v[52:53], v[44:45], v[0:1], v[50:51] op_sel_hi:[1,0,1]
	v_pk_fma_f32 v[0:1], v[44:45], v[0:1], v[50:51] neg_lo:[0,0,1] neg_hi:[0,0,1]
	v_mov_b32_e32 v1, v53
	s_cbranch_execz .LBB18_99
	s_branch .LBB18_100
.LBB18_98:
                                        ; implicit-def: $vgpr0_vgpr1
.LBB18_99:
	ds_load_b64 v[0:1], v42
.LBB18_100:
	s_and_saveexec_b32 s6, s0
	s_cbranch_execz .LBB18_104
; %bb.101:
	s_movk_i32 s0, 0x98
	v_add_nc_u32_e32 v45, -9, v46
	v_mad_u32 v44, v48, s0, 0x188
	s_movk_i32 s7, 0xe8
	s_mov_b32 s0, 0
.LBB18_102:                             ; =>This Inner Loop Header: Depth=1
	s_delay_alu instid0(VALU_DEP_2)
	v_dual_mov_b32 v49, s7 :: v_dual_add_nc_u32 v45, -1, v45
	s_add_co_i32 s7, s7, 8
	ds_load_b64 v[50:51], v44
	ds_load_b64 v[52:53], v49
	v_add_nc_u32_e32 v44, 8, v44
	v_cmp_eq_u32_e32 vcc_lo, 0, v45
	s_or_b32 s0, vcc_lo, s0
	s_wait_dscnt 0x0
	v_pk_mul_f32 v[54:55], v[52:53], v[50:51] op_sel:[1,1] op_sel_hi:[0,1]
	s_delay_alu instid0(VALU_DEP_1) | instskip(SKIP_1) | instid1(VALU_DEP_2)
	v_pk_fma_f32 v[56:57], v[52:53], v[50:51], v[54:55] op_sel_hi:[1,0,1]
	v_pk_fma_f32 v[50:51], v[52:53], v[50:51], v[54:55] neg_lo:[0,0,1] neg_hi:[0,0,1]
	v_mov_b32_e32 v51, v57
	s_delay_alu instid0(VALU_DEP_1)
	v_pk_add_f32 v[0:1], v[0:1], v[50:51]
	s_and_not1_b32 exec_lo, exec_lo, s0
	s_cbranch_execnz .LBB18_102
; %bb.103:
	s_or_b32 exec_lo, exec_lo, s0
.LBB18_104:
	s_delay_alu instid0(SALU_CYCLE_1) | instskip(SKIP_4) | instid1(VALU_DEP_1)
	s_or_b32 exec_lo, exec_lo, s6
	v_mov_b32_e32 v44, 0
	ds_load_b64 v[44:45], v44 offset:64
	s_wait_dscnt 0x0
	v_pk_mul_f32 v[50:51], v[0:1], v[44:45] op_sel:[1,1] op_sel_hi:[0,1]
	v_pk_fma_f32 v[52:53], v[0:1], v[44:45], v[50:51] op_sel_hi:[1,0,1]
	v_pk_fma_f32 v[0:1], v[0:1], v[44:45], v[50:51] neg_lo:[0,0,1] neg_hi:[0,0,1]
	s_delay_alu instid0(VALU_DEP_2)
	v_mov_b32_e32 v1, v53
	ds_store_b64 v41, v[0:1] offset:64
.LBB18_105:
	s_or_b32 exec_lo, exec_lo, s4
	ds_load_b64 v[0:1], v41 offset:56
	v_cmp_lt_u32_e64 s0, 7, v46
	s_wait_dscnt 0x0
	ds_store_b64 v42, v[0:1]
	s_wait_dscnt 0x0
	s_barrier_signal -1
	s_barrier_wait -1
	s_and_saveexec_b32 s4, s0
	s_cbranch_execz .LBB18_115
; %bb.106:
	s_and_not1_b32 vcc_lo, exec_lo, s5
	s_cbranch_vccnz .LBB18_108
; %bb.107:
	ds_load_b64 v[0:1], v43
	ds_load_b64 v[44:45], v42
	s_wait_dscnt 0x0
	v_pk_mul_f32 v[50:51], v[44:45], v[0:1] op_sel:[1,1] op_sel_hi:[0,1]
	s_delay_alu instid0(VALU_DEP_1) | instskip(SKIP_1) | instid1(VALU_DEP_2)
	v_pk_fma_f32 v[52:53], v[44:45], v[0:1], v[50:51] op_sel_hi:[1,0,1]
	v_pk_fma_f32 v[0:1], v[44:45], v[0:1], v[50:51] neg_lo:[0,0,1] neg_hi:[0,0,1]
	v_mov_b32_e32 v1, v53
	s_cbranch_execz .LBB18_109
	s_branch .LBB18_110
.LBB18_108:
                                        ; implicit-def: $vgpr0_vgpr1
.LBB18_109:
	ds_load_b64 v[0:1], v42
.LBB18_110:
	s_and_saveexec_b32 s6, s1
	s_cbranch_execz .LBB18_114
; %bb.111:
	s_movk_i32 s1, 0x98
	v_add_nc_u32_e32 v45, -8, v46
	v_mad_u32 v44, v48, s1, 0x180
	s_movk_i32 s7, 0xe0
	s_mov_b32 s1, 0
.LBB18_112:                             ; =>This Inner Loop Header: Depth=1
	s_delay_alu instid0(VALU_DEP_2)
	v_dual_mov_b32 v49, s7 :: v_dual_add_nc_u32 v45, -1, v45
	s_add_co_i32 s7, s7, 8
	ds_load_b64 v[50:51], v44
	ds_load_b64 v[52:53], v49
	v_add_nc_u32_e32 v44, 8, v44
	v_cmp_eq_u32_e32 vcc_lo, 0, v45
	s_or_b32 s1, vcc_lo, s1
	s_wait_dscnt 0x0
	v_pk_mul_f32 v[54:55], v[52:53], v[50:51] op_sel:[1,1] op_sel_hi:[0,1]
	s_delay_alu instid0(VALU_DEP_1) | instskip(SKIP_1) | instid1(VALU_DEP_2)
	v_pk_fma_f32 v[56:57], v[52:53], v[50:51], v[54:55] op_sel_hi:[1,0,1]
	v_pk_fma_f32 v[50:51], v[52:53], v[50:51], v[54:55] neg_lo:[0,0,1] neg_hi:[0,0,1]
	v_mov_b32_e32 v51, v57
	s_delay_alu instid0(VALU_DEP_1)
	v_pk_add_f32 v[0:1], v[0:1], v[50:51]
	s_and_not1_b32 exec_lo, exec_lo, s1
	s_cbranch_execnz .LBB18_112
; %bb.113:
	s_or_b32 exec_lo, exec_lo, s1
.LBB18_114:
	s_delay_alu instid0(SALU_CYCLE_1) | instskip(SKIP_4) | instid1(VALU_DEP_1)
	s_or_b32 exec_lo, exec_lo, s6
	v_mov_b32_e32 v44, 0
	ds_load_b64 v[44:45], v44 offset:56
	s_wait_dscnt 0x0
	v_pk_mul_f32 v[50:51], v[0:1], v[44:45] op_sel:[1,1] op_sel_hi:[0,1]
	v_pk_fma_f32 v[52:53], v[0:1], v[44:45], v[50:51] op_sel_hi:[1,0,1]
	v_pk_fma_f32 v[0:1], v[0:1], v[44:45], v[50:51] neg_lo:[0,0,1] neg_hi:[0,0,1]
	s_delay_alu instid0(VALU_DEP_2)
	v_mov_b32_e32 v1, v53
	ds_store_b64 v41, v[0:1] offset:56
.LBB18_115:
	s_or_b32 exec_lo, exec_lo, s4
	ds_load_b64 v[0:1], v41 offset:48
	v_cmp_lt_u32_e64 s1, 6, v46
	s_wait_dscnt 0x0
	ds_store_b64 v42, v[0:1]
	s_wait_dscnt 0x0
	s_barrier_signal -1
	s_barrier_wait -1
	s_and_saveexec_b32 s4, s1
	s_cbranch_execz .LBB18_125
; %bb.116:
	s_and_not1_b32 vcc_lo, exec_lo, s5
	s_cbranch_vccnz .LBB18_118
; %bb.117:
	ds_load_b64 v[0:1], v43
	ds_load_b64 v[44:45], v42
	s_wait_dscnt 0x0
	v_pk_mul_f32 v[50:51], v[44:45], v[0:1] op_sel:[1,1] op_sel_hi:[0,1]
	s_delay_alu instid0(VALU_DEP_1) | instskip(SKIP_1) | instid1(VALU_DEP_2)
	v_pk_fma_f32 v[52:53], v[44:45], v[0:1], v[50:51] op_sel_hi:[1,0,1]
	v_pk_fma_f32 v[0:1], v[44:45], v[0:1], v[50:51] neg_lo:[0,0,1] neg_hi:[0,0,1]
	v_mov_b32_e32 v1, v53
	s_cbranch_execz .LBB18_119
	s_branch .LBB18_120
.LBB18_118:
                                        ; implicit-def: $vgpr0_vgpr1
.LBB18_119:
	ds_load_b64 v[0:1], v42
.LBB18_120:
	s_and_saveexec_b32 s6, s0
	s_cbranch_execz .LBB18_124
; %bb.121:
	s_movk_i32 s0, 0x98
	v_add_nc_u32_e32 v45, -7, v46
	v_mad_u32 v44, v48, s0, 0x178
	s_movk_i32 s7, 0xd8
	s_mov_b32 s0, 0
.LBB18_122:                             ; =>This Inner Loop Header: Depth=1
	s_delay_alu instid0(VALU_DEP_2)
	v_dual_mov_b32 v49, s7 :: v_dual_add_nc_u32 v45, -1, v45
	s_add_co_i32 s7, s7, 8
	ds_load_b64 v[50:51], v44
	ds_load_b64 v[52:53], v49
	v_add_nc_u32_e32 v44, 8, v44
	v_cmp_eq_u32_e32 vcc_lo, 0, v45
	s_or_b32 s0, vcc_lo, s0
	s_wait_dscnt 0x0
	v_pk_mul_f32 v[54:55], v[52:53], v[50:51] op_sel:[1,1] op_sel_hi:[0,1]
	s_delay_alu instid0(VALU_DEP_1) | instskip(SKIP_1) | instid1(VALU_DEP_2)
	v_pk_fma_f32 v[56:57], v[52:53], v[50:51], v[54:55] op_sel_hi:[1,0,1]
	v_pk_fma_f32 v[50:51], v[52:53], v[50:51], v[54:55] neg_lo:[0,0,1] neg_hi:[0,0,1]
	v_mov_b32_e32 v51, v57
	s_delay_alu instid0(VALU_DEP_1)
	v_pk_add_f32 v[0:1], v[0:1], v[50:51]
	s_and_not1_b32 exec_lo, exec_lo, s0
	s_cbranch_execnz .LBB18_122
; %bb.123:
	s_or_b32 exec_lo, exec_lo, s0
.LBB18_124:
	s_delay_alu instid0(SALU_CYCLE_1) | instskip(SKIP_4) | instid1(VALU_DEP_1)
	s_or_b32 exec_lo, exec_lo, s6
	v_mov_b32_e32 v44, 0
	ds_load_b64 v[44:45], v44 offset:48
	s_wait_dscnt 0x0
	v_pk_mul_f32 v[50:51], v[0:1], v[44:45] op_sel:[1,1] op_sel_hi:[0,1]
	v_pk_fma_f32 v[52:53], v[0:1], v[44:45], v[50:51] op_sel_hi:[1,0,1]
	v_pk_fma_f32 v[0:1], v[0:1], v[44:45], v[50:51] neg_lo:[0,0,1] neg_hi:[0,0,1]
	s_delay_alu instid0(VALU_DEP_2)
	v_mov_b32_e32 v1, v53
	ds_store_b64 v41, v[0:1] offset:48
.LBB18_125:
	s_or_b32 exec_lo, exec_lo, s4
	ds_load_b64 v[0:1], v41 offset:40
	v_cmp_lt_u32_e64 s0, 5, v46
	s_wait_dscnt 0x0
	ds_store_b64 v42, v[0:1]
	s_wait_dscnt 0x0
	s_barrier_signal -1
	s_barrier_wait -1
	s_and_saveexec_b32 s4, s0
	s_cbranch_execz .LBB18_135
; %bb.126:
	s_and_not1_b32 vcc_lo, exec_lo, s5
	s_cbranch_vccnz .LBB18_128
; %bb.127:
	ds_load_b64 v[0:1], v43
	ds_load_b64 v[44:45], v42
	s_wait_dscnt 0x0
	v_pk_mul_f32 v[50:51], v[44:45], v[0:1] op_sel:[1,1] op_sel_hi:[0,1]
	s_delay_alu instid0(VALU_DEP_1) | instskip(SKIP_1) | instid1(VALU_DEP_2)
	v_pk_fma_f32 v[52:53], v[44:45], v[0:1], v[50:51] op_sel_hi:[1,0,1]
	v_pk_fma_f32 v[0:1], v[44:45], v[0:1], v[50:51] neg_lo:[0,0,1] neg_hi:[0,0,1]
	v_mov_b32_e32 v1, v53
	s_cbranch_execz .LBB18_129
	s_branch .LBB18_130
.LBB18_128:
                                        ; implicit-def: $vgpr0_vgpr1
.LBB18_129:
	ds_load_b64 v[0:1], v42
.LBB18_130:
	s_and_saveexec_b32 s6, s1
	s_cbranch_execz .LBB18_134
; %bb.131:
	s_movk_i32 s1, 0x98
	v_add_nc_u32_e32 v45, -6, v46
	v_mad_u32 v44, v48, s1, 0x170
	s_movk_i32 s7, 0xd0
	s_mov_b32 s1, 0
.LBB18_132:                             ; =>This Inner Loop Header: Depth=1
	s_delay_alu instid0(VALU_DEP_2)
	v_dual_mov_b32 v49, s7 :: v_dual_add_nc_u32 v45, -1, v45
	s_add_co_i32 s7, s7, 8
	ds_load_b64 v[50:51], v44
	ds_load_b64 v[52:53], v49
	v_add_nc_u32_e32 v44, 8, v44
	v_cmp_eq_u32_e32 vcc_lo, 0, v45
	s_or_b32 s1, vcc_lo, s1
	s_wait_dscnt 0x0
	v_pk_mul_f32 v[54:55], v[52:53], v[50:51] op_sel:[1,1] op_sel_hi:[0,1]
	s_delay_alu instid0(VALU_DEP_1) | instskip(SKIP_1) | instid1(VALU_DEP_2)
	v_pk_fma_f32 v[56:57], v[52:53], v[50:51], v[54:55] op_sel_hi:[1,0,1]
	v_pk_fma_f32 v[50:51], v[52:53], v[50:51], v[54:55] neg_lo:[0,0,1] neg_hi:[0,0,1]
	v_mov_b32_e32 v51, v57
	s_delay_alu instid0(VALU_DEP_1)
	v_pk_add_f32 v[0:1], v[0:1], v[50:51]
	s_and_not1_b32 exec_lo, exec_lo, s1
	s_cbranch_execnz .LBB18_132
; %bb.133:
	s_or_b32 exec_lo, exec_lo, s1
.LBB18_134:
	s_delay_alu instid0(SALU_CYCLE_1) | instskip(SKIP_4) | instid1(VALU_DEP_1)
	s_or_b32 exec_lo, exec_lo, s6
	v_mov_b32_e32 v44, 0
	ds_load_b64 v[44:45], v44 offset:40
	s_wait_dscnt 0x0
	v_pk_mul_f32 v[50:51], v[0:1], v[44:45] op_sel:[1,1] op_sel_hi:[0,1]
	v_pk_fma_f32 v[52:53], v[0:1], v[44:45], v[50:51] op_sel_hi:[1,0,1]
	v_pk_fma_f32 v[0:1], v[0:1], v[44:45], v[50:51] neg_lo:[0,0,1] neg_hi:[0,0,1]
	s_delay_alu instid0(VALU_DEP_2)
	v_mov_b32_e32 v1, v53
	ds_store_b64 v41, v[0:1] offset:40
.LBB18_135:
	s_or_b32 exec_lo, exec_lo, s4
	ds_load_b64 v[0:1], v41 offset:32
	v_cmp_lt_u32_e64 s1, 4, v46
	s_wait_dscnt 0x0
	ds_store_b64 v42, v[0:1]
	s_wait_dscnt 0x0
	s_barrier_signal -1
	s_barrier_wait -1
	s_and_saveexec_b32 s4, s1
	s_cbranch_execz .LBB18_145
; %bb.136:
	s_and_not1_b32 vcc_lo, exec_lo, s5
	s_cbranch_vccnz .LBB18_138
; %bb.137:
	ds_load_b64 v[0:1], v43
	ds_load_b64 v[44:45], v42
	s_wait_dscnt 0x0
	v_pk_mul_f32 v[50:51], v[44:45], v[0:1] op_sel:[1,1] op_sel_hi:[0,1]
	s_delay_alu instid0(VALU_DEP_1) | instskip(SKIP_1) | instid1(VALU_DEP_2)
	v_pk_fma_f32 v[52:53], v[44:45], v[0:1], v[50:51] op_sel_hi:[1,0,1]
	v_pk_fma_f32 v[0:1], v[44:45], v[0:1], v[50:51] neg_lo:[0,0,1] neg_hi:[0,0,1]
	v_mov_b32_e32 v1, v53
	s_cbranch_execz .LBB18_139
	s_branch .LBB18_140
.LBB18_138:
                                        ; implicit-def: $vgpr0_vgpr1
.LBB18_139:
	ds_load_b64 v[0:1], v42
.LBB18_140:
	s_and_saveexec_b32 s6, s0
	s_cbranch_execz .LBB18_144
; %bb.141:
	s_movk_i32 s0, 0x98
	v_add_nc_u32_e32 v45, -5, v46
	v_mad_u32 v44, v48, s0, 0x168
	s_movk_i32 s7, 0xc8
	s_mov_b32 s0, 0
.LBB18_142:                             ; =>This Inner Loop Header: Depth=1
	s_delay_alu instid0(VALU_DEP_2)
	v_dual_mov_b32 v49, s7 :: v_dual_add_nc_u32 v45, -1, v45
	s_add_co_i32 s7, s7, 8
	ds_load_b64 v[50:51], v44
	ds_load_b64 v[52:53], v49
	v_add_nc_u32_e32 v44, 8, v44
	v_cmp_eq_u32_e32 vcc_lo, 0, v45
	s_or_b32 s0, vcc_lo, s0
	s_wait_dscnt 0x0
	v_pk_mul_f32 v[54:55], v[52:53], v[50:51] op_sel:[1,1] op_sel_hi:[0,1]
	s_delay_alu instid0(VALU_DEP_1) | instskip(SKIP_1) | instid1(VALU_DEP_2)
	v_pk_fma_f32 v[56:57], v[52:53], v[50:51], v[54:55] op_sel_hi:[1,0,1]
	v_pk_fma_f32 v[50:51], v[52:53], v[50:51], v[54:55] neg_lo:[0,0,1] neg_hi:[0,0,1]
	v_mov_b32_e32 v51, v57
	s_delay_alu instid0(VALU_DEP_1)
	v_pk_add_f32 v[0:1], v[0:1], v[50:51]
	s_and_not1_b32 exec_lo, exec_lo, s0
	s_cbranch_execnz .LBB18_142
; %bb.143:
	s_or_b32 exec_lo, exec_lo, s0
.LBB18_144:
	s_delay_alu instid0(SALU_CYCLE_1) | instskip(SKIP_4) | instid1(VALU_DEP_1)
	s_or_b32 exec_lo, exec_lo, s6
	v_mov_b32_e32 v44, 0
	ds_load_b64 v[44:45], v44 offset:32
	s_wait_dscnt 0x0
	v_pk_mul_f32 v[50:51], v[0:1], v[44:45] op_sel:[1,1] op_sel_hi:[0,1]
	v_pk_fma_f32 v[52:53], v[0:1], v[44:45], v[50:51] op_sel_hi:[1,0,1]
	v_pk_fma_f32 v[0:1], v[0:1], v[44:45], v[50:51] neg_lo:[0,0,1] neg_hi:[0,0,1]
	s_delay_alu instid0(VALU_DEP_2)
	v_mov_b32_e32 v1, v53
	ds_store_b64 v41, v[0:1] offset:32
.LBB18_145:
	s_or_b32 exec_lo, exec_lo, s4
	ds_load_b64 v[0:1], v41 offset:24
	v_cmp_lt_u32_e64 s0, 3, v46
	s_wait_dscnt 0x0
	ds_store_b64 v42, v[0:1]
	s_wait_dscnt 0x0
	s_barrier_signal -1
	s_barrier_wait -1
	s_and_saveexec_b32 s4, s0
	s_cbranch_execz .LBB18_155
; %bb.146:
	s_and_not1_b32 vcc_lo, exec_lo, s5
	s_cbranch_vccnz .LBB18_148
; %bb.147:
	ds_load_b64 v[0:1], v43
	ds_load_b64 v[44:45], v42
	s_wait_dscnt 0x0
	v_pk_mul_f32 v[50:51], v[44:45], v[0:1] op_sel:[1,1] op_sel_hi:[0,1]
	s_delay_alu instid0(VALU_DEP_1) | instskip(SKIP_1) | instid1(VALU_DEP_2)
	v_pk_fma_f32 v[52:53], v[44:45], v[0:1], v[50:51] op_sel_hi:[1,0,1]
	v_pk_fma_f32 v[0:1], v[44:45], v[0:1], v[50:51] neg_lo:[0,0,1] neg_hi:[0,0,1]
	v_mov_b32_e32 v1, v53
	s_cbranch_execz .LBB18_149
	s_branch .LBB18_150
.LBB18_148:
                                        ; implicit-def: $vgpr0_vgpr1
.LBB18_149:
	ds_load_b64 v[0:1], v42
.LBB18_150:
	s_and_saveexec_b32 s6, s1
	s_cbranch_execz .LBB18_154
; %bb.151:
	s_movk_i32 s1, 0x98
	v_add_nc_u32_e32 v45, -4, v46
	v_mad_u32 v44, v48, s1, 0x160
	s_movk_i32 s7, 0xc0
	s_mov_b32 s1, 0
.LBB18_152:                             ; =>This Inner Loop Header: Depth=1
	s_delay_alu instid0(VALU_DEP_2)
	v_dual_mov_b32 v49, s7 :: v_dual_add_nc_u32 v45, -1, v45
	s_add_co_i32 s7, s7, 8
	ds_load_b64 v[50:51], v44
	ds_load_b64 v[52:53], v49
	v_add_nc_u32_e32 v44, 8, v44
	v_cmp_eq_u32_e32 vcc_lo, 0, v45
	s_or_b32 s1, vcc_lo, s1
	s_wait_dscnt 0x0
	v_pk_mul_f32 v[54:55], v[52:53], v[50:51] op_sel:[1,1] op_sel_hi:[0,1]
	s_delay_alu instid0(VALU_DEP_1) | instskip(SKIP_1) | instid1(VALU_DEP_2)
	v_pk_fma_f32 v[56:57], v[52:53], v[50:51], v[54:55] op_sel_hi:[1,0,1]
	v_pk_fma_f32 v[50:51], v[52:53], v[50:51], v[54:55] neg_lo:[0,0,1] neg_hi:[0,0,1]
	v_mov_b32_e32 v51, v57
	s_delay_alu instid0(VALU_DEP_1)
	v_pk_add_f32 v[0:1], v[0:1], v[50:51]
	s_and_not1_b32 exec_lo, exec_lo, s1
	s_cbranch_execnz .LBB18_152
; %bb.153:
	s_or_b32 exec_lo, exec_lo, s1
.LBB18_154:
	s_delay_alu instid0(SALU_CYCLE_1) | instskip(SKIP_4) | instid1(VALU_DEP_1)
	s_or_b32 exec_lo, exec_lo, s6
	v_mov_b32_e32 v44, 0
	ds_load_b64 v[44:45], v44 offset:24
	s_wait_dscnt 0x0
	v_pk_mul_f32 v[50:51], v[0:1], v[44:45] op_sel:[1,1] op_sel_hi:[0,1]
	v_pk_fma_f32 v[52:53], v[0:1], v[44:45], v[50:51] op_sel_hi:[1,0,1]
	v_pk_fma_f32 v[0:1], v[0:1], v[44:45], v[50:51] neg_lo:[0,0,1] neg_hi:[0,0,1]
	s_delay_alu instid0(VALU_DEP_2)
	v_mov_b32_e32 v1, v53
	ds_store_b64 v41, v[0:1] offset:24
.LBB18_155:
	s_or_b32 exec_lo, exec_lo, s4
	ds_load_b64 v[0:1], v41 offset:16
	v_cmp_lt_u32_e64 s1, 2, v46
	s_wait_dscnt 0x0
	ds_store_b64 v42, v[0:1]
	s_wait_dscnt 0x0
	s_barrier_signal -1
	s_barrier_wait -1
	s_and_saveexec_b32 s4, s1
	s_cbranch_execz .LBB18_165
; %bb.156:
	s_and_not1_b32 vcc_lo, exec_lo, s5
	s_cbranch_vccnz .LBB18_158
; %bb.157:
	ds_load_b64 v[0:1], v43
	ds_load_b64 v[44:45], v42
	s_wait_dscnt 0x0
	v_pk_mul_f32 v[50:51], v[44:45], v[0:1] op_sel:[1,1] op_sel_hi:[0,1]
	s_delay_alu instid0(VALU_DEP_1) | instskip(SKIP_1) | instid1(VALU_DEP_2)
	v_pk_fma_f32 v[52:53], v[44:45], v[0:1], v[50:51] op_sel_hi:[1,0,1]
	v_pk_fma_f32 v[0:1], v[44:45], v[0:1], v[50:51] neg_lo:[0,0,1] neg_hi:[0,0,1]
	v_mov_b32_e32 v1, v53
	s_cbranch_execz .LBB18_159
	s_branch .LBB18_160
.LBB18_158:
                                        ; implicit-def: $vgpr0_vgpr1
.LBB18_159:
	ds_load_b64 v[0:1], v42
.LBB18_160:
	s_and_saveexec_b32 s6, s0
	s_cbranch_execz .LBB18_164
; %bb.161:
	s_movk_i32 s0, 0x98
	v_add_nc_u32_e32 v45, -3, v46
	v_mad_u32 v44, v48, s0, 0x158
	s_movk_i32 s7, 0xb8
	s_mov_b32 s0, 0
.LBB18_162:                             ; =>This Inner Loop Header: Depth=1
	s_delay_alu instid0(VALU_DEP_2)
	v_dual_mov_b32 v49, s7 :: v_dual_add_nc_u32 v45, -1, v45
	s_add_co_i32 s7, s7, 8
	ds_load_b64 v[50:51], v44
	ds_load_b64 v[52:53], v49
	v_add_nc_u32_e32 v44, 8, v44
	v_cmp_eq_u32_e32 vcc_lo, 0, v45
	s_or_b32 s0, vcc_lo, s0
	s_wait_dscnt 0x0
	v_pk_mul_f32 v[54:55], v[52:53], v[50:51] op_sel:[1,1] op_sel_hi:[0,1]
	s_delay_alu instid0(VALU_DEP_1) | instskip(SKIP_1) | instid1(VALU_DEP_2)
	v_pk_fma_f32 v[56:57], v[52:53], v[50:51], v[54:55] op_sel_hi:[1,0,1]
	v_pk_fma_f32 v[50:51], v[52:53], v[50:51], v[54:55] neg_lo:[0,0,1] neg_hi:[0,0,1]
	v_mov_b32_e32 v51, v57
	s_delay_alu instid0(VALU_DEP_1)
	v_pk_add_f32 v[0:1], v[0:1], v[50:51]
	s_and_not1_b32 exec_lo, exec_lo, s0
	s_cbranch_execnz .LBB18_162
; %bb.163:
	s_or_b32 exec_lo, exec_lo, s0
.LBB18_164:
	s_delay_alu instid0(SALU_CYCLE_1) | instskip(SKIP_4) | instid1(VALU_DEP_1)
	s_or_b32 exec_lo, exec_lo, s6
	v_mov_b32_e32 v44, 0
	ds_load_b64 v[44:45], v44 offset:16
	s_wait_dscnt 0x0
	v_pk_mul_f32 v[50:51], v[0:1], v[44:45] op_sel:[1,1] op_sel_hi:[0,1]
	v_pk_fma_f32 v[52:53], v[0:1], v[44:45], v[50:51] op_sel_hi:[1,0,1]
	v_pk_fma_f32 v[0:1], v[0:1], v[44:45], v[50:51] neg_lo:[0,0,1] neg_hi:[0,0,1]
	s_delay_alu instid0(VALU_DEP_2)
	v_mov_b32_e32 v1, v53
	ds_store_b64 v41, v[0:1] offset:16
.LBB18_165:
	s_or_b32 exec_lo, exec_lo, s4
	ds_load_b64 v[0:1], v41 offset:8
	v_cmp_lt_u32_e64 s0, 1, v46
	s_wait_dscnt 0x0
	ds_store_b64 v42, v[0:1]
	s_wait_dscnt 0x0
	s_barrier_signal -1
	s_barrier_wait -1
	s_and_saveexec_b32 s4, s0
	s_cbranch_execz .LBB18_175
; %bb.166:
	s_and_not1_b32 vcc_lo, exec_lo, s5
	s_cbranch_vccnz .LBB18_168
; %bb.167:
	ds_load_b64 v[0:1], v43
	ds_load_b64 v[44:45], v42
	s_wait_dscnt 0x0
	v_pk_mul_f32 v[50:51], v[44:45], v[0:1] op_sel:[1,1] op_sel_hi:[0,1]
	s_delay_alu instid0(VALU_DEP_1) | instskip(SKIP_1) | instid1(VALU_DEP_2)
	v_pk_fma_f32 v[52:53], v[44:45], v[0:1], v[50:51] op_sel_hi:[1,0,1]
	v_pk_fma_f32 v[0:1], v[44:45], v[0:1], v[50:51] neg_lo:[0,0,1] neg_hi:[0,0,1]
	v_mov_b32_e32 v1, v53
	s_cbranch_execz .LBB18_169
	s_branch .LBB18_170
.LBB18_168:
                                        ; implicit-def: $vgpr0_vgpr1
.LBB18_169:
	ds_load_b64 v[0:1], v42
.LBB18_170:
	s_and_saveexec_b32 s6, s1
	s_cbranch_execz .LBB18_174
; %bb.171:
	s_movk_i32 s1, 0x98
	v_add_nc_u32_e32 v45, -2, v46
	v_mad_u32 v44, v48, s1, 0x150
	s_movk_i32 s7, 0xb0
	s_mov_b32 s1, 0
.LBB18_172:                             ; =>This Inner Loop Header: Depth=1
	s_delay_alu instid0(VALU_DEP_2)
	v_dual_mov_b32 v49, s7 :: v_dual_add_nc_u32 v45, -1, v45
	s_add_co_i32 s7, s7, 8
	ds_load_b64 v[50:51], v44
	ds_load_b64 v[52:53], v49
	v_add_nc_u32_e32 v44, 8, v44
	v_cmp_eq_u32_e32 vcc_lo, 0, v45
	s_or_b32 s1, vcc_lo, s1
	s_wait_dscnt 0x0
	v_pk_mul_f32 v[54:55], v[52:53], v[50:51] op_sel:[1,1] op_sel_hi:[0,1]
	s_delay_alu instid0(VALU_DEP_1) | instskip(SKIP_1) | instid1(VALU_DEP_2)
	v_pk_fma_f32 v[56:57], v[52:53], v[50:51], v[54:55] op_sel_hi:[1,0,1]
	v_pk_fma_f32 v[50:51], v[52:53], v[50:51], v[54:55] neg_lo:[0,0,1] neg_hi:[0,0,1]
	v_mov_b32_e32 v51, v57
	s_delay_alu instid0(VALU_DEP_1)
	v_pk_add_f32 v[0:1], v[0:1], v[50:51]
	s_and_not1_b32 exec_lo, exec_lo, s1
	s_cbranch_execnz .LBB18_172
; %bb.173:
	s_or_b32 exec_lo, exec_lo, s1
.LBB18_174:
	s_delay_alu instid0(SALU_CYCLE_1) | instskip(SKIP_4) | instid1(VALU_DEP_1)
	s_or_b32 exec_lo, exec_lo, s6
	v_mov_b32_e32 v44, 0
	ds_load_b64 v[44:45], v44 offset:8
	s_wait_dscnt 0x0
	v_pk_mul_f32 v[50:51], v[0:1], v[44:45] op_sel:[1,1] op_sel_hi:[0,1]
	v_pk_fma_f32 v[52:53], v[0:1], v[44:45], v[50:51] op_sel_hi:[1,0,1]
	v_pk_fma_f32 v[0:1], v[0:1], v[44:45], v[50:51] neg_lo:[0,0,1] neg_hi:[0,0,1]
	s_delay_alu instid0(VALU_DEP_2)
	v_mov_b32_e32 v1, v53
	ds_store_b64 v41, v[0:1] offset:8
.LBB18_175:
	s_or_b32 exec_lo, exec_lo, s4
	ds_load_b64 v[0:1], v41
	s_mov_b32 s4, 0
	s_mov_b32 s1, 0
	s_mov_b32 s6, exec_lo
                                        ; implicit-def: $vgpr45
                                        ; implicit-def: $vgpr49
	s_wait_dscnt 0x0
	ds_store_b64 v42, v[0:1]
	s_wait_dscnt 0x0
	s_barrier_signal -1
	s_barrier_wait -1
	v_cmpx_ne_u32_e32 0, v46
	s_cbranch_execz .LBB18_185
; %bb.176:
	s_and_not1_b32 vcc_lo, exec_lo, s5
	s_cbranch_vccnz .LBB18_178
; %bb.177:
	ds_load_b64 v[44:45], v43
	ds_load_b64 v[50:51], v42
	s_wait_dscnt 0x0
	v_dual_mul_f32 v0, v51, v45 :: v_dual_mul_f32 v1, v50, v45
	s_delay_alu instid0(VALU_DEP_1)
	v_dual_fma_f32 v0, v50, v44, -v0 :: v_dual_fmac_f32 v1, v51, v44
	s_and_not1_b32 vcc_lo, exec_lo, s1
	s_cbranch_vccz .LBB18_179
	s_branch .LBB18_180
.LBB18_178:
                                        ; implicit-def: $vgpr0
.LBB18_179:
	ds_load_b64 v[0:1], v42
.LBB18_180:
	s_and_saveexec_b32 s1, s0
	s_cbranch_execz .LBB18_184
; %bb.181:
	s_movk_i32 s0, 0x98
	v_add_nc_u32_e32 v45, -1, v46
	v_mad_u32 v44, v48, s0, 0x148
	s_movk_i32 s7, 0xa8
	s_mov_b32 s0, 0
.LBB18_182:                             ; =>This Inner Loop Header: Depth=1
	v_mov_b32_e32 v50, s7
	s_add_co_i32 s7, s7, 8
	ds_load_b64 v[48:49], v44
	ds_load_b64 v[50:51], v50
	s_wait_dscnt 0x0
	v_dual_mul_f32 v52, v51, v49 :: v_dual_mul_f32 v49, v50, v49
	s_delay_alu instid0(VALU_DEP_1) | instskip(NEXT) | instid1(VALU_DEP_2)
	v_dual_fma_f32 v50, v50, v48, -v52 :: v_dual_add_nc_u32 v45, -1, v45
	v_fmac_f32_e32 v49, v51, v48
	s_delay_alu instid0(VALU_DEP_2) | instskip(NEXT) | instid1(VALU_DEP_3)
	v_dual_add_nc_u32 v44, 8, v44 :: v_dual_add_f32 v0, v0, v50
	v_cmp_eq_u32_e32 vcc_lo, 0, v45
	s_delay_alu instid0(VALU_DEP_3) | instskip(SKIP_1) | instid1(SALU_CYCLE_1)
	v_add_f32_e32 v1, v1, v49
	s_or_b32 s0, vcc_lo, s0
	s_and_not1_b32 exec_lo, exec_lo, s0
	s_cbranch_execnz .LBB18_182
; %bb.183:
	s_or_b32 exec_lo, exec_lo, s0
.LBB18_184:
	s_delay_alu instid0(SALU_CYCLE_1)
	s_or_b32 exec_lo, exec_lo, s1
	v_mov_b32_e32 v44, 0
	s_mov_b32 s1, exec_lo
	ds_load_b64 v[44:45], v44
	s_wait_dscnt 0x0
	v_dual_mul_f32 v48, v1, v45 :: v_dual_mul_f32 v45, v0, v45
	s_delay_alu instid0(VALU_DEP_1) | instskip(NEXT) | instid1(VALU_DEP_2)
	v_dual_fma_f32 v0, v0, v44, -v48 :: v_dual_add_nc_u32 v49, 4, v41
	v_fmac_f32_e32 v45, v1, v44
	ds_store_b32 v41, v0
.LBB18_185:
	s_or_b32 exec_lo, exec_lo, s6
	s_delay_alu instid0(SALU_CYCLE_1)
	s_and_b32 vcc_lo, exec_lo, s4
	s_cbranch_vccz .LBB18_361
.LBB18_186:
	ds_load_b64 v[0:1], v41 offset:8
	v_cmp_eq_u32_e64 s0, 0, v46
	s_wait_dscnt 0x0
	ds_store_b64 v42, v[0:1]
	s_wait_dscnt 0x0
	s_barrier_signal -1
	s_barrier_wait -1
	s_and_saveexec_b32 s4, s0
	s_cbranch_execz .LBB18_192
; %bb.187:
	s_and_b32 vcc_lo, exec_lo, s5
	s_cbranch_vccz .LBB18_189
; %bb.188:
	ds_load_b64 v[0:1], v43
	ds_load_b64 v[44:45], v42
	s_wait_dscnt 0x0
	v_pk_mul_f32 v[48:49], v[44:45], v[0:1] op_sel:[1,1] op_sel_hi:[0,1]
	v_pk_mul_f32 v[50:51], v[44:45], v[0:1] op_sel_hi:[1,0]
	s_delay_alu instid0(VALU_DEP_2) | instskip(NEXT) | instid1(VALU_DEP_2)
	v_pk_fma_f32 v[0:1], v[44:45], v[0:1], v[48:49] op_sel_hi:[1,0,1]
	v_sub_f32_e32 v0, v50, v48
	s_cbranch_execz .LBB18_190
	s_branch .LBB18_191
.LBB18_189:
                                        ; implicit-def: $vgpr1
.LBB18_190:
	ds_load_b64 v[0:1], v42
.LBB18_191:
	s_wait_dscnt 0x0
	v_dual_mov_b32 v44, 0 :: v_dual_mov_b32 v48, v1
	v_mov_b32_e32 v49, v0
	ds_load_b64 v[44:45], v44 offset:8
	s_wait_dscnt 0x0
	v_pk_mul_f32 v[48:49], v[48:49], v[44:45] op_sel:[0,1]
	s_delay_alu instid0(VALU_DEP_1) | instskip(SKIP_1) | instid1(VALU_DEP_2)
	v_pk_fma_f32 v[50:51], v[0:1], v[44:45], v[48:49] op_sel_hi:[1,0,1]
	v_pk_fma_f32 v[0:1], v[0:1], v[44:45], v[48:49] neg_lo:[0,0,1] neg_hi:[0,0,1]
	v_mov_b32_e32 v1, v51
	ds_store_b64 v41, v[0:1] offset:8
.LBB18_192:
	s_or_b32 exec_lo, exec_lo, s4
	ds_load_b64 v[0:1], v41 offset:16
	v_cndmask_b32_e64 v44, 0, 1, s5
	s_mov_b32 s4, exec_lo
	s_wait_dscnt 0x0
	ds_store_b64 v42, v[0:1]
	s_wait_dscnt 0x0
	s_barrier_signal -1
	s_barrier_wait -1
	v_cmpx_gt_u32_e32 2, v46
	s_cbranch_execz .LBB18_200
; %bb.193:
	s_and_not1_b32 vcc_lo, exec_lo, s5
	s_cbranch_vccnz .LBB18_195
; %bb.194:
	ds_load_b64 v[0:1], v43
	ds_load_b64 v[48:49], v42
	s_wait_dscnt 0x0
	v_pk_mul_f32 v[50:51], v[48:49], v[0:1] op_sel:[1,1] op_sel_hi:[0,1]
	s_delay_alu instid0(VALU_DEP_1) | instskip(SKIP_1) | instid1(VALU_DEP_2)
	v_pk_fma_f32 v[52:53], v[48:49], v[0:1], v[50:51] op_sel_hi:[1,0,1]
	v_pk_fma_f32 v[0:1], v[48:49], v[0:1], v[50:51] neg_lo:[0,0,1] neg_hi:[0,0,1]
	v_mov_b32_e32 v1, v53
	s_cbranch_execz .LBB18_196
	s_branch .LBB18_197
.LBB18_195:
                                        ; implicit-def: $vgpr0_vgpr1
.LBB18_196:
	ds_load_b64 v[0:1], v42
.LBB18_197:
	s_and_saveexec_b32 s5, s0
	s_cbranch_execz .LBB18_199
; %bb.198:
	v_mov_b32_e32 v45, 0
	ds_load_b64 v[48:49], v41 offset:8
	ds_load_b64 v[50:51], v45 offset:168
	s_wait_dscnt 0x0
	v_pk_mul_f32 v[52:53], v[50:51], v[48:49] op_sel:[1,1] op_sel_hi:[0,1]
	s_delay_alu instid0(VALU_DEP_1) | instskip(SKIP_1) | instid1(VALU_DEP_2)
	v_pk_fma_f32 v[54:55], v[50:51], v[48:49], v[52:53] op_sel_hi:[1,0,1]
	v_pk_fma_f32 v[48:49], v[50:51], v[48:49], v[52:53] neg_lo:[0,0,1] neg_hi:[0,0,1]
	v_mov_b32_e32 v49, v55
	s_delay_alu instid0(VALU_DEP_1)
	v_pk_add_f32 v[0:1], v[0:1], v[48:49]
.LBB18_199:
	s_or_b32 exec_lo, exec_lo, s5
	v_mov_b32_e32 v45, 0
	ds_load_b64 v[48:49], v45 offset:16
	s_wait_dscnt 0x0
	v_pk_mul_f32 v[50:51], v[0:1], v[48:49] op_sel:[1,1] op_sel_hi:[0,1]
	s_delay_alu instid0(VALU_DEP_1) | instskip(SKIP_1) | instid1(VALU_DEP_2)
	v_pk_fma_f32 v[52:53], v[0:1], v[48:49], v[50:51] op_sel_hi:[1,0,1]
	v_pk_fma_f32 v[0:1], v[0:1], v[48:49], v[50:51] neg_lo:[0,0,1] neg_hi:[0,0,1]
	v_mov_b32_e32 v1, v53
	ds_store_b64 v41, v[0:1] offset:16
.LBB18_200:
	s_or_b32 exec_lo, exec_lo, s4
	ds_load_b64 v[0:1], v41 offset:24
	s_mov_b32 s4, exec_lo
	s_wait_dscnt 0x0
	ds_store_b64 v42, v[0:1]
	s_wait_dscnt 0x0
	s_barrier_signal -1
	s_barrier_wait -1
	v_cmpx_gt_u32_e32 3, v46
	s_cbranch_execz .LBB18_210
; %bb.201:
	v_cmp_ne_u32_e32 vcc_lo, 1, v44
	s_cbranch_vccnz .LBB18_203
; %bb.202:
	ds_load_b64 v[0:1], v43
	ds_load_b64 v[48:49], v42
	s_wait_dscnt 0x0
	v_pk_mul_f32 v[50:51], v[48:49], v[0:1] op_sel:[1,1] op_sel_hi:[0,1]
	s_delay_alu instid0(VALU_DEP_1) | instskip(SKIP_1) | instid1(VALU_DEP_2)
	v_pk_fma_f32 v[52:53], v[48:49], v[0:1], v[50:51] op_sel_hi:[1,0,1]
	v_pk_fma_f32 v[0:1], v[48:49], v[0:1], v[50:51] neg_lo:[0,0,1] neg_hi:[0,0,1]
	v_mov_b32_e32 v1, v53
	s_cbranch_execz .LBB18_204
	s_branch .LBB18_205
.LBB18_203:
                                        ; implicit-def: $vgpr0_vgpr1
.LBB18_204:
	ds_load_b64 v[0:1], v42
.LBB18_205:
	s_mov_b32 s5, exec_lo
	v_cmpx_ne_u32_e32 2, v46
	s_cbranch_execz .LBB18_209
; %bb.206:
	ds_load_b64 v[48:49], v43 offset:8
	ds_load_b64 v[50:51], v42 offset:8
	s_wait_dscnt 0x0
	v_pk_mul_f32 v[52:53], v[50:51], v[48:49] op_sel:[1,1] op_sel_hi:[0,1]
	s_delay_alu instid0(VALU_DEP_1) | instskip(SKIP_1) | instid1(VALU_DEP_2)
	v_pk_fma_f32 v[54:55], v[50:51], v[48:49], v[52:53] op_sel_hi:[1,0,1]
	v_pk_fma_f32 v[48:49], v[50:51], v[48:49], v[52:53] neg_lo:[0,0,1] neg_hi:[0,0,1]
	v_mov_b32_e32 v49, v55
	s_delay_alu instid0(VALU_DEP_1)
	v_pk_add_f32 v[0:1], v[0:1], v[48:49]
	s_and_saveexec_b32 s6, s0
	s_cbranch_execz .LBB18_208
; %bb.207:
	v_mov_b32_e32 v45, 0
	ds_load_b64 v[48:49], v45 offset:176
	ds_load_b64 v[50:51], v41 offset:16
	s_wait_dscnt 0x0
	v_pk_mul_f32 v[52:53], v[48:49], v[50:51] op_sel:[1,1] op_sel_hi:[0,1]
	s_delay_alu instid0(VALU_DEP_1) | instskip(SKIP_1) | instid1(VALU_DEP_2)
	v_pk_fma_f32 v[54:55], v[48:49], v[50:51], v[52:53] op_sel_hi:[1,0,1]
	v_pk_fma_f32 v[48:49], v[48:49], v[50:51], v[52:53] neg_lo:[0,0,1] neg_hi:[0,0,1]
	v_mov_b32_e32 v49, v55
	s_delay_alu instid0(VALU_DEP_1)
	v_pk_add_f32 v[0:1], v[0:1], v[48:49]
.LBB18_208:
	s_or_b32 exec_lo, exec_lo, s6
.LBB18_209:
	s_delay_alu instid0(SALU_CYCLE_1) | instskip(SKIP_4) | instid1(VALU_DEP_1)
	s_or_b32 exec_lo, exec_lo, s5
	v_mov_b32_e32 v45, 0
	ds_load_b64 v[48:49], v45 offset:24
	s_wait_dscnt 0x0
	v_pk_mul_f32 v[50:51], v[0:1], v[48:49] op_sel:[1,1] op_sel_hi:[0,1]
	v_pk_fma_f32 v[52:53], v[0:1], v[48:49], v[50:51] op_sel_hi:[1,0,1]
	v_pk_fma_f32 v[0:1], v[0:1], v[48:49], v[50:51] neg_lo:[0,0,1] neg_hi:[0,0,1]
	s_delay_alu instid0(VALU_DEP_2)
	v_mov_b32_e32 v1, v53
	ds_store_b64 v41, v[0:1] offset:24
.LBB18_210:
	s_or_b32 exec_lo, exec_lo, s4
	ds_load_b64 v[0:1], v41 offset:32
	s_mov_b32 s0, exec_lo
	s_wait_dscnt 0x0
	ds_store_b64 v42, v[0:1]
	s_wait_dscnt 0x0
	s_barrier_signal -1
	s_barrier_wait -1
	v_cmpx_gt_u32_e32 4, v46
	s_cbranch_execz .LBB18_220
; %bb.211:
	v_cmp_ne_u32_e32 vcc_lo, 1, v44
	s_cbranch_vccnz .LBB18_213
; %bb.212:
	ds_load_b64 v[0:1], v43
	ds_load_b64 v[48:49], v42
	s_wait_dscnt 0x0
	v_pk_mul_f32 v[50:51], v[48:49], v[0:1] op_sel:[1,1] op_sel_hi:[0,1]
	s_delay_alu instid0(VALU_DEP_1) | instskip(SKIP_1) | instid1(VALU_DEP_2)
	v_pk_fma_f32 v[52:53], v[48:49], v[0:1], v[50:51] op_sel_hi:[1,0,1]
	v_pk_fma_f32 v[0:1], v[48:49], v[0:1], v[50:51] neg_lo:[0,0,1] neg_hi:[0,0,1]
	v_mov_b32_e32 v1, v53
	s_cbranch_execz .LBB18_214
	s_branch .LBB18_215
.LBB18_213:
                                        ; implicit-def: $vgpr0_vgpr1
.LBB18_214:
	ds_load_b64 v[0:1], v42
.LBB18_215:
	s_mov_b32 s4, exec_lo
	v_cmpx_ne_u32_e32 3, v46
	s_cbranch_execz .LBB18_219
; %bb.216:
	v_add_nc_u32_e32 v45, 0xa8, v40
	v_add3_u32 v48, v47, v40, 0x148
	v_mov_b32_e32 v49, v46
	s_mov_b32 s5, 0
.LBB18_217:                             ; =>This Inner Loop Header: Depth=1
	ds_load_b64 v[50:51], v48
	ds_load_b64 v[52:53], v45
	v_dual_add_nc_u32 v45, 8, v45 :: v_dual_add_nc_u32 v48, 8, v48
	s_wait_dscnt 0x0
	v_pk_mul_f32 v[54:55], v[52:53], v[50:51] op_sel:[1,1] op_sel_hi:[0,1]
	s_delay_alu instid0(VALU_DEP_1) | instskip(SKIP_2) | instid1(VALU_DEP_3)
	v_pk_fma_f32 v[56:57], v[52:53], v[50:51], v[54:55] op_sel_hi:[1,0,1]
	v_add_nc_u32_e32 v49, 1, v49
	v_pk_fma_f32 v[50:51], v[52:53], v[50:51], v[54:55] neg_lo:[0,0,1] neg_hi:[0,0,1]
	v_mov_b32_e32 v51, v57
	s_delay_alu instid0(VALU_DEP_3) | instskip(NEXT) | instid1(VALU_DEP_2)
	v_cmp_lt_u32_e32 vcc_lo, 2, v49
	v_pk_add_f32 v[0:1], v[0:1], v[50:51]
	s_or_b32 s5, vcc_lo, s5
	s_delay_alu instid0(SALU_CYCLE_1)
	s_and_not1_b32 exec_lo, exec_lo, s5
	s_cbranch_execnz .LBB18_217
; %bb.218:
	s_or_b32 exec_lo, exec_lo, s5
.LBB18_219:
	s_delay_alu instid0(SALU_CYCLE_1) | instskip(SKIP_4) | instid1(VALU_DEP_1)
	s_or_b32 exec_lo, exec_lo, s4
	v_mov_b32_e32 v45, 0
	ds_load_b64 v[48:49], v45 offset:32
	s_wait_dscnt 0x0
	v_pk_mul_f32 v[50:51], v[0:1], v[48:49] op_sel:[1,1] op_sel_hi:[0,1]
	v_pk_fma_f32 v[52:53], v[0:1], v[48:49], v[50:51] op_sel_hi:[1,0,1]
	v_pk_fma_f32 v[0:1], v[0:1], v[48:49], v[50:51] neg_lo:[0,0,1] neg_hi:[0,0,1]
	s_delay_alu instid0(VALU_DEP_2)
	v_mov_b32_e32 v1, v53
	ds_store_b64 v41, v[0:1] offset:32
.LBB18_220:
	s_or_b32 exec_lo, exec_lo, s0
	ds_load_b64 v[0:1], v41 offset:40
	s_mov_b32 s0, exec_lo
	s_wait_dscnt 0x0
	ds_store_b64 v42, v[0:1]
	s_wait_dscnt 0x0
	s_barrier_signal -1
	s_barrier_wait -1
	v_cmpx_gt_u32_e32 5, v46
	s_cbranch_execz .LBB18_230
; %bb.221:
	v_cmp_ne_u32_e32 vcc_lo, 1, v44
	s_cbranch_vccnz .LBB18_223
; %bb.222:
	ds_load_b64 v[0:1], v43
	ds_load_b64 v[48:49], v42
	s_wait_dscnt 0x0
	v_pk_mul_f32 v[50:51], v[48:49], v[0:1] op_sel:[1,1] op_sel_hi:[0,1]
	s_delay_alu instid0(VALU_DEP_1) | instskip(SKIP_1) | instid1(VALU_DEP_2)
	v_pk_fma_f32 v[52:53], v[48:49], v[0:1], v[50:51] op_sel_hi:[1,0,1]
	v_pk_fma_f32 v[0:1], v[48:49], v[0:1], v[50:51] neg_lo:[0,0,1] neg_hi:[0,0,1]
	v_mov_b32_e32 v1, v53
	s_cbranch_execz .LBB18_224
	s_branch .LBB18_225
.LBB18_223:
                                        ; implicit-def: $vgpr0_vgpr1
.LBB18_224:
	ds_load_b64 v[0:1], v42
.LBB18_225:
	s_mov_b32 s4, exec_lo
	v_cmpx_ne_u32_e32 4, v46
	s_cbranch_execz .LBB18_229
; %bb.226:
	v_add_nc_u32_e32 v45, 0xa8, v40
	v_add3_u32 v48, v47, v40, 0x148
	v_mov_b32_e32 v49, v46
	s_mov_b32 s5, 0
.LBB18_227:                             ; =>This Inner Loop Header: Depth=1
	ds_load_b64 v[50:51], v48
	ds_load_b64 v[52:53], v45
	v_dual_add_nc_u32 v45, 8, v45 :: v_dual_add_nc_u32 v48, 8, v48
	s_wait_dscnt 0x0
	v_pk_mul_f32 v[54:55], v[52:53], v[50:51] op_sel:[1,1] op_sel_hi:[0,1]
	s_delay_alu instid0(VALU_DEP_1) | instskip(SKIP_2) | instid1(VALU_DEP_3)
	v_pk_fma_f32 v[56:57], v[52:53], v[50:51], v[54:55] op_sel_hi:[1,0,1]
	v_add_nc_u32_e32 v49, 1, v49
	v_pk_fma_f32 v[50:51], v[52:53], v[50:51], v[54:55] neg_lo:[0,0,1] neg_hi:[0,0,1]
	v_mov_b32_e32 v51, v57
	s_delay_alu instid0(VALU_DEP_3) | instskip(NEXT) | instid1(VALU_DEP_2)
	v_cmp_lt_u32_e32 vcc_lo, 3, v49
	v_pk_add_f32 v[0:1], v[0:1], v[50:51]
	s_or_b32 s5, vcc_lo, s5
	s_delay_alu instid0(SALU_CYCLE_1)
	s_and_not1_b32 exec_lo, exec_lo, s5
	s_cbranch_execnz .LBB18_227
; %bb.228:
	s_or_b32 exec_lo, exec_lo, s5
.LBB18_229:
	s_delay_alu instid0(SALU_CYCLE_1) | instskip(SKIP_4) | instid1(VALU_DEP_1)
	s_or_b32 exec_lo, exec_lo, s4
	v_mov_b32_e32 v45, 0
	ds_load_b64 v[48:49], v45 offset:40
	s_wait_dscnt 0x0
	v_pk_mul_f32 v[50:51], v[0:1], v[48:49] op_sel:[1,1] op_sel_hi:[0,1]
	v_pk_fma_f32 v[52:53], v[0:1], v[48:49], v[50:51] op_sel_hi:[1,0,1]
	v_pk_fma_f32 v[0:1], v[0:1], v[48:49], v[50:51] neg_lo:[0,0,1] neg_hi:[0,0,1]
	s_delay_alu instid0(VALU_DEP_2)
	v_mov_b32_e32 v1, v53
	ds_store_b64 v41, v[0:1] offset:40
.LBB18_230:
	s_or_b32 exec_lo, exec_lo, s0
	ds_load_b64 v[0:1], v41 offset:48
	s_mov_b32 s0, exec_lo
	s_wait_dscnt 0x0
	ds_store_b64 v42, v[0:1]
	s_wait_dscnt 0x0
	s_barrier_signal -1
	s_barrier_wait -1
	v_cmpx_gt_u32_e32 6, v46
	s_cbranch_execz .LBB18_240
; %bb.231:
	v_cmp_ne_u32_e32 vcc_lo, 1, v44
	s_cbranch_vccnz .LBB18_233
; %bb.232:
	ds_load_b64 v[0:1], v43
	ds_load_b64 v[48:49], v42
	s_wait_dscnt 0x0
	v_pk_mul_f32 v[50:51], v[48:49], v[0:1] op_sel:[1,1] op_sel_hi:[0,1]
	s_delay_alu instid0(VALU_DEP_1) | instskip(SKIP_1) | instid1(VALU_DEP_2)
	v_pk_fma_f32 v[52:53], v[48:49], v[0:1], v[50:51] op_sel_hi:[1,0,1]
	v_pk_fma_f32 v[0:1], v[48:49], v[0:1], v[50:51] neg_lo:[0,0,1] neg_hi:[0,0,1]
	v_mov_b32_e32 v1, v53
	s_cbranch_execz .LBB18_234
	s_branch .LBB18_235
.LBB18_233:
                                        ; implicit-def: $vgpr0_vgpr1
.LBB18_234:
	ds_load_b64 v[0:1], v42
.LBB18_235:
	s_mov_b32 s4, exec_lo
	v_cmpx_ne_u32_e32 5, v46
	s_cbranch_execz .LBB18_239
; %bb.236:
	v_add_nc_u32_e32 v45, 0xa8, v40
	v_add3_u32 v48, v47, v40, 0x148
	v_mov_b32_e32 v49, v46
	s_mov_b32 s5, 0
.LBB18_237:                             ; =>This Inner Loop Header: Depth=1
	ds_load_b64 v[50:51], v48
	ds_load_b64 v[52:53], v45
	v_dual_add_nc_u32 v45, 8, v45 :: v_dual_add_nc_u32 v48, 8, v48
	s_wait_dscnt 0x0
	v_pk_mul_f32 v[54:55], v[52:53], v[50:51] op_sel:[1,1] op_sel_hi:[0,1]
	s_delay_alu instid0(VALU_DEP_1) | instskip(SKIP_2) | instid1(VALU_DEP_3)
	v_pk_fma_f32 v[56:57], v[52:53], v[50:51], v[54:55] op_sel_hi:[1,0,1]
	v_add_nc_u32_e32 v49, 1, v49
	v_pk_fma_f32 v[50:51], v[52:53], v[50:51], v[54:55] neg_lo:[0,0,1] neg_hi:[0,0,1]
	v_mov_b32_e32 v51, v57
	s_delay_alu instid0(VALU_DEP_3) | instskip(NEXT) | instid1(VALU_DEP_2)
	v_cmp_lt_u32_e32 vcc_lo, 4, v49
	v_pk_add_f32 v[0:1], v[0:1], v[50:51]
	s_or_b32 s5, vcc_lo, s5
	s_delay_alu instid0(SALU_CYCLE_1)
	s_and_not1_b32 exec_lo, exec_lo, s5
	s_cbranch_execnz .LBB18_237
; %bb.238:
	s_or_b32 exec_lo, exec_lo, s5
.LBB18_239:
	s_delay_alu instid0(SALU_CYCLE_1) | instskip(SKIP_4) | instid1(VALU_DEP_1)
	s_or_b32 exec_lo, exec_lo, s4
	v_mov_b32_e32 v45, 0
	ds_load_b64 v[48:49], v45 offset:48
	s_wait_dscnt 0x0
	v_pk_mul_f32 v[50:51], v[0:1], v[48:49] op_sel:[1,1] op_sel_hi:[0,1]
	v_pk_fma_f32 v[52:53], v[0:1], v[48:49], v[50:51] op_sel_hi:[1,0,1]
	v_pk_fma_f32 v[0:1], v[0:1], v[48:49], v[50:51] neg_lo:[0,0,1] neg_hi:[0,0,1]
	s_delay_alu instid0(VALU_DEP_2)
	v_mov_b32_e32 v1, v53
	ds_store_b64 v41, v[0:1] offset:48
.LBB18_240:
	s_or_b32 exec_lo, exec_lo, s0
	ds_load_b64 v[0:1], v41 offset:56
	s_mov_b32 s0, exec_lo
	s_wait_dscnt 0x0
	ds_store_b64 v42, v[0:1]
	s_wait_dscnt 0x0
	s_barrier_signal -1
	s_barrier_wait -1
	v_cmpx_gt_u32_e32 7, v46
	s_cbranch_execz .LBB18_250
; %bb.241:
	v_cmp_ne_u32_e32 vcc_lo, 1, v44
	s_cbranch_vccnz .LBB18_243
; %bb.242:
	ds_load_b64 v[0:1], v43
	ds_load_b64 v[48:49], v42
	s_wait_dscnt 0x0
	v_pk_mul_f32 v[50:51], v[48:49], v[0:1] op_sel:[1,1] op_sel_hi:[0,1]
	s_delay_alu instid0(VALU_DEP_1) | instskip(SKIP_1) | instid1(VALU_DEP_2)
	v_pk_fma_f32 v[52:53], v[48:49], v[0:1], v[50:51] op_sel_hi:[1,0,1]
	v_pk_fma_f32 v[0:1], v[48:49], v[0:1], v[50:51] neg_lo:[0,0,1] neg_hi:[0,0,1]
	v_mov_b32_e32 v1, v53
	s_cbranch_execz .LBB18_244
	s_branch .LBB18_245
.LBB18_243:
                                        ; implicit-def: $vgpr0_vgpr1
.LBB18_244:
	ds_load_b64 v[0:1], v42
.LBB18_245:
	s_mov_b32 s4, exec_lo
	v_cmpx_ne_u32_e32 6, v46
	s_cbranch_execz .LBB18_249
; %bb.246:
	v_add_nc_u32_e32 v45, 0xa8, v40
	v_add3_u32 v48, v47, v40, 0x148
	v_mov_b32_e32 v49, v46
	s_mov_b32 s5, 0
.LBB18_247:                             ; =>This Inner Loop Header: Depth=1
	ds_load_b64 v[50:51], v48
	ds_load_b64 v[52:53], v45
	v_dual_add_nc_u32 v45, 8, v45 :: v_dual_add_nc_u32 v48, 8, v48
	s_wait_dscnt 0x0
	v_pk_mul_f32 v[54:55], v[52:53], v[50:51] op_sel:[1,1] op_sel_hi:[0,1]
	s_delay_alu instid0(VALU_DEP_1) | instskip(SKIP_2) | instid1(VALU_DEP_3)
	v_pk_fma_f32 v[56:57], v[52:53], v[50:51], v[54:55] op_sel_hi:[1,0,1]
	v_add_nc_u32_e32 v49, 1, v49
	v_pk_fma_f32 v[50:51], v[52:53], v[50:51], v[54:55] neg_lo:[0,0,1] neg_hi:[0,0,1]
	v_mov_b32_e32 v51, v57
	s_delay_alu instid0(VALU_DEP_3) | instskip(NEXT) | instid1(VALU_DEP_2)
	v_cmp_lt_u32_e32 vcc_lo, 5, v49
	v_pk_add_f32 v[0:1], v[0:1], v[50:51]
	s_or_b32 s5, vcc_lo, s5
	s_delay_alu instid0(SALU_CYCLE_1)
	s_and_not1_b32 exec_lo, exec_lo, s5
	s_cbranch_execnz .LBB18_247
; %bb.248:
	s_or_b32 exec_lo, exec_lo, s5
.LBB18_249:
	s_delay_alu instid0(SALU_CYCLE_1) | instskip(SKIP_4) | instid1(VALU_DEP_1)
	s_or_b32 exec_lo, exec_lo, s4
	v_mov_b32_e32 v45, 0
	ds_load_b64 v[48:49], v45 offset:56
	s_wait_dscnt 0x0
	v_pk_mul_f32 v[50:51], v[0:1], v[48:49] op_sel:[1,1] op_sel_hi:[0,1]
	v_pk_fma_f32 v[52:53], v[0:1], v[48:49], v[50:51] op_sel_hi:[1,0,1]
	v_pk_fma_f32 v[0:1], v[0:1], v[48:49], v[50:51] neg_lo:[0,0,1] neg_hi:[0,0,1]
	s_delay_alu instid0(VALU_DEP_2)
	v_mov_b32_e32 v1, v53
	ds_store_b64 v41, v[0:1] offset:56
.LBB18_250:
	s_or_b32 exec_lo, exec_lo, s0
	ds_load_b64 v[0:1], v41 offset:64
	s_mov_b32 s0, exec_lo
	s_wait_dscnt 0x0
	ds_store_b64 v42, v[0:1]
	s_wait_dscnt 0x0
	s_barrier_signal -1
	s_barrier_wait -1
	v_cmpx_gt_u32_e32 8, v46
	s_cbranch_execz .LBB18_260
; %bb.251:
	v_cmp_ne_u32_e32 vcc_lo, 1, v44
	s_cbranch_vccnz .LBB18_253
; %bb.252:
	ds_load_b64 v[0:1], v43
	ds_load_b64 v[48:49], v42
	s_wait_dscnt 0x0
	v_pk_mul_f32 v[50:51], v[48:49], v[0:1] op_sel:[1,1] op_sel_hi:[0,1]
	s_delay_alu instid0(VALU_DEP_1) | instskip(SKIP_1) | instid1(VALU_DEP_2)
	v_pk_fma_f32 v[52:53], v[48:49], v[0:1], v[50:51] op_sel_hi:[1,0,1]
	v_pk_fma_f32 v[0:1], v[48:49], v[0:1], v[50:51] neg_lo:[0,0,1] neg_hi:[0,0,1]
	v_mov_b32_e32 v1, v53
	s_cbranch_execz .LBB18_254
	s_branch .LBB18_255
.LBB18_253:
                                        ; implicit-def: $vgpr0_vgpr1
.LBB18_254:
	ds_load_b64 v[0:1], v42
.LBB18_255:
	s_mov_b32 s4, exec_lo
	v_cmpx_ne_u32_e32 7, v46
	s_cbranch_execz .LBB18_259
; %bb.256:
	v_add_nc_u32_e32 v45, 0xa8, v40
	v_add3_u32 v48, v47, v40, 0x148
	v_mov_b32_e32 v49, v46
	s_mov_b32 s5, 0
.LBB18_257:                             ; =>This Inner Loop Header: Depth=1
	ds_load_b64 v[50:51], v48
	ds_load_b64 v[52:53], v45
	v_dual_add_nc_u32 v45, 8, v45 :: v_dual_add_nc_u32 v48, 8, v48
	s_wait_dscnt 0x0
	v_pk_mul_f32 v[54:55], v[52:53], v[50:51] op_sel:[1,1] op_sel_hi:[0,1]
	s_delay_alu instid0(VALU_DEP_1) | instskip(SKIP_2) | instid1(VALU_DEP_3)
	v_pk_fma_f32 v[56:57], v[52:53], v[50:51], v[54:55] op_sel_hi:[1,0,1]
	v_add_nc_u32_e32 v49, 1, v49
	v_pk_fma_f32 v[50:51], v[52:53], v[50:51], v[54:55] neg_lo:[0,0,1] neg_hi:[0,0,1]
	v_mov_b32_e32 v51, v57
	s_delay_alu instid0(VALU_DEP_3) | instskip(NEXT) | instid1(VALU_DEP_2)
	v_cmp_lt_u32_e32 vcc_lo, 6, v49
	v_pk_add_f32 v[0:1], v[0:1], v[50:51]
	s_or_b32 s5, vcc_lo, s5
	s_delay_alu instid0(SALU_CYCLE_1)
	s_and_not1_b32 exec_lo, exec_lo, s5
	s_cbranch_execnz .LBB18_257
; %bb.258:
	s_or_b32 exec_lo, exec_lo, s5
.LBB18_259:
	s_delay_alu instid0(SALU_CYCLE_1) | instskip(SKIP_4) | instid1(VALU_DEP_1)
	s_or_b32 exec_lo, exec_lo, s4
	v_mov_b32_e32 v45, 0
	ds_load_b64 v[48:49], v45 offset:64
	s_wait_dscnt 0x0
	v_pk_mul_f32 v[50:51], v[0:1], v[48:49] op_sel:[1,1] op_sel_hi:[0,1]
	v_pk_fma_f32 v[52:53], v[0:1], v[48:49], v[50:51] op_sel_hi:[1,0,1]
	v_pk_fma_f32 v[0:1], v[0:1], v[48:49], v[50:51] neg_lo:[0,0,1] neg_hi:[0,0,1]
	s_delay_alu instid0(VALU_DEP_2)
	v_mov_b32_e32 v1, v53
	ds_store_b64 v41, v[0:1] offset:64
.LBB18_260:
	s_or_b32 exec_lo, exec_lo, s0
	ds_load_b64 v[0:1], v41 offset:72
	s_mov_b32 s0, exec_lo
	s_wait_dscnt 0x0
	ds_store_b64 v42, v[0:1]
	s_wait_dscnt 0x0
	s_barrier_signal -1
	s_barrier_wait -1
	v_cmpx_gt_u32_e32 9, v46
	s_cbranch_execz .LBB18_270
; %bb.261:
	v_cmp_ne_u32_e32 vcc_lo, 1, v44
	s_cbranch_vccnz .LBB18_263
; %bb.262:
	ds_load_b64 v[0:1], v43
	ds_load_b64 v[48:49], v42
	s_wait_dscnt 0x0
	v_pk_mul_f32 v[50:51], v[48:49], v[0:1] op_sel:[1,1] op_sel_hi:[0,1]
	s_delay_alu instid0(VALU_DEP_1) | instskip(SKIP_1) | instid1(VALU_DEP_2)
	v_pk_fma_f32 v[52:53], v[48:49], v[0:1], v[50:51] op_sel_hi:[1,0,1]
	v_pk_fma_f32 v[0:1], v[48:49], v[0:1], v[50:51] neg_lo:[0,0,1] neg_hi:[0,0,1]
	v_mov_b32_e32 v1, v53
	s_cbranch_execz .LBB18_264
	s_branch .LBB18_265
.LBB18_263:
                                        ; implicit-def: $vgpr0_vgpr1
.LBB18_264:
	ds_load_b64 v[0:1], v42
.LBB18_265:
	s_mov_b32 s4, exec_lo
	v_cmpx_ne_u32_e32 8, v46
	s_cbranch_execz .LBB18_269
; %bb.266:
	v_add_nc_u32_e32 v45, 0xa8, v40
	v_add3_u32 v48, v47, v40, 0x148
	v_mov_b32_e32 v49, v46
	s_mov_b32 s5, 0
.LBB18_267:                             ; =>This Inner Loop Header: Depth=1
	ds_load_b64 v[50:51], v48
	ds_load_b64 v[52:53], v45
	v_dual_add_nc_u32 v45, 8, v45 :: v_dual_add_nc_u32 v48, 8, v48
	s_wait_dscnt 0x0
	v_pk_mul_f32 v[54:55], v[52:53], v[50:51] op_sel:[1,1] op_sel_hi:[0,1]
	s_delay_alu instid0(VALU_DEP_1) | instskip(SKIP_2) | instid1(VALU_DEP_3)
	v_pk_fma_f32 v[56:57], v[52:53], v[50:51], v[54:55] op_sel_hi:[1,0,1]
	v_add_nc_u32_e32 v49, 1, v49
	v_pk_fma_f32 v[50:51], v[52:53], v[50:51], v[54:55] neg_lo:[0,0,1] neg_hi:[0,0,1]
	v_mov_b32_e32 v51, v57
	s_delay_alu instid0(VALU_DEP_3) | instskip(NEXT) | instid1(VALU_DEP_2)
	v_cmp_lt_u32_e32 vcc_lo, 7, v49
	v_pk_add_f32 v[0:1], v[0:1], v[50:51]
	s_or_b32 s5, vcc_lo, s5
	s_delay_alu instid0(SALU_CYCLE_1)
	s_and_not1_b32 exec_lo, exec_lo, s5
	s_cbranch_execnz .LBB18_267
; %bb.268:
	s_or_b32 exec_lo, exec_lo, s5
.LBB18_269:
	s_delay_alu instid0(SALU_CYCLE_1) | instskip(SKIP_4) | instid1(VALU_DEP_1)
	s_or_b32 exec_lo, exec_lo, s4
	v_mov_b32_e32 v45, 0
	ds_load_b64 v[48:49], v45 offset:72
	s_wait_dscnt 0x0
	v_pk_mul_f32 v[50:51], v[0:1], v[48:49] op_sel:[1,1] op_sel_hi:[0,1]
	v_pk_fma_f32 v[52:53], v[0:1], v[48:49], v[50:51] op_sel_hi:[1,0,1]
	v_pk_fma_f32 v[0:1], v[0:1], v[48:49], v[50:51] neg_lo:[0,0,1] neg_hi:[0,0,1]
	s_delay_alu instid0(VALU_DEP_2)
	v_mov_b32_e32 v1, v53
	ds_store_b64 v41, v[0:1] offset:72
.LBB18_270:
	s_or_b32 exec_lo, exec_lo, s0
	ds_load_b64 v[0:1], v41 offset:80
	s_mov_b32 s0, exec_lo
	s_wait_dscnt 0x0
	ds_store_b64 v42, v[0:1]
	s_wait_dscnt 0x0
	s_barrier_signal -1
	s_barrier_wait -1
	v_cmpx_gt_u32_e32 10, v46
	s_cbranch_execz .LBB18_280
; %bb.271:
	v_cmp_ne_u32_e32 vcc_lo, 1, v44
	s_cbranch_vccnz .LBB18_273
; %bb.272:
	ds_load_b64 v[0:1], v43
	ds_load_b64 v[48:49], v42
	s_wait_dscnt 0x0
	v_pk_mul_f32 v[50:51], v[48:49], v[0:1] op_sel:[1,1] op_sel_hi:[0,1]
	s_delay_alu instid0(VALU_DEP_1) | instskip(SKIP_1) | instid1(VALU_DEP_2)
	v_pk_fma_f32 v[52:53], v[48:49], v[0:1], v[50:51] op_sel_hi:[1,0,1]
	v_pk_fma_f32 v[0:1], v[48:49], v[0:1], v[50:51] neg_lo:[0,0,1] neg_hi:[0,0,1]
	v_mov_b32_e32 v1, v53
	s_cbranch_execz .LBB18_274
	s_branch .LBB18_275
.LBB18_273:
                                        ; implicit-def: $vgpr0_vgpr1
.LBB18_274:
	ds_load_b64 v[0:1], v42
.LBB18_275:
	s_mov_b32 s4, exec_lo
	v_cmpx_ne_u32_e32 9, v46
	s_cbranch_execz .LBB18_279
; %bb.276:
	v_add_nc_u32_e32 v45, 0xa8, v40
	v_add3_u32 v48, v47, v40, 0x148
	v_mov_b32_e32 v49, v46
	s_mov_b32 s5, 0
.LBB18_277:                             ; =>This Inner Loop Header: Depth=1
	ds_load_b64 v[50:51], v48
	ds_load_b64 v[52:53], v45
	v_dual_add_nc_u32 v45, 8, v45 :: v_dual_add_nc_u32 v48, 8, v48
	s_wait_dscnt 0x0
	v_pk_mul_f32 v[54:55], v[52:53], v[50:51] op_sel:[1,1] op_sel_hi:[0,1]
	s_delay_alu instid0(VALU_DEP_1) | instskip(SKIP_2) | instid1(VALU_DEP_3)
	v_pk_fma_f32 v[56:57], v[52:53], v[50:51], v[54:55] op_sel_hi:[1,0,1]
	v_add_nc_u32_e32 v49, 1, v49
	v_pk_fma_f32 v[50:51], v[52:53], v[50:51], v[54:55] neg_lo:[0,0,1] neg_hi:[0,0,1]
	v_mov_b32_e32 v51, v57
	s_delay_alu instid0(VALU_DEP_3) | instskip(NEXT) | instid1(VALU_DEP_2)
	v_cmp_lt_u32_e32 vcc_lo, 8, v49
	v_pk_add_f32 v[0:1], v[0:1], v[50:51]
	s_or_b32 s5, vcc_lo, s5
	s_delay_alu instid0(SALU_CYCLE_1)
	s_and_not1_b32 exec_lo, exec_lo, s5
	s_cbranch_execnz .LBB18_277
; %bb.278:
	s_or_b32 exec_lo, exec_lo, s5
.LBB18_279:
	s_delay_alu instid0(SALU_CYCLE_1) | instskip(SKIP_4) | instid1(VALU_DEP_1)
	s_or_b32 exec_lo, exec_lo, s4
	v_mov_b32_e32 v45, 0
	ds_load_b64 v[48:49], v45 offset:80
	s_wait_dscnt 0x0
	v_pk_mul_f32 v[50:51], v[0:1], v[48:49] op_sel:[1,1] op_sel_hi:[0,1]
	v_pk_fma_f32 v[52:53], v[0:1], v[48:49], v[50:51] op_sel_hi:[1,0,1]
	v_pk_fma_f32 v[0:1], v[0:1], v[48:49], v[50:51] neg_lo:[0,0,1] neg_hi:[0,0,1]
	s_delay_alu instid0(VALU_DEP_2)
	v_mov_b32_e32 v1, v53
	ds_store_b64 v41, v[0:1] offset:80
.LBB18_280:
	s_or_b32 exec_lo, exec_lo, s0
	ds_load_b64 v[0:1], v41 offset:88
	s_mov_b32 s0, exec_lo
	s_wait_dscnt 0x0
	ds_store_b64 v42, v[0:1]
	s_wait_dscnt 0x0
	s_barrier_signal -1
	s_barrier_wait -1
	v_cmpx_gt_u32_e32 11, v46
	s_cbranch_execz .LBB18_290
; %bb.281:
	v_cmp_ne_u32_e32 vcc_lo, 1, v44
	s_cbranch_vccnz .LBB18_283
; %bb.282:
	ds_load_b64 v[0:1], v43
	ds_load_b64 v[48:49], v42
	s_wait_dscnt 0x0
	v_pk_mul_f32 v[50:51], v[48:49], v[0:1] op_sel:[1,1] op_sel_hi:[0,1]
	s_delay_alu instid0(VALU_DEP_1) | instskip(SKIP_1) | instid1(VALU_DEP_2)
	v_pk_fma_f32 v[52:53], v[48:49], v[0:1], v[50:51] op_sel_hi:[1,0,1]
	v_pk_fma_f32 v[0:1], v[48:49], v[0:1], v[50:51] neg_lo:[0,0,1] neg_hi:[0,0,1]
	v_mov_b32_e32 v1, v53
	s_cbranch_execz .LBB18_284
	s_branch .LBB18_285
.LBB18_283:
                                        ; implicit-def: $vgpr0_vgpr1
.LBB18_284:
	ds_load_b64 v[0:1], v42
.LBB18_285:
	s_mov_b32 s4, exec_lo
	v_cmpx_ne_u32_e32 10, v46
	s_cbranch_execz .LBB18_289
; %bb.286:
	v_add_nc_u32_e32 v45, 0xa8, v40
	v_add3_u32 v48, v47, v40, 0x148
	v_mov_b32_e32 v49, v46
	s_mov_b32 s5, 0
.LBB18_287:                             ; =>This Inner Loop Header: Depth=1
	ds_load_b64 v[50:51], v48
	ds_load_b64 v[52:53], v45
	v_dual_add_nc_u32 v45, 8, v45 :: v_dual_add_nc_u32 v48, 8, v48
	s_wait_dscnt 0x0
	v_pk_mul_f32 v[54:55], v[52:53], v[50:51] op_sel:[1,1] op_sel_hi:[0,1]
	s_delay_alu instid0(VALU_DEP_1) | instskip(SKIP_2) | instid1(VALU_DEP_3)
	v_pk_fma_f32 v[56:57], v[52:53], v[50:51], v[54:55] op_sel_hi:[1,0,1]
	v_add_nc_u32_e32 v49, 1, v49
	v_pk_fma_f32 v[50:51], v[52:53], v[50:51], v[54:55] neg_lo:[0,0,1] neg_hi:[0,0,1]
	v_mov_b32_e32 v51, v57
	s_delay_alu instid0(VALU_DEP_3) | instskip(NEXT) | instid1(VALU_DEP_2)
	v_cmp_lt_u32_e32 vcc_lo, 9, v49
	v_pk_add_f32 v[0:1], v[0:1], v[50:51]
	s_or_b32 s5, vcc_lo, s5
	s_delay_alu instid0(SALU_CYCLE_1)
	s_and_not1_b32 exec_lo, exec_lo, s5
	s_cbranch_execnz .LBB18_287
; %bb.288:
	s_or_b32 exec_lo, exec_lo, s5
.LBB18_289:
	s_delay_alu instid0(SALU_CYCLE_1) | instskip(SKIP_4) | instid1(VALU_DEP_1)
	s_or_b32 exec_lo, exec_lo, s4
	v_mov_b32_e32 v45, 0
	ds_load_b64 v[48:49], v45 offset:88
	s_wait_dscnt 0x0
	v_pk_mul_f32 v[50:51], v[0:1], v[48:49] op_sel:[1,1] op_sel_hi:[0,1]
	v_pk_fma_f32 v[52:53], v[0:1], v[48:49], v[50:51] op_sel_hi:[1,0,1]
	v_pk_fma_f32 v[0:1], v[0:1], v[48:49], v[50:51] neg_lo:[0,0,1] neg_hi:[0,0,1]
	s_delay_alu instid0(VALU_DEP_2)
	v_mov_b32_e32 v1, v53
	ds_store_b64 v41, v[0:1] offset:88
.LBB18_290:
	s_or_b32 exec_lo, exec_lo, s0
	ds_load_b64 v[0:1], v41 offset:96
	s_mov_b32 s0, exec_lo
	s_wait_dscnt 0x0
	ds_store_b64 v42, v[0:1]
	s_wait_dscnt 0x0
	s_barrier_signal -1
	s_barrier_wait -1
	v_cmpx_gt_u32_e32 12, v46
	s_cbranch_execz .LBB18_300
; %bb.291:
	v_cmp_ne_u32_e32 vcc_lo, 1, v44
	s_cbranch_vccnz .LBB18_293
; %bb.292:
	ds_load_b64 v[0:1], v43
	ds_load_b64 v[48:49], v42
	s_wait_dscnt 0x0
	v_pk_mul_f32 v[50:51], v[48:49], v[0:1] op_sel:[1,1] op_sel_hi:[0,1]
	s_delay_alu instid0(VALU_DEP_1) | instskip(SKIP_1) | instid1(VALU_DEP_2)
	v_pk_fma_f32 v[52:53], v[48:49], v[0:1], v[50:51] op_sel_hi:[1,0,1]
	v_pk_fma_f32 v[0:1], v[48:49], v[0:1], v[50:51] neg_lo:[0,0,1] neg_hi:[0,0,1]
	v_mov_b32_e32 v1, v53
	s_cbranch_execz .LBB18_294
	s_branch .LBB18_295
.LBB18_293:
                                        ; implicit-def: $vgpr0_vgpr1
.LBB18_294:
	ds_load_b64 v[0:1], v42
.LBB18_295:
	s_mov_b32 s4, exec_lo
	v_cmpx_ne_u32_e32 11, v46
	s_cbranch_execz .LBB18_299
; %bb.296:
	v_add_nc_u32_e32 v45, 0xa8, v40
	v_add3_u32 v48, v47, v40, 0x148
	v_mov_b32_e32 v49, v46
	s_mov_b32 s5, 0
.LBB18_297:                             ; =>This Inner Loop Header: Depth=1
	ds_load_b64 v[50:51], v48
	ds_load_b64 v[52:53], v45
	v_dual_add_nc_u32 v45, 8, v45 :: v_dual_add_nc_u32 v48, 8, v48
	s_wait_dscnt 0x0
	v_pk_mul_f32 v[54:55], v[52:53], v[50:51] op_sel:[1,1] op_sel_hi:[0,1]
	s_delay_alu instid0(VALU_DEP_1) | instskip(SKIP_2) | instid1(VALU_DEP_3)
	v_pk_fma_f32 v[56:57], v[52:53], v[50:51], v[54:55] op_sel_hi:[1,0,1]
	v_add_nc_u32_e32 v49, 1, v49
	v_pk_fma_f32 v[50:51], v[52:53], v[50:51], v[54:55] neg_lo:[0,0,1] neg_hi:[0,0,1]
	v_mov_b32_e32 v51, v57
	s_delay_alu instid0(VALU_DEP_3) | instskip(NEXT) | instid1(VALU_DEP_2)
	v_cmp_lt_u32_e32 vcc_lo, 10, v49
	v_pk_add_f32 v[0:1], v[0:1], v[50:51]
	s_or_b32 s5, vcc_lo, s5
	s_delay_alu instid0(SALU_CYCLE_1)
	s_and_not1_b32 exec_lo, exec_lo, s5
	s_cbranch_execnz .LBB18_297
; %bb.298:
	s_or_b32 exec_lo, exec_lo, s5
.LBB18_299:
	s_delay_alu instid0(SALU_CYCLE_1) | instskip(SKIP_4) | instid1(VALU_DEP_1)
	s_or_b32 exec_lo, exec_lo, s4
	v_mov_b32_e32 v45, 0
	ds_load_b64 v[48:49], v45 offset:96
	s_wait_dscnt 0x0
	v_pk_mul_f32 v[50:51], v[0:1], v[48:49] op_sel:[1,1] op_sel_hi:[0,1]
	v_pk_fma_f32 v[52:53], v[0:1], v[48:49], v[50:51] op_sel_hi:[1,0,1]
	v_pk_fma_f32 v[0:1], v[0:1], v[48:49], v[50:51] neg_lo:[0,0,1] neg_hi:[0,0,1]
	s_delay_alu instid0(VALU_DEP_2)
	v_mov_b32_e32 v1, v53
	ds_store_b64 v41, v[0:1] offset:96
.LBB18_300:
	s_or_b32 exec_lo, exec_lo, s0
	ds_load_b64 v[0:1], v41 offset:104
	s_mov_b32 s0, exec_lo
	s_wait_dscnt 0x0
	ds_store_b64 v42, v[0:1]
	s_wait_dscnt 0x0
	s_barrier_signal -1
	s_barrier_wait -1
	v_cmpx_gt_u32_e32 13, v46
	s_cbranch_execz .LBB18_310
; %bb.301:
	v_cmp_ne_u32_e32 vcc_lo, 1, v44
	s_cbranch_vccnz .LBB18_303
; %bb.302:
	ds_load_b64 v[0:1], v43
	ds_load_b64 v[48:49], v42
	s_wait_dscnt 0x0
	v_pk_mul_f32 v[50:51], v[48:49], v[0:1] op_sel:[1,1] op_sel_hi:[0,1]
	s_delay_alu instid0(VALU_DEP_1) | instskip(SKIP_1) | instid1(VALU_DEP_2)
	v_pk_fma_f32 v[52:53], v[48:49], v[0:1], v[50:51] op_sel_hi:[1,0,1]
	v_pk_fma_f32 v[0:1], v[48:49], v[0:1], v[50:51] neg_lo:[0,0,1] neg_hi:[0,0,1]
	v_mov_b32_e32 v1, v53
	s_cbranch_execz .LBB18_304
	s_branch .LBB18_305
.LBB18_303:
                                        ; implicit-def: $vgpr0_vgpr1
.LBB18_304:
	ds_load_b64 v[0:1], v42
.LBB18_305:
	s_mov_b32 s4, exec_lo
	v_cmpx_ne_u32_e32 12, v46
	s_cbranch_execz .LBB18_309
; %bb.306:
	v_add_nc_u32_e32 v45, 0xa8, v40
	v_add3_u32 v48, v47, v40, 0x148
	v_mov_b32_e32 v49, v46
	s_mov_b32 s5, 0
.LBB18_307:                             ; =>This Inner Loop Header: Depth=1
	ds_load_b64 v[50:51], v48
	ds_load_b64 v[52:53], v45
	v_dual_add_nc_u32 v45, 8, v45 :: v_dual_add_nc_u32 v48, 8, v48
	s_wait_dscnt 0x0
	v_pk_mul_f32 v[54:55], v[52:53], v[50:51] op_sel:[1,1] op_sel_hi:[0,1]
	s_delay_alu instid0(VALU_DEP_1) | instskip(SKIP_2) | instid1(VALU_DEP_3)
	v_pk_fma_f32 v[56:57], v[52:53], v[50:51], v[54:55] op_sel_hi:[1,0,1]
	v_add_nc_u32_e32 v49, 1, v49
	v_pk_fma_f32 v[50:51], v[52:53], v[50:51], v[54:55] neg_lo:[0,0,1] neg_hi:[0,0,1]
	v_mov_b32_e32 v51, v57
	s_delay_alu instid0(VALU_DEP_3) | instskip(NEXT) | instid1(VALU_DEP_2)
	v_cmp_lt_u32_e32 vcc_lo, 11, v49
	v_pk_add_f32 v[0:1], v[0:1], v[50:51]
	s_or_b32 s5, vcc_lo, s5
	s_delay_alu instid0(SALU_CYCLE_1)
	s_and_not1_b32 exec_lo, exec_lo, s5
	s_cbranch_execnz .LBB18_307
; %bb.308:
	s_or_b32 exec_lo, exec_lo, s5
.LBB18_309:
	s_delay_alu instid0(SALU_CYCLE_1) | instskip(SKIP_4) | instid1(VALU_DEP_1)
	s_or_b32 exec_lo, exec_lo, s4
	v_mov_b32_e32 v45, 0
	ds_load_b64 v[48:49], v45 offset:104
	s_wait_dscnt 0x0
	v_pk_mul_f32 v[50:51], v[0:1], v[48:49] op_sel:[1,1] op_sel_hi:[0,1]
	v_pk_fma_f32 v[52:53], v[0:1], v[48:49], v[50:51] op_sel_hi:[1,0,1]
	v_pk_fma_f32 v[0:1], v[0:1], v[48:49], v[50:51] neg_lo:[0,0,1] neg_hi:[0,0,1]
	s_delay_alu instid0(VALU_DEP_2)
	v_mov_b32_e32 v1, v53
	ds_store_b64 v41, v[0:1] offset:104
.LBB18_310:
	s_or_b32 exec_lo, exec_lo, s0
	ds_load_b64 v[0:1], v41 offset:112
	s_mov_b32 s0, exec_lo
	s_wait_dscnt 0x0
	ds_store_b64 v42, v[0:1]
	s_wait_dscnt 0x0
	s_barrier_signal -1
	s_barrier_wait -1
	v_cmpx_gt_u32_e32 14, v46
	s_cbranch_execz .LBB18_320
; %bb.311:
	v_cmp_ne_u32_e32 vcc_lo, 1, v44
	s_cbranch_vccnz .LBB18_313
; %bb.312:
	ds_load_b64 v[0:1], v43
	ds_load_b64 v[48:49], v42
	s_wait_dscnt 0x0
	v_pk_mul_f32 v[50:51], v[48:49], v[0:1] op_sel:[1,1] op_sel_hi:[0,1]
	s_delay_alu instid0(VALU_DEP_1) | instskip(SKIP_1) | instid1(VALU_DEP_2)
	v_pk_fma_f32 v[52:53], v[48:49], v[0:1], v[50:51] op_sel_hi:[1,0,1]
	v_pk_fma_f32 v[0:1], v[48:49], v[0:1], v[50:51] neg_lo:[0,0,1] neg_hi:[0,0,1]
	v_mov_b32_e32 v1, v53
	s_cbranch_execz .LBB18_314
	s_branch .LBB18_315
.LBB18_313:
                                        ; implicit-def: $vgpr0_vgpr1
.LBB18_314:
	ds_load_b64 v[0:1], v42
.LBB18_315:
	s_mov_b32 s4, exec_lo
	v_cmpx_ne_u32_e32 13, v46
	s_cbranch_execz .LBB18_319
; %bb.316:
	v_add_nc_u32_e32 v45, 0xa8, v40
	v_add3_u32 v48, v47, v40, 0x148
	v_mov_b32_e32 v49, v46
	s_mov_b32 s5, 0
.LBB18_317:                             ; =>This Inner Loop Header: Depth=1
	ds_load_b64 v[50:51], v48
	ds_load_b64 v[52:53], v45
	v_dual_add_nc_u32 v45, 8, v45 :: v_dual_add_nc_u32 v48, 8, v48
	s_wait_dscnt 0x0
	v_pk_mul_f32 v[54:55], v[52:53], v[50:51] op_sel:[1,1] op_sel_hi:[0,1]
	s_delay_alu instid0(VALU_DEP_1) | instskip(SKIP_2) | instid1(VALU_DEP_3)
	v_pk_fma_f32 v[56:57], v[52:53], v[50:51], v[54:55] op_sel_hi:[1,0,1]
	v_add_nc_u32_e32 v49, 1, v49
	v_pk_fma_f32 v[50:51], v[52:53], v[50:51], v[54:55] neg_lo:[0,0,1] neg_hi:[0,0,1]
	v_mov_b32_e32 v51, v57
	s_delay_alu instid0(VALU_DEP_3) | instskip(NEXT) | instid1(VALU_DEP_2)
	v_cmp_lt_u32_e32 vcc_lo, 12, v49
	v_pk_add_f32 v[0:1], v[0:1], v[50:51]
	s_or_b32 s5, vcc_lo, s5
	s_delay_alu instid0(SALU_CYCLE_1)
	s_and_not1_b32 exec_lo, exec_lo, s5
	s_cbranch_execnz .LBB18_317
; %bb.318:
	s_or_b32 exec_lo, exec_lo, s5
.LBB18_319:
	s_delay_alu instid0(SALU_CYCLE_1) | instskip(SKIP_4) | instid1(VALU_DEP_1)
	s_or_b32 exec_lo, exec_lo, s4
	v_mov_b32_e32 v45, 0
	ds_load_b64 v[48:49], v45 offset:112
	s_wait_dscnt 0x0
	v_pk_mul_f32 v[50:51], v[0:1], v[48:49] op_sel:[1,1] op_sel_hi:[0,1]
	v_pk_fma_f32 v[52:53], v[0:1], v[48:49], v[50:51] op_sel_hi:[1,0,1]
	v_pk_fma_f32 v[0:1], v[0:1], v[48:49], v[50:51] neg_lo:[0,0,1] neg_hi:[0,0,1]
	s_delay_alu instid0(VALU_DEP_2)
	v_mov_b32_e32 v1, v53
	ds_store_b64 v41, v[0:1] offset:112
.LBB18_320:
	s_or_b32 exec_lo, exec_lo, s0
	ds_load_b64 v[0:1], v41 offset:120
	s_mov_b32 s0, exec_lo
	s_wait_dscnt 0x0
	ds_store_b64 v42, v[0:1]
	s_wait_dscnt 0x0
	s_barrier_signal -1
	s_barrier_wait -1
	v_cmpx_gt_u32_e32 15, v46
	s_cbranch_execz .LBB18_330
; %bb.321:
	v_cmp_ne_u32_e32 vcc_lo, 1, v44
	s_cbranch_vccnz .LBB18_323
; %bb.322:
	ds_load_b64 v[0:1], v43
	ds_load_b64 v[48:49], v42
	s_wait_dscnt 0x0
	v_pk_mul_f32 v[50:51], v[48:49], v[0:1] op_sel:[1,1] op_sel_hi:[0,1]
	s_delay_alu instid0(VALU_DEP_1) | instskip(SKIP_1) | instid1(VALU_DEP_2)
	v_pk_fma_f32 v[52:53], v[48:49], v[0:1], v[50:51] op_sel_hi:[1,0,1]
	v_pk_fma_f32 v[0:1], v[48:49], v[0:1], v[50:51] neg_lo:[0,0,1] neg_hi:[0,0,1]
	v_mov_b32_e32 v1, v53
	s_cbranch_execz .LBB18_324
	s_branch .LBB18_325
.LBB18_323:
                                        ; implicit-def: $vgpr0_vgpr1
.LBB18_324:
	ds_load_b64 v[0:1], v42
.LBB18_325:
	s_mov_b32 s4, exec_lo
	v_cmpx_ne_u32_e32 14, v46
	s_cbranch_execz .LBB18_329
; %bb.326:
	v_add_nc_u32_e32 v45, 0xa8, v40
	v_add3_u32 v48, v47, v40, 0x148
	v_mov_b32_e32 v49, v46
	s_mov_b32 s5, 0
.LBB18_327:                             ; =>This Inner Loop Header: Depth=1
	ds_load_b64 v[50:51], v48
	ds_load_b64 v[52:53], v45
	v_dual_add_nc_u32 v45, 8, v45 :: v_dual_add_nc_u32 v48, 8, v48
	s_wait_dscnt 0x0
	v_pk_mul_f32 v[54:55], v[52:53], v[50:51] op_sel:[1,1] op_sel_hi:[0,1]
	s_delay_alu instid0(VALU_DEP_1) | instskip(SKIP_2) | instid1(VALU_DEP_3)
	v_pk_fma_f32 v[56:57], v[52:53], v[50:51], v[54:55] op_sel_hi:[1,0,1]
	v_add_nc_u32_e32 v49, 1, v49
	v_pk_fma_f32 v[50:51], v[52:53], v[50:51], v[54:55] neg_lo:[0,0,1] neg_hi:[0,0,1]
	v_mov_b32_e32 v51, v57
	s_delay_alu instid0(VALU_DEP_3) | instskip(NEXT) | instid1(VALU_DEP_2)
	v_cmp_lt_u32_e32 vcc_lo, 13, v49
	v_pk_add_f32 v[0:1], v[0:1], v[50:51]
	s_or_b32 s5, vcc_lo, s5
	s_delay_alu instid0(SALU_CYCLE_1)
	s_and_not1_b32 exec_lo, exec_lo, s5
	s_cbranch_execnz .LBB18_327
; %bb.328:
	s_or_b32 exec_lo, exec_lo, s5
.LBB18_329:
	s_delay_alu instid0(SALU_CYCLE_1) | instskip(SKIP_4) | instid1(VALU_DEP_1)
	s_or_b32 exec_lo, exec_lo, s4
	v_mov_b32_e32 v45, 0
	ds_load_b64 v[48:49], v45 offset:120
	s_wait_dscnt 0x0
	v_pk_mul_f32 v[50:51], v[0:1], v[48:49] op_sel:[1,1] op_sel_hi:[0,1]
	v_pk_fma_f32 v[52:53], v[0:1], v[48:49], v[50:51] op_sel_hi:[1,0,1]
	v_pk_fma_f32 v[0:1], v[0:1], v[48:49], v[50:51] neg_lo:[0,0,1] neg_hi:[0,0,1]
	s_delay_alu instid0(VALU_DEP_2)
	v_mov_b32_e32 v1, v53
	ds_store_b64 v41, v[0:1] offset:120
.LBB18_330:
	s_or_b32 exec_lo, exec_lo, s0
	ds_load_b64 v[0:1], v41 offset:128
	s_mov_b32 s0, exec_lo
	s_wait_dscnt 0x0
	ds_store_b64 v42, v[0:1]
	s_wait_dscnt 0x0
	s_barrier_signal -1
	s_barrier_wait -1
	v_cmpx_gt_u32_e32 16, v46
	s_cbranch_execz .LBB18_340
; %bb.331:
	v_cmp_ne_u32_e32 vcc_lo, 1, v44
	s_cbranch_vccnz .LBB18_333
; %bb.332:
	ds_load_b64 v[0:1], v43
	ds_load_b64 v[48:49], v42
	s_wait_dscnt 0x0
	v_pk_mul_f32 v[50:51], v[48:49], v[0:1] op_sel:[1,1] op_sel_hi:[0,1]
	s_delay_alu instid0(VALU_DEP_1) | instskip(SKIP_1) | instid1(VALU_DEP_2)
	v_pk_fma_f32 v[52:53], v[48:49], v[0:1], v[50:51] op_sel_hi:[1,0,1]
	v_pk_fma_f32 v[0:1], v[48:49], v[0:1], v[50:51] neg_lo:[0,0,1] neg_hi:[0,0,1]
	v_mov_b32_e32 v1, v53
	s_cbranch_execz .LBB18_334
	s_branch .LBB18_335
.LBB18_333:
                                        ; implicit-def: $vgpr0_vgpr1
.LBB18_334:
	ds_load_b64 v[0:1], v42
.LBB18_335:
	s_mov_b32 s4, exec_lo
	v_cmpx_ne_u32_e32 15, v46
	s_cbranch_execz .LBB18_339
; %bb.336:
	v_add_nc_u32_e32 v45, 0xa8, v40
	v_add3_u32 v48, v47, v40, 0x148
	v_mov_b32_e32 v49, v46
	s_mov_b32 s5, 0
.LBB18_337:                             ; =>This Inner Loop Header: Depth=1
	ds_load_b64 v[50:51], v48
	ds_load_b64 v[52:53], v45
	v_dual_add_nc_u32 v45, 8, v45 :: v_dual_add_nc_u32 v48, 8, v48
	s_wait_dscnt 0x0
	v_pk_mul_f32 v[54:55], v[52:53], v[50:51] op_sel:[1,1] op_sel_hi:[0,1]
	s_delay_alu instid0(VALU_DEP_1) | instskip(SKIP_2) | instid1(VALU_DEP_3)
	v_pk_fma_f32 v[56:57], v[52:53], v[50:51], v[54:55] op_sel_hi:[1,0,1]
	v_add_nc_u32_e32 v49, 1, v49
	v_pk_fma_f32 v[50:51], v[52:53], v[50:51], v[54:55] neg_lo:[0,0,1] neg_hi:[0,0,1]
	v_mov_b32_e32 v51, v57
	s_delay_alu instid0(VALU_DEP_3) | instskip(NEXT) | instid1(VALU_DEP_2)
	v_cmp_lt_u32_e32 vcc_lo, 14, v49
	v_pk_add_f32 v[0:1], v[0:1], v[50:51]
	s_or_b32 s5, vcc_lo, s5
	s_delay_alu instid0(SALU_CYCLE_1)
	s_and_not1_b32 exec_lo, exec_lo, s5
	s_cbranch_execnz .LBB18_337
; %bb.338:
	s_or_b32 exec_lo, exec_lo, s5
.LBB18_339:
	s_delay_alu instid0(SALU_CYCLE_1) | instskip(SKIP_4) | instid1(VALU_DEP_1)
	s_or_b32 exec_lo, exec_lo, s4
	v_mov_b32_e32 v45, 0
	ds_load_b64 v[48:49], v45 offset:128
	s_wait_dscnt 0x0
	v_pk_mul_f32 v[50:51], v[0:1], v[48:49] op_sel:[1,1] op_sel_hi:[0,1]
	v_pk_fma_f32 v[52:53], v[0:1], v[48:49], v[50:51] op_sel_hi:[1,0,1]
	v_pk_fma_f32 v[0:1], v[0:1], v[48:49], v[50:51] neg_lo:[0,0,1] neg_hi:[0,0,1]
	s_delay_alu instid0(VALU_DEP_2)
	v_mov_b32_e32 v1, v53
	ds_store_b64 v41, v[0:1] offset:128
.LBB18_340:
	s_or_b32 exec_lo, exec_lo, s0
	ds_load_b64 v[0:1], v41 offset:136
	v_cmp_gt_u32_e64 s0, 17, v46
	s_wait_dscnt 0x0
	ds_store_b64 v42, v[0:1]
	s_wait_dscnt 0x0
	s_barrier_signal -1
	s_barrier_wait -1
	s_and_saveexec_b32 s4, s0
	s_cbranch_execz .LBB18_350
; %bb.341:
	v_cmp_ne_u32_e32 vcc_lo, 1, v44
	s_cbranch_vccnz .LBB18_343
; %bb.342:
	ds_load_b64 v[0:1], v43
	ds_load_b64 v[48:49], v42
	s_wait_dscnt 0x0
	v_pk_mul_f32 v[50:51], v[48:49], v[0:1] op_sel:[1,1] op_sel_hi:[0,1]
	s_delay_alu instid0(VALU_DEP_1) | instskip(SKIP_1) | instid1(VALU_DEP_2)
	v_pk_fma_f32 v[52:53], v[48:49], v[0:1], v[50:51] op_sel_hi:[1,0,1]
	v_pk_fma_f32 v[0:1], v[48:49], v[0:1], v[50:51] neg_lo:[0,0,1] neg_hi:[0,0,1]
	v_mov_b32_e32 v1, v53
	s_cbranch_execz .LBB18_344
	s_branch .LBB18_345
.LBB18_343:
                                        ; implicit-def: $vgpr0_vgpr1
.LBB18_344:
	ds_load_b64 v[0:1], v42
.LBB18_345:
	s_mov_b32 s5, exec_lo
	v_cmpx_ne_u32_e32 16, v46
	s_cbranch_execz .LBB18_349
; %bb.346:
	v_add_nc_u32_e32 v45, 0xa8, v40
	v_add3_u32 v48, v47, v40, 0x148
	v_mov_b32_e32 v49, v46
	s_mov_b32 s6, 0
.LBB18_347:                             ; =>This Inner Loop Header: Depth=1
	ds_load_b64 v[50:51], v48
	ds_load_b64 v[52:53], v45
	v_dual_add_nc_u32 v45, 8, v45 :: v_dual_add_nc_u32 v48, 8, v48
	s_wait_dscnt 0x0
	v_pk_mul_f32 v[54:55], v[52:53], v[50:51] op_sel:[1,1] op_sel_hi:[0,1]
	s_delay_alu instid0(VALU_DEP_1) | instskip(SKIP_2) | instid1(VALU_DEP_3)
	v_pk_fma_f32 v[56:57], v[52:53], v[50:51], v[54:55] op_sel_hi:[1,0,1]
	v_add_nc_u32_e32 v49, 1, v49
	v_pk_fma_f32 v[50:51], v[52:53], v[50:51], v[54:55] neg_lo:[0,0,1] neg_hi:[0,0,1]
	v_mov_b32_e32 v51, v57
	s_delay_alu instid0(VALU_DEP_3) | instskip(NEXT) | instid1(VALU_DEP_2)
	v_cmp_lt_u32_e32 vcc_lo, 15, v49
	v_pk_add_f32 v[0:1], v[0:1], v[50:51]
	s_or_b32 s6, vcc_lo, s6
	s_delay_alu instid0(SALU_CYCLE_1)
	s_and_not1_b32 exec_lo, exec_lo, s6
	s_cbranch_execnz .LBB18_347
; %bb.348:
	s_or_b32 exec_lo, exec_lo, s6
.LBB18_349:
	s_delay_alu instid0(SALU_CYCLE_1) | instskip(SKIP_4) | instid1(VALU_DEP_1)
	s_or_b32 exec_lo, exec_lo, s5
	v_mov_b32_e32 v45, 0
	ds_load_b64 v[48:49], v45 offset:136
	s_wait_dscnt 0x0
	v_pk_mul_f32 v[50:51], v[0:1], v[48:49] op_sel:[1,1] op_sel_hi:[0,1]
	v_pk_fma_f32 v[52:53], v[0:1], v[48:49], v[50:51] op_sel_hi:[1,0,1]
	v_pk_fma_f32 v[0:1], v[0:1], v[48:49], v[50:51] neg_lo:[0,0,1] neg_hi:[0,0,1]
	s_delay_alu instid0(VALU_DEP_2)
	v_mov_b32_e32 v1, v53
	ds_store_b64 v41, v[0:1] offset:136
.LBB18_350:
	s_or_b32 exec_lo, exec_lo, s4
	ds_load_b64 v[0:1], v41 offset:144
	s_mov_b32 s4, exec_lo
                                        ; implicit-def: $vgpr45
                                        ; implicit-def: $vgpr49
	s_wait_dscnt 0x0
	ds_store_b64 v42, v[0:1]
	s_wait_dscnt 0x0
	s_barrier_signal -1
	s_barrier_wait -1
	v_cmpx_ne_u32_e32 18, v46
	s_cbranch_execz .LBB18_360
; %bb.351:
	v_cmp_ne_u32_e32 vcc_lo, 1, v44
	s_cbranch_vccnz .LBB18_353
; %bb.352:
	ds_load_b64 v[44:45], v43
	ds_load_b64 v[48:49], v42
	s_wait_dscnt 0x0
	v_dual_mul_f32 v0, v49, v45 :: v_dual_mul_f32 v1, v48, v45
	s_delay_alu instid0(VALU_DEP_1)
	v_dual_fma_f32 v0, v48, v44, -v0 :: v_dual_fmac_f32 v1, v49, v44
	s_cbranch_execz .LBB18_354
	s_branch .LBB18_355
.LBB18_353:
                                        ; implicit-def: $vgpr1
.LBB18_354:
	ds_load_b64 v[0:1], v42
.LBB18_355:
	s_and_saveexec_b32 s5, s0
	s_cbranch_execz .LBB18_359
; %bb.356:
	v_add_nc_u32_e32 v42, 0xa8, v40
	v_add3_u32 v40, v47, v40, 0x148
	s_mov_b32 s0, 0
.LBB18_357:                             ; =>This Inner Loop Header: Depth=1
	ds_load_b64 v[44:45], v40
	ds_load_b64 v[48:49], v42
	s_wait_dscnt 0x0
	v_dual_mul_f32 v43, v49, v45 :: v_dual_add_nc_u32 v42, 8, v42
	v_dual_mul_f32 v45, v48, v45 :: v_dual_add_nc_u32 v46, 1, v46
	s_delay_alu instid0(VALU_DEP_1) | instskip(NEXT) | instid1(VALU_DEP_2)
	v_dual_fma_f32 v43, v48, v44, -v43 :: v_dual_fmac_f32 v45, v49, v44
	v_cmp_lt_u32_e32 vcc_lo, 16, v46
	s_delay_alu instid0(VALU_DEP_2) | instskip(NEXT) | instid1(VALU_DEP_3)
	v_dual_add_nc_u32 v40, 8, v40 :: v_dual_add_f32 v0, v0, v43
	v_add_f32_e32 v1, v1, v45
	s_or_b32 s0, vcc_lo, s0
	s_delay_alu instid0(SALU_CYCLE_1)
	s_and_not1_b32 exec_lo, exec_lo, s0
	s_cbranch_execnz .LBB18_357
; %bb.358:
	s_or_b32 exec_lo, exec_lo, s0
.LBB18_359:
	s_delay_alu instid0(SALU_CYCLE_1)
	s_or_b32 exec_lo, exec_lo, s5
	v_mov_b32_e32 v40, 0
	s_or_b32 s1, s1, exec_lo
	v_add_nc_u32_e32 v49, 0x94, v41
	ds_load_b64 v[42:43], v40 offset:144
	s_wait_dscnt 0x0
	v_dual_mul_f32 v40, v1, v43 :: v_dual_mul_f32 v45, v0, v43
	s_delay_alu instid0(VALU_DEP_1)
	v_dual_fma_f32 v0, v0, v42, -v40 :: v_dual_fmac_f32 v45, v1, v42
	ds_store_b32 v41, v0 offset:144
.LBB18_360:
	s_or_b32 exec_lo, exec_lo, s4
.LBB18_361:
	v_lshl_add_u64 v[0:1], v[6:7], 3, s[2:3]
	v_lshl_add_u64 v[6:7], v[8:9], 3, s[2:3]
	v_lshl_add_u64 v[8:9], v[10:11], 3, s[2:3]
	v_lshl_add_u64 v[10:11], v[12:13], 3, s[2:3]
	v_lshl_add_u64 v[12:13], v[14:15], 3, s[2:3]
	v_lshl_add_u64 v[14:15], v[16:17], 3, s[2:3]
	v_lshl_add_u64 v[16:17], v[18:19], 3, s[2:3]
	v_lshl_add_u64 v[18:19], v[20:21], 3, s[2:3]
	v_lshl_add_u64 v[20:21], v[22:23], 3, s[2:3]
	v_lshl_add_u64 v[22:23], v[24:25], 3, s[2:3]
	v_lshl_add_u64 v[24:25], v[26:27], 3, s[2:3]
	v_lshl_add_u64 v[26:27], v[28:29], 3, s[2:3]
	v_lshl_add_u64 v[28:29], v[30:31], 3, s[2:3]
	v_lshl_add_u64 v[30:31], v[32:33], 3, s[2:3]
	v_lshl_add_u64 v[32:33], v[34:35], 3, s[2:3]
	v_lshl_add_u64 v[34:35], v[36:37], 3, s[2:3]
	v_lshl_add_u64 v[36:37], v[38:39], 3, s[2:3]
	s_and_saveexec_b32 s0, s1
; %bb.362:
	ds_store_b32 v49, v45
; %bb.363:
	s_or_b32 exec_lo, exec_lo, s0
	ds_load_b128 v[42:45], v41
	ds_load_b128 v[46:49], v41 offset:16
	ds_load_b128 v[50:53], v41 offset:32
	;; [unrolled: 1-line block ×8, first 2 shown]
	ds_load_b64 v[38:39], v41 offset:144
	s_wait_dscnt 0x9
	s_clause 0x1
	global_store_b64 v[2:3], v[42:43], off
	global_store_b64 v[4:5], v[44:45], off
	s_wait_dscnt 0x8
	s_clause 0x1
	global_store_b64 v[0:1], v[46:47], off
	global_store_b64 v[6:7], v[48:49], off
	;; [unrolled: 4-line block ×9, first 2 shown]
	s_wait_dscnt 0x0
	global_store_b64 v[36:37], v[38:39], off
.LBB18_364:
	s_sendmsg sendmsg(MSG_DEALLOC_VGPRS)
	s_endpgm
	.section	.rodata,"a",@progbits
	.p2align	6, 0x0
	.amdhsa_kernel _ZN9rocsolver6v33100L18trti2_kernel_smallILi19E19rocblas_complex_numIfEPS3_EEv13rocblas_fill_17rocblas_diagonal_T1_iil
		.amdhsa_group_segment_fixed_size 10048
		.amdhsa_private_segment_fixed_size 0
		.amdhsa_kernarg_size 32
		.amdhsa_user_sgpr_count 4
		.amdhsa_user_sgpr_dispatch_ptr 1
		.amdhsa_user_sgpr_queue_ptr 0
		.amdhsa_user_sgpr_kernarg_segment_ptr 1
		.amdhsa_user_sgpr_dispatch_id 0
		.amdhsa_user_sgpr_kernarg_preload_length 0
		.amdhsa_user_sgpr_kernarg_preload_offset 0
		.amdhsa_user_sgpr_private_segment_size 0
		.amdhsa_wavefront_size32 1
		.amdhsa_uses_dynamic_stack 0
		.amdhsa_enable_private_segment 0
		.amdhsa_system_sgpr_workgroup_id_x 1
		.amdhsa_system_sgpr_workgroup_id_y 0
		.amdhsa_system_sgpr_workgroup_id_z 0
		.amdhsa_system_sgpr_workgroup_info 0
		.amdhsa_system_vgpr_workitem_id 2
		.amdhsa_next_free_vgpr 84
		.amdhsa_next_free_sgpr 14
		.amdhsa_named_barrier_count 0
		.amdhsa_reserve_vcc 1
		.amdhsa_float_round_mode_32 0
		.amdhsa_float_round_mode_16_64 0
		.amdhsa_float_denorm_mode_32 3
		.amdhsa_float_denorm_mode_16_64 3
		.amdhsa_fp16_overflow 0
		.amdhsa_memory_ordered 1
		.amdhsa_forward_progress 1
		.amdhsa_inst_pref_size 106
		.amdhsa_round_robin_scheduling 0
		.amdhsa_exception_fp_ieee_invalid_op 0
		.amdhsa_exception_fp_denorm_src 0
		.amdhsa_exception_fp_ieee_div_zero 0
		.amdhsa_exception_fp_ieee_overflow 0
		.amdhsa_exception_fp_ieee_underflow 0
		.amdhsa_exception_fp_ieee_inexact 0
		.amdhsa_exception_int_div_zero 0
	.end_amdhsa_kernel
	.section	.text._ZN9rocsolver6v33100L18trti2_kernel_smallILi19E19rocblas_complex_numIfEPS3_EEv13rocblas_fill_17rocblas_diagonal_T1_iil,"axG",@progbits,_ZN9rocsolver6v33100L18trti2_kernel_smallILi19E19rocblas_complex_numIfEPS3_EEv13rocblas_fill_17rocblas_diagonal_T1_iil,comdat
.Lfunc_end18:
	.size	_ZN9rocsolver6v33100L18trti2_kernel_smallILi19E19rocblas_complex_numIfEPS3_EEv13rocblas_fill_17rocblas_diagonal_T1_iil, .Lfunc_end18-_ZN9rocsolver6v33100L18trti2_kernel_smallILi19E19rocblas_complex_numIfEPS3_EEv13rocblas_fill_17rocblas_diagonal_T1_iil
                                        ; -- End function
	.set _ZN9rocsolver6v33100L18trti2_kernel_smallILi19E19rocblas_complex_numIfEPS3_EEv13rocblas_fill_17rocblas_diagonal_T1_iil.num_vgpr, 84
	.set _ZN9rocsolver6v33100L18trti2_kernel_smallILi19E19rocblas_complex_numIfEPS3_EEv13rocblas_fill_17rocblas_diagonal_T1_iil.num_agpr, 0
	.set _ZN9rocsolver6v33100L18trti2_kernel_smallILi19E19rocblas_complex_numIfEPS3_EEv13rocblas_fill_17rocblas_diagonal_T1_iil.numbered_sgpr, 14
	.set _ZN9rocsolver6v33100L18trti2_kernel_smallILi19E19rocblas_complex_numIfEPS3_EEv13rocblas_fill_17rocblas_diagonal_T1_iil.num_named_barrier, 0
	.set _ZN9rocsolver6v33100L18trti2_kernel_smallILi19E19rocblas_complex_numIfEPS3_EEv13rocblas_fill_17rocblas_diagonal_T1_iil.private_seg_size, 0
	.set _ZN9rocsolver6v33100L18trti2_kernel_smallILi19E19rocblas_complex_numIfEPS3_EEv13rocblas_fill_17rocblas_diagonal_T1_iil.uses_vcc, 1
	.set _ZN9rocsolver6v33100L18trti2_kernel_smallILi19E19rocblas_complex_numIfEPS3_EEv13rocblas_fill_17rocblas_diagonal_T1_iil.uses_flat_scratch, 0
	.set _ZN9rocsolver6v33100L18trti2_kernel_smallILi19E19rocblas_complex_numIfEPS3_EEv13rocblas_fill_17rocblas_diagonal_T1_iil.has_dyn_sized_stack, 0
	.set _ZN9rocsolver6v33100L18trti2_kernel_smallILi19E19rocblas_complex_numIfEPS3_EEv13rocblas_fill_17rocblas_diagonal_T1_iil.has_recursion, 0
	.set _ZN9rocsolver6v33100L18trti2_kernel_smallILi19E19rocblas_complex_numIfEPS3_EEv13rocblas_fill_17rocblas_diagonal_T1_iil.has_indirect_call, 0
	.section	.AMDGPU.csdata,"",@progbits
; Kernel info:
; codeLenInByte = 13540
; TotalNumSgprs: 16
; NumVgprs: 84
; ScratchSize: 0
; MemoryBound: 0
; FloatMode: 240
; IeeeMode: 1
; LDSByteSize: 10048 bytes/workgroup (compile time only)
; SGPRBlocks: 0
; VGPRBlocks: 5
; NumSGPRsForWavesPerEU: 16
; NumVGPRsForWavesPerEU: 84
; NamedBarCnt: 0
; Occupancy: 8
; WaveLimiterHint : 0
; COMPUTE_PGM_RSRC2:SCRATCH_EN: 0
; COMPUTE_PGM_RSRC2:USER_SGPR: 4
; COMPUTE_PGM_RSRC2:TRAP_HANDLER: 0
; COMPUTE_PGM_RSRC2:TGID_X_EN: 1
; COMPUTE_PGM_RSRC2:TGID_Y_EN: 0
; COMPUTE_PGM_RSRC2:TGID_Z_EN: 0
; COMPUTE_PGM_RSRC2:TIDIG_COMP_CNT: 2
	.section	.text._ZN9rocsolver6v33100L18trti2_kernel_smallILi20E19rocblas_complex_numIfEPS3_EEv13rocblas_fill_17rocblas_diagonal_T1_iil,"axG",@progbits,_ZN9rocsolver6v33100L18trti2_kernel_smallILi20E19rocblas_complex_numIfEPS3_EEv13rocblas_fill_17rocblas_diagonal_T1_iil,comdat
	.globl	_ZN9rocsolver6v33100L18trti2_kernel_smallILi20E19rocblas_complex_numIfEPS3_EEv13rocblas_fill_17rocblas_diagonal_T1_iil ; -- Begin function _ZN9rocsolver6v33100L18trti2_kernel_smallILi20E19rocblas_complex_numIfEPS3_EEv13rocblas_fill_17rocblas_diagonal_T1_iil
	.p2align	8
	.type	_ZN9rocsolver6v33100L18trti2_kernel_smallILi20E19rocblas_complex_numIfEPS3_EEv13rocblas_fill_17rocblas_diagonal_T1_iil,@function
_ZN9rocsolver6v33100L18trti2_kernel_smallILi20E19rocblas_complex_numIfEPS3_EEv13rocblas_fill_17rocblas_diagonal_T1_iil: ; @_ZN9rocsolver6v33100L18trti2_kernel_smallILi20E19rocblas_complex_numIfEPS3_EEv13rocblas_fill_17rocblas_diagonal_T1_iil
; %bb.0:
	s_mov_b32 s2, exec_lo
	v_cmpx_gt_u32_e32 20, v0
	s_cbranch_execz .LBB19_384
; %bb.1:
	s_load_b256 s[4:11], s[0:1], 0x0
	s_wait_xcnt 0x0
	s_bfe_u32 s0, ttmp6, 0x4000c
	s_and_b32 s1, ttmp6, 15
	s_add_co_i32 s0, s0, 1
	s_getreg_b32 s2, hwreg(HW_REG_IB_STS2, 6, 4)
	s_mul_i32 s0, ttmp9, s0
	v_lshlrev_b32_e32 v42, 3, v0
	s_add_co_i32 s0, s1, s0
	s_wait_kmcnt 0x0
	v_add3_u32 v6, s9, s9, v0
	s_ashr_i32 s1, s8, 31
	s_cmp_eq_u32 s2, 0
	s_cselect_b32 s2, ttmp9, s0
	s_delay_alu instid0(VALU_DEP_1) | instskip(SKIP_3) | instid1(VALU_DEP_1)
	v_dual_mov_b32 v43, 0 :: v_dual_add_nc_u32 v8, s9, v6
	s_ashr_i32 s3, s2, 31
	s_mov_b32 s0, s8
	s_mul_u64 s[2:3], s[10:11], s[2:3]
	v_add_nc_u32_e32 v10, s9, v8
	s_lshl_b64 s[2:3], s[2:3], 3
	s_lshl_b64 s[0:1], s[0:1], 3
	s_add_nc_u64 s[2:3], s[6:7], s[2:3]
	s_delay_alu instid0(SALU_CYCLE_1)
	s_add_nc_u64 s[6:7], s[2:3], s[0:1]
	v_add_nc_u32_e32 v12, s9, v10
	v_add_nc_u64_e32 v[2:3], s[6:7], v[42:43]
	s_mov_b32 s0, s9
	s_ashr_i32 s1, s9, 31
	s_cmp_lg_u32 s5, 0x84
	v_add_nc_u32_e32 v14, s9, v12
	s_cselect_b32 s3, -1, 0
	s_delay_alu instid0(VALU_DEP_2) | instskip(SKIP_1) | instid1(VALU_DEP_2)
	v_lshl_add_u64 v[4:5], s[0:1], 3, v[2:3]
	s_mov_b32 s0, -1
	v_add_nc_u32_e32 v16, s9, v14
	s_clause 0x3
	global_load_b64 v[34:35], v0, s[6:7] scale_offset
	global_load_b64 v[36:37], v[4:5], off
	global_load_b64 v[38:39], v6, s[6:7] scale_offset
	global_load_b64 v[40:41], v8, s[6:7] scale_offset
	s_and_b32 vcc_lo, exec_lo, s3
	v_add_nc_u32_e32 v18, s9, v16
	s_delay_alu instid0(VALU_DEP_1) | instskip(NEXT) | instid1(VALU_DEP_1)
	v_add_nc_u32_e32 v20, s9, v18
	v_add_nc_u32_e32 v22, s9, v20
	s_clause 0x3
	global_load_b64 v[44:45], v10, s[6:7] scale_offset
	global_load_b64 v[46:47], v12, s[6:7] scale_offset
	;; [unrolled: 1-line block ×4, first 2 shown]
	v_add_nc_u32_e32 v24, s9, v22
	s_delay_alu instid0(VALU_DEP_1) | instskip(NEXT) | instid1(VALU_DEP_1)
	v_add_nc_u32_e32 v26, s9, v24
	v_add_nc_u32_e32 v28, s9, v26
	s_delay_alu instid0(VALU_DEP_1)
	v_add_nc_u32_e32 v30, s9, v28
	s_clause 0x3
	global_load_b64 v[52:53], v18, s[6:7] scale_offset
	global_load_b64 v[54:55], v20, s[6:7] scale_offset
	;; [unrolled: 1-line block ×4, first 2 shown]
	v_add_nc_u32_e32 v32, s9, v30
	s_wait_loadcnt 0xa
	scratch_store_b128 off, v[34:37], off
	s_wait_loadcnt 0x8
	scratch_store_b128 off, v[38:41], off offset:16
	s_wait_xcnt 0x1
	v_add_nc_u32_e32 v34, s9, v32
	s_wait_loadcnt 0x6
	scratch_store_b128 off, v[44:47], off offset:32
	s_wait_loadcnt 0x4
	scratch_store_b128 off, v[48:51], off offset:48
	v_add_nc_u32_e32 v36, s9, v34
	s_clause 0x3
	global_load_b64 v[44:45], v26, s[6:7] scale_offset
	global_load_b64 v[46:47], v28, s[6:7] scale_offset
	;; [unrolled: 1-line block ×4, first 2 shown]
	s_wait_loadcnt 0x6
	scratch_store_b128 off, v[52:55], off offset:64
	s_wait_loadcnt 0x4
	scratch_store_b128 off, v[56:59], off offset:80
	v_add_nc_u32_e32 v38, s9, v36
	s_delay_alu instid0(VALU_DEP_1)
	v_add_nc_u32_e32 v40, s9, v38
	s_clause 0x3
	global_load_b64 v[52:53], v34, s[6:7] scale_offset
	global_load_b64 v[54:55], v36, s[6:7] scale_offset
	;; [unrolled: 1-line block ×4, first 2 shown]
	s_wait_loadcnt 0x6
	scratch_store_b128 off, v[44:47], off offset:96
	s_wait_loadcnt 0x4
	scratch_store_b128 off, v[48:51], off offset:112
	;; [unrolled: 2-line block ×4, first 2 shown]
	s_cbranch_vccz .LBB19_7
; %bb.2:
	scratch_load_b64 v[44:45], v0, off scale_offset
                                        ; implicit-def: $vgpr49
                                        ; implicit-def: $vgpr46
	s_wait_loadcnt 0x0
	v_cmp_ngt_f32_e64 s0, |v44|, |v45|
	s_wait_xcnt 0x0
	s_and_saveexec_b32 s1, s0
	s_delay_alu instid0(SALU_CYCLE_1)
	s_xor_b32 s0, exec_lo, s1
	s_cbranch_execz .LBB19_4
; %bb.3:
	v_div_scale_f32 v1, null, v45, v45, v44
	v_div_scale_f32 v11, vcc_lo, v44, v45, v44
	s_delay_alu instid0(VALU_DEP_2) | instskip(SKIP_1) | instid1(TRANS32_DEP_1)
	v_rcp_f32_e32 v7, v1
	v_nop
	v_fma_f32 v9, -v1, v7, 1.0
	s_delay_alu instid0(VALU_DEP_1) | instskip(NEXT) | instid1(VALU_DEP_1)
	v_fmac_f32_e32 v7, v9, v7
	v_mul_f32_e32 v9, v11, v7
	s_delay_alu instid0(VALU_DEP_1) | instskip(NEXT) | instid1(VALU_DEP_1)
	v_fma_f32 v13, -v1, v9, v11
	v_fmac_f32_e32 v9, v13, v7
	s_delay_alu instid0(VALU_DEP_1) | instskip(NEXT) | instid1(VALU_DEP_1)
	v_fma_f32 v1, -v1, v9, v11
	v_div_fmas_f32 v1, v1, v7, v9
	s_delay_alu instid0(VALU_DEP_1) | instskip(NEXT) | instid1(VALU_DEP_1)
	v_div_fixup_f32 v1, v1, v45, v44
	v_fmac_f32_e32 v45, v44, v1
	s_delay_alu instid0(VALU_DEP_1) | instskip(NEXT) | instid1(VALU_DEP_1)
	v_div_scale_f32 v7, null, v45, v45, -1.0
	v_rcp_f32_e32 v9, v7
	v_nop
	s_delay_alu instid0(TRANS32_DEP_1) | instskip(NEXT) | instid1(VALU_DEP_1)
	v_fma_f32 v11, -v7, v9, 1.0
	v_fmac_f32_e32 v9, v11, v9
	v_div_scale_f32 v11, vcc_lo, -1.0, v45, -1.0
	s_delay_alu instid0(VALU_DEP_1) | instskip(NEXT) | instid1(VALU_DEP_1)
	v_mul_f32_e32 v13, v11, v9
	v_fma_f32 v15, -v7, v13, v11
	s_delay_alu instid0(VALU_DEP_1) | instskip(NEXT) | instid1(VALU_DEP_1)
	v_fmac_f32_e32 v13, v15, v9
	v_fma_f32 v7, -v7, v13, v11
	s_delay_alu instid0(VALU_DEP_1) | instskip(NEXT) | instid1(VALU_DEP_1)
	v_div_fmas_f32 v7, v7, v9, v13
	v_div_fixup_f32 v49, v7, v45, -1.0
                                        ; implicit-def: $vgpr44_vgpr45
	s_delay_alu instid0(VALU_DEP_1) | instskip(NEXT) | instid1(VALU_DEP_1)
	v_mul_f32_e32 v46, v1, v49
	v_xor_b32_e32 v48, 0x80000000, v46
.LBB19_4:
	s_or_saveexec_b32 s0, s0
	v_lshl_add_u32 v1, v0, 3, 0
	s_xor_b32 exec_lo, exec_lo, s0
	s_cbranch_execz .LBB19_6
; %bb.5:
	v_div_scale_f32 v7, null, v44, v44, v45
	v_div_scale_f32 v13, vcc_lo, v45, v44, v45
	s_delay_alu instid0(VALU_DEP_2) | instskip(SKIP_1) | instid1(TRANS32_DEP_1)
	v_rcp_f32_e32 v9, v7
	v_nop
	v_fma_f32 v11, -v7, v9, 1.0
	s_delay_alu instid0(VALU_DEP_1) | instskip(NEXT) | instid1(VALU_DEP_1)
	v_fmac_f32_e32 v9, v11, v9
	v_mul_f32_e32 v11, v13, v9
	s_delay_alu instid0(VALU_DEP_1) | instskip(NEXT) | instid1(VALU_DEP_1)
	v_fma_f32 v15, -v7, v11, v13
	v_fmac_f32_e32 v11, v15, v9
	s_delay_alu instid0(VALU_DEP_1) | instskip(NEXT) | instid1(VALU_DEP_1)
	v_fma_f32 v7, -v7, v11, v13
	v_div_fmas_f32 v7, v7, v9, v11
	s_delay_alu instid0(VALU_DEP_1) | instskip(NEXT) | instid1(VALU_DEP_1)
	v_div_fixup_f32 v7, v7, v44, v45
	v_fmac_f32_e32 v44, v45, v7
	s_delay_alu instid0(VALU_DEP_1) | instskip(SKIP_1) | instid1(VALU_DEP_2)
	v_div_scale_f32 v9, null, v44, v44, 1.0
	v_div_scale_f32 v15, vcc_lo, 1.0, v44, 1.0
	v_rcp_f32_e32 v11, v9
	v_nop
	s_delay_alu instid0(TRANS32_DEP_1) | instskip(NEXT) | instid1(VALU_DEP_1)
	v_fma_f32 v13, -v9, v11, 1.0
	v_fmac_f32_e32 v11, v13, v11
	s_delay_alu instid0(VALU_DEP_1) | instskip(NEXT) | instid1(VALU_DEP_1)
	v_mul_f32_e32 v13, v15, v11
	v_fma_f32 v17, -v9, v13, v15
	s_delay_alu instid0(VALU_DEP_1) | instskip(NEXT) | instid1(VALU_DEP_1)
	v_fmac_f32_e32 v13, v17, v11
	v_fma_f32 v9, -v9, v13, v15
	s_delay_alu instid0(VALU_DEP_1) | instskip(NEXT) | instid1(VALU_DEP_1)
	v_div_fmas_f32 v9, v9, v11, v13
	v_div_fixup_f32 v48, v9, v44, 1.0
	s_delay_alu instid0(VALU_DEP_1)
	v_xor_b32_e32 v46, 0x80000000, v48
	v_mul_f32_e64 v49, v7, -v48
.LBB19_6:
	s_or_b32 exec_lo, exec_lo, s0
	s_delay_alu instid0(VALU_DEP_1)
	v_xor_b32_e32 v47, 0x80000000, v49
	s_mov_b32 s0, 0
	scratch_store_b64 v1, v[48:49], off
	ds_store_b64 v42, v[46:47]
.LBB19_7:
	s_and_b32 vcc_lo, exec_lo, s0
	s_cbranch_vccz .LBB19_9
; %bb.8:
	s_mov_b64 s[0:1], 0xbf800000
	s_wait_xcnt 0x3
	v_mov_b64_e32 v[44:45], s[0:1]
	ds_store_b64 v42, v[44:45]
.LBB19_9:
	v_dual_ashrrev_i32 v7, 31, v6 :: v_dual_ashrrev_i32 v9, 31, v8
	v_dual_ashrrev_i32 v11, 31, v10 :: v_dual_ashrrev_i32 v13, 31, v12
	;; [unrolled: 1-line block ×9, first 2 shown]
	s_wait_xcnt 0x0
	v_add_nc_u32_e32 v1, 0xa0, v42
	v_mov_b32_e32 v43, v42
	s_cmp_eq_u32 s4, 0x79
	s_cbranch_scc1 .LBB19_13
; %bb.10:
	scratch_load_b64 v[44:45], off, off offset:144
	v_cmp_eq_u32_e64 s0, 19, v0
	s_movk_i32 s1, 0x50
	s_movk_i32 s10, 0x60
	;; [unrolled: 1-line block ×4, first 2 shown]
	s_wait_loadcnt 0x0
	ds_store_b64 v1, v[44:45]
	s_wait_storecnt_dscnt 0x0
	s_barrier_signal -1
	s_barrier_wait -1
	s_wait_xcnt 0x0
	s_and_saveexec_b32 s2, s0
	s_cbranch_execz .LBB19_17
; %bb.11:
	s_and_b32 vcc_lo, exec_lo, s3
	s_cbranch_vccz .LBB19_14
; %bb.12:
	scratch_load_b64 v[44:45], v43, off
	ds_load_b64 v[46:47], v1
	s_wait_loadcnt_dscnt 0x0
	v_pk_mul_f32 v[48:49], v[46:47], v[44:45] op_sel:[1,1] op_sel_hi:[0,1]
	v_pk_mul_f32 v[50:51], v[46:47], v[44:45] op_sel_hi:[1,0]
	s_delay_alu instid0(VALU_DEP_2) | instskip(NEXT) | instid1(VALU_DEP_2)
	v_pk_fma_f32 v[44:45], v[46:47], v[44:45], v[48:49] op_sel_hi:[1,0,1]
	v_sub_f32_e32 v44, v50, v48
	s_cbranch_execz .LBB19_15
	s_branch .LBB19_16
.LBB19_13:
	s_mov_b32 s1, 0
                                        ; implicit-def: $vgpr50
                                        ; implicit-def: $sgpr5
	s_cbranch_execnz .LBB19_196
	s_branch .LBB19_381
.LBB19_14:
                                        ; implicit-def: $vgpr45
.LBB19_15:
	ds_load_b64 v[44:45], v1
.LBB19_16:
	s_wait_dscnt 0x0
	v_dual_mov_b32 v46, 0 :: v_dual_mov_b32 v48, v45
	v_mov_b32_e32 v49, v44
	ds_load_b64 v[46:47], v46 offset:144
	s_wait_dscnt 0x0
	v_pk_mul_f32 v[48:49], v[48:49], v[46:47] op_sel:[0,1]
	s_delay_alu instid0(VALU_DEP_1) | instskip(SKIP_1) | instid1(VALU_DEP_2)
	v_pk_fma_f32 v[50:51], v[44:45], v[46:47], v[48:49] op_sel_hi:[1,0,1]
	v_pk_fma_f32 v[44:45], v[44:45], v[46:47], v[48:49] neg_lo:[0,0,1] neg_hi:[0,0,1]
	v_mov_b32_e32 v45, v51
	scratch_store_b64 off, v[44:45], off offset:144
.LBB19_17:
	s_wait_xcnt 0x0
	s_or_b32 exec_lo, exec_lo, s2
	scratch_load_b64 v[44:45], off, off offset:136
	s_mov_b32 s9, s1
	v_cmp_lt_u32_e64 s1, 17, v0
	s_mov_b32 s4, 16
	s_mov_b32 s5, 32
	;; [unrolled: 1-line block ×4, first 2 shown]
	s_wait_loadcnt 0x0
	ds_store_b64 v1, v[44:45]
	s_wait_storecnt_dscnt 0x0
	s_barrier_signal -1
	s_barrier_wait -1
	s_wait_xcnt 0x0
	s_and_saveexec_b32 s13, s1
	s_cbranch_execz .LBB19_25
; %bb.18:
	s_and_not1_b32 vcc_lo, exec_lo, s3
	s_cbranch_vccnz .LBB19_20
; %bb.19:
	scratch_load_b64 v[44:45], v43, off
	ds_load_b64 v[46:47], v1
	s_wait_loadcnt_dscnt 0x0
	v_pk_mul_f32 v[48:49], v[46:47], v[44:45] op_sel:[1,1] op_sel_hi:[0,1]
	s_delay_alu instid0(VALU_DEP_1) | instskip(SKIP_1) | instid1(VALU_DEP_2)
	v_pk_fma_f32 v[50:51], v[46:47], v[44:45], v[48:49] op_sel_hi:[1,0,1]
	v_pk_fma_f32 v[44:45], v[46:47], v[44:45], v[48:49] neg_lo:[0,0,1] neg_hi:[0,0,1]
	v_mov_b32_e32 v45, v51
	s_cbranch_execz .LBB19_21
	s_branch .LBB19_22
.LBB19_20:
                                        ; implicit-def: $vgpr44_vgpr45
.LBB19_21:
	ds_load_b64 v[44:45], v1
.LBB19_22:
	s_and_saveexec_b32 s14, s0
	s_cbranch_execz .LBB19_24
; %bb.23:
	scratch_load_b64 v[46:47], off, off offset:144
	v_mov_b32_e32 v48, 0
	ds_load_b64 v[48:49], v48 offset:304
	s_wait_loadcnt_dscnt 0x0
	v_pk_mul_f32 v[50:51], v[48:49], v[46:47] op_sel:[1,1] op_sel_hi:[0,1]
	s_delay_alu instid0(VALU_DEP_1) | instskip(SKIP_1) | instid1(VALU_DEP_2)
	v_pk_fma_f32 v[52:53], v[48:49], v[46:47], v[50:51] op_sel_hi:[1,0,1]
	v_pk_fma_f32 v[46:47], v[48:49], v[46:47], v[50:51] neg_lo:[0,0,1] neg_hi:[0,0,1]
	v_mov_b32_e32 v47, v53
	s_delay_alu instid0(VALU_DEP_1)
	v_pk_add_f32 v[44:45], v[44:45], v[46:47]
.LBB19_24:
	s_or_b32 exec_lo, exec_lo, s14
	v_mov_b32_e32 v46, 0
	ds_load_b64 v[46:47], v46 offset:136
	s_wait_dscnt 0x0
	v_pk_mul_f32 v[48:49], v[44:45], v[46:47] op_sel:[1,1] op_sel_hi:[0,1]
	s_delay_alu instid0(VALU_DEP_1) | instskip(SKIP_1) | instid1(VALU_DEP_2)
	v_pk_fma_f32 v[50:51], v[44:45], v[46:47], v[48:49] op_sel_hi:[1,0,1]
	v_pk_fma_f32 v[44:45], v[44:45], v[46:47], v[48:49] neg_lo:[0,0,1] neg_hi:[0,0,1]
	v_mov_b32_e32 v45, v51
	scratch_store_b64 off, v[44:45], off offset:136
.LBB19_25:
	s_wait_xcnt 0x0
	s_or_b32 exec_lo, exec_lo, s13
	scratch_load_b64 v[44:45], off, off offset:128
	v_cmp_lt_u32_e64 s0, 16, v0
	s_wait_loadcnt 0x0
	ds_store_b64 v1, v[44:45]
	s_wait_storecnt_dscnt 0x0
	s_barrier_signal -1
	s_barrier_wait -1
	s_wait_xcnt 0x0
	s_and_saveexec_b32 s13, s0
	s_cbranch_execz .LBB19_35
; %bb.26:
	s_and_not1_b32 vcc_lo, exec_lo, s3
	s_cbranch_vccnz .LBB19_28
; %bb.27:
	scratch_load_b64 v[44:45], v43, off
	ds_load_b64 v[46:47], v1
	s_wait_loadcnt_dscnt 0x0
	v_pk_mul_f32 v[48:49], v[46:47], v[44:45] op_sel:[1,1] op_sel_hi:[0,1]
	s_delay_alu instid0(VALU_DEP_1) | instskip(SKIP_1) | instid1(VALU_DEP_2)
	v_pk_fma_f32 v[50:51], v[46:47], v[44:45], v[48:49] op_sel_hi:[1,0,1]
	v_pk_fma_f32 v[44:45], v[46:47], v[44:45], v[48:49] neg_lo:[0,0,1] neg_hi:[0,0,1]
	v_mov_b32_e32 v45, v51
	s_cbranch_execz .LBB19_29
	s_branch .LBB19_30
.LBB19_28:
                                        ; implicit-def: $vgpr44_vgpr45
.LBB19_29:
	ds_load_b64 v[44:45], v1
.LBB19_30:
	s_and_saveexec_b32 s14, s1
	s_cbranch_execz .LBB19_34
; %bb.31:
	v_subrev_nc_u32_e32 v46, 17, v0
	s_movk_i32 s1, 0x88
	s_movk_i32 s16, 0x128
	s_mov_b32 s15, 0
.LBB19_32:                              ; =>This Inner Loop Header: Depth=1
	scratch_load_b64 v[48:49], off, s1
	v_dual_mov_b32 v47, s16 :: v_dual_add_nc_u32 v46, -1, v46
	s_add_co_i32 s16, s16, 8
	s_wait_xcnt 0x0
	s_add_co_i32 s1, s1, 8
	ds_load_b64 v[50:51], v47
	v_cmp_eq_u32_e32 vcc_lo, 0, v46
	s_or_b32 s15, vcc_lo, s15
	s_wait_loadcnt_dscnt 0x0
	v_pk_mul_f32 v[52:53], v[50:51], v[48:49] op_sel:[1,1] op_sel_hi:[0,1]
	s_delay_alu instid0(VALU_DEP_1) | instskip(SKIP_1) | instid1(VALU_DEP_2)
	v_pk_fma_f32 v[54:55], v[50:51], v[48:49], v[52:53] op_sel_hi:[1,0,1]
	v_pk_fma_f32 v[48:49], v[50:51], v[48:49], v[52:53] neg_lo:[0,0,1] neg_hi:[0,0,1]
	v_mov_b32_e32 v49, v55
	s_delay_alu instid0(VALU_DEP_1)
	v_pk_add_f32 v[44:45], v[44:45], v[48:49]
	s_and_not1_b32 exec_lo, exec_lo, s15
	s_cbranch_execnz .LBB19_32
; %bb.33:
	s_or_b32 exec_lo, exec_lo, s15
.LBB19_34:
	s_delay_alu instid0(SALU_CYCLE_1) | instskip(SKIP_4) | instid1(VALU_DEP_1)
	s_or_b32 exec_lo, exec_lo, s14
	v_mov_b32_e32 v46, 0
	ds_load_b64 v[46:47], v46 offset:128
	s_wait_dscnt 0x0
	v_pk_mul_f32 v[48:49], v[44:45], v[46:47] op_sel:[1,1] op_sel_hi:[0,1]
	v_pk_fma_f32 v[50:51], v[44:45], v[46:47], v[48:49] op_sel_hi:[1,0,1]
	v_pk_fma_f32 v[44:45], v[44:45], v[46:47], v[48:49] neg_lo:[0,0,1] neg_hi:[0,0,1]
	s_delay_alu instid0(VALU_DEP_2)
	v_mov_b32_e32 v45, v51
	scratch_store_b64 off, v[44:45], off offset:128
.LBB19_35:
	s_wait_xcnt 0x0
	s_or_b32 exec_lo, exec_lo, s13
	scratch_load_b64 v[44:45], off, off offset:120
	v_cmp_lt_u32_e64 s1, 15, v0
	s_wait_loadcnt 0x0
	ds_store_b64 v1, v[44:45]
	s_wait_storecnt_dscnt 0x0
	s_barrier_signal -1
	s_barrier_wait -1
	s_wait_xcnt 0x0
	s_and_saveexec_b32 s13, s1
	s_cbranch_execz .LBB19_45
; %bb.36:
	s_and_not1_b32 vcc_lo, exec_lo, s3
	s_cbranch_vccnz .LBB19_38
; %bb.37:
	scratch_load_b64 v[44:45], v43, off
	ds_load_b64 v[46:47], v1
	s_wait_loadcnt_dscnt 0x0
	v_pk_mul_f32 v[48:49], v[46:47], v[44:45] op_sel:[1,1] op_sel_hi:[0,1]
	s_delay_alu instid0(VALU_DEP_1) | instskip(SKIP_1) | instid1(VALU_DEP_2)
	v_pk_fma_f32 v[50:51], v[46:47], v[44:45], v[48:49] op_sel_hi:[1,0,1]
	v_pk_fma_f32 v[44:45], v[46:47], v[44:45], v[48:49] neg_lo:[0,0,1] neg_hi:[0,0,1]
	v_mov_b32_e32 v45, v51
	s_cbranch_execz .LBB19_39
	s_branch .LBB19_40
.LBB19_38:
                                        ; implicit-def: $vgpr44_vgpr45
.LBB19_39:
	ds_load_b64 v[44:45], v1
.LBB19_40:
	s_and_saveexec_b32 s14, s0
	s_cbranch_execz .LBB19_44
; %bb.41:
	v_add_nc_u32_e32 v46, -16, v0
	s_movk_i32 s15, 0x120
	s_mov_b32 s0, 0
.LBB19_42:                              ; =>This Inner Loop Header: Depth=1
	scratch_load_b64 v[48:49], off, s12
	v_dual_mov_b32 v47, s15 :: v_dual_add_nc_u32 v46, -1, v46
	s_add_co_i32 s15, s15, 8
	s_wait_xcnt 0x0
	s_add_co_i32 s12, s12, 8
	ds_load_b64 v[50:51], v47
	v_cmp_eq_u32_e32 vcc_lo, 0, v46
	s_or_b32 s0, vcc_lo, s0
	s_wait_loadcnt_dscnt 0x0
	v_pk_mul_f32 v[52:53], v[50:51], v[48:49] op_sel:[1,1] op_sel_hi:[0,1]
	s_delay_alu instid0(VALU_DEP_1) | instskip(SKIP_1) | instid1(VALU_DEP_2)
	v_pk_fma_f32 v[54:55], v[50:51], v[48:49], v[52:53] op_sel_hi:[1,0,1]
	v_pk_fma_f32 v[48:49], v[50:51], v[48:49], v[52:53] neg_lo:[0,0,1] neg_hi:[0,0,1]
	v_mov_b32_e32 v49, v55
	s_delay_alu instid0(VALU_DEP_1)
	v_pk_add_f32 v[44:45], v[44:45], v[48:49]
	s_and_not1_b32 exec_lo, exec_lo, s0
	s_cbranch_execnz .LBB19_42
; %bb.43:
	s_or_b32 exec_lo, exec_lo, s0
.LBB19_44:
	s_delay_alu instid0(SALU_CYCLE_1) | instskip(SKIP_4) | instid1(VALU_DEP_1)
	s_or_b32 exec_lo, exec_lo, s14
	v_mov_b32_e32 v46, 0
	ds_load_b64 v[46:47], v46 offset:120
	s_wait_dscnt 0x0
	v_pk_mul_f32 v[48:49], v[44:45], v[46:47] op_sel:[1,1] op_sel_hi:[0,1]
	v_pk_fma_f32 v[50:51], v[44:45], v[46:47], v[48:49] op_sel_hi:[1,0,1]
	v_pk_fma_f32 v[44:45], v[44:45], v[46:47], v[48:49] neg_lo:[0,0,1] neg_hi:[0,0,1]
	s_delay_alu instid0(VALU_DEP_2)
	v_mov_b32_e32 v45, v51
	scratch_store_b64 off, v[44:45], off offset:120
.LBB19_45:
	s_wait_xcnt 0x0
	s_or_b32 exec_lo, exec_lo, s13
	scratch_load_b64 v[44:45], off, off offset:112
	v_cmp_lt_u32_e64 s0, 14, v0
	s_wait_loadcnt 0x0
	ds_store_b64 v1, v[44:45]
	s_wait_storecnt_dscnt 0x0
	s_barrier_signal -1
	s_barrier_wait -1
	s_wait_xcnt 0x0
	s_and_saveexec_b32 s12, s0
	s_cbranch_execz .LBB19_55
; %bb.46:
	s_and_not1_b32 vcc_lo, exec_lo, s3
	s_cbranch_vccnz .LBB19_48
; %bb.47:
	scratch_load_b64 v[44:45], v43, off
	ds_load_b64 v[46:47], v1
	s_wait_loadcnt_dscnt 0x0
	v_pk_mul_f32 v[48:49], v[46:47], v[44:45] op_sel:[1,1] op_sel_hi:[0,1]
	s_delay_alu instid0(VALU_DEP_1) | instskip(SKIP_1) | instid1(VALU_DEP_2)
	v_pk_fma_f32 v[50:51], v[46:47], v[44:45], v[48:49] op_sel_hi:[1,0,1]
	v_pk_fma_f32 v[44:45], v[46:47], v[44:45], v[48:49] neg_lo:[0,0,1] neg_hi:[0,0,1]
	v_mov_b32_e32 v45, v51
	s_cbranch_execz .LBB19_49
	s_branch .LBB19_50
.LBB19_48:
                                        ; implicit-def: $vgpr44_vgpr45
.LBB19_49:
	ds_load_b64 v[44:45], v1
.LBB19_50:
	s_and_saveexec_b32 s13, s1
	s_cbranch_execz .LBB19_54
; %bb.51:
	v_add_nc_u32_e32 v46, -15, v0
	s_movk_i32 s1, 0x78
	s_movk_i32 s15, 0x118
	s_mov_b32 s14, 0
.LBB19_52:                              ; =>This Inner Loop Header: Depth=1
	scratch_load_b64 v[48:49], off, s1
	v_dual_mov_b32 v47, s15 :: v_dual_add_nc_u32 v46, -1, v46
	s_add_co_i32 s15, s15, 8
	s_wait_xcnt 0x0
	s_add_co_i32 s1, s1, 8
	ds_load_b64 v[50:51], v47
	v_cmp_eq_u32_e32 vcc_lo, 0, v46
	s_or_b32 s14, vcc_lo, s14
	s_wait_loadcnt_dscnt 0x0
	v_pk_mul_f32 v[52:53], v[50:51], v[48:49] op_sel:[1,1] op_sel_hi:[0,1]
	s_delay_alu instid0(VALU_DEP_1) | instskip(SKIP_1) | instid1(VALU_DEP_2)
	v_pk_fma_f32 v[54:55], v[50:51], v[48:49], v[52:53] op_sel_hi:[1,0,1]
	v_pk_fma_f32 v[48:49], v[50:51], v[48:49], v[52:53] neg_lo:[0,0,1] neg_hi:[0,0,1]
	v_mov_b32_e32 v49, v55
	s_delay_alu instid0(VALU_DEP_1)
	v_pk_add_f32 v[44:45], v[44:45], v[48:49]
	s_and_not1_b32 exec_lo, exec_lo, s14
	s_cbranch_execnz .LBB19_52
; %bb.53:
	s_or_b32 exec_lo, exec_lo, s14
.LBB19_54:
	s_delay_alu instid0(SALU_CYCLE_1) | instskip(SKIP_4) | instid1(VALU_DEP_1)
	s_or_b32 exec_lo, exec_lo, s13
	v_mov_b32_e32 v46, 0
	ds_load_b64 v[46:47], v46 offset:112
	s_wait_dscnt 0x0
	v_pk_mul_f32 v[48:49], v[44:45], v[46:47] op_sel:[1,1] op_sel_hi:[0,1]
	v_pk_fma_f32 v[50:51], v[44:45], v[46:47], v[48:49] op_sel_hi:[1,0,1]
	v_pk_fma_f32 v[44:45], v[44:45], v[46:47], v[48:49] neg_lo:[0,0,1] neg_hi:[0,0,1]
	s_delay_alu instid0(VALU_DEP_2)
	v_mov_b32_e32 v45, v51
	scratch_store_b64 off, v[44:45], off offset:112
.LBB19_55:
	s_wait_xcnt 0x0
	s_or_b32 exec_lo, exec_lo, s12
	scratch_load_b64 v[44:45], off, off offset:104
	v_cmp_lt_u32_e64 s1, 13, v0
	s_wait_loadcnt 0x0
	ds_store_b64 v1, v[44:45]
	s_wait_storecnt_dscnt 0x0
	s_barrier_signal -1
	s_barrier_wait -1
	s_wait_xcnt 0x0
	s_and_saveexec_b32 s12, s1
	s_cbranch_execz .LBB19_65
; %bb.56:
	s_and_not1_b32 vcc_lo, exec_lo, s3
	s_cbranch_vccnz .LBB19_58
; %bb.57:
	scratch_load_b64 v[44:45], v43, off
	ds_load_b64 v[46:47], v1
	s_wait_loadcnt_dscnt 0x0
	v_pk_mul_f32 v[48:49], v[46:47], v[44:45] op_sel:[1,1] op_sel_hi:[0,1]
	s_delay_alu instid0(VALU_DEP_1) | instskip(SKIP_1) | instid1(VALU_DEP_2)
	v_pk_fma_f32 v[50:51], v[46:47], v[44:45], v[48:49] op_sel_hi:[1,0,1]
	v_pk_fma_f32 v[44:45], v[46:47], v[44:45], v[48:49] neg_lo:[0,0,1] neg_hi:[0,0,1]
	v_mov_b32_e32 v45, v51
	s_cbranch_execz .LBB19_59
	s_branch .LBB19_60
.LBB19_58:
                                        ; implicit-def: $vgpr44_vgpr45
.LBB19_59:
	ds_load_b64 v[44:45], v1
.LBB19_60:
	s_and_saveexec_b32 s13, s0
	s_cbranch_execz .LBB19_64
; %bb.61:
	v_add_nc_u32_e32 v46, -14, v0
	s_movk_i32 s14, 0x110
	s_mov_b32 s0, 0
.LBB19_62:                              ; =>This Inner Loop Header: Depth=1
	scratch_load_b64 v[48:49], off, s11
	v_dual_mov_b32 v47, s14 :: v_dual_add_nc_u32 v46, -1, v46
	s_add_co_i32 s14, s14, 8
	s_wait_xcnt 0x0
	s_add_co_i32 s11, s11, 8
	ds_load_b64 v[50:51], v47
	v_cmp_eq_u32_e32 vcc_lo, 0, v46
	s_or_b32 s0, vcc_lo, s0
	s_wait_loadcnt_dscnt 0x0
	v_pk_mul_f32 v[52:53], v[50:51], v[48:49] op_sel:[1,1] op_sel_hi:[0,1]
	s_delay_alu instid0(VALU_DEP_1) | instskip(SKIP_1) | instid1(VALU_DEP_2)
	v_pk_fma_f32 v[54:55], v[50:51], v[48:49], v[52:53] op_sel_hi:[1,0,1]
	v_pk_fma_f32 v[48:49], v[50:51], v[48:49], v[52:53] neg_lo:[0,0,1] neg_hi:[0,0,1]
	v_mov_b32_e32 v49, v55
	s_delay_alu instid0(VALU_DEP_1)
	v_pk_add_f32 v[44:45], v[44:45], v[48:49]
	s_and_not1_b32 exec_lo, exec_lo, s0
	s_cbranch_execnz .LBB19_62
; %bb.63:
	s_or_b32 exec_lo, exec_lo, s0
.LBB19_64:
	s_delay_alu instid0(SALU_CYCLE_1) | instskip(SKIP_4) | instid1(VALU_DEP_1)
	s_or_b32 exec_lo, exec_lo, s13
	v_mov_b32_e32 v46, 0
	ds_load_b64 v[46:47], v46 offset:104
	s_wait_dscnt 0x0
	v_pk_mul_f32 v[48:49], v[44:45], v[46:47] op_sel:[1,1] op_sel_hi:[0,1]
	v_pk_fma_f32 v[50:51], v[44:45], v[46:47], v[48:49] op_sel_hi:[1,0,1]
	v_pk_fma_f32 v[44:45], v[44:45], v[46:47], v[48:49] neg_lo:[0,0,1] neg_hi:[0,0,1]
	s_delay_alu instid0(VALU_DEP_2)
	v_mov_b32_e32 v45, v51
	scratch_store_b64 off, v[44:45], off offset:104
.LBB19_65:
	s_wait_xcnt 0x0
	s_or_b32 exec_lo, exec_lo, s12
	scratch_load_b64 v[44:45], off, off offset:96
	v_cmp_lt_u32_e64 s0, 12, v0
	s_wait_loadcnt 0x0
	ds_store_b64 v1, v[44:45]
	s_wait_storecnt_dscnt 0x0
	s_barrier_signal -1
	s_barrier_wait -1
	s_wait_xcnt 0x0
	s_and_saveexec_b32 s11, s0
	s_cbranch_execz .LBB19_75
; %bb.66:
	s_and_not1_b32 vcc_lo, exec_lo, s3
	s_cbranch_vccnz .LBB19_68
; %bb.67:
	scratch_load_b64 v[44:45], v43, off
	ds_load_b64 v[46:47], v1
	s_wait_loadcnt_dscnt 0x0
	v_pk_mul_f32 v[48:49], v[46:47], v[44:45] op_sel:[1,1] op_sel_hi:[0,1]
	s_delay_alu instid0(VALU_DEP_1) | instskip(SKIP_1) | instid1(VALU_DEP_2)
	v_pk_fma_f32 v[50:51], v[46:47], v[44:45], v[48:49] op_sel_hi:[1,0,1]
	v_pk_fma_f32 v[44:45], v[46:47], v[44:45], v[48:49] neg_lo:[0,0,1] neg_hi:[0,0,1]
	v_mov_b32_e32 v45, v51
	s_cbranch_execz .LBB19_69
	s_branch .LBB19_70
.LBB19_68:
                                        ; implicit-def: $vgpr44_vgpr45
.LBB19_69:
	ds_load_b64 v[44:45], v1
.LBB19_70:
	s_and_saveexec_b32 s12, s1
	s_cbranch_execz .LBB19_74
; %bb.71:
	v_add_nc_u32_e32 v46, -13, v0
	s_movk_i32 s1, 0x68
	s_movk_i32 s14, 0x108
	s_mov_b32 s13, 0
.LBB19_72:                              ; =>This Inner Loop Header: Depth=1
	scratch_load_b64 v[48:49], off, s1
	v_dual_mov_b32 v47, s14 :: v_dual_add_nc_u32 v46, -1, v46
	s_add_co_i32 s14, s14, 8
	s_wait_xcnt 0x0
	s_add_co_i32 s1, s1, 8
	ds_load_b64 v[50:51], v47
	v_cmp_eq_u32_e32 vcc_lo, 0, v46
	s_or_b32 s13, vcc_lo, s13
	s_wait_loadcnt_dscnt 0x0
	v_pk_mul_f32 v[52:53], v[50:51], v[48:49] op_sel:[1,1] op_sel_hi:[0,1]
	s_delay_alu instid0(VALU_DEP_1) | instskip(SKIP_1) | instid1(VALU_DEP_2)
	v_pk_fma_f32 v[54:55], v[50:51], v[48:49], v[52:53] op_sel_hi:[1,0,1]
	v_pk_fma_f32 v[48:49], v[50:51], v[48:49], v[52:53] neg_lo:[0,0,1] neg_hi:[0,0,1]
	v_mov_b32_e32 v49, v55
	s_delay_alu instid0(VALU_DEP_1)
	v_pk_add_f32 v[44:45], v[44:45], v[48:49]
	s_and_not1_b32 exec_lo, exec_lo, s13
	s_cbranch_execnz .LBB19_72
; %bb.73:
	s_or_b32 exec_lo, exec_lo, s13
.LBB19_74:
	s_delay_alu instid0(SALU_CYCLE_1) | instskip(SKIP_4) | instid1(VALU_DEP_1)
	s_or_b32 exec_lo, exec_lo, s12
	v_mov_b32_e32 v46, 0
	ds_load_b64 v[46:47], v46 offset:96
	s_wait_dscnt 0x0
	v_pk_mul_f32 v[48:49], v[44:45], v[46:47] op_sel:[1,1] op_sel_hi:[0,1]
	v_pk_fma_f32 v[50:51], v[44:45], v[46:47], v[48:49] op_sel_hi:[1,0,1]
	v_pk_fma_f32 v[44:45], v[44:45], v[46:47], v[48:49] neg_lo:[0,0,1] neg_hi:[0,0,1]
	s_delay_alu instid0(VALU_DEP_2)
	v_mov_b32_e32 v45, v51
	scratch_store_b64 off, v[44:45], off offset:96
.LBB19_75:
	s_wait_xcnt 0x0
	s_or_b32 exec_lo, exec_lo, s11
	scratch_load_b64 v[44:45], off, off offset:88
	v_cmp_lt_u32_e64 s1, 11, v0
	s_wait_loadcnt 0x0
	ds_store_b64 v1, v[44:45]
	s_wait_storecnt_dscnt 0x0
	s_barrier_signal -1
	s_barrier_wait -1
	s_wait_xcnt 0x0
	s_and_saveexec_b32 s11, s1
	s_cbranch_execz .LBB19_85
; %bb.76:
	s_and_not1_b32 vcc_lo, exec_lo, s3
	s_cbranch_vccnz .LBB19_78
; %bb.77:
	scratch_load_b64 v[44:45], v43, off
	ds_load_b64 v[46:47], v1
	s_wait_loadcnt_dscnt 0x0
	v_pk_mul_f32 v[48:49], v[46:47], v[44:45] op_sel:[1,1] op_sel_hi:[0,1]
	s_delay_alu instid0(VALU_DEP_1) | instskip(SKIP_1) | instid1(VALU_DEP_2)
	v_pk_fma_f32 v[50:51], v[46:47], v[44:45], v[48:49] op_sel_hi:[1,0,1]
	v_pk_fma_f32 v[44:45], v[46:47], v[44:45], v[48:49] neg_lo:[0,0,1] neg_hi:[0,0,1]
	v_mov_b32_e32 v45, v51
	s_cbranch_execz .LBB19_79
	s_branch .LBB19_80
.LBB19_78:
                                        ; implicit-def: $vgpr44_vgpr45
.LBB19_79:
	ds_load_b64 v[44:45], v1
.LBB19_80:
	s_and_saveexec_b32 s12, s0
	s_cbranch_execz .LBB19_84
; %bb.81:
	v_add_nc_u32_e32 v46, -12, v0
	s_movk_i32 s13, 0x100
	s_mov_b32 s0, 0
.LBB19_82:                              ; =>This Inner Loop Header: Depth=1
	scratch_load_b64 v[48:49], off, s10
	v_dual_mov_b32 v47, s13 :: v_dual_add_nc_u32 v46, -1, v46
	s_add_co_i32 s13, s13, 8
	s_wait_xcnt 0x0
	s_add_co_i32 s10, s10, 8
	ds_load_b64 v[50:51], v47
	v_cmp_eq_u32_e32 vcc_lo, 0, v46
	s_or_b32 s0, vcc_lo, s0
	s_wait_loadcnt_dscnt 0x0
	v_pk_mul_f32 v[52:53], v[50:51], v[48:49] op_sel:[1,1] op_sel_hi:[0,1]
	s_delay_alu instid0(VALU_DEP_1) | instskip(SKIP_1) | instid1(VALU_DEP_2)
	v_pk_fma_f32 v[54:55], v[50:51], v[48:49], v[52:53] op_sel_hi:[1,0,1]
	v_pk_fma_f32 v[48:49], v[50:51], v[48:49], v[52:53] neg_lo:[0,0,1] neg_hi:[0,0,1]
	v_mov_b32_e32 v49, v55
	s_delay_alu instid0(VALU_DEP_1)
	v_pk_add_f32 v[44:45], v[44:45], v[48:49]
	s_and_not1_b32 exec_lo, exec_lo, s0
	s_cbranch_execnz .LBB19_82
; %bb.83:
	s_or_b32 exec_lo, exec_lo, s0
.LBB19_84:
	s_delay_alu instid0(SALU_CYCLE_1) | instskip(SKIP_4) | instid1(VALU_DEP_1)
	s_or_b32 exec_lo, exec_lo, s12
	v_mov_b32_e32 v46, 0
	ds_load_b64 v[46:47], v46 offset:88
	s_wait_dscnt 0x0
	v_pk_mul_f32 v[48:49], v[44:45], v[46:47] op_sel:[1,1] op_sel_hi:[0,1]
	v_pk_fma_f32 v[50:51], v[44:45], v[46:47], v[48:49] op_sel_hi:[1,0,1]
	v_pk_fma_f32 v[44:45], v[44:45], v[46:47], v[48:49] neg_lo:[0,0,1] neg_hi:[0,0,1]
	s_delay_alu instid0(VALU_DEP_2)
	v_mov_b32_e32 v45, v51
	scratch_store_b64 off, v[44:45], off offset:88
.LBB19_85:
	s_wait_xcnt 0x0
	s_or_b32 exec_lo, exec_lo, s11
	scratch_load_b64 v[44:45], off, off offset:80
	v_cmp_lt_u32_e64 s0, 10, v0
	s_wait_loadcnt 0x0
	ds_store_b64 v1, v[44:45]
	s_wait_storecnt_dscnt 0x0
	s_barrier_signal -1
	s_barrier_wait -1
	s_wait_xcnt 0x0
	s_and_saveexec_b32 s10, s0
	s_cbranch_execz .LBB19_95
; %bb.86:
	s_and_not1_b32 vcc_lo, exec_lo, s3
	s_cbranch_vccnz .LBB19_88
; %bb.87:
	scratch_load_b64 v[44:45], v43, off
	ds_load_b64 v[46:47], v1
	s_wait_loadcnt_dscnt 0x0
	v_pk_mul_f32 v[48:49], v[46:47], v[44:45] op_sel:[1,1] op_sel_hi:[0,1]
	s_delay_alu instid0(VALU_DEP_1) | instskip(SKIP_1) | instid1(VALU_DEP_2)
	v_pk_fma_f32 v[50:51], v[46:47], v[44:45], v[48:49] op_sel_hi:[1,0,1]
	v_pk_fma_f32 v[44:45], v[46:47], v[44:45], v[48:49] neg_lo:[0,0,1] neg_hi:[0,0,1]
	v_mov_b32_e32 v45, v51
	s_cbranch_execz .LBB19_89
	s_branch .LBB19_90
.LBB19_88:
                                        ; implicit-def: $vgpr44_vgpr45
.LBB19_89:
	ds_load_b64 v[44:45], v1
.LBB19_90:
	s_and_saveexec_b32 s11, s1
	s_cbranch_execz .LBB19_94
; %bb.91:
	v_add_nc_u32_e32 v46, -11, v0
	s_movk_i32 s1, 0x58
	s_movk_i32 s13, 0xf8
	s_mov_b32 s12, 0
.LBB19_92:                              ; =>This Inner Loop Header: Depth=1
	scratch_load_b64 v[48:49], off, s1
	v_dual_mov_b32 v47, s13 :: v_dual_add_nc_u32 v46, -1, v46
	s_add_co_i32 s13, s13, 8
	s_wait_xcnt 0x0
	s_add_co_i32 s1, s1, 8
	ds_load_b64 v[50:51], v47
	v_cmp_eq_u32_e32 vcc_lo, 0, v46
	s_or_b32 s12, vcc_lo, s12
	s_wait_loadcnt_dscnt 0x0
	v_pk_mul_f32 v[52:53], v[50:51], v[48:49] op_sel:[1,1] op_sel_hi:[0,1]
	s_delay_alu instid0(VALU_DEP_1) | instskip(SKIP_1) | instid1(VALU_DEP_2)
	v_pk_fma_f32 v[54:55], v[50:51], v[48:49], v[52:53] op_sel_hi:[1,0,1]
	v_pk_fma_f32 v[48:49], v[50:51], v[48:49], v[52:53] neg_lo:[0,0,1] neg_hi:[0,0,1]
	v_mov_b32_e32 v49, v55
	s_delay_alu instid0(VALU_DEP_1)
	v_pk_add_f32 v[44:45], v[44:45], v[48:49]
	s_and_not1_b32 exec_lo, exec_lo, s12
	s_cbranch_execnz .LBB19_92
; %bb.93:
	s_or_b32 exec_lo, exec_lo, s12
.LBB19_94:
	s_delay_alu instid0(SALU_CYCLE_1) | instskip(SKIP_4) | instid1(VALU_DEP_1)
	s_or_b32 exec_lo, exec_lo, s11
	v_mov_b32_e32 v46, 0
	ds_load_b64 v[46:47], v46 offset:80
	s_wait_dscnt 0x0
	v_pk_mul_f32 v[48:49], v[44:45], v[46:47] op_sel:[1,1] op_sel_hi:[0,1]
	v_pk_fma_f32 v[50:51], v[44:45], v[46:47], v[48:49] op_sel_hi:[1,0,1]
	v_pk_fma_f32 v[44:45], v[44:45], v[46:47], v[48:49] neg_lo:[0,0,1] neg_hi:[0,0,1]
	s_delay_alu instid0(VALU_DEP_2)
	v_mov_b32_e32 v45, v51
	scratch_store_b64 off, v[44:45], off offset:80
.LBB19_95:
	s_wait_xcnt 0x0
	s_or_b32 exec_lo, exec_lo, s10
	scratch_load_b64 v[44:45], off, off offset:72
	v_cmp_lt_u32_e64 s1, 9, v0
	s_wait_loadcnt 0x0
	ds_store_b64 v1, v[44:45]
	s_wait_storecnt_dscnt 0x0
	s_barrier_signal -1
	s_barrier_wait -1
	s_wait_xcnt 0x0
	s_and_saveexec_b32 s10, s1
	s_cbranch_execz .LBB19_105
; %bb.96:
	s_and_not1_b32 vcc_lo, exec_lo, s3
	s_cbranch_vccnz .LBB19_98
; %bb.97:
	scratch_load_b64 v[44:45], v43, off
	ds_load_b64 v[46:47], v1
	s_wait_loadcnt_dscnt 0x0
	v_pk_mul_f32 v[48:49], v[46:47], v[44:45] op_sel:[1,1] op_sel_hi:[0,1]
	s_delay_alu instid0(VALU_DEP_1) | instskip(SKIP_1) | instid1(VALU_DEP_2)
	v_pk_fma_f32 v[50:51], v[46:47], v[44:45], v[48:49] op_sel_hi:[1,0,1]
	v_pk_fma_f32 v[44:45], v[46:47], v[44:45], v[48:49] neg_lo:[0,0,1] neg_hi:[0,0,1]
	v_mov_b32_e32 v45, v51
	s_cbranch_execz .LBB19_99
	s_branch .LBB19_100
.LBB19_98:
                                        ; implicit-def: $vgpr44_vgpr45
.LBB19_99:
	ds_load_b64 v[44:45], v1
.LBB19_100:
	s_and_saveexec_b32 s11, s0
	s_cbranch_execz .LBB19_104
; %bb.101:
	v_add_nc_u32_e32 v46, -10, v0
	s_movk_i32 s12, 0xf0
	s_mov_b32 s0, 0
.LBB19_102:                             ; =>This Inner Loop Header: Depth=1
	scratch_load_b64 v[48:49], off, s9
	v_dual_mov_b32 v47, s12 :: v_dual_add_nc_u32 v46, -1, v46
	s_add_co_i32 s12, s12, 8
	s_wait_xcnt 0x0
	s_add_co_i32 s9, s9, 8
	ds_load_b64 v[50:51], v47
	v_cmp_eq_u32_e32 vcc_lo, 0, v46
	s_or_b32 s0, vcc_lo, s0
	s_wait_loadcnt_dscnt 0x0
	v_pk_mul_f32 v[52:53], v[50:51], v[48:49] op_sel:[1,1] op_sel_hi:[0,1]
	s_delay_alu instid0(VALU_DEP_1) | instskip(SKIP_1) | instid1(VALU_DEP_2)
	v_pk_fma_f32 v[54:55], v[50:51], v[48:49], v[52:53] op_sel_hi:[1,0,1]
	v_pk_fma_f32 v[48:49], v[50:51], v[48:49], v[52:53] neg_lo:[0,0,1] neg_hi:[0,0,1]
	v_mov_b32_e32 v49, v55
	s_delay_alu instid0(VALU_DEP_1)
	v_pk_add_f32 v[44:45], v[44:45], v[48:49]
	s_and_not1_b32 exec_lo, exec_lo, s0
	s_cbranch_execnz .LBB19_102
; %bb.103:
	s_or_b32 exec_lo, exec_lo, s0
.LBB19_104:
	s_delay_alu instid0(SALU_CYCLE_1) | instskip(SKIP_4) | instid1(VALU_DEP_1)
	s_or_b32 exec_lo, exec_lo, s11
	v_mov_b32_e32 v46, 0
	ds_load_b64 v[46:47], v46 offset:72
	s_wait_dscnt 0x0
	v_pk_mul_f32 v[48:49], v[44:45], v[46:47] op_sel:[1,1] op_sel_hi:[0,1]
	v_pk_fma_f32 v[50:51], v[44:45], v[46:47], v[48:49] op_sel_hi:[1,0,1]
	v_pk_fma_f32 v[44:45], v[44:45], v[46:47], v[48:49] neg_lo:[0,0,1] neg_hi:[0,0,1]
	s_delay_alu instid0(VALU_DEP_2)
	v_mov_b32_e32 v45, v51
	scratch_store_b64 off, v[44:45], off offset:72
.LBB19_105:
	s_wait_xcnt 0x0
	s_or_b32 exec_lo, exec_lo, s10
	scratch_load_b64 v[44:45], off, off offset:64
	v_cmp_lt_u32_e64 s0, 8, v0
	s_wait_loadcnt 0x0
	ds_store_b64 v1, v[44:45]
	s_wait_storecnt_dscnt 0x0
	s_barrier_signal -1
	s_barrier_wait -1
	s_wait_xcnt 0x0
	s_and_saveexec_b32 s9, s0
	s_cbranch_execz .LBB19_115
; %bb.106:
	s_and_not1_b32 vcc_lo, exec_lo, s3
	s_cbranch_vccnz .LBB19_108
; %bb.107:
	scratch_load_b64 v[44:45], v43, off
	ds_load_b64 v[46:47], v1
	s_wait_loadcnt_dscnt 0x0
	v_pk_mul_f32 v[48:49], v[46:47], v[44:45] op_sel:[1,1] op_sel_hi:[0,1]
	s_delay_alu instid0(VALU_DEP_1) | instskip(SKIP_1) | instid1(VALU_DEP_2)
	v_pk_fma_f32 v[50:51], v[46:47], v[44:45], v[48:49] op_sel_hi:[1,0,1]
	v_pk_fma_f32 v[44:45], v[46:47], v[44:45], v[48:49] neg_lo:[0,0,1] neg_hi:[0,0,1]
	v_mov_b32_e32 v45, v51
	s_cbranch_execz .LBB19_109
	s_branch .LBB19_110
.LBB19_108:
                                        ; implicit-def: $vgpr44_vgpr45
.LBB19_109:
	ds_load_b64 v[44:45], v1
.LBB19_110:
	s_and_saveexec_b32 s10, s1
	s_cbranch_execz .LBB19_114
; %bb.111:
	v_add_nc_u32_e32 v46, -9, v0
	s_movk_i32 s1, 0x48
	s_movk_i32 s12, 0xe8
	s_mov_b32 s11, 0
.LBB19_112:                             ; =>This Inner Loop Header: Depth=1
	scratch_load_b64 v[48:49], off, s1
	v_dual_mov_b32 v47, s12 :: v_dual_add_nc_u32 v46, -1, v46
	s_add_co_i32 s12, s12, 8
	s_wait_xcnt 0x0
	s_add_co_i32 s1, s1, 8
	ds_load_b64 v[50:51], v47
	v_cmp_eq_u32_e32 vcc_lo, 0, v46
	s_or_b32 s11, vcc_lo, s11
	s_wait_loadcnt_dscnt 0x0
	v_pk_mul_f32 v[52:53], v[50:51], v[48:49] op_sel:[1,1] op_sel_hi:[0,1]
	s_delay_alu instid0(VALU_DEP_1) | instskip(SKIP_1) | instid1(VALU_DEP_2)
	v_pk_fma_f32 v[54:55], v[50:51], v[48:49], v[52:53] op_sel_hi:[1,0,1]
	v_pk_fma_f32 v[48:49], v[50:51], v[48:49], v[52:53] neg_lo:[0,0,1] neg_hi:[0,0,1]
	v_mov_b32_e32 v49, v55
	s_delay_alu instid0(VALU_DEP_1)
	v_pk_add_f32 v[44:45], v[44:45], v[48:49]
	s_and_not1_b32 exec_lo, exec_lo, s11
	s_cbranch_execnz .LBB19_112
; %bb.113:
	s_or_b32 exec_lo, exec_lo, s11
.LBB19_114:
	s_delay_alu instid0(SALU_CYCLE_1) | instskip(SKIP_4) | instid1(VALU_DEP_1)
	s_or_b32 exec_lo, exec_lo, s10
	v_mov_b32_e32 v46, 0
	ds_load_b64 v[46:47], v46 offset:64
	s_wait_dscnt 0x0
	v_pk_mul_f32 v[48:49], v[44:45], v[46:47] op_sel:[1,1] op_sel_hi:[0,1]
	v_pk_fma_f32 v[50:51], v[44:45], v[46:47], v[48:49] op_sel_hi:[1,0,1]
	v_pk_fma_f32 v[44:45], v[44:45], v[46:47], v[48:49] neg_lo:[0,0,1] neg_hi:[0,0,1]
	s_delay_alu instid0(VALU_DEP_2)
	v_mov_b32_e32 v45, v51
	scratch_store_b64 off, v[44:45], off offset:64
.LBB19_115:
	s_wait_xcnt 0x0
	s_or_b32 exec_lo, exec_lo, s9
	scratch_load_b64 v[44:45], off, off offset:56
	v_cmp_lt_u32_e64 s1, 7, v0
	s_wait_loadcnt 0x0
	ds_store_b64 v1, v[44:45]
	s_wait_storecnt_dscnt 0x0
	s_barrier_signal -1
	s_barrier_wait -1
	s_wait_xcnt 0x0
	s_and_saveexec_b32 s9, s1
	s_cbranch_execz .LBB19_125
; %bb.116:
	s_and_not1_b32 vcc_lo, exec_lo, s3
	s_cbranch_vccnz .LBB19_118
; %bb.117:
	scratch_load_b64 v[44:45], v43, off
	ds_load_b64 v[46:47], v1
	s_wait_loadcnt_dscnt 0x0
	v_pk_mul_f32 v[48:49], v[46:47], v[44:45] op_sel:[1,1] op_sel_hi:[0,1]
	s_delay_alu instid0(VALU_DEP_1) | instskip(SKIP_1) | instid1(VALU_DEP_2)
	v_pk_fma_f32 v[50:51], v[46:47], v[44:45], v[48:49] op_sel_hi:[1,0,1]
	v_pk_fma_f32 v[44:45], v[46:47], v[44:45], v[48:49] neg_lo:[0,0,1] neg_hi:[0,0,1]
	v_mov_b32_e32 v45, v51
	s_cbranch_execz .LBB19_119
	s_branch .LBB19_120
.LBB19_118:
                                        ; implicit-def: $vgpr44_vgpr45
.LBB19_119:
	ds_load_b64 v[44:45], v1
.LBB19_120:
	s_and_saveexec_b32 s10, s0
	s_cbranch_execz .LBB19_124
; %bb.121:
	v_add_nc_u32_e32 v46, -8, v0
	s_movk_i32 s11, 0xe0
	s_mov_b32 s0, 0
.LBB19_122:                             ; =>This Inner Loop Header: Depth=1
	scratch_load_b64 v[48:49], off, s8
	v_dual_mov_b32 v47, s11 :: v_dual_add_nc_u32 v46, -1, v46
	s_add_co_i32 s11, s11, 8
	s_wait_xcnt 0x0
	s_add_co_i32 s8, s8, 8
	ds_load_b64 v[50:51], v47
	v_cmp_eq_u32_e32 vcc_lo, 0, v46
	s_or_b32 s0, vcc_lo, s0
	s_wait_loadcnt_dscnt 0x0
	v_pk_mul_f32 v[52:53], v[50:51], v[48:49] op_sel:[1,1] op_sel_hi:[0,1]
	s_delay_alu instid0(VALU_DEP_1) | instskip(SKIP_1) | instid1(VALU_DEP_2)
	v_pk_fma_f32 v[54:55], v[50:51], v[48:49], v[52:53] op_sel_hi:[1,0,1]
	v_pk_fma_f32 v[48:49], v[50:51], v[48:49], v[52:53] neg_lo:[0,0,1] neg_hi:[0,0,1]
	v_mov_b32_e32 v49, v55
	s_delay_alu instid0(VALU_DEP_1)
	v_pk_add_f32 v[44:45], v[44:45], v[48:49]
	s_and_not1_b32 exec_lo, exec_lo, s0
	s_cbranch_execnz .LBB19_122
; %bb.123:
	s_or_b32 exec_lo, exec_lo, s0
.LBB19_124:
	s_delay_alu instid0(SALU_CYCLE_1) | instskip(SKIP_4) | instid1(VALU_DEP_1)
	s_or_b32 exec_lo, exec_lo, s10
	v_mov_b32_e32 v46, 0
	ds_load_b64 v[46:47], v46 offset:56
	s_wait_dscnt 0x0
	v_pk_mul_f32 v[48:49], v[44:45], v[46:47] op_sel:[1,1] op_sel_hi:[0,1]
	v_pk_fma_f32 v[50:51], v[44:45], v[46:47], v[48:49] op_sel_hi:[1,0,1]
	v_pk_fma_f32 v[44:45], v[44:45], v[46:47], v[48:49] neg_lo:[0,0,1] neg_hi:[0,0,1]
	s_delay_alu instid0(VALU_DEP_2)
	v_mov_b32_e32 v45, v51
	scratch_store_b64 off, v[44:45], off offset:56
.LBB19_125:
	s_wait_xcnt 0x0
	s_or_b32 exec_lo, exec_lo, s9
	scratch_load_b64 v[44:45], off, off offset:48
	v_cmp_lt_u32_e64 s0, 6, v0
	s_wait_loadcnt 0x0
	ds_store_b64 v1, v[44:45]
	s_wait_storecnt_dscnt 0x0
	s_barrier_signal -1
	s_barrier_wait -1
	s_wait_xcnt 0x0
	s_and_saveexec_b32 s8, s0
	s_cbranch_execz .LBB19_135
; %bb.126:
	s_and_not1_b32 vcc_lo, exec_lo, s3
	s_cbranch_vccnz .LBB19_128
; %bb.127:
	scratch_load_b64 v[44:45], v43, off
	ds_load_b64 v[46:47], v1
	s_wait_loadcnt_dscnt 0x0
	v_pk_mul_f32 v[48:49], v[46:47], v[44:45] op_sel:[1,1] op_sel_hi:[0,1]
	s_delay_alu instid0(VALU_DEP_1) | instskip(SKIP_1) | instid1(VALU_DEP_2)
	v_pk_fma_f32 v[50:51], v[46:47], v[44:45], v[48:49] op_sel_hi:[1,0,1]
	v_pk_fma_f32 v[44:45], v[46:47], v[44:45], v[48:49] neg_lo:[0,0,1] neg_hi:[0,0,1]
	v_mov_b32_e32 v45, v51
	s_cbranch_execz .LBB19_129
	s_branch .LBB19_130
.LBB19_128:
                                        ; implicit-def: $vgpr44_vgpr45
.LBB19_129:
	ds_load_b64 v[44:45], v1
.LBB19_130:
	s_and_saveexec_b32 s9, s1
	s_cbranch_execz .LBB19_134
; %bb.131:
	v_add_nc_u32_e32 v46, -7, v0
	s_mov_b32 s1, 56
	s_movk_i32 s11, 0xd8
	s_mov_b32 s10, 0
.LBB19_132:                             ; =>This Inner Loop Header: Depth=1
	scratch_load_b64 v[48:49], off, s1
	v_dual_mov_b32 v47, s11 :: v_dual_add_nc_u32 v46, -1, v46
	s_add_co_i32 s11, s11, 8
	s_wait_xcnt 0x0
	s_add_co_i32 s1, s1, 8
	ds_load_b64 v[50:51], v47
	v_cmp_eq_u32_e32 vcc_lo, 0, v46
	s_or_b32 s10, vcc_lo, s10
	s_wait_loadcnt_dscnt 0x0
	v_pk_mul_f32 v[52:53], v[50:51], v[48:49] op_sel:[1,1] op_sel_hi:[0,1]
	s_delay_alu instid0(VALU_DEP_1) | instskip(SKIP_1) | instid1(VALU_DEP_2)
	v_pk_fma_f32 v[54:55], v[50:51], v[48:49], v[52:53] op_sel_hi:[1,0,1]
	v_pk_fma_f32 v[48:49], v[50:51], v[48:49], v[52:53] neg_lo:[0,0,1] neg_hi:[0,0,1]
	v_mov_b32_e32 v49, v55
	s_delay_alu instid0(VALU_DEP_1)
	v_pk_add_f32 v[44:45], v[44:45], v[48:49]
	s_and_not1_b32 exec_lo, exec_lo, s10
	s_cbranch_execnz .LBB19_132
; %bb.133:
	s_or_b32 exec_lo, exec_lo, s10
.LBB19_134:
	s_delay_alu instid0(SALU_CYCLE_1) | instskip(SKIP_4) | instid1(VALU_DEP_1)
	s_or_b32 exec_lo, exec_lo, s9
	v_mov_b32_e32 v46, 0
	ds_load_b64 v[46:47], v46 offset:48
	s_wait_dscnt 0x0
	v_pk_mul_f32 v[48:49], v[44:45], v[46:47] op_sel:[1,1] op_sel_hi:[0,1]
	v_pk_fma_f32 v[50:51], v[44:45], v[46:47], v[48:49] op_sel_hi:[1,0,1]
	v_pk_fma_f32 v[44:45], v[44:45], v[46:47], v[48:49] neg_lo:[0,0,1] neg_hi:[0,0,1]
	s_delay_alu instid0(VALU_DEP_2)
	v_mov_b32_e32 v45, v51
	scratch_store_b64 off, v[44:45], off offset:48
.LBB19_135:
	s_wait_xcnt 0x0
	s_or_b32 exec_lo, exec_lo, s8
	scratch_load_b64 v[44:45], off, off offset:40
	v_cmp_lt_u32_e64 s1, 5, v0
	s_wait_loadcnt 0x0
	ds_store_b64 v1, v[44:45]
	s_wait_storecnt_dscnt 0x0
	s_barrier_signal -1
	s_barrier_wait -1
	s_wait_xcnt 0x0
	s_and_saveexec_b32 s8, s1
	s_cbranch_execz .LBB19_145
; %bb.136:
	s_and_not1_b32 vcc_lo, exec_lo, s3
	s_cbranch_vccnz .LBB19_138
; %bb.137:
	scratch_load_b64 v[44:45], v43, off
	ds_load_b64 v[46:47], v1
	s_wait_loadcnt_dscnt 0x0
	v_pk_mul_f32 v[48:49], v[46:47], v[44:45] op_sel:[1,1] op_sel_hi:[0,1]
	s_delay_alu instid0(VALU_DEP_1) | instskip(SKIP_1) | instid1(VALU_DEP_2)
	v_pk_fma_f32 v[50:51], v[46:47], v[44:45], v[48:49] op_sel_hi:[1,0,1]
	v_pk_fma_f32 v[44:45], v[46:47], v[44:45], v[48:49] neg_lo:[0,0,1] neg_hi:[0,0,1]
	v_mov_b32_e32 v45, v51
	s_cbranch_execz .LBB19_139
	s_branch .LBB19_140
.LBB19_138:
                                        ; implicit-def: $vgpr44_vgpr45
.LBB19_139:
	ds_load_b64 v[44:45], v1
.LBB19_140:
	s_and_saveexec_b32 s9, s0
	s_cbranch_execz .LBB19_144
; %bb.141:
	v_add_nc_u32_e32 v46, -6, v0
	s_movk_i32 s10, 0xd0
	s_mov_b32 s0, 0
.LBB19_142:                             ; =>This Inner Loop Header: Depth=1
	scratch_load_b64 v[48:49], off, s2
	v_dual_mov_b32 v47, s10 :: v_dual_add_nc_u32 v46, -1, v46
	s_add_co_i32 s10, s10, 8
	s_wait_xcnt 0x0
	s_add_co_i32 s2, s2, 8
	ds_load_b64 v[50:51], v47
	v_cmp_eq_u32_e32 vcc_lo, 0, v46
	s_or_b32 s0, vcc_lo, s0
	s_wait_loadcnt_dscnt 0x0
	v_pk_mul_f32 v[52:53], v[50:51], v[48:49] op_sel:[1,1] op_sel_hi:[0,1]
	s_delay_alu instid0(VALU_DEP_1) | instskip(SKIP_1) | instid1(VALU_DEP_2)
	v_pk_fma_f32 v[54:55], v[50:51], v[48:49], v[52:53] op_sel_hi:[1,0,1]
	v_pk_fma_f32 v[48:49], v[50:51], v[48:49], v[52:53] neg_lo:[0,0,1] neg_hi:[0,0,1]
	v_mov_b32_e32 v49, v55
	s_delay_alu instid0(VALU_DEP_1)
	v_pk_add_f32 v[44:45], v[44:45], v[48:49]
	s_and_not1_b32 exec_lo, exec_lo, s0
	s_cbranch_execnz .LBB19_142
; %bb.143:
	s_or_b32 exec_lo, exec_lo, s0
.LBB19_144:
	s_delay_alu instid0(SALU_CYCLE_1) | instskip(SKIP_4) | instid1(VALU_DEP_1)
	s_or_b32 exec_lo, exec_lo, s9
	v_mov_b32_e32 v46, 0
	ds_load_b64 v[46:47], v46 offset:40
	s_wait_dscnt 0x0
	v_pk_mul_f32 v[48:49], v[44:45], v[46:47] op_sel:[1,1] op_sel_hi:[0,1]
	v_pk_fma_f32 v[50:51], v[44:45], v[46:47], v[48:49] op_sel_hi:[1,0,1]
	v_pk_fma_f32 v[44:45], v[44:45], v[46:47], v[48:49] neg_lo:[0,0,1] neg_hi:[0,0,1]
	s_delay_alu instid0(VALU_DEP_2)
	v_mov_b32_e32 v45, v51
	scratch_store_b64 off, v[44:45], off offset:40
.LBB19_145:
	s_wait_xcnt 0x0
	s_or_b32 exec_lo, exec_lo, s8
	scratch_load_b64 v[44:45], off, off offset:32
	v_cmp_lt_u32_e64 s0, 4, v0
	s_wait_loadcnt 0x0
	ds_store_b64 v1, v[44:45]
	s_wait_storecnt_dscnt 0x0
	s_barrier_signal -1
	s_barrier_wait -1
	s_wait_xcnt 0x0
	s_and_saveexec_b32 s2, s0
	s_cbranch_execz .LBB19_155
; %bb.146:
	s_and_not1_b32 vcc_lo, exec_lo, s3
	s_cbranch_vccnz .LBB19_148
; %bb.147:
	scratch_load_b64 v[44:45], v43, off
	ds_load_b64 v[46:47], v1
	s_wait_loadcnt_dscnt 0x0
	v_pk_mul_f32 v[48:49], v[46:47], v[44:45] op_sel:[1,1] op_sel_hi:[0,1]
	s_delay_alu instid0(VALU_DEP_1) | instskip(SKIP_1) | instid1(VALU_DEP_2)
	v_pk_fma_f32 v[50:51], v[46:47], v[44:45], v[48:49] op_sel_hi:[1,0,1]
	v_pk_fma_f32 v[44:45], v[46:47], v[44:45], v[48:49] neg_lo:[0,0,1] neg_hi:[0,0,1]
	v_mov_b32_e32 v45, v51
	s_cbranch_execz .LBB19_149
	s_branch .LBB19_150
.LBB19_148:
                                        ; implicit-def: $vgpr44_vgpr45
.LBB19_149:
	ds_load_b64 v[44:45], v1
.LBB19_150:
	s_and_saveexec_b32 s8, s1
	s_cbranch_execz .LBB19_154
; %bb.151:
	v_add_nc_u32_e32 v46, -5, v0
	s_mov_b32 s1, 40
	s_movk_i32 s10, 0xc8
	s_mov_b32 s9, 0
.LBB19_152:                             ; =>This Inner Loop Header: Depth=1
	scratch_load_b64 v[48:49], off, s1
	v_dual_mov_b32 v47, s10 :: v_dual_add_nc_u32 v46, -1, v46
	s_add_co_i32 s10, s10, 8
	s_wait_xcnt 0x0
	s_add_co_i32 s1, s1, 8
	ds_load_b64 v[50:51], v47
	v_cmp_eq_u32_e32 vcc_lo, 0, v46
	s_or_b32 s9, vcc_lo, s9
	s_wait_loadcnt_dscnt 0x0
	v_pk_mul_f32 v[52:53], v[50:51], v[48:49] op_sel:[1,1] op_sel_hi:[0,1]
	s_delay_alu instid0(VALU_DEP_1) | instskip(SKIP_1) | instid1(VALU_DEP_2)
	v_pk_fma_f32 v[54:55], v[50:51], v[48:49], v[52:53] op_sel_hi:[1,0,1]
	v_pk_fma_f32 v[48:49], v[50:51], v[48:49], v[52:53] neg_lo:[0,0,1] neg_hi:[0,0,1]
	v_mov_b32_e32 v49, v55
	s_delay_alu instid0(VALU_DEP_1)
	v_pk_add_f32 v[44:45], v[44:45], v[48:49]
	s_and_not1_b32 exec_lo, exec_lo, s9
	s_cbranch_execnz .LBB19_152
; %bb.153:
	s_or_b32 exec_lo, exec_lo, s9
.LBB19_154:
	s_delay_alu instid0(SALU_CYCLE_1) | instskip(SKIP_4) | instid1(VALU_DEP_1)
	s_or_b32 exec_lo, exec_lo, s8
	v_mov_b32_e32 v46, 0
	ds_load_b64 v[46:47], v46 offset:32
	s_wait_dscnt 0x0
	v_pk_mul_f32 v[48:49], v[44:45], v[46:47] op_sel:[1,1] op_sel_hi:[0,1]
	v_pk_fma_f32 v[50:51], v[44:45], v[46:47], v[48:49] op_sel_hi:[1,0,1]
	v_pk_fma_f32 v[44:45], v[44:45], v[46:47], v[48:49] neg_lo:[0,0,1] neg_hi:[0,0,1]
	s_delay_alu instid0(VALU_DEP_2)
	v_mov_b32_e32 v45, v51
	scratch_store_b64 off, v[44:45], off offset:32
.LBB19_155:
	s_wait_xcnt 0x0
	s_or_b32 exec_lo, exec_lo, s2
	scratch_load_b64 v[44:45], off, off offset:24
	v_cmp_lt_u32_e64 s2, 3, v0
	s_wait_loadcnt 0x0
	ds_store_b64 v1, v[44:45]
	s_wait_storecnt_dscnt 0x0
	s_barrier_signal -1
	s_barrier_wait -1
	s_wait_xcnt 0x0
	s_and_saveexec_b32 s1, s2
	s_cbranch_execz .LBB19_165
; %bb.156:
	s_and_not1_b32 vcc_lo, exec_lo, s3
	s_cbranch_vccnz .LBB19_158
; %bb.157:
	scratch_load_b64 v[44:45], v43, off
	ds_load_b64 v[46:47], v1
	s_wait_loadcnt_dscnt 0x0
	v_pk_mul_f32 v[48:49], v[46:47], v[44:45] op_sel:[1,1] op_sel_hi:[0,1]
	s_delay_alu instid0(VALU_DEP_1) | instskip(SKIP_1) | instid1(VALU_DEP_2)
	v_pk_fma_f32 v[50:51], v[46:47], v[44:45], v[48:49] op_sel_hi:[1,0,1]
	v_pk_fma_f32 v[44:45], v[46:47], v[44:45], v[48:49] neg_lo:[0,0,1] neg_hi:[0,0,1]
	v_mov_b32_e32 v45, v51
	s_cbranch_execz .LBB19_159
	s_branch .LBB19_160
.LBB19_158:
                                        ; implicit-def: $vgpr44_vgpr45
.LBB19_159:
	ds_load_b64 v[44:45], v1
.LBB19_160:
	s_and_saveexec_b32 s8, s0
	s_cbranch_execz .LBB19_164
; %bb.161:
	v_add_nc_u32_e32 v46, -4, v0
	s_movk_i32 s9, 0xc0
	s_mov_b32 s0, 0
.LBB19_162:                             ; =>This Inner Loop Header: Depth=1
	scratch_load_b64 v[48:49], off, s5
	v_dual_mov_b32 v47, s9 :: v_dual_add_nc_u32 v46, -1, v46
	s_add_co_i32 s9, s9, 8
	s_wait_xcnt 0x0
	s_add_co_i32 s5, s5, 8
	ds_load_b64 v[50:51], v47
	v_cmp_eq_u32_e32 vcc_lo, 0, v46
	s_or_b32 s0, vcc_lo, s0
	s_wait_loadcnt_dscnt 0x0
	v_pk_mul_f32 v[52:53], v[50:51], v[48:49] op_sel:[1,1] op_sel_hi:[0,1]
	s_delay_alu instid0(VALU_DEP_1) | instskip(SKIP_1) | instid1(VALU_DEP_2)
	v_pk_fma_f32 v[54:55], v[50:51], v[48:49], v[52:53] op_sel_hi:[1,0,1]
	v_pk_fma_f32 v[48:49], v[50:51], v[48:49], v[52:53] neg_lo:[0,0,1] neg_hi:[0,0,1]
	v_mov_b32_e32 v49, v55
	s_delay_alu instid0(VALU_DEP_1)
	v_pk_add_f32 v[44:45], v[44:45], v[48:49]
	s_and_not1_b32 exec_lo, exec_lo, s0
	s_cbranch_execnz .LBB19_162
; %bb.163:
	s_or_b32 exec_lo, exec_lo, s0
.LBB19_164:
	s_delay_alu instid0(SALU_CYCLE_1) | instskip(SKIP_4) | instid1(VALU_DEP_1)
	s_or_b32 exec_lo, exec_lo, s8
	v_mov_b32_e32 v46, 0
	ds_load_b64 v[46:47], v46 offset:24
	s_wait_dscnt 0x0
	v_pk_mul_f32 v[48:49], v[44:45], v[46:47] op_sel:[1,1] op_sel_hi:[0,1]
	v_pk_fma_f32 v[50:51], v[44:45], v[46:47], v[48:49] op_sel_hi:[1,0,1]
	v_pk_fma_f32 v[44:45], v[44:45], v[46:47], v[48:49] neg_lo:[0,0,1] neg_hi:[0,0,1]
	s_delay_alu instid0(VALU_DEP_2)
	v_mov_b32_e32 v45, v51
	scratch_store_b64 off, v[44:45], off offset:24
.LBB19_165:
	s_wait_xcnt 0x0
	s_or_b32 exec_lo, exec_lo, s1
	scratch_load_b64 v[44:45], off, off offset:16
	v_cmp_lt_u32_e64 s1, 2, v0
	s_wait_loadcnt 0x0
	ds_store_b64 v1, v[44:45]
	s_wait_storecnt_dscnt 0x0
	s_barrier_signal -1
	s_barrier_wait -1
	s_wait_xcnt 0x0
	s_and_saveexec_b32 s0, s1
	s_cbranch_execz .LBB19_175
; %bb.166:
	s_and_not1_b32 vcc_lo, exec_lo, s3
	s_cbranch_vccnz .LBB19_168
; %bb.167:
	scratch_load_b64 v[44:45], v43, off
	ds_load_b64 v[46:47], v1
	s_wait_loadcnt_dscnt 0x0
	v_pk_mul_f32 v[48:49], v[46:47], v[44:45] op_sel:[1,1] op_sel_hi:[0,1]
	s_delay_alu instid0(VALU_DEP_1) | instskip(SKIP_1) | instid1(VALU_DEP_2)
	v_pk_fma_f32 v[50:51], v[46:47], v[44:45], v[48:49] op_sel_hi:[1,0,1]
	v_pk_fma_f32 v[44:45], v[46:47], v[44:45], v[48:49] neg_lo:[0,0,1] neg_hi:[0,0,1]
	v_mov_b32_e32 v45, v51
	s_cbranch_execz .LBB19_169
	s_branch .LBB19_170
.LBB19_168:
                                        ; implicit-def: $vgpr44_vgpr45
.LBB19_169:
	ds_load_b64 v[44:45], v1
.LBB19_170:
	s_and_saveexec_b32 s5, s2
	s_cbranch_execz .LBB19_174
; %bb.171:
	v_add_nc_u32_e32 v46, -3, v0
	s_mov_b32 s2, 24
	s_movk_i32 s9, 0xb8
	s_mov_b32 s8, 0
.LBB19_172:                             ; =>This Inner Loop Header: Depth=1
	scratch_load_b64 v[48:49], off, s2
	v_dual_mov_b32 v47, s9 :: v_dual_add_nc_u32 v46, -1, v46
	s_add_co_i32 s9, s9, 8
	s_wait_xcnt 0x0
	s_add_co_i32 s2, s2, 8
	ds_load_b64 v[50:51], v47
	v_cmp_eq_u32_e32 vcc_lo, 0, v46
	s_or_b32 s8, vcc_lo, s8
	s_wait_loadcnt_dscnt 0x0
	v_pk_mul_f32 v[52:53], v[50:51], v[48:49] op_sel:[1,1] op_sel_hi:[0,1]
	s_delay_alu instid0(VALU_DEP_1) | instskip(SKIP_1) | instid1(VALU_DEP_2)
	v_pk_fma_f32 v[54:55], v[50:51], v[48:49], v[52:53] op_sel_hi:[1,0,1]
	v_pk_fma_f32 v[48:49], v[50:51], v[48:49], v[52:53] neg_lo:[0,0,1] neg_hi:[0,0,1]
	v_mov_b32_e32 v49, v55
	s_delay_alu instid0(VALU_DEP_1)
	v_pk_add_f32 v[44:45], v[44:45], v[48:49]
	s_and_not1_b32 exec_lo, exec_lo, s8
	s_cbranch_execnz .LBB19_172
; %bb.173:
	s_or_b32 exec_lo, exec_lo, s8
.LBB19_174:
	s_delay_alu instid0(SALU_CYCLE_1) | instskip(SKIP_4) | instid1(VALU_DEP_1)
	s_or_b32 exec_lo, exec_lo, s5
	v_mov_b32_e32 v46, 0
	ds_load_b64 v[46:47], v46 offset:16
	s_wait_dscnt 0x0
	v_pk_mul_f32 v[48:49], v[44:45], v[46:47] op_sel:[1,1] op_sel_hi:[0,1]
	v_pk_fma_f32 v[50:51], v[44:45], v[46:47], v[48:49] op_sel_hi:[1,0,1]
	v_pk_fma_f32 v[44:45], v[44:45], v[46:47], v[48:49] neg_lo:[0,0,1] neg_hi:[0,0,1]
	s_delay_alu instid0(VALU_DEP_2)
	v_mov_b32_e32 v45, v51
	scratch_store_b64 off, v[44:45], off offset:16
.LBB19_175:
	s_wait_xcnt 0x0
	s_or_b32 exec_lo, exec_lo, s0
	scratch_load_b64 v[44:45], off, off offset:8
	v_cmp_lt_u32_e64 s0, 1, v0
	s_wait_loadcnt 0x0
	ds_store_b64 v1, v[44:45]
	s_wait_storecnt_dscnt 0x0
	s_barrier_signal -1
	s_barrier_wait -1
	s_wait_xcnt 0x0
	s_and_saveexec_b32 s2, s0
	s_cbranch_execz .LBB19_185
; %bb.176:
	s_and_not1_b32 vcc_lo, exec_lo, s3
	s_cbranch_vccnz .LBB19_178
; %bb.177:
	scratch_load_b64 v[44:45], v43, off
	ds_load_b64 v[46:47], v1
	s_wait_loadcnt_dscnt 0x0
	v_pk_mul_f32 v[48:49], v[46:47], v[44:45] op_sel:[1,1] op_sel_hi:[0,1]
	s_delay_alu instid0(VALU_DEP_1) | instskip(SKIP_1) | instid1(VALU_DEP_2)
	v_pk_fma_f32 v[50:51], v[46:47], v[44:45], v[48:49] op_sel_hi:[1,0,1]
	v_pk_fma_f32 v[44:45], v[46:47], v[44:45], v[48:49] neg_lo:[0,0,1] neg_hi:[0,0,1]
	v_mov_b32_e32 v45, v51
	s_cbranch_execz .LBB19_179
	s_branch .LBB19_180
.LBB19_178:
                                        ; implicit-def: $vgpr44_vgpr45
.LBB19_179:
	ds_load_b64 v[44:45], v1
.LBB19_180:
	s_and_saveexec_b32 s5, s1
	s_cbranch_execz .LBB19_184
; %bb.181:
	v_add_nc_u32_e32 v46, -2, v0
	s_movk_i32 s8, 0xb0
	s_mov_b32 s1, 0
.LBB19_182:                             ; =>This Inner Loop Header: Depth=1
	scratch_load_b64 v[48:49], off, s4
	v_dual_mov_b32 v47, s8 :: v_dual_add_nc_u32 v46, -1, v46
	s_add_co_i32 s8, s8, 8
	s_wait_xcnt 0x0
	s_add_co_i32 s4, s4, 8
	ds_load_b64 v[50:51], v47
	v_cmp_eq_u32_e32 vcc_lo, 0, v46
	s_or_b32 s1, vcc_lo, s1
	s_wait_loadcnt_dscnt 0x0
	v_pk_mul_f32 v[52:53], v[50:51], v[48:49] op_sel:[1,1] op_sel_hi:[0,1]
	s_delay_alu instid0(VALU_DEP_1) | instskip(SKIP_1) | instid1(VALU_DEP_2)
	v_pk_fma_f32 v[54:55], v[50:51], v[48:49], v[52:53] op_sel_hi:[1,0,1]
	v_pk_fma_f32 v[48:49], v[50:51], v[48:49], v[52:53] neg_lo:[0,0,1] neg_hi:[0,0,1]
	v_mov_b32_e32 v49, v55
	s_delay_alu instid0(VALU_DEP_1)
	v_pk_add_f32 v[44:45], v[44:45], v[48:49]
	s_and_not1_b32 exec_lo, exec_lo, s1
	s_cbranch_execnz .LBB19_182
; %bb.183:
	s_or_b32 exec_lo, exec_lo, s1
.LBB19_184:
	s_delay_alu instid0(SALU_CYCLE_1) | instskip(SKIP_4) | instid1(VALU_DEP_1)
	s_or_b32 exec_lo, exec_lo, s5
	v_mov_b32_e32 v46, 0
	ds_load_b64 v[46:47], v46 offset:8
	s_wait_dscnt 0x0
	v_pk_mul_f32 v[48:49], v[44:45], v[46:47] op_sel:[1,1] op_sel_hi:[0,1]
	v_pk_fma_f32 v[50:51], v[44:45], v[46:47], v[48:49] op_sel_hi:[1,0,1]
	v_pk_fma_f32 v[44:45], v[44:45], v[46:47], v[48:49] neg_lo:[0,0,1] neg_hi:[0,0,1]
	s_delay_alu instid0(VALU_DEP_2)
	v_mov_b32_e32 v45, v51
	scratch_store_b64 off, v[44:45], off offset:8
.LBB19_185:
	s_wait_xcnt 0x0
	s_or_b32 exec_lo, exec_lo, s2
	scratch_load_b64 v[44:45], off, off
	s_mov_b32 s2, 0
	s_mov_b32 s1, 0
	s_mov_b32 s4, exec_lo
                                        ; implicit-def: $vgpr50
                                        ; implicit-def: $sgpr5
	s_wait_loadcnt 0x0
	ds_store_b64 v1, v[44:45]
	s_wait_storecnt_dscnt 0x0
	s_barrier_signal -1
	s_barrier_wait -1
	s_wait_xcnt 0x0
	v_cmpx_ne_u32_e32 0, v0
	s_cbranch_execz .LBB19_195
; %bb.186:
	s_and_not1_b32 vcc_lo, exec_lo, s3
	s_cbranch_vccnz .LBB19_188
; %bb.187:
	scratch_load_b64 v[46:47], v43, off
	ds_load_b64 v[48:49], v1
	s_wait_loadcnt_dscnt 0x0
	v_dual_mul_f32 v44, v49, v47 :: v_dual_mul_f32 v45, v48, v47
	s_delay_alu instid0(VALU_DEP_1)
	v_dual_fma_f32 v44, v48, v46, -v44 :: v_dual_fmac_f32 v45, v49, v46
	s_and_not1_b32 vcc_lo, exec_lo, s1
	s_cbranch_vccz .LBB19_189
	s_branch .LBB19_190
.LBB19_188:
                                        ; implicit-def: $vgpr44
.LBB19_189:
	ds_load_b64 v[44:45], v1
.LBB19_190:
	s_and_saveexec_b32 s1, s0
	s_cbranch_execz .LBB19_194
; %bb.191:
	v_add_nc_u32_e32 v46, -1, v0
	s_or_b32 s0, 0, 8
	s_movk_i32 s8, 0xa8
	s_mov_b32 s5, 0
.LBB19_192:                             ; =>This Inner Loop Header: Depth=1
	scratch_load_b64 v[48:49], off, s0
	v_mov_b32_e32 v47, s8
	s_add_co_i32 s8, s8, 8
	s_wait_xcnt 0x0
	s_add_co_i32 s0, s0, 8
	v_add_nc_u32_e32 v46, -1, v46
	ds_load_b64 v[50:51], v47
	v_cmp_eq_u32_e32 vcc_lo, 0, v46
	s_or_b32 s5, vcc_lo, s5
	s_wait_loadcnt_dscnt 0x0
	v_dual_mul_f32 v47, v51, v49 :: v_dual_mul_f32 v49, v50, v49
	s_delay_alu instid0(VALU_DEP_1) | instskip(NEXT) | instid1(VALU_DEP_1)
	v_dual_fma_f32 v47, v50, v48, -v47 :: v_dual_fmac_f32 v49, v51, v48
	v_dual_add_f32 v44, v44, v47 :: v_dual_add_f32 v45, v45, v49
	s_and_not1_b32 exec_lo, exec_lo, s5
	s_cbranch_execnz .LBB19_192
; %bb.193:
	s_or_b32 exec_lo, exec_lo, s5
.LBB19_194:
	s_delay_alu instid0(SALU_CYCLE_1)
	s_or_b32 exec_lo, exec_lo, s1
	v_mov_b32_e32 v46, 0
	s_mov_b32 s1, exec_lo
	s_or_b32 s5, 0, 4
	ds_load_b64 v[46:47], v46
	s_wait_dscnt 0x0
	v_dual_mul_f32 v48, v45, v47 :: v_dual_mul_f32 v50, v44, v47
	s_delay_alu instid0(VALU_DEP_1)
	v_dual_fma_f32 v44, v44, v46, -v48 :: v_dual_fmac_f32 v50, v45, v46
	scratch_store_b32 off, v44, off
.LBB19_195:
	s_wait_xcnt 0x0
	s_or_b32 exec_lo, exec_lo, s4
	s_delay_alu instid0(SALU_CYCLE_1)
	s_and_b32 vcc_lo, exec_lo, s2
	s_cbranch_vccz .LBB19_381
.LBB19_196:
	scratch_load_b64 v[44:45], off, off offset:8
	v_cmp_eq_u32_e64 s0, 0, v0
	s_wait_loadcnt 0x0
	ds_store_b64 v1, v[44:45]
	s_wait_storecnt_dscnt 0x0
	s_barrier_signal -1
	s_barrier_wait -1
	s_wait_xcnt 0x0
	s_and_saveexec_b32 s2, s0
	s_cbranch_execz .LBB19_202
; %bb.197:
	s_and_b32 vcc_lo, exec_lo, s3
	s_cbranch_vccz .LBB19_199
; %bb.198:
	scratch_load_b64 v[44:45], v43, off
	ds_load_b64 v[46:47], v1
	s_wait_loadcnt_dscnt 0x0
	v_pk_mul_f32 v[48:49], v[46:47], v[44:45] op_sel:[1,1] op_sel_hi:[0,1]
	v_pk_mul_f32 v[50:51], v[46:47], v[44:45] op_sel_hi:[1,0]
	s_delay_alu instid0(VALU_DEP_2) | instskip(NEXT) | instid1(VALU_DEP_2)
	v_pk_fma_f32 v[44:45], v[46:47], v[44:45], v[48:49] op_sel_hi:[1,0,1]
	v_sub_f32_e32 v44, v50, v48
	s_cbranch_execz .LBB19_200
	s_branch .LBB19_201
.LBB19_199:
                                        ; implicit-def: $vgpr45
.LBB19_200:
	ds_load_b64 v[44:45], v1
.LBB19_201:
	s_wait_dscnt 0x0
	v_dual_mov_b32 v46, 0 :: v_dual_mov_b32 v48, v45
	v_mov_b32_e32 v49, v44
	ds_load_b64 v[46:47], v46 offset:8
	s_wait_dscnt 0x0
	v_pk_mul_f32 v[48:49], v[48:49], v[46:47] op_sel:[0,1]
	s_delay_alu instid0(VALU_DEP_1) | instskip(SKIP_1) | instid1(VALU_DEP_2)
	v_pk_fma_f32 v[50:51], v[44:45], v[46:47], v[48:49] op_sel_hi:[1,0,1]
	v_pk_fma_f32 v[44:45], v[44:45], v[46:47], v[48:49] neg_lo:[0,0,1] neg_hi:[0,0,1]
	v_mov_b32_e32 v45, v51
	scratch_store_b64 off, v[44:45], off offset:8
.LBB19_202:
	s_wait_xcnt 0x0
	s_or_b32 exec_lo, exec_lo, s2
	scratch_load_b64 v[44:45], off, off offset:16
	v_cndmask_b32_e64 v46, 0, 1, s3
	s_mov_b32 s2, exec_lo
	s_wait_loadcnt 0x0
	ds_store_b64 v1, v[44:45]
	s_wait_storecnt_dscnt 0x0
	s_barrier_signal -1
	s_barrier_wait -1
	s_wait_xcnt 0x0
	v_cmpx_gt_u32_e32 2, v0
	s_cbranch_execz .LBB19_210
; %bb.203:
	s_and_not1_b32 vcc_lo, exec_lo, s3
	s_cbranch_vccnz .LBB19_205
; %bb.204:
	scratch_load_b64 v[44:45], v43, off
	ds_load_b64 v[48:49], v1
	s_wait_loadcnt_dscnt 0x0
	v_pk_mul_f32 v[50:51], v[48:49], v[44:45] op_sel:[1,1] op_sel_hi:[0,1]
	s_delay_alu instid0(VALU_DEP_1) | instskip(SKIP_1) | instid1(VALU_DEP_2)
	v_pk_fma_f32 v[52:53], v[48:49], v[44:45], v[50:51] op_sel_hi:[1,0,1]
	v_pk_fma_f32 v[44:45], v[48:49], v[44:45], v[50:51] neg_lo:[0,0,1] neg_hi:[0,0,1]
	v_mov_b32_e32 v45, v53
	s_cbranch_execz .LBB19_206
	s_branch .LBB19_207
.LBB19_205:
                                        ; implicit-def: $vgpr44_vgpr45
.LBB19_206:
	ds_load_b64 v[44:45], v1
.LBB19_207:
	s_and_saveexec_b32 s3, s0
	s_cbranch_execz .LBB19_209
; %bb.208:
	scratch_load_b64 v[48:49], off, off offset:8
	v_mov_b32_e32 v47, 0
	ds_load_b64 v[50:51], v47 offset:168
	s_wait_loadcnt_dscnt 0x0
	v_pk_mul_f32 v[52:53], v[50:51], v[48:49] op_sel:[1,1] op_sel_hi:[0,1]
	s_delay_alu instid0(VALU_DEP_1) | instskip(SKIP_1) | instid1(VALU_DEP_2)
	v_pk_fma_f32 v[54:55], v[50:51], v[48:49], v[52:53] op_sel_hi:[1,0,1]
	v_pk_fma_f32 v[48:49], v[50:51], v[48:49], v[52:53] neg_lo:[0,0,1] neg_hi:[0,0,1]
	v_mov_b32_e32 v49, v55
	s_delay_alu instid0(VALU_DEP_1)
	v_pk_add_f32 v[44:45], v[44:45], v[48:49]
.LBB19_209:
	s_or_b32 exec_lo, exec_lo, s3
	v_mov_b32_e32 v47, 0
	ds_load_b64 v[48:49], v47 offset:16
	s_wait_dscnt 0x0
	v_pk_mul_f32 v[50:51], v[44:45], v[48:49] op_sel:[1,1] op_sel_hi:[0,1]
	s_delay_alu instid0(VALU_DEP_1) | instskip(SKIP_1) | instid1(VALU_DEP_2)
	v_pk_fma_f32 v[52:53], v[44:45], v[48:49], v[50:51] op_sel_hi:[1,0,1]
	v_pk_fma_f32 v[44:45], v[44:45], v[48:49], v[50:51] neg_lo:[0,0,1] neg_hi:[0,0,1]
	v_mov_b32_e32 v45, v53
	scratch_store_b64 off, v[44:45], off offset:16
.LBB19_210:
	s_wait_xcnt 0x0
	s_or_b32 exec_lo, exec_lo, s2
	scratch_load_b64 v[44:45], off, off offset:24
	s_mov_b32 s2, exec_lo
	s_wait_loadcnt 0x0
	ds_store_b64 v1, v[44:45]
	s_wait_storecnt_dscnt 0x0
	s_barrier_signal -1
	s_barrier_wait -1
	s_wait_xcnt 0x0
	v_cmpx_gt_u32_e32 3, v0
	s_cbranch_execz .LBB19_220
; %bb.211:
	v_cmp_ne_u32_e32 vcc_lo, 1, v46
	s_cbranch_vccnz .LBB19_213
; %bb.212:
	scratch_load_b64 v[44:45], v43, off
	ds_load_b64 v[48:49], v1
	s_wait_loadcnt_dscnt 0x0
	v_pk_mul_f32 v[50:51], v[48:49], v[44:45] op_sel:[1,1] op_sel_hi:[0,1]
	s_delay_alu instid0(VALU_DEP_1) | instskip(SKIP_1) | instid1(VALU_DEP_2)
	v_pk_fma_f32 v[52:53], v[48:49], v[44:45], v[50:51] op_sel_hi:[1,0,1]
	v_pk_fma_f32 v[44:45], v[48:49], v[44:45], v[50:51] neg_lo:[0,0,1] neg_hi:[0,0,1]
	v_mov_b32_e32 v45, v53
	s_cbranch_execz .LBB19_214
	s_branch .LBB19_215
.LBB19_213:
                                        ; implicit-def: $vgpr44_vgpr45
.LBB19_214:
	ds_load_b64 v[44:45], v1
.LBB19_215:
	s_mov_b32 s3, exec_lo
	v_cmpx_ne_u32_e32 2, v0
	s_cbranch_execz .LBB19_219
; %bb.216:
	scratch_load_b64 v[48:49], v43, off offset:8
	ds_load_b64 v[50:51], v1 offset:8
	s_wait_loadcnt_dscnt 0x0
	v_pk_mul_f32 v[52:53], v[50:51], v[48:49] op_sel:[1,1] op_sel_hi:[0,1]
	s_delay_alu instid0(VALU_DEP_1) | instskip(SKIP_1) | instid1(VALU_DEP_2)
	v_pk_fma_f32 v[54:55], v[50:51], v[48:49], v[52:53] op_sel_hi:[1,0,1]
	v_pk_fma_f32 v[48:49], v[50:51], v[48:49], v[52:53] neg_lo:[0,0,1] neg_hi:[0,0,1]
	v_mov_b32_e32 v49, v55
	s_delay_alu instid0(VALU_DEP_1)
	v_pk_add_f32 v[44:45], v[44:45], v[48:49]
	s_and_saveexec_b32 s4, s0
	s_cbranch_execz .LBB19_218
; %bb.217:
	scratch_load_b64 v[48:49], off, off offset:16
	v_mov_b32_e32 v47, 0
	ds_load_b64 v[50:51], v47 offset:176
	s_wait_loadcnt_dscnt 0x0
	v_pk_mul_f32 v[52:53], v[50:51], v[48:49] op_sel:[1,1] op_sel_hi:[0,1]
	s_delay_alu instid0(VALU_DEP_1) | instskip(SKIP_1) | instid1(VALU_DEP_2)
	v_pk_fma_f32 v[54:55], v[50:51], v[48:49], v[52:53] op_sel_hi:[1,0,1]
	v_pk_fma_f32 v[48:49], v[50:51], v[48:49], v[52:53] neg_lo:[0,0,1] neg_hi:[0,0,1]
	v_mov_b32_e32 v49, v55
	s_delay_alu instid0(VALU_DEP_1)
	v_pk_add_f32 v[44:45], v[44:45], v[48:49]
.LBB19_218:
	s_or_b32 exec_lo, exec_lo, s4
.LBB19_219:
	s_delay_alu instid0(SALU_CYCLE_1) | instskip(SKIP_4) | instid1(VALU_DEP_1)
	s_or_b32 exec_lo, exec_lo, s3
	v_mov_b32_e32 v47, 0
	ds_load_b64 v[48:49], v47 offset:24
	s_wait_dscnt 0x0
	v_pk_mul_f32 v[50:51], v[44:45], v[48:49] op_sel:[1,1] op_sel_hi:[0,1]
	v_pk_fma_f32 v[52:53], v[44:45], v[48:49], v[50:51] op_sel_hi:[1,0,1]
	v_pk_fma_f32 v[44:45], v[44:45], v[48:49], v[50:51] neg_lo:[0,0,1] neg_hi:[0,0,1]
	s_delay_alu instid0(VALU_DEP_2)
	v_mov_b32_e32 v45, v53
	scratch_store_b64 off, v[44:45], off offset:24
.LBB19_220:
	s_wait_xcnt 0x0
	s_or_b32 exec_lo, exec_lo, s2
	scratch_load_b64 v[44:45], off, off offset:32
	s_mov_b32 s0, exec_lo
	s_wait_loadcnt 0x0
	ds_store_b64 v1, v[44:45]
	s_wait_storecnt_dscnt 0x0
	s_barrier_signal -1
	s_barrier_wait -1
	s_wait_xcnt 0x0
	v_cmpx_gt_u32_e32 4, v0
	s_cbranch_execz .LBB19_230
; %bb.221:
	v_cmp_ne_u32_e32 vcc_lo, 1, v46
	s_cbranch_vccnz .LBB19_223
; %bb.222:
	scratch_load_b64 v[44:45], v43, off
	ds_load_b64 v[48:49], v1
	s_wait_loadcnt_dscnt 0x0
	v_pk_mul_f32 v[50:51], v[48:49], v[44:45] op_sel:[1,1] op_sel_hi:[0,1]
	s_delay_alu instid0(VALU_DEP_1) | instskip(SKIP_1) | instid1(VALU_DEP_2)
	v_pk_fma_f32 v[52:53], v[48:49], v[44:45], v[50:51] op_sel_hi:[1,0,1]
	v_pk_fma_f32 v[44:45], v[48:49], v[44:45], v[50:51] neg_lo:[0,0,1] neg_hi:[0,0,1]
	v_mov_b32_e32 v45, v53
	s_cbranch_execz .LBB19_224
	s_branch .LBB19_225
.LBB19_223:
                                        ; implicit-def: $vgpr44_vgpr45
.LBB19_224:
	ds_load_b64 v[44:45], v1
.LBB19_225:
	s_mov_b32 s2, exec_lo
	v_cmpx_ne_u32_e32 3, v0
	s_cbranch_execz .LBB19_229
; %bb.226:
	v_add_nc_u32_e32 v47, 0xa8, v42
	v_add3_u32 v48, 0, v42, 8
	v_mov_b32_e32 v49, v0
	s_mov_b32 s3, 0
.LBB19_227:                             ; =>This Inner Loop Header: Depth=1
	scratch_load_b64 v[50:51], v48, off
	ds_load_b64 v[52:53], v47
	s_wait_xcnt 0x0
	v_dual_add_nc_u32 v47, 8, v47 :: v_dual_add_nc_u32 v48, 8, v48
	s_wait_loadcnt_dscnt 0x0
	v_pk_mul_f32 v[54:55], v[52:53], v[50:51] op_sel:[1,1] op_sel_hi:[0,1]
	s_delay_alu instid0(VALU_DEP_1) | instskip(SKIP_2) | instid1(VALU_DEP_3)
	v_pk_fma_f32 v[56:57], v[52:53], v[50:51], v[54:55] op_sel_hi:[1,0,1]
	v_add_nc_u32_e32 v49, 1, v49
	v_pk_fma_f32 v[50:51], v[52:53], v[50:51], v[54:55] neg_lo:[0,0,1] neg_hi:[0,0,1]
	v_mov_b32_e32 v51, v57
	s_delay_alu instid0(VALU_DEP_3) | instskip(NEXT) | instid1(VALU_DEP_2)
	v_cmp_lt_u32_e32 vcc_lo, 2, v49
	v_pk_add_f32 v[44:45], v[44:45], v[50:51]
	s_or_b32 s3, vcc_lo, s3
	s_delay_alu instid0(SALU_CYCLE_1)
	s_and_not1_b32 exec_lo, exec_lo, s3
	s_cbranch_execnz .LBB19_227
; %bb.228:
	s_or_b32 exec_lo, exec_lo, s3
.LBB19_229:
	s_delay_alu instid0(SALU_CYCLE_1) | instskip(SKIP_4) | instid1(VALU_DEP_1)
	s_or_b32 exec_lo, exec_lo, s2
	v_mov_b32_e32 v47, 0
	ds_load_b64 v[48:49], v47 offset:32
	s_wait_dscnt 0x0
	v_pk_mul_f32 v[50:51], v[44:45], v[48:49] op_sel:[1,1] op_sel_hi:[0,1]
	v_pk_fma_f32 v[52:53], v[44:45], v[48:49], v[50:51] op_sel_hi:[1,0,1]
	v_pk_fma_f32 v[44:45], v[44:45], v[48:49], v[50:51] neg_lo:[0,0,1] neg_hi:[0,0,1]
	s_delay_alu instid0(VALU_DEP_2)
	v_mov_b32_e32 v45, v53
	scratch_store_b64 off, v[44:45], off offset:32
.LBB19_230:
	s_wait_xcnt 0x0
	s_or_b32 exec_lo, exec_lo, s0
	scratch_load_b64 v[44:45], off, off offset:40
	s_mov_b32 s0, exec_lo
	s_wait_loadcnt 0x0
	ds_store_b64 v1, v[44:45]
	s_wait_storecnt_dscnt 0x0
	s_barrier_signal -1
	s_barrier_wait -1
	s_wait_xcnt 0x0
	v_cmpx_gt_u32_e32 5, v0
	s_cbranch_execz .LBB19_240
; %bb.231:
	v_cmp_ne_u32_e32 vcc_lo, 1, v46
	s_cbranch_vccnz .LBB19_233
; %bb.232:
	scratch_load_b64 v[44:45], v43, off
	ds_load_b64 v[48:49], v1
	s_wait_loadcnt_dscnt 0x0
	v_pk_mul_f32 v[50:51], v[48:49], v[44:45] op_sel:[1,1] op_sel_hi:[0,1]
	s_delay_alu instid0(VALU_DEP_1) | instskip(SKIP_1) | instid1(VALU_DEP_2)
	v_pk_fma_f32 v[52:53], v[48:49], v[44:45], v[50:51] op_sel_hi:[1,0,1]
	v_pk_fma_f32 v[44:45], v[48:49], v[44:45], v[50:51] neg_lo:[0,0,1] neg_hi:[0,0,1]
	v_mov_b32_e32 v45, v53
	s_cbranch_execz .LBB19_234
	s_branch .LBB19_235
.LBB19_233:
                                        ; implicit-def: $vgpr44_vgpr45
.LBB19_234:
	ds_load_b64 v[44:45], v1
.LBB19_235:
	s_mov_b32 s2, exec_lo
	v_cmpx_ne_u32_e32 4, v0
	s_cbranch_execz .LBB19_239
; %bb.236:
	v_add_nc_u32_e32 v47, 0xa8, v42
	v_add3_u32 v48, 0, v42, 8
	v_mov_b32_e32 v49, v0
	s_mov_b32 s3, 0
.LBB19_237:                             ; =>This Inner Loop Header: Depth=1
	scratch_load_b64 v[50:51], v48, off
	ds_load_b64 v[52:53], v47
	s_wait_xcnt 0x0
	v_dual_add_nc_u32 v47, 8, v47 :: v_dual_add_nc_u32 v48, 8, v48
	s_wait_loadcnt_dscnt 0x0
	v_pk_mul_f32 v[54:55], v[52:53], v[50:51] op_sel:[1,1] op_sel_hi:[0,1]
	s_delay_alu instid0(VALU_DEP_1) | instskip(SKIP_2) | instid1(VALU_DEP_3)
	v_pk_fma_f32 v[56:57], v[52:53], v[50:51], v[54:55] op_sel_hi:[1,0,1]
	v_add_nc_u32_e32 v49, 1, v49
	v_pk_fma_f32 v[50:51], v[52:53], v[50:51], v[54:55] neg_lo:[0,0,1] neg_hi:[0,0,1]
	v_mov_b32_e32 v51, v57
	s_delay_alu instid0(VALU_DEP_3) | instskip(NEXT) | instid1(VALU_DEP_2)
	v_cmp_lt_u32_e32 vcc_lo, 3, v49
	v_pk_add_f32 v[44:45], v[44:45], v[50:51]
	s_or_b32 s3, vcc_lo, s3
	s_delay_alu instid0(SALU_CYCLE_1)
	s_and_not1_b32 exec_lo, exec_lo, s3
	s_cbranch_execnz .LBB19_237
; %bb.238:
	s_or_b32 exec_lo, exec_lo, s3
.LBB19_239:
	s_delay_alu instid0(SALU_CYCLE_1) | instskip(SKIP_4) | instid1(VALU_DEP_1)
	s_or_b32 exec_lo, exec_lo, s2
	v_mov_b32_e32 v47, 0
	ds_load_b64 v[48:49], v47 offset:40
	s_wait_dscnt 0x0
	v_pk_mul_f32 v[50:51], v[44:45], v[48:49] op_sel:[1,1] op_sel_hi:[0,1]
	v_pk_fma_f32 v[52:53], v[44:45], v[48:49], v[50:51] op_sel_hi:[1,0,1]
	v_pk_fma_f32 v[44:45], v[44:45], v[48:49], v[50:51] neg_lo:[0,0,1] neg_hi:[0,0,1]
	s_delay_alu instid0(VALU_DEP_2)
	v_mov_b32_e32 v45, v53
	scratch_store_b64 off, v[44:45], off offset:40
.LBB19_240:
	s_wait_xcnt 0x0
	s_or_b32 exec_lo, exec_lo, s0
	scratch_load_b64 v[44:45], off, off offset:48
	s_mov_b32 s0, exec_lo
	s_wait_loadcnt 0x0
	ds_store_b64 v1, v[44:45]
	s_wait_storecnt_dscnt 0x0
	s_barrier_signal -1
	s_barrier_wait -1
	s_wait_xcnt 0x0
	v_cmpx_gt_u32_e32 6, v0
	s_cbranch_execz .LBB19_250
; %bb.241:
	v_cmp_ne_u32_e32 vcc_lo, 1, v46
	s_cbranch_vccnz .LBB19_243
; %bb.242:
	scratch_load_b64 v[44:45], v43, off
	ds_load_b64 v[48:49], v1
	s_wait_loadcnt_dscnt 0x0
	v_pk_mul_f32 v[50:51], v[48:49], v[44:45] op_sel:[1,1] op_sel_hi:[0,1]
	s_delay_alu instid0(VALU_DEP_1) | instskip(SKIP_1) | instid1(VALU_DEP_2)
	v_pk_fma_f32 v[52:53], v[48:49], v[44:45], v[50:51] op_sel_hi:[1,0,1]
	v_pk_fma_f32 v[44:45], v[48:49], v[44:45], v[50:51] neg_lo:[0,0,1] neg_hi:[0,0,1]
	v_mov_b32_e32 v45, v53
	s_cbranch_execz .LBB19_244
	s_branch .LBB19_245
.LBB19_243:
                                        ; implicit-def: $vgpr44_vgpr45
.LBB19_244:
	ds_load_b64 v[44:45], v1
.LBB19_245:
	s_mov_b32 s2, exec_lo
	v_cmpx_ne_u32_e32 5, v0
	s_cbranch_execz .LBB19_249
; %bb.246:
	v_add_nc_u32_e32 v47, 0xa8, v42
	v_add3_u32 v48, 0, v42, 8
	v_mov_b32_e32 v49, v0
	s_mov_b32 s3, 0
.LBB19_247:                             ; =>This Inner Loop Header: Depth=1
	scratch_load_b64 v[50:51], v48, off
	ds_load_b64 v[52:53], v47
	s_wait_xcnt 0x0
	v_dual_add_nc_u32 v47, 8, v47 :: v_dual_add_nc_u32 v48, 8, v48
	s_wait_loadcnt_dscnt 0x0
	v_pk_mul_f32 v[54:55], v[52:53], v[50:51] op_sel:[1,1] op_sel_hi:[0,1]
	s_delay_alu instid0(VALU_DEP_1) | instskip(SKIP_2) | instid1(VALU_DEP_3)
	v_pk_fma_f32 v[56:57], v[52:53], v[50:51], v[54:55] op_sel_hi:[1,0,1]
	v_add_nc_u32_e32 v49, 1, v49
	v_pk_fma_f32 v[50:51], v[52:53], v[50:51], v[54:55] neg_lo:[0,0,1] neg_hi:[0,0,1]
	v_mov_b32_e32 v51, v57
	s_delay_alu instid0(VALU_DEP_3) | instskip(NEXT) | instid1(VALU_DEP_2)
	v_cmp_lt_u32_e32 vcc_lo, 4, v49
	v_pk_add_f32 v[44:45], v[44:45], v[50:51]
	s_or_b32 s3, vcc_lo, s3
	s_delay_alu instid0(SALU_CYCLE_1)
	s_and_not1_b32 exec_lo, exec_lo, s3
	s_cbranch_execnz .LBB19_247
; %bb.248:
	s_or_b32 exec_lo, exec_lo, s3
.LBB19_249:
	s_delay_alu instid0(SALU_CYCLE_1) | instskip(SKIP_4) | instid1(VALU_DEP_1)
	s_or_b32 exec_lo, exec_lo, s2
	v_mov_b32_e32 v47, 0
	ds_load_b64 v[48:49], v47 offset:48
	s_wait_dscnt 0x0
	v_pk_mul_f32 v[50:51], v[44:45], v[48:49] op_sel:[1,1] op_sel_hi:[0,1]
	v_pk_fma_f32 v[52:53], v[44:45], v[48:49], v[50:51] op_sel_hi:[1,0,1]
	v_pk_fma_f32 v[44:45], v[44:45], v[48:49], v[50:51] neg_lo:[0,0,1] neg_hi:[0,0,1]
	s_delay_alu instid0(VALU_DEP_2)
	v_mov_b32_e32 v45, v53
	scratch_store_b64 off, v[44:45], off offset:48
.LBB19_250:
	s_wait_xcnt 0x0
	s_or_b32 exec_lo, exec_lo, s0
	scratch_load_b64 v[44:45], off, off offset:56
	s_mov_b32 s0, exec_lo
	s_wait_loadcnt 0x0
	ds_store_b64 v1, v[44:45]
	s_wait_storecnt_dscnt 0x0
	s_barrier_signal -1
	s_barrier_wait -1
	s_wait_xcnt 0x0
	v_cmpx_gt_u32_e32 7, v0
	s_cbranch_execz .LBB19_260
; %bb.251:
	v_cmp_ne_u32_e32 vcc_lo, 1, v46
	s_cbranch_vccnz .LBB19_253
; %bb.252:
	scratch_load_b64 v[44:45], v43, off
	ds_load_b64 v[48:49], v1
	s_wait_loadcnt_dscnt 0x0
	v_pk_mul_f32 v[50:51], v[48:49], v[44:45] op_sel:[1,1] op_sel_hi:[0,1]
	s_delay_alu instid0(VALU_DEP_1) | instskip(SKIP_1) | instid1(VALU_DEP_2)
	v_pk_fma_f32 v[52:53], v[48:49], v[44:45], v[50:51] op_sel_hi:[1,0,1]
	v_pk_fma_f32 v[44:45], v[48:49], v[44:45], v[50:51] neg_lo:[0,0,1] neg_hi:[0,0,1]
	v_mov_b32_e32 v45, v53
	s_cbranch_execz .LBB19_254
	s_branch .LBB19_255
.LBB19_253:
                                        ; implicit-def: $vgpr44_vgpr45
.LBB19_254:
	ds_load_b64 v[44:45], v1
.LBB19_255:
	s_mov_b32 s2, exec_lo
	v_cmpx_ne_u32_e32 6, v0
	s_cbranch_execz .LBB19_259
; %bb.256:
	v_add_nc_u32_e32 v47, 0xa8, v42
	v_add3_u32 v48, 0, v42, 8
	v_mov_b32_e32 v49, v0
	s_mov_b32 s3, 0
.LBB19_257:                             ; =>This Inner Loop Header: Depth=1
	scratch_load_b64 v[50:51], v48, off
	ds_load_b64 v[52:53], v47
	s_wait_xcnt 0x0
	v_dual_add_nc_u32 v47, 8, v47 :: v_dual_add_nc_u32 v48, 8, v48
	s_wait_loadcnt_dscnt 0x0
	v_pk_mul_f32 v[54:55], v[52:53], v[50:51] op_sel:[1,1] op_sel_hi:[0,1]
	s_delay_alu instid0(VALU_DEP_1) | instskip(SKIP_2) | instid1(VALU_DEP_3)
	v_pk_fma_f32 v[56:57], v[52:53], v[50:51], v[54:55] op_sel_hi:[1,0,1]
	v_add_nc_u32_e32 v49, 1, v49
	v_pk_fma_f32 v[50:51], v[52:53], v[50:51], v[54:55] neg_lo:[0,0,1] neg_hi:[0,0,1]
	v_mov_b32_e32 v51, v57
	s_delay_alu instid0(VALU_DEP_3) | instskip(NEXT) | instid1(VALU_DEP_2)
	v_cmp_lt_u32_e32 vcc_lo, 5, v49
	v_pk_add_f32 v[44:45], v[44:45], v[50:51]
	s_or_b32 s3, vcc_lo, s3
	s_delay_alu instid0(SALU_CYCLE_1)
	s_and_not1_b32 exec_lo, exec_lo, s3
	s_cbranch_execnz .LBB19_257
; %bb.258:
	s_or_b32 exec_lo, exec_lo, s3
.LBB19_259:
	s_delay_alu instid0(SALU_CYCLE_1) | instskip(SKIP_4) | instid1(VALU_DEP_1)
	s_or_b32 exec_lo, exec_lo, s2
	v_mov_b32_e32 v47, 0
	ds_load_b64 v[48:49], v47 offset:56
	s_wait_dscnt 0x0
	v_pk_mul_f32 v[50:51], v[44:45], v[48:49] op_sel:[1,1] op_sel_hi:[0,1]
	v_pk_fma_f32 v[52:53], v[44:45], v[48:49], v[50:51] op_sel_hi:[1,0,1]
	v_pk_fma_f32 v[44:45], v[44:45], v[48:49], v[50:51] neg_lo:[0,0,1] neg_hi:[0,0,1]
	s_delay_alu instid0(VALU_DEP_2)
	v_mov_b32_e32 v45, v53
	scratch_store_b64 off, v[44:45], off offset:56
.LBB19_260:
	s_wait_xcnt 0x0
	s_or_b32 exec_lo, exec_lo, s0
	scratch_load_b64 v[44:45], off, off offset:64
	s_mov_b32 s0, exec_lo
	s_wait_loadcnt 0x0
	ds_store_b64 v1, v[44:45]
	s_wait_storecnt_dscnt 0x0
	s_barrier_signal -1
	s_barrier_wait -1
	s_wait_xcnt 0x0
	v_cmpx_gt_u32_e32 8, v0
	s_cbranch_execz .LBB19_270
; %bb.261:
	v_cmp_ne_u32_e32 vcc_lo, 1, v46
	s_cbranch_vccnz .LBB19_263
; %bb.262:
	scratch_load_b64 v[44:45], v43, off
	ds_load_b64 v[48:49], v1
	s_wait_loadcnt_dscnt 0x0
	v_pk_mul_f32 v[50:51], v[48:49], v[44:45] op_sel:[1,1] op_sel_hi:[0,1]
	s_delay_alu instid0(VALU_DEP_1) | instskip(SKIP_1) | instid1(VALU_DEP_2)
	v_pk_fma_f32 v[52:53], v[48:49], v[44:45], v[50:51] op_sel_hi:[1,0,1]
	v_pk_fma_f32 v[44:45], v[48:49], v[44:45], v[50:51] neg_lo:[0,0,1] neg_hi:[0,0,1]
	v_mov_b32_e32 v45, v53
	s_cbranch_execz .LBB19_264
	s_branch .LBB19_265
.LBB19_263:
                                        ; implicit-def: $vgpr44_vgpr45
.LBB19_264:
	ds_load_b64 v[44:45], v1
.LBB19_265:
	s_mov_b32 s2, exec_lo
	v_cmpx_ne_u32_e32 7, v0
	s_cbranch_execz .LBB19_269
; %bb.266:
	v_add_nc_u32_e32 v47, 0xa8, v42
	v_add3_u32 v48, 0, v42, 8
	v_mov_b32_e32 v49, v0
	s_mov_b32 s3, 0
.LBB19_267:                             ; =>This Inner Loop Header: Depth=1
	scratch_load_b64 v[50:51], v48, off
	ds_load_b64 v[52:53], v47
	s_wait_xcnt 0x0
	v_dual_add_nc_u32 v47, 8, v47 :: v_dual_add_nc_u32 v48, 8, v48
	s_wait_loadcnt_dscnt 0x0
	v_pk_mul_f32 v[54:55], v[52:53], v[50:51] op_sel:[1,1] op_sel_hi:[0,1]
	s_delay_alu instid0(VALU_DEP_1) | instskip(SKIP_2) | instid1(VALU_DEP_3)
	v_pk_fma_f32 v[56:57], v[52:53], v[50:51], v[54:55] op_sel_hi:[1,0,1]
	v_add_nc_u32_e32 v49, 1, v49
	v_pk_fma_f32 v[50:51], v[52:53], v[50:51], v[54:55] neg_lo:[0,0,1] neg_hi:[0,0,1]
	v_mov_b32_e32 v51, v57
	s_delay_alu instid0(VALU_DEP_3) | instskip(NEXT) | instid1(VALU_DEP_2)
	v_cmp_lt_u32_e32 vcc_lo, 6, v49
	v_pk_add_f32 v[44:45], v[44:45], v[50:51]
	s_or_b32 s3, vcc_lo, s3
	s_delay_alu instid0(SALU_CYCLE_1)
	s_and_not1_b32 exec_lo, exec_lo, s3
	s_cbranch_execnz .LBB19_267
; %bb.268:
	s_or_b32 exec_lo, exec_lo, s3
.LBB19_269:
	s_delay_alu instid0(SALU_CYCLE_1) | instskip(SKIP_4) | instid1(VALU_DEP_1)
	s_or_b32 exec_lo, exec_lo, s2
	v_mov_b32_e32 v47, 0
	ds_load_b64 v[48:49], v47 offset:64
	s_wait_dscnt 0x0
	v_pk_mul_f32 v[50:51], v[44:45], v[48:49] op_sel:[1,1] op_sel_hi:[0,1]
	v_pk_fma_f32 v[52:53], v[44:45], v[48:49], v[50:51] op_sel_hi:[1,0,1]
	v_pk_fma_f32 v[44:45], v[44:45], v[48:49], v[50:51] neg_lo:[0,0,1] neg_hi:[0,0,1]
	s_delay_alu instid0(VALU_DEP_2)
	v_mov_b32_e32 v45, v53
	scratch_store_b64 off, v[44:45], off offset:64
.LBB19_270:
	s_wait_xcnt 0x0
	s_or_b32 exec_lo, exec_lo, s0
	scratch_load_b64 v[44:45], off, off offset:72
	s_mov_b32 s0, exec_lo
	s_wait_loadcnt 0x0
	ds_store_b64 v1, v[44:45]
	s_wait_storecnt_dscnt 0x0
	s_barrier_signal -1
	s_barrier_wait -1
	s_wait_xcnt 0x0
	v_cmpx_gt_u32_e32 9, v0
	s_cbranch_execz .LBB19_280
; %bb.271:
	v_cmp_ne_u32_e32 vcc_lo, 1, v46
	s_cbranch_vccnz .LBB19_273
; %bb.272:
	scratch_load_b64 v[44:45], v43, off
	ds_load_b64 v[48:49], v1
	s_wait_loadcnt_dscnt 0x0
	v_pk_mul_f32 v[50:51], v[48:49], v[44:45] op_sel:[1,1] op_sel_hi:[0,1]
	s_delay_alu instid0(VALU_DEP_1) | instskip(SKIP_1) | instid1(VALU_DEP_2)
	v_pk_fma_f32 v[52:53], v[48:49], v[44:45], v[50:51] op_sel_hi:[1,0,1]
	v_pk_fma_f32 v[44:45], v[48:49], v[44:45], v[50:51] neg_lo:[0,0,1] neg_hi:[0,0,1]
	v_mov_b32_e32 v45, v53
	s_cbranch_execz .LBB19_274
	s_branch .LBB19_275
.LBB19_273:
                                        ; implicit-def: $vgpr44_vgpr45
.LBB19_274:
	ds_load_b64 v[44:45], v1
.LBB19_275:
	s_mov_b32 s2, exec_lo
	v_cmpx_ne_u32_e32 8, v0
	s_cbranch_execz .LBB19_279
; %bb.276:
	v_add_nc_u32_e32 v47, 0xa8, v42
	v_add3_u32 v48, 0, v42, 8
	v_mov_b32_e32 v49, v0
	s_mov_b32 s3, 0
.LBB19_277:                             ; =>This Inner Loop Header: Depth=1
	scratch_load_b64 v[50:51], v48, off
	ds_load_b64 v[52:53], v47
	s_wait_xcnt 0x0
	v_dual_add_nc_u32 v47, 8, v47 :: v_dual_add_nc_u32 v48, 8, v48
	s_wait_loadcnt_dscnt 0x0
	v_pk_mul_f32 v[54:55], v[52:53], v[50:51] op_sel:[1,1] op_sel_hi:[0,1]
	s_delay_alu instid0(VALU_DEP_1) | instskip(SKIP_2) | instid1(VALU_DEP_3)
	v_pk_fma_f32 v[56:57], v[52:53], v[50:51], v[54:55] op_sel_hi:[1,0,1]
	v_add_nc_u32_e32 v49, 1, v49
	v_pk_fma_f32 v[50:51], v[52:53], v[50:51], v[54:55] neg_lo:[0,0,1] neg_hi:[0,0,1]
	v_mov_b32_e32 v51, v57
	s_delay_alu instid0(VALU_DEP_3) | instskip(NEXT) | instid1(VALU_DEP_2)
	v_cmp_lt_u32_e32 vcc_lo, 7, v49
	v_pk_add_f32 v[44:45], v[44:45], v[50:51]
	s_or_b32 s3, vcc_lo, s3
	s_delay_alu instid0(SALU_CYCLE_1)
	s_and_not1_b32 exec_lo, exec_lo, s3
	s_cbranch_execnz .LBB19_277
; %bb.278:
	s_or_b32 exec_lo, exec_lo, s3
.LBB19_279:
	s_delay_alu instid0(SALU_CYCLE_1) | instskip(SKIP_4) | instid1(VALU_DEP_1)
	s_or_b32 exec_lo, exec_lo, s2
	v_mov_b32_e32 v47, 0
	ds_load_b64 v[48:49], v47 offset:72
	s_wait_dscnt 0x0
	v_pk_mul_f32 v[50:51], v[44:45], v[48:49] op_sel:[1,1] op_sel_hi:[0,1]
	v_pk_fma_f32 v[52:53], v[44:45], v[48:49], v[50:51] op_sel_hi:[1,0,1]
	v_pk_fma_f32 v[44:45], v[44:45], v[48:49], v[50:51] neg_lo:[0,0,1] neg_hi:[0,0,1]
	s_delay_alu instid0(VALU_DEP_2)
	v_mov_b32_e32 v45, v53
	scratch_store_b64 off, v[44:45], off offset:72
.LBB19_280:
	s_wait_xcnt 0x0
	s_or_b32 exec_lo, exec_lo, s0
	scratch_load_b64 v[44:45], off, off offset:80
	s_mov_b32 s0, exec_lo
	s_wait_loadcnt 0x0
	ds_store_b64 v1, v[44:45]
	s_wait_storecnt_dscnt 0x0
	s_barrier_signal -1
	s_barrier_wait -1
	s_wait_xcnt 0x0
	v_cmpx_gt_u32_e32 10, v0
	s_cbranch_execz .LBB19_290
; %bb.281:
	v_cmp_ne_u32_e32 vcc_lo, 1, v46
	s_cbranch_vccnz .LBB19_283
; %bb.282:
	scratch_load_b64 v[44:45], v43, off
	ds_load_b64 v[48:49], v1
	s_wait_loadcnt_dscnt 0x0
	v_pk_mul_f32 v[50:51], v[48:49], v[44:45] op_sel:[1,1] op_sel_hi:[0,1]
	s_delay_alu instid0(VALU_DEP_1) | instskip(SKIP_1) | instid1(VALU_DEP_2)
	v_pk_fma_f32 v[52:53], v[48:49], v[44:45], v[50:51] op_sel_hi:[1,0,1]
	v_pk_fma_f32 v[44:45], v[48:49], v[44:45], v[50:51] neg_lo:[0,0,1] neg_hi:[0,0,1]
	v_mov_b32_e32 v45, v53
	s_cbranch_execz .LBB19_284
	s_branch .LBB19_285
.LBB19_283:
                                        ; implicit-def: $vgpr44_vgpr45
.LBB19_284:
	ds_load_b64 v[44:45], v1
.LBB19_285:
	s_mov_b32 s2, exec_lo
	v_cmpx_ne_u32_e32 9, v0
	s_cbranch_execz .LBB19_289
; %bb.286:
	v_add_nc_u32_e32 v47, 0xa8, v42
	v_add3_u32 v48, 0, v42, 8
	v_mov_b32_e32 v49, v0
	s_mov_b32 s3, 0
.LBB19_287:                             ; =>This Inner Loop Header: Depth=1
	scratch_load_b64 v[50:51], v48, off
	ds_load_b64 v[52:53], v47
	s_wait_xcnt 0x0
	v_dual_add_nc_u32 v47, 8, v47 :: v_dual_add_nc_u32 v48, 8, v48
	s_wait_loadcnt_dscnt 0x0
	v_pk_mul_f32 v[54:55], v[52:53], v[50:51] op_sel:[1,1] op_sel_hi:[0,1]
	s_delay_alu instid0(VALU_DEP_1) | instskip(SKIP_2) | instid1(VALU_DEP_3)
	v_pk_fma_f32 v[56:57], v[52:53], v[50:51], v[54:55] op_sel_hi:[1,0,1]
	v_add_nc_u32_e32 v49, 1, v49
	v_pk_fma_f32 v[50:51], v[52:53], v[50:51], v[54:55] neg_lo:[0,0,1] neg_hi:[0,0,1]
	v_mov_b32_e32 v51, v57
	s_delay_alu instid0(VALU_DEP_3) | instskip(NEXT) | instid1(VALU_DEP_2)
	v_cmp_lt_u32_e32 vcc_lo, 8, v49
	v_pk_add_f32 v[44:45], v[44:45], v[50:51]
	s_or_b32 s3, vcc_lo, s3
	s_delay_alu instid0(SALU_CYCLE_1)
	s_and_not1_b32 exec_lo, exec_lo, s3
	s_cbranch_execnz .LBB19_287
; %bb.288:
	s_or_b32 exec_lo, exec_lo, s3
.LBB19_289:
	s_delay_alu instid0(SALU_CYCLE_1) | instskip(SKIP_4) | instid1(VALU_DEP_1)
	s_or_b32 exec_lo, exec_lo, s2
	v_mov_b32_e32 v47, 0
	ds_load_b64 v[48:49], v47 offset:80
	s_wait_dscnt 0x0
	v_pk_mul_f32 v[50:51], v[44:45], v[48:49] op_sel:[1,1] op_sel_hi:[0,1]
	v_pk_fma_f32 v[52:53], v[44:45], v[48:49], v[50:51] op_sel_hi:[1,0,1]
	v_pk_fma_f32 v[44:45], v[44:45], v[48:49], v[50:51] neg_lo:[0,0,1] neg_hi:[0,0,1]
	s_delay_alu instid0(VALU_DEP_2)
	v_mov_b32_e32 v45, v53
	scratch_store_b64 off, v[44:45], off offset:80
.LBB19_290:
	s_wait_xcnt 0x0
	s_or_b32 exec_lo, exec_lo, s0
	scratch_load_b64 v[44:45], off, off offset:88
	s_mov_b32 s0, exec_lo
	s_wait_loadcnt 0x0
	ds_store_b64 v1, v[44:45]
	s_wait_storecnt_dscnt 0x0
	s_barrier_signal -1
	s_barrier_wait -1
	s_wait_xcnt 0x0
	v_cmpx_gt_u32_e32 11, v0
	s_cbranch_execz .LBB19_300
; %bb.291:
	v_cmp_ne_u32_e32 vcc_lo, 1, v46
	s_cbranch_vccnz .LBB19_293
; %bb.292:
	scratch_load_b64 v[44:45], v43, off
	ds_load_b64 v[48:49], v1
	s_wait_loadcnt_dscnt 0x0
	v_pk_mul_f32 v[50:51], v[48:49], v[44:45] op_sel:[1,1] op_sel_hi:[0,1]
	s_delay_alu instid0(VALU_DEP_1) | instskip(SKIP_1) | instid1(VALU_DEP_2)
	v_pk_fma_f32 v[52:53], v[48:49], v[44:45], v[50:51] op_sel_hi:[1,0,1]
	v_pk_fma_f32 v[44:45], v[48:49], v[44:45], v[50:51] neg_lo:[0,0,1] neg_hi:[0,0,1]
	v_mov_b32_e32 v45, v53
	s_cbranch_execz .LBB19_294
	s_branch .LBB19_295
.LBB19_293:
                                        ; implicit-def: $vgpr44_vgpr45
.LBB19_294:
	ds_load_b64 v[44:45], v1
.LBB19_295:
	s_mov_b32 s2, exec_lo
	v_cmpx_ne_u32_e32 10, v0
	s_cbranch_execz .LBB19_299
; %bb.296:
	v_add_nc_u32_e32 v47, 0xa8, v42
	v_add3_u32 v48, 0, v42, 8
	v_mov_b32_e32 v49, v0
	s_mov_b32 s3, 0
.LBB19_297:                             ; =>This Inner Loop Header: Depth=1
	scratch_load_b64 v[50:51], v48, off
	ds_load_b64 v[52:53], v47
	s_wait_xcnt 0x0
	v_dual_add_nc_u32 v47, 8, v47 :: v_dual_add_nc_u32 v48, 8, v48
	s_wait_loadcnt_dscnt 0x0
	v_pk_mul_f32 v[54:55], v[52:53], v[50:51] op_sel:[1,1] op_sel_hi:[0,1]
	s_delay_alu instid0(VALU_DEP_1) | instskip(SKIP_2) | instid1(VALU_DEP_3)
	v_pk_fma_f32 v[56:57], v[52:53], v[50:51], v[54:55] op_sel_hi:[1,0,1]
	v_add_nc_u32_e32 v49, 1, v49
	v_pk_fma_f32 v[50:51], v[52:53], v[50:51], v[54:55] neg_lo:[0,0,1] neg_hi:[0,0,1]
	v_mov_b32_e32 v51, v57
	s_delay_alu instid0(VALU_DEP_3) | instskip(NEXT) | instid1(VALU_DEP_2)
	v_cmp_lt_u32_e32 vcc_lo, 9, v49
	v_pk_add_f32 v[44:45], v[44:45], v[50:51]
	s_or_b32 s3, vcc_lo, s3
	s_delay_alu instid0(SALU_CYCLE_1)
	s_and_not1_b32 exec_lo, exec_lo, s3
	s_cbranch_execnz .LBB19_297
; %bb.298:
	s_or_b32 exec_lo, exec_lo, s3
.LBB19_299:
	s_delay_alu instid0(SALU_CYCLE_1) | instskip(SKIP_4) | instid1(VALU_DEP_1)
	s_or_b32 exec_lo, exec_lo, s2
	v_mov_b32_e32 v47, 0
	ds_load_b64 v[48:49], v47 offset:88
	s_wait_dscnt 0x0
	v_pk_mul_f32 v[50:51], v[44:45], v[48:49] op_sel:[1,1] op_sel_hi:[0,1]
	v_pk_fma_f32 v[52:53], v[44:45], v[48:49], v[50:51] op_sel_hi:[1,0,1]
	v_pk_fma_f32 v[44:45], v[44:45], v[48:49], v[50:51] neg_lo:[0,0,1] neg_hi:[0,0,1]
	s_delay_alu instid0(VALU_DEP_2)
	v_mov_b32_e32 v45, v53
	scratch_store_b64 off, v[44:45], off offset:88
.LBB19_300:
	s_wait_xcnt 0x0
	s_or_b32 exec_lo, exec_lo, s0
	scratch_load_b64 v[44:45], off, off offset:96
	s_mov_b32 s0, exec_lo
	s_wait_loadcnt 0x0
	ds_store_b64 v1, v[44:45]
	s_wait_storecnt_dscnt 0x0
	s_barrier_signal -1
	s_barrier_wait -1
	s_wait_xcnt 0x0
	v_cmpx_gt_u32_e32 12, v0
	s_cbranch_execz .LBB19_310
; %bb.301:
	v_cmp_ne_u32_e32 vcc_lo, 1, v46
	s_cbranch_vccnz .LBB19_303
; %bb.302:
	scratch_load_b64 v[44:45], v43, off
	ds_load_b64 v[48:49], v1
	s_wait_loadcnt_dscnt 0x0
	v_pk_mul_f32 v[50:51], v[48:49], v[44:45] op_sel:[1,1] op_sel_hi:[0,1]
	s_delay_alu instid0(VALU_DEP_1) | instskip(SKIP_1) | instid1(VALU_DEP_2)
	v_pk_fma_f32 v[52:53], v[48:49], v[44:45], v[50:51] op_sel_hi:[1,0,1]
	v_pk_fma_f32 v[44:45], v[48:49], v[44:45], v[50:51] neg_lo:[0,0,1] neg_hi:[0,0,1]
	v_mov_b32_e32 v45, v53
	s_cbranch_execz .LBB19_304
	s_branch .LBB19_305
.LBB19_303:
                                        ; implicit-def: $vgpr44_vgpr45
.LBB19_304:
	ds_load_b64 v[44:45], v1
.LBB19_305:
	s_mov_b32 s2, exec_lo
	v_cmpx_ne_u32_e32 11, v0
	s_cbranch_execz .LBB19_309
; %bb.306:
	v_add_nc_u32_e32 v47, 0xa8, v42
	v_add3_u32 v48, 0, v42, 8
	v_mov_b32_e32 v49, v0
	s_mov_b32 s3, 0
.LBB19_307:                             ; =>This Inner Loop Header: Depth=1
	scratch_load_b64 v[50:51], v48, off
	ds_load_b64 v[52:53], v47
	s_wait_xcnt 0x0
	v_dual_add_nc_u32 v47, 8, v47 :: v_dual_add_nc_u32 v48, 8, v48
	s_wait_loadcnt_dscnt 0x0
	v_pk_mul_f32 v[54:55], v[52:53], v[50:51] op_sel:[1,1] op_sel_hi:[0,1]
	s_delay_alu instid0(VALU_DEP_1) | instskip(SKIP_2) | instid1(VALU_DEP_3)
	v_pk_fma_f32 v[56:57], v[52:53], v[50:51], v[54:55] op_sel_hi:[1,0,1]
	v_add_nc_u32_e32 v49, 1, v49
	v_pk_fma_f32 v[50:51], v[52:53], v[50:51], v[54:55] neg_lo:[0,0,1] neg_hi:[0,0,1]
	v_mov_b32_e32 v51, v57
	s_delay_alu instid0(VALU_DEP_3) | instskip(NEXT) | instid1(VALU_DEP_2)
	v_cmp_lt_u32_e32 vcc_lo, 10, v49
	v_pk_add_f32 v[44:45], v[44:45], v[50:51]
	s_or_b32 s3, vcc_lo, s3
	s_delay_alu instid0(SALU_CYCLE_1)
	s_and_not1_b32 exec_lo, exec_lo, s3
	s_cbranch_execnz .LBB19_307
; %bb.308:
	s_or_b32 exec_lo, exec_lo, s3
.LBB19_309:
	s_delay_alu instid0(SALU_CYCLE_1) | instskip(SKIP_4) | instid1(VALU_DEP_1)
	s_or_b32 exec_lo, exec_lo, s2
	v_mov_b32_e32 v47, 0
	ds_load_b64 v[48:49], v47 offset:96
	s_wait_dscnt 0x0
	v_pk_mul_f32 v[50:51], v[44:45], v[48:49] op_sel:[1,1] op_sel_hi:[0,1]
	v_pk_fma_f32 v[52:53], v[44:45], v[48:49], v[50:51] op_sel_hi:[1,0,1]
	v_pk_fma_f32 v[44:45], v[44:45], v[48:49], v[50:51] neg_lo:[0,0,1] neg_hi:[0,0,1]
	s_delay_alu instid0(VALU_DEP_2)
	v_mov_b32_e32 v45, v53
	scratch_store_b64 off, v[44:45], off offset:96
.LBB19_310:
	s_wait_xcnt 0x0
	s_or_b32 exec_lo, exec_lo, s0
	scratch_load_b64 v[44:45], off, off offset:104
	s_mov_b32 s0, exec_lo
	s_wait_loadcnt 0x0
	ds_store_b64 v1, v[44:45]
	s_wait_storecnt_dscnt 0x0
	s_barrier_signal -1
	s_barrier_wait -1
	s_wait_xcnt 0x0
	v_cmpx_gt_u32_e32 13, v0
	s_cbranch_execz .LBB19_320
; %bb.311:
	v_cmp_ne_u32_e32 vcc_lo, 1, v46
	s_cbranch_vccnz .LBB19_313
; %bb.312:
	scratch_load_b64 v[44:45], v43, off
	ds_load_b64 v[48:49], v1
	s_wait_loadcnt_dscnt 0x0
	v_pk_mul_f32 v[50:51], v[48:49], v[44:45] op_sel:[1,1] op_sel_hi:[0,1]
	s_delay_alu instid0(VALU_DEP_1) | instskip(SKIP_1) | instid1(VALU_DEP_2)
	v_pk_fma_f32 v[52:53], v[48:49], v[44:45], v[50:51] op_sel_hi:[1,0,1]
	v_pk_fma_f32 v[44:45], v[48:49], v[44:45], v[50:51] neg_lo:[0,0,1] neg_hi:[0,0,1]
	v_mov_b32_e32 v45, v53
	s_cbranch_execz .LBB19_314
	s_branch .LBB19_315
.LBB19_313:
                                        ; implicit-def: $vgpr44_vgpr45
.LBB19_314:
	ds_load_b64 v[44:45], v1
.LBB19_315:
	s_mov_b32 s2, exec_lo
	v_cmpx_ne_u32_e32 12, v0
	s_cbranch_execz .LBB19_319
; %bb.316:
	v_add_nc_u32_e32 v47, 0xa8, v42
	v_add3_u32 v48, 0, v42, 8
	v_mov_b32_e32 v49, v0
	s_mov_b32 s3, 0
.LBB19_317:                             ; =>This Inner Loop Header: Depth=1
	scratch_load_b64 v[50:51], v48, off
	ds_load_b64 v[52:53], v47
	s_wait_xcnt 0x0
	v_dual_add_nc_u32 v47, 8, v47 :: v_dual_add_nc_u32 v48, 8, v48
	s_wait_loadcnt_dscnt 0x0
	v_pk_mul_f32 v[54:55], v[52:53], v[50:51] op_sel:[1,1] op_sel_hi:[0,1]
	s_delay_alu instid0(VALU_DEP_1) | instskip(SKIP_2) | instid1(VALU_DEP_3)
	v_pk_fma_f32 v[56:57], v[52:53], v[50:51], v[54:55] op_sel_hi:[1,0,1]
	v_add_nc_u32_e32 v49, 1, v49
	v_pk_fma_f32 v[50:51], v[52:53], v[50:51], v[54:55] neg_lo:[0,0,1] neg_hi:[0,0,1]
	v_mov_b32_e32 v51, v57
	s_delay_alu instid0(VALU_DEP_3) | instskip(NEXT) | instid1(VALU_DEP_2)
	v_cmp_lt_u32_e32 vcc_lo, 11, v49
	v_pk_add_f32 v[44:45], v[44:45], v[50:51]
	s_or_b32 s3, vcc_lo, s3
	s_delay_alu instid0(SALU_CYCLE_1)
	s_and_not1_b32 exec_lo, exec_lo, s3
	s_cbranch_execnz .LBB19_317
; %bb.318:
	s_or_b32 exec_lo, exec_lo, s3
.LBB19_319:
	s_delay_alu instid0(SALU_CYCLE_1) | instskip(SKIP_4) | instid1(VALU_DEP_1)
	s_or_b32 exec_lo, exec_lo, s2
	v_mov_b32_e32 v47, 0
	ds_load_b64 v[48:49], v47 offset:104
	s_wait_dscnt 0x0
	v_pk_mul_f32 v[50:51], v[44:45], v[48:49] op_sel:[1,1] op_sel_hi:[0,1]
	v_pk_fma_f32 v[52:53], v[44:45], v[48:49], v[50:51] op_sel_hi:[1,0,1]
	v_pk_fma_f32 v[44:45], v[44:45], v[48:49], v[50:51] neg_lo:[0,0,1] neg_hi:[0,0,1]
	s_delay_alu instid0(VALU_DEP_2)
	v_mov_b32_e32 v45, v53
	scratch_store_b64 off, v[44:45], off offset:104
.LBB19_320:
	s_wait_xcnt 0x0
	s_or_b32 exec_lo, exec_lo, s0
	scratch_load_b64 v[44:45], off, off offset:112
	s_mov_b32 s0, exec_lo
	s_wait_loadcnt 0x0
	ds_store_b64 v1, v[44:45]
	s_wait_storecnt_dscnt 0x0
	s_barrier_signal -1
	s_barrier_wait -1
	s_wait_xcnt 0x0
	v_cmpx_gt_u32_e32 14, v0
	s_cbranch_execz .LBB19_330
; %bb.321:
	v_cmp_ne_u32_e32 vcc_lo, 1, v46
	s_cbranch_vccnz .LBB19_323
; %bb.322:
	scratch_load_b64 v[44:45], v43, off
	ds_load_b64 v[48:49], v1
	s_wait_loadcnt_dscnt 0x0
	v_pk_mul_f32 v[50:51], v[48:49], v[44:45] op_sel:[1,1] op_sel_hi:[0,1]
	s_delay_alu instid0(VALU_DEP_1) | instskip(SKIP_1) | instid1(VALU_DEP_2)
	v_pk_fma_f32 v[52:53], v[48:49], v[44:45], v[50:51] op_sel_hi:[1,0,1]
	v_pk_fma_f32 v[44:45], v[48:49], v[44:45], v[50:51] neg_lo:[0,0,1] neg_hi:[0,0,1]
	v_mov_b32_e32 v45, v53
	s_cbranch_execz .LBB19_324
	s_branch .LBB19_325
.LBB19_323:
                                        ; implicit-def: $vgpr44_vgpr45
.LBB19_324:
	ds_load_b64 v[44:45], v1
.LBB19_325:
	s_mov_b32 s2, exec_lo
	v_cmpx_ne_u32_e32 13, v0
	s_cbranch_execz .LBB19_329
; %bb.326:
	v_add_nc_u32_e32 v47, 0xa8, v42
	v_add3_u32 v48, 0, v42, 8
	v_mov_b32_e32 v49, v0
	s_mov_b32 s3, 0
.LBB19_327:                             ; =>This Inner Loop Header: Depth=1
	scratch_load_b64 v[50:51], v48, off
	ds_load_b64 v[52:53], v47
	s_wait_xcnt 0x0
	v_dual_add_nc_u32 v47, 8, v47 :: v_dual_add_nc_u32 v48, 8, v48
	s_wait_loadcnt_dscnt 0x0
	v_pk_mul_f32 v[54:55], v[52:53], v[50:51] op_sel:[1,1] op_sel_hi:[0,1]
	s_delay_alu instid0(VALU_DEP_1) | instskip(SKIP_2) | instid1(VALU_DEP_3)
	v_pk_fma_f32 v[56:57], v[52:53], v[50:51], v[54:55] op_sel_hi:[1,0,1]
	v_add_nc_u32_e32 v49, 1, v49
	v_pk_fma_f32 v[50:51], v[52:53], v[50:51], v[54:55] neg_lo:[0,0,1] neg_hi:[0,0,1]
	v_mov_b32_e32 v51, v57
	s_delay_alu instid0(VALU_DEP_3) | instskip(NEXT) | instid1(VALU_DEP_2)
	v_cmp_lt_u32_e32 vcc_lo, 12, v49
	v_pk_add_f32 v[44:45], v[44:45], v[50:51]
	s_or_b32 s3, vcc_lo, s3
	s_delay_alu instid0(SALU_CYCLE_1)
	s_and_not1_b32 exec_lo, exec_lo, s3
	s_cbranch_execnz .LBB19_327
; %bb.328:
	s_or_b32 exec_lo, exec_lo, s3
.LBB19_329:
	s_delay_alu instid0(SALU_CYCLE_1) | instskip(SKIP_4) | instid1(VALU_DEP_1)
	s_or_b32 exec_lo, exec_lo, s2
	v_mov_b32_e32 v47, 0
	ds_load_b64 v[48:49], v47 offset:112
	s_wait_dscnt 0x0
	v_pk_mul_f32 v[50:51], v[44:45], v[48:49] op_sel:[1,1] op_sel_hi:[0,1]
	v_pk_fma_f32 v[52:53], v[44:45], v[48:49], v[50:51] op_sel_hi:[1,0,1]
	v_pk_fma_f32 v[44:45], v[44:45], v[48:49], v[50:51] neg_lo:[0,0,1] neg_hi:[0,0,1]
	s_delay_alu instid0(VALU_DEP_2)
	v_mov_b32_e32 v45, v53
	scratch_store_b64 off, v[44:45], off offset:112
.LBB19_330:
	s_wait_xcnt 0x0
	s_or_b32 exec_lo, exec_lo, s0
	scratch_load_b64 v[44:45], off, off offset:120
	s_mov_b32 s0, exec_lo
	s_wait_loadcnt 0x0
	ds_store_b64 v1, v[44:45]
	s_wait_storecnt_dscnt 0x0
	s_barrier_signal -1
	s_barrier_wait -1
	s_wait_xcnt 0x0
	v_cmpx_gt_u32_e32 15, v0
	s_cbranch_execz .LBB19_340
; %bb.331:
	v_cmp_ne_u32_e32 vcc_lo, 1, v46
	s_cbranch_vccnz .LBB19_333
; %bb.332:
	scratch_load_b64 v[44:45], v43, off
	ds_load_b64 v[48:49], v1
	s_wait_loadcnt_dscnt 0x0
	v_pk_mul_f32 v[50:51], v[48:49], v[44:45] op_sel:[1,1] op_sel_hi:[0,1]
	s_delay_alu instid0(VALU_DEP_1) | instskip(SKIP_1) | instid1(VALU_DEP_2)
	v_pk_fma_f32 v[52:53], v[48:49], v[44:45], v[50:51] op_sel_hi:[1,0,1]
	v_pk_fma_f32 v[44:45], v[48:49], v[44:45], v[50:51] neg_lo:[0,0,1] neg_hi:[0,0,1]
	v_mov_b32_e32 v45, v53
	s_cbranch_execz .LBB19_334
	s_branch .LBB19_335
.LBB19_333:
                                        ; implicit-def: $vgpr44_vgpr45
.LBB19_334:
	ds_load_b64 v[44:45], v1
.LBB19_335:
	s_mov_b32 s2, exec_lo
	v_cmpx_ne_u32_e32 14, v0
	s_cbranch_execz .LBB19_339
; %bb.336:
	v_add_nc_u32_e32 v47, 0xa8, v42
	v_add3_u32 v48, 0, v42, 8
	v_mov_b32_e32 v49, v0
	s_mov_b32 s3, 0
.LBB19_337:                             ; =>This Inner Loop Header: Depth=1
	scratch_load_b64 v[50:51], v48, off
	ds_load_b64 v[52:53], v47
	s_wait_xcnt 0x0
	v_dual_add_nc_u32 v47, 8, v47 :: v_dual_add_nc_u32 v48, 8, v48
	s_wait_loadcnt_dscnt 0x0
	v_pk_mul_f32 v[54:55], v[52:53], v[50:51] op_sel:[1,1] op_sel_hi:[0,1]
	s_delay_alu instid0(VALU_DEP_1) | instskip(SKIP_2) | instid1(VALU_DEP_3)
	v_pk_fma_f32 v[56:57], v[52:53], v[50:51], v[54:55] op_sel_hi:[1,0,1]
	v_add_nc_u32_e32 v49, 1, v49
	v_pk_fma_f32 v[50:51], v[52:53], v[50:51], v[54:55] neg_lo:[0,0,1] neg_hi:[0,0,1]
	v_mov_b32_e32 v51, v57
	s_delay_alu instid0(VALU_DEP_3) | instskip(NEXT) | instid1(VALU_DEP_2)
	v_cmp_lt_u32_e32 vcc_lo, 13, v49
	v_pk_add_f32 v[44:45], v[44:45], v[50:51]
	s_or_b32 s3, vcc_lo, s3
	s_delay_alu instid0(SALU_CYCLE_1)
	s_and_not1_b32 exec_lo, exec_lo, s3
	s_cbranch_execnz .LBB19_337
; %bb.338:
	s_or_b32 exec_lo, exec_lo, s3
.LBB19_339:
	s_delay_alu instid0(SALU_CYCLE_1) | instskip(SKIP_4) | instid1(VALU_DEP_1)
	s_or_b32 exec_lo, exec_lo, s2
	v_mov_b32_e32 v47, 0
	ds_load_b64 v[48:49], v47 offset:120
	s_wait_dscnt 0x0
	v_pk_mul_f32 v[50:51], v[44:45], v[48:49] op_sel:[1,1] op_sel_hi:[0,1]
	v_pk_fma_f32 v[52:53], v[44:45], v[48:49], v[50:51] op_sel_hi:[1,0,1]
	v_pk_fma_f32 v[44:45], v[44:45], v[48:49], v[50:51] neg_lo:[0,0,1] neg_hi:[0,0,1]
	s_delay_alu instid0(VALU_DEP_2)
	v_mov_b32_e32 v45, v53
	scratch_store_b64 off, v[44:45], off offset:120
.LBB19_340:
	s_wait_xcnt 0x0
	s_or_b32 exec_lo, exec_lo, s0
	scratch_load_b64 v[44:45], off, off offset:128
	s_mov_b32 s0, exec_lo
	s_wait_loadcnt 0x0
	ds_store_b64 v1, v[44:45]
	s_wait_storecnt_dscnt 0x0
	s_barrier_signal -1
	s_barrier_wait -1
	s_wait_xcnt 0x0
	v_cmpx_gt_u32_e32 16, v0
	s_cbranch_execz .LBB19_350
; %bb.341:
	v_cmp_ne_u32_e32 vcc_lo, 1, v46
	s_cbranch_vccnz .LBB19_343
; %bb.342:
	scratch_load_b64 v[44:45], v43, off
	ds_load_b64 v[48:49], v1
	s_wait_loadcnt_dscnt 0x0
	v_pk_mul_f32 v[50:51], v[48:49], v[44:45] op_sel:[1,1] op_sel_hi:[0,1]
	s_delay_alu instid0(VALU_DEP_1) | instskip(SKIP_1) | instid1(VALU_DEP_2)
	v_pk_fma_f32 v[52:53], v[48:49], v[44:45], v[50:51] op_sel_hi:[1,0,1]
	v_pk_fma_f32 v[44:45], v[48:49], v[44:45], v[50:51] neg_lo:[0,0,1] neg_hi:[0,0,1]
	v_mov_b32_e32 v45, v53
	s_cbranch_execz .LBB19_344
	s_branch .LBB19_345
.LBB19_343:
                                        ; implicit-def: $vgpr44_vgpr45
.LBB19_344:
	ds_load_b64 v[44:45], v1
.LBB19_345:
	s_mov_b32 s2, exec_lo
	v_cmpx_ne_u32_e32 15, v0
	s_cbranch_execz .LBB19_349
; %bb.346:
	v_add_nc_u32_e32 v47, 0xa8, v42
	v_add3_u32 v48, 0, v42, 8
	v_mov_b32_e32 v49, v0
	s_mov_b32 s3, 0
.LBB19_347:                             ; =>This Inner Loop Header: Depth=1
	scratch_load_b64 v[50:51], v48, off
	ds_load_b64 v[52:53], v47
	s_wait_xcnt 0x0
	v_dual_add_nc_u32 v47, 8, v47 :: v_dual_add_nc_u32 v48, 8, v48
	s_wait_loadcnt_dscnt 0x0
	v_pk_mul_f32 v[54:55], v[52:53], v[50:51] op_sel:[1,1] op_sel_hi:[0,1]
	s_delay_alu instid0(VALU_DEP_1) | instskip(SKIP_2) | instid1(VALU_DEP_3)
	v_pk_fma_f32 v[56:57], v[52:53], v[50:51], v[54:55] op_sel_hi:[1,0,1]
	v_add_nc_u32_e32 v49, 1, v49
	v_pk_fma_f32 v[50:51], v[52:53], v[50:51], v[54:55] neg_lo:[0,0,1] neg_hi:[0,0,1]
	v_mov_b32_e32 v51, v57
	s_delay_alu instid0(VALU_DEP_3) | instskip(NEXT) | instid1(VALU_DEP_2)
	v_cmp_lt_u32_e32 vcc_lo, 14, v49
	v_pk_add_f32 v[44:45], v[44:45], v[50:51]
	s_or_b32 s3, vcc_lo, s3
	s_delay_alu instid0(SALU_CYCLE_1)
	s_and_not1_b32 exec_lo, exec_lo, s3
	s_cbranch_execnz .LBB19_347
; %bb.348:
	s_or_b32 exec_lo, exec_lo, s3
.LBB19_349:
	s_delay_alu instid0(SALU_CYCLE_1) | instskip(SKIP_4) | instid1(VALU_DEP_1)
	s_or_b32 exec_lo, exec_lo, s2
	v_mov_b32_e32 v47, 0
	ds_load_b64 v[48:49], v47 offset:128
	s_wait_dscnt 0x0
	v_pk_mul_f32 v[50:51], v[44:45], v[48:49] op_sel:[1,1] op_sel_hi:[0,1]
	v_pk_fma_f32 v[52:53], v[44:45], v[48:49], v[50:51] op_sel_hi:[1,0,1]
	v_pk_fma_f32 v[44:45], v[44:45], v[48:49], v[50:51] neg_lo:[0,0,1] neg_hi:[0,0,1]
	s_delay_alu instid0(VALU_DEP_2)
	v_mov_b32_e32 v45, v53
	scratch_store_b64 off, v[44:45], off offset:128
.LBB19_350:
	s_wait_xcnt 0x0
	s_or_b32 exec_lo, exec_lo, s0
	scratch_load_b64 v[44:45], off, off offset:136
	s_mov_b32 s0, exec_lo
	s_wait_loadcnt 0x0
	ds_store_b64 v1, v[44:45]
	s_wait_storecnt_dscnt 0x0
	s_barrier_signal -1
	s_barrier_wait -1
	s_wait_xcnt 0x0
	v_cmpx_gt_u32_e32 17, v0
	s_cbranch_execz .LBB19_360
; %bb.351:
	v_cmp_ne_u32_e32 vcc_lo, 1, v46
	s_cbranch_vccnz .LBB19_353
; %bb.352:
	scratch_load_b64 v[44:45], v43, off
	ds_load_b64 v[48:49], v1
	s_wait_loadcnt_dscnt 0x0
	v_pk_mul_f32 v[50:51], v[48:49], v[44:45] op_sel:[1,1] op_sel_hi:[0,1]
	s_delay_alu instid0(VALU_DEP_1) | instskip(SKIP_1) | instid1(VALU_DEP_2)
	v_pk_fma_f32 v[52:53], v[48:49], v[44:45], v[50:51] op_sel_hi:[1,0,1]
	v_pk_fma_f32 v[44:45], v[48:49], v[44:45], v[50:51] neg_lo:[0,0,1] neg_hi:[0,0,1]
	v_mov_b32_e32 v45, v53
	s_cbranch_execz .LBB19_354
	s_branch .LBB19_355
.LBB19_353:
                                        ; implicit-def: $vgpr44_vgpr45
.LBB19_354:
	ds_load_b64 v[44:45], v1
.LBB19_355:
	s_mov_b32 s2, exec_lo
	v_cmpx_ne_u32_e32 16, v0
	s_cbranch_execz .LBB19_359
; %bb.356:
	v_add_nc_u32_e32 v47, 0xa8, v42
	v_add3_u32 v48, 0, v42, 8
	v_mov_b32_e32 v49, v0
	s_mov_b32 s3, 0
.LBB19_357:                             ; =>This Inner Loop Header: Depth=1
	scratch_load_b64 v[50:51], v48, off
	ds_load_b64 v[52:53], v47
	s_wait_xcnt 0x0
	v_dual_add_nc_u32 v47, 8, v47 :: v_dual_add_nc_u32 v48, 8, v48
	s_wait_loadcnt_dscnt 0x0
	v_pk_mul_f32 v[54:55], v[52:53], v[50:51] op_sel:[1,1] op_sel_hi:[0,1]
	s_delay_alu instid0(VALU_DEP_1) | instskip(SKIP_2) | instid1(VALU_DEP_3)
	v_pk_fma_f32 v[56:57], v[52:53], v[50:51], v[54:55] op_sel_hi:[1,0,1]
	v_add_nc_u32_e32 v49, 1, v49
	v_pk_fma_f32 v[50:51], v[52:53], v[50:51], v[54:55] neg_lo:[0,0,1] neg_hi:[0,0,1]
	v_mov_b32_e32 v51, v57
	s_delay_alu instid0(VALU_DEP_3) | instskip(NEXT) | instid1(VALU_DEP_2)
	v_cmp_lt_u32_e32 vcc_lo, 15, v49
	v_pk_add_f32 v[44:45], v[44:45], v[50:51]
	s_or_b32 s3, vcc_lo, s3
	s_delay_alu instid0(SALU_CYCLE_1)
	s_and_not1_b32 exec_lo, exec_lo, s3
	s_cbranch_execnz .LBB19_357
; %bb.358:
	s_or_b32 exec_lo, exec_lo, s3
.LBB19_359:
	s_delay_alu instid0(SALU_CYCLE_1) | instskip(SKIP_4) | instid1(VALU_DEP_1)
	s_or_b32 exec_lo, exec_lo, s2
	v_mov_b32_e32 v47, 0
	ds_load_b64 v[48:49], v47 offset:136
	s_wait_dscnt 0x0
	v_pk_mul_f32 v[50:51], v[44:45], v[48:49] op_sel:[1,1] op_sel_hi:[0,1]
	v_pk_fma_f32 v[52:53], v[44:45], v[48:49], v[50:51] op_sel_hi:[1,0,1]
	v_pk_fma_f32 v[44:45], v[44:45], v[48:49], v[50:51] neg_lo:[0,0,1] neg_hi:[0,0,1]
	s_delay_alu instid0(VALU_DEP_2)
	v_mov_b32_e32 v45, v53
	scratch_store_b64 off, v[44:45], off offset:136
.LBB19_360:
	s_wait_xcnt 0x0
	s_or_b32 exec_lo, exec_lo, s0
	scratch_load_b64 v[44:45], off, off offset:144
	v_cmp_gt_u32_e64 s0, 18, v0
	s_wait_loadcnt 0x0
	ds_store_b64 v1, v[44:45]
	s_wait_storecnt_dscnt 0x0
	s_barrier_signal -1
	s_barrier_wait -1
	s_wait_xcnt 0x0
	s_and_saveexec_b32 s2, s0
	s_cbranch_execz .LBB19_370
; %bb.361:
	v_cmp_ne_u32_e32 vcc_lo, 1, v46
	s_cbranch_vccnz .LBB19_363
; %bb.362:
	scratch_load_b64 v[44:45], v43, off
	ds_load_b64 v[48:49], v1
	s_wait_loadcnt_dscnt 0x0
	v_pk_mul_f32 v[50:51], v[48:49], v[44:45] op_sel:[1,1] op_sel_hi:[0,1]
	s_delay_alu instid0(VALU_DEP_1) | instskip(SKIP_1) | instid1(VALU_DEP_2)
	v_pk_fma_f32 v[52:53], v[48:49], v[44:45], v[50:51] op_sel_hi:[1,0,1]
	v_pk_fma_f32 v[44:45], v[48:49], v[44:45], v[50:51] neg_lo:[0,0,1] neg_hi:[0,0,1]
	v_mov_b32_e32 v45, v53
	s_cbranch_execz .LBB19_364
	s_branch .LBB19_365
.LBB19_363:
                                        ; implicit-def: $vgpr44_vgpr45
.LBB19_364:
	ds_load_b64 v[44:45], v1
.LBB19_365:
	s_mov_b32 s3, exec_lo
	v_cmpx_ne_u32_e32 17, v0
	s_cbranch_execz .LBB19_369
; %bb.366:
	v_add_nc_u32_e32 v47, 0xa8, v42
	v_add3_u32 v48, 0, v42, 8
	v_mov_b32_e32 v49, v0
	s_mov_b32 s4, 0
.LBB19_367:                             ; =>This Inner Loop Header: Depth=1
	scratch_load_b64 v[50:51], v48, off
	ds_load_b64 v[52:53], v47
	s_wait_xcnt 0x0
	v_dual_add_nc_u32 v47, 8, v47 :: v_dual_add_nc_u32 v48, 8, v48
	s_wait_loadcnt_dscnt 0x0
	v_pk_mul_f32 v[54:55], v[52:53], v[50:51] op_sel:[1,1] op_sel_hi:[0,1]
	s_delay_alu instid0(VALU_DEP_1) | instskip(SKIP_2) | instid1(VALU_DEP_3)
	v_pk_fma_f32 v[56:57], v[52:53], v[50:51], v[54:55] op_sel_hi:[1,0,1]
	v_add_nc_u32_e32 v49, 1, v49
	v_pk_fma_f32 v[50:51], v[52:53], v[50:51], v[54:55] neg_lo:[0,0,1] neg_hi:[0,0,1]
	v_mov_b32_e32 v51, v57
	s_delay_alu instid0(VALU_DEP_3) | instskip(NEXT) | instid1(VALU_DEP_2)
	v_cmp_lt_u32_e32 vcc_lo, 16, v49
	v_pk_add_f32 v[44:45], v[44:45], v[50:51]
	s_or_b32 s4, vcc_lo, s4
	s_delay_alu instid0(SALU_CYCLE_1)
	s_and_not1_b32 exec_lo, exec_lo, s4
	s_cbranch_execnz .LBB19_367
; %bb.368:
	s_or_b32 exec_lo, exec_lo, s4
.LBB19_369:
	s_delay_alu instid0(SALU_CYCLE_1) | instskip(SKIP_4) | instid1(VALU_DEP_1)
	s_or_b32 exec_lo, exec_lo, s3
	v_mov_b32_e32 v47, 0
	ds_load_b64 v[48:49], v47 offset:144
	s_wait_dscnt 0x0
	v_pk_mul_f32 v[50:51], v[44:45], v[48:49] op_sel:[1,1] op_sel_hi:[0,1]
	v_pk_fma_f32 v[52:53], v[44:45], v[48:49], v[50:51] op_sel_hi:[1,0,1]
	v_pk_fma_f32 v[44:45], v[44:45], v[48:49], v[50:51] neg_lo:[0,0,1] neg_hi:[0,0,1]
	s_delay_alu instid0(VALU_DEP_2)
	v_mov_b32_e32 v45, v53
	scratch_store_b64 off, v[44:45], off offset:144
.LBB19_370:
	s_wait_xcnt 0x0
	s_or_b32 exec_lo, exec_lo, s2
	scratch_load_b64 v[44:45], off, off offset:152
	s_mov_b32 s2, exec_lo
                                        ; implicit-def: $vgpr50
                                        ; implicit-def: $sgpr5
	s_wait_loadcnt 0x0
	ds_store_b64 v1, v[44:45]
	s_wait_storecnt_dscnt 0x0
	s_barrier_signal -1
	s_barrier_wait -1
	s_wait_xcnt 0x0
	v_cmpx_ne_u32_e32 19, v0
	s_cbranch_execz .LBB19_380
; %bb.371:
	v_cmp_ne_u32_e32 vcc_lo, 1, v46
	s_cbranch_vccnz .LBB19_373
; %bb.372:
	scratch_load_b64 v[46:47], v43, off
	ds_load_b64 v[48:49], v1
	s_wait_loadcnt_dscnt 0x0
	v_dual_mul_f32 v43, v49, v47 :: v_dual_mul_f32 v45, v48, v47
	s_delay_alu instid0(VALU_DEP_1)
	v_dual_fma_f32 v44, v48, v46, -v43 :: v_dual_fmac_f32 v45, v49, v46
	s_cbranch_execz .LBB19_374
	s_branch .LBB19_375
.LBB19_373:
                                        ; implicit-def: $vgpr45
.LBB19_374:
	ds_load_b64 v[44:45], v1
.LBB19_375:
	s_and_saveexec_b32 s3, s0
	s_cbranch_execz .LBB19_379
; %bb.376:
	v_add_nc_u32_e32 v1, 0xa8, v42
	v_add3_u32 v42, 0, v42, 8
	s_mov_b32 s0, 0
.LBB19_377:                             ; =>This Inner Loop Header: Depth=1
	scratch_load_b64 v[46:47], v42, off
	ds_load_b64 v[48:49], v1
	s_wait_loadcnt_dscnt 0x0
	v_dual_add_nc_u32 v1, 8, v1 :: v_dual_mul_f32 v43, v49, v47
	v_dual_mul_f32 v47, v48, v47 :: v_dual_add_nc_u32 v0, 1, v0
	s_delay_alu instid0(VALU_DEP_2) | instskip(NEXT) | instid1(VALU_DEP_2)
	v_fma_f32 v43, v48, v46, -v43
	v_fmac_f32_e32 v47, v49, v46
	s_delay_alu instid0(VALU_DEP_3) | instskip(NEXT) | instid1(VALU_DEP_3)
	v_cmp_lt_u32_e32 vcc_lo, 17, v0
	v_dual_add_nc_u32 v42, 8, v42 :: v_dual_add_f32 v44, v44, v43
	s_delay_alu instid0(VALU_DEP_3) | instskip(SKIP_1) | instid1(SALU_CYCLE_1)
	v_add_f32_e32 v45, v45, v47
	s_or_b32 s0, vcc_lo, s0
	s_and_not1_b32 exec_lo, exec_lo, s0
	s_cbranch_execnz .LBB19_377
; %bb.378:
	s_or_b32 exec_lo, exec_lo, s0
.LBB19_379:
	s_delay_alu instid0(SALU_CYCLE_1)
	s_or_b32 exec_lo, exec_lo, s3
	v_mov_b32_e32 v0, 0
	s_movk_i32 s5, 0x9c
	s_or_b32 s1, s1, exec_lo
	ds_load_b64 v[0:1], v0 offset:152
	s_wait_dscnt 0x0
	v_dual_mul_f32 v42, v45, v1 :: v_dual_mul_f32 v50, v44, v1
	s_delay_alu instid0(VALU_DEP_1) | instskip(NEXT) | instid1(VALU_DEP_2)
	v_fma_f32 v1, v44, v0, -v42
	v_fmac_f32_e32 v50, v45, v0
	scratch_store_b32 off, v1, off offset:152
.LBB19_380:
	s_wait_xcnt 0x0
	s_or_b32 exec_lo, exec_lo, s2
.LBB19_381:
	v_lshl_add_u64 v[46:47], v[6:7], 3, s[6:7]
	v_lshl_add_u64 v[48:49], v[8:9], 3, s[6:7]
	;; [unrolled: 1-line block ×18, first 2 shown]
	s_and_saveexec_b32 s0, s1
	s_cbranch_execz .LBB19_383
; %bb.382:
	scratch_store_b32 off, v50, s5
.LBB19_383:
	s_wait_xcnt 0x0
	s_or_b32 exec_lo, exec_lo, s0
	s_clause 0x4
	scratch_load_b128 v[32:35], off, off
	scratch_load_b128 v[36:39], off, off offset:16
	scratch_load_b128 v[50:53], off, off offset:32
	;; [unrolled: 1-line block ×4, first 2 shown]
	s_wait_loadcnt 0x4
	s_clause 0x1
	global_store_b64 v[2:3], v[32:33], off
	global_store_b64 v[4:5], v[34:35], off
	s_clause 0x1
	scratch_load_b128 v[2:5], off, off offset:80
	scratch_load_b128 v[32:35], off, off offset:96
	s_wait_loadcnt 0x5
	s_clause 0x1
	global_store_b64 v[46:47], v[36:37], off
	global_store_b64 v[48:49], v[38:39], off
	s_clause 0x1
	scratch_load_b128 v[36:39], off, off offset:112
	scratch_load_b128 v[46:49], off, off offset:128
	s_wait_loadcnt 0x6
	s_clause 0x1
	global_store_b64 v[42:43], v[50:51], off
	global_store_b64 v[44:45], v[52:53], off
	scratch_load_b128 v[40:43], off, off offset:144
	s_wait_loadcnt 0x6
	s_clause 0x1
	global_store_b64 v[8:9], v[54:55], off
	global_store_b64 v[10:11], v[56:57], off
	s_wait_loadcnt 0x5
	s_clause 0x1
	global_store_b64 v[12:13], v[58:59], off
	global_store_b64 v[14:15], v[60:61], off
	;; [unrolled: 4-line block ×7, first 2 shown]
.LBB19_384:
	s_endpgm
	.section	.rodata,"a",@progbits
	.p2align	6, 0x0
	.amdhsa_kernel _ZN9rocsolver6v33100L18trti2_kernel_smallILi20E19rocblas_complex_numIfEPS3_EEv13rocblas_fill_17rocblas_diagonal_T1_iil
		.amdhsa_group_segment_fixed_size 320
		.amdhsa_private_segment_fixed_size 176
		.amdhsa_kernarg_size 32
		.amdhsa_user_sgpr_count 2
		.amdhsa_user_sgpr_dispatch_ptr 0
		.amdhsa_user_sgpr_queue_ptr 0
		.amdhsa_user_sgpr_kernarg_segment_ptr 1
		.amdhsa_user_sgpr_dispatch_id 0
		.amdhsa_user_sgpr_kernarg_preload_length 0
		.amdhsa_user_sgpr_kernarg_preload_offset 0
		.amdhsa_user_sgpr_private_segment_size 0
		.amdhsa_wavefront_size32 1
		.amdhsa_uses_dynamic_stack 0
		.amdhsa_enable_private_segment 1
		.amdhsa_system_sgpr_workgroup_id_x 1
		.amdhsa_system_sgpr_workgroup_id_y 0
		.amdhsa_system_sgpr_workgroup_id_z 0
		.amdhsa_system_sgpr_workgroup_info 0
		.amdhsa_system_vgpr_workitem_id 0
		.amdhsa_next_free_vgpr 62
		.amdhsa_next_free_sgpr 17
		.amdhsa_named_barrier_count 0
		.amdhsa_reserve_vcc 1
		.amdhsa_float_round_mode_32 0
		.amdhsa_float_round_mode_16_64 0
		.amdhsa_float_denorm_mode_32 3
		.amdhsa_float_denorm_mode_16_64 3
		.amdhsa_fp16_overflow 0
		.amdhsa_memory_ordered 1
		.amdhsa_forward_progress 1
		.amdhsa_inst_pref_size 117
		.amdhsa_round_robin_scheduling 0
		.amdhsa_exception_fp_ieee_invalid_op 0
		.amdhsa_exception_fp_denorm_src 0
		.amdhsa_exception_fp_ieee_div_zero 0
		.amdhsa_exception_fp_ieee_overflow 0
		.amdhsa_exception_fp_ieee_underflow 0
		.amdhsa_exception_fp_ieee_inexact 0
		.amdhsa_exception_int_div_zero 0
	.end_amdhsa_kernel
	.section	.text._ZN9rocsolver6v33100L18trti2_kernel_smallILi20E19rocblas_complex_numIfEPS3_EEv13rocblas_fill_17rocblas_diagonal_T1_iil,"axG",@progbits,_ZN9rocsolver6v33100L18trti2_kernel_smallILi20E19rocblas_complex_numIfEPS3_EEv13rocblas_fill_17rocblas_diagonal_T1_iil,comdat
.Lfunc_end19:
	.size	_ZN9rocsolver6v33100L18trti2_kernel_smallILi20E19rocblas_complex_numIfEPS3_EEv13rocblas_fill_17rocblas_diagonal_T1_iil, .Lfunc_end19-_ZN9rocsolver6v33100L18trti2_kernel_smallILi20E19rocblas_complex_numIfEPS3_EEv13rocblas_fill_17rocblas_diagonal_T1_iil
                                        ; -- End function
	.set _ZN9rocsolver6v33100L18trti2_kernel_smallILi20E19rocblas_complex_numIfEPS3_EEv13rocblas_fill_17rocblas_diagonal_T1_iil.num_vgpr, 62
	.set _ZN9rocsolver6v33100L18trti2_kernel_smallILi20E19rocblas_complex_numIfEPS3_EEv13rocblas_fill_17rocblas_diagonal_T1_iil.num_agpr, 0
	.set _ZN9rocsolver6v33100L18trti2_kernel_smallILi20E19rocblas_complex_numIfEPS3_EEv13rocblas_fill_17rocblas_diagonal_T1_iil.numbered_sgpr, 17
	.set _ZN9rocsolver6v33100L18trti2_kernel_smallILi20E19rocblas_complex_numIfEPS3_EEv13rocblas_fill_17rocblas_diagonal_T1_iil.num_named_barrier, 0
	.set _ZN9rocsolver6v33100L18trti2_kernel_smallILi20E19rocblas_complex_numIfEPS3_EEv13rocblas_fill_17rocblas_diagonal_T1_iil.private_seg_size, 176
	.set _ZN9rocsolver6v33100L18trti2_kernel_smallILi20E19rocblas_complex_numIfEPS3_EEv13rocblas_fill_17rocblas_diagonal_T1_iil.uses_vcc, 1
	.set _ZN9rocsolver6v33100L18trti2_kernel_smallILi20E19rocblas_complex_numIfEPS3_EEv13rocblas_fill_17rocblas_diagonal_T1_iil.uses_flat_scratch, 1
	.set _ZN9rocsolver6v33100L18trti2_kernel_smallILi20E19rocblas_complex_numIfEPS3_EEv13rocblas_fill_17rocblas_diagonal_T1_iil.has_dyn_sized_stack, 0
	.set _ZN9rocsolver6v33100L18trti2_kernel_smallILi20E19rocblas_complex_numIfEPS3_EEv13rocblas_fill_17rocblas_diagonal_T1_iil.has_recursion, 0
	.set _ZN9rocsolver6v33100L18trti2_kernel_smallILi20E19rocblas_complex_numIfEPS3_EEv13rocblas_fill_17rocblas_diagonal_T1_iil.has_indirect_call, 0
	.section	.AMDGPU.csdata,"",@progbits
; Kernel info:
; codeLenInByte = 14952
; TotalNumSgprs: 19
; NumVgprs: 62
; ScratchSize: 176
; MemoryBound: 0
; FloatMode: 240
; IeeeMode: 1
; LDSByteSize: 320 bytes/workgroup (compile time only)
; SGPRBlocks: 0
; VGPRBlocks: 3
; NumSGPRsForWavesPerEU: 19
; NumVGPRsForWavesPerEU: 62
; NamedBarCnt: 0
; Occupancy: 16
; WaveLimiterHint : 0
; COMPUTE_PGM_RSRC2:SCRATCH_EN: 1
; COMPUTE_PGM_RSRC2:USER_SGPR: 2
; COMPUTE_PGM_RSRC2:TRAP_HANDLER: 0
; COMPUTE_PGM_RSRC2:TGID_X_EN: 1
; COMPUTE_PGM_RSRC2:TGID_Y_EN: 0
; COMPUTE_PGM_RSRC2:TGID_Z_EN: 0
; COMPUTE_PGM_RSRC2:TIDIG_COMP_CNT: 0
	.section	.text._ZN9rocsolver6v33100L18trti2_kernel_smallILi21E19rocblas_complex_numIfEPS3_EEv13rocblas_fill_17rocblas_diagonal_T1_iil,"axG",@progbits,_ZN9rocsolver6v33100L18trti2_kernel_smallILi21E19rocblas_complex_numIfEPS3_EEv13rocblas_fill_17rocblas_diagonal_T1_iil,comdat
	.globl	_ZN9rocsolver6v33100L18trti2_kernel_smallILi21E19rocblas_complex_numIfEPS3_EEv13rocblas_fill_17rocblas_diagonal_T1_iil ; -- Begin function _ZN9rocsolver6v33100L18trti2_kernel_smallILi21E19rocblas_complex_numIfEPS3_EEv13rocblas_fill_17rocblas_diagonal_T1_iil
	.p2align	8
	.type	_ZN9rocsolver6v33100L18trti2_kernel_smallILi21E19rocblas_complex_numIfEPS3_EEv13rocblas_fill_17rocblas_diagonal_T1_iil,@function
_ZN9rocsolver6v33100L18trti2_kernel_smallILi21E19rocblas_complex_numIfEPS3_EEv13rocblas_fill_17rocblas_diagonal_T1_iil: ; @_ZN9rocsolver6v33100L18trti2_kernel_smallILi21E19rocblas_complex_numIfEPS3_EEv13rocblas_fill_17rocblas_diagonal_T1_iil
; %bb.0:
	s_mov_b32 s2, exec_lo
	v_cmpx_gt_u32_e32 21, v0
	s_cbranch_execz .LBB20_404
; %bb.1:
	s_load_b256 s[4:11], s[0:1], 0x0
	s_wait_xcnt 0x0
	s_bfe_u32 s0, ttmp6, 0x4000c
	s_and_b32 s1, ttmp6, 15
	s_add_co_i32 s0, s0, 1
	s_getreg_b32 s2, hwreg(HW_REG_IB_STS2, 6, 4)
	s_mul_i32 s0, ttmp9, s0
	v_lshlrev_b32_e32 v44, 3, v0
	s_add_co_i32 s0, s1, s0
	v_mov_b32_e32 v45, 0
	s_wait_kmcnt 0x0
	v_add3_u32 v6, s9, s9, v0
	s_ashr_i32 s1, s8, 31
	s_cmp_eq_u32 s2, 0
	s_cselect_b32 s2, ttmp9, s0
	s_delay_alu instid0(VALU_DEP_1)
	v_add_nc_u32_e32 v8, s9, v6
	s_ashr_i32 s3, s2, 31
	s_mov_b32 s0, s8
	s_mul_u64 s[2:3], s[10:11], s[2:3]
	s_lshl_b64 s[0:1], s[0:1], 3
	v_add_nc_u32_e32 v10, s9, v8
	s_lshl_b64 s[2:3], s[2:3], 3
	s_delay_alu instid0(SALU_CYCLE_1) | instskip(NEXT) | instid1(SALU_CYCLE_1)
	s_add_nc_u64 s[2:3], s[6:7], s[2:3]
	s_add_nc_u64 s[6:7], s[2:3], s[0:1]
	s_delay_alu instid0(VALU_DEP_1)
	v_add_nc_u32_e32 v12, s9, v10
	v_add_nc_u64_e32 v[2:3], s[6:7], v[44:45]
	s_mov_b32 s0, s9
	s_ashr_i32 s1, s9, 31
	s_cmp_lg_u32 s5, 0x84
	v_add_nc_u32_e32 v14, s9, v12
	s_cselect_b32 s3, -1, 0
	s_delay_alu instid0(VALU_DEP_2) | instskip(SKIP_1) | instid1(VALU_DEP_2)
	v_lshl_add_u64 v[4:5], s[0:1], 3, v[2:3]
	s_mov_b32 s0, -1
	v_add_nc_u32_e32 v16, s9, v14
	s_and_b32 vcc_lo, exec_lo, s3
	s_delay_alu instid0(VALU_DEP_1)
	v_add_nc_u32_e32 v18, s9, v16
	s_clause 0x5
	global_load_b64 v[30:31], v10, s[6:7] scale_offset
	global_load_b64 v[32:33], v12, s[6:7] scale_offset
	;; [unrolled: 1-line block ×3, first 2 shown]
	global_load_b64 v[36:37], v[4:5], off
	global_load_b64 v[38:39], v6, s[6:7] scale_offset
	global_load_b64 v[40:41], v8, s[6:7] scale_offset
	v_add_nc_u32_e32 v20, s9, v18
	s_delay_alu instid0(VALU_DEP_1) | instskip(SKIP_4) | instid1(VALU_DEP_1)
	v_add_nc_u32_e32 v22, s9, v20
	s_clause 0x1
	global_load_b64 v[46:47], v14, s[6:7] scale_offset
	global_load_b64 v[48:49], v16, s[6:7] scale_offset
	v_add_nc_u32_e32 v24, s9, v22
	v_add_nc_u32_e32 v26, s9, v24
	s_delay_alu instid0(VALU_DEP_1)
	v_add_nc_u32_e32 v28, s9, v26
	s_clause 0x5
	global_load_b64 v[50:51], v18, s[6:7] scale_offset
	global_load_b64 v[52:53], v20, s[6:7] scale_offset
	;; [unrolled: 1-line block ×6, first 2 shown]
	s_wait_loadcnt 0xc
	scratch_store_b128 off, v[30:33], off offset:32
	s_wait_xcnt 0x0
	v_add_nc_u32_e32 v30, s9, v28
	s_wait_loadcnt 0xa
	scratch_store_b128 off, v[34:37], off
	s_wait_loadcnt 0x8
	scratch_store_b128 off, v[38:41], off offset:16
	v_add_nc_u32_e32 v32, s9, v30
	s_wait_loadcnt 0x6
	scratch_store_b128 off, v[46:49], off offset:48
	s_wait_xcnt 0x2
	v_add_nc_u32_e32 v34, s9, v32
	s_clause 0x1
	global_load_b64 v[46:47], v30, s[6:7] scale_offset
	global_load_b64 v[48:49], v32, s[6:7] scale_offset
	v_add_nc_u32_e32 v36, s9, v34
	s_delay_alu instid0(VALU_DEP_1)
	v_add_nc_u32_e32 v38, s9, v36
	s_wait_loadcnt 0x6
	scratch_store_b128 off, v[50:53], off offset:64
	s_wait_loadcnt 0x4
	scratch_store_b128 off, v[54:57], off offset:80
	;; [unrolled: 2-line block ×3, first 2 shown]
	v_add_nc_u32_e32 v40, s9, v38
	s_delay_alu instid0(VALU_DEP_1)
	v_add_nc_u32_e32 v42, s9, v40
	s_clause 0x4
	global_load_b64 v[50:51], v34, s[6:7] scale_offset
	global_load_b64 v[52:53], v36, s[6:7] scale_offset
	;; [unrolled: 1-line block ×5, first 2 shown]
	s_wait_loadcnt 0x5
	scratch_store_b128 off, v[46:49], off offset:112
	s_wait_loadcnt 0x3
	scratch_store_b128 off, v[50:53], off offset:128
	;; [unrolled: 2-line block ×3, first 2 shown]
	s_wait_loadcnt 0x0
	scratch_store_b64 off, v[58:59], off offset:160
	s_cbranch_vccz .LBB20_7
; %bb.2:
	scratch_load_b64 v[46:47], v0, off scale_offset
                                        ; implicit-def: $vgpr51
                                        ; implicit-def: $vgpr48
	s_wait_loadcnt 0x0
	v_cmp_ngt_f32_e64 s0, |v46|, |v47|
	s_wait_xcnt 0x0
	s_and_saveexec_b32 s1, s0
	s_delay_alu instid0(SALU_CYCLE_1)
	s_xor_b32 s0, exec_lo, s1
	s_cbranch_execz .LBB20_4
; %bb.3:
	v_div_scale_f32 v1, null, v47, v47, v46
	v_div_scale_f32 v11, vcc_lo, v46, v47, v46
	s_delay_alu instid0(VALU_DEP_2) | instskip(SKIP_1) | instid1(TRANS32_DEP_1)
	v_rcp_f32_e32 v7, v1
	v_nop
	v_fma_f32 v9, -v1, v7, 1.0
	s_delay_alu instid0(VALU_DEP_1) | instskip(NEXT) | instid1(VALU_DEP_1)
	v_fmac_f32_e32 v7, v9, v7
	v_mul_f32_e32 v9, v11, v7
	s_delay_alu instid0(VALU_DEP_1) | instskip(NEXT) | instid1(VALU_DEP_1)
	v_fma_f32 v13, -v1, v9, v11
	v_fmac_f32_e32 v9, v13, v7
	s_delay_alu instid0(VALU_DEP_1) | instskip(NEXT) | instid1(VALU_DEP_1)
	v_fma_f32 v1, -v1, v9, v11
	v_div_fmas_f32 v1, v1, v7, v9
	s_delay_alu instid0(VALU_DEP_1) | instskip(NEXT) | instid1(VALU_DEP_1)
	v_div_fixup_f32 v1, v1, v47, v46
	v_fmac_f32_e32 v47, v46, v1
	s_delay_alu instid0(VALU_DEP_1) | instskip(NEXT) | instid1(VALU_DEP_1)
	v_div_scale_f32 v7, null, v47, v47, -1.0
	v_rcp_f32_e32 v9, v7
	v_nop
	s_delay_alu instid0(TRANS32_DEP_1) | instskip(NEXT) | instid1(VALU_DEP_1)
	v_fma_f32 v11, -v7, v9, 1.0
	v_fmac_f32_e32 v9, v11, v9
	v_div_scale_f32 v11, vcc_lo, -1.0, v47, -1.0
	s_delay_alu instid0(VALU_DEP_1) | instskip(NEXT) | instid1(VALU_DEP_1)
	v_mul_f32_e32 v13, v11, v9
	v_fma_f32 v15, -v7, v13, v11
	s_delay_alu instid0(VALU_DEP_1) | instskip(NEXT) | instid1(VALU_DEP_1)
	v_fmac_f32_e32 v13, v15, v9
	v_fma_f32 v7, -v7, v13, v11
	s_delay_alu instid0(VALU_DEP_1) | instskip(NEXT) | instid1(VALU_DEP_1)
	v_div_fmas_f32 v7, v7, v9, v13
	v_div_fixup_f32 v51, v7, v47, -1.0
                                        ; implicit-def: $vgpr46_vgpr47
	s_delay_alu instid0(VALU_DEP_1) | instskip(NEXT) | instid1(VALU_DEP_1)
	v_mul_f32_e32 v48, v1, v51
	v_xor_b32_e32 v50, 0x80000000, v48
.LBB20_4:
	s_or_saveexec_b32 s0, s0
	v_lshl_add_u32 v1, v0, 3, 0
	s_xor_b32 exec_lo, exec_lo, s0
	s_cbranch_execz .LBB20_6
; %bb.5:
	v_div_scale_f32 v7, null, v46, v46, v47
	v_div_scale_f32 v13, vcc_lo, v47, v46, v47
	s_delay_alu instid0(VALU_DEP_2) | instskip(SKIP_1) | instid1(TRANS32_DEP_1)
	v_rcp_f32_e32 v9, v7
	v_nop
	v_fma_f32 v11, -v7, v9, 1.0
	s_delay_alu instid0(VALU_DEP_1) | instskip(NEXT) | instid1(VALU_DEP_1)
	v_fmac_f32_e32 v9, v11, v9
	v_mul_f32_e32 v11, v13, v9
	s_delay_alu instid0(VALU_DEP_1) | instskip(NEXT) | instid1(VALU_DEP_1)
	v_fma_f32 v15, -v7, v11, v13
	v_fmac_f32_e32 v11, v15, v9
	s_delay_alu instid0(VALU_DEP_1) | instskip(NEXT) | instid1(VALU_DEP_1)
	v_fma_f32 v7, -v7, v11, v13
	v_div_fmas_f32 v7, v7, v9, v11
	s_delay_alu instid0(VALU_DEP_1) | instskip(NEXT) | instid1(VALU_DEP_1)
	v_div_fixup_f32 v7, v7, v46, v47
	v_fmac_f32_e32 v46, v47, v7
	s_delay_alu instid0(VALU_DEP_1) | instskip(SKIP_1) | instid1(VALU_DEP_2)
	v_div_scale_f32 v9, null, v46, v46, 1.0
	v_div_scale_f32 v15, vcc_lo, 1.0, v46, 1.0
	v_rcp_f32_e32 v11, v9
	v_nop
	s_delay_alu instid0(TRANS32_DEP_1) | instskip(NEXT) | instid1(VALU_DEP_1)
	v_fma_f32 v13, -v9, v11, 1.0
	v_fmac_f32_e32 v11, v13, v11
	s_delay_alu instid0(VALU_DEP_1) | instskip(NEXT) | instid1(VALU_DEP_1)
	v_mul_f32_e32 v13, v15, v11
	v_fma_f32 v17, -v9, v13, v15
	s_delay_alu instid0(VALU_DEP_1) | instskip(NEXT) | instid1(VALU_DEP_1)
	v_fmac_f32_e32 v13, v17, v11
	v_fma_f32 v9, -v9, v13, v15
	s_delay_alu instid0(VALU_DEP_1) | instskip(NEXT) | instid1(VALU_DEP_1)
	v_div_fmas_f32 v9, v9, v11, v13
	v_div_fixup_f32 v50, v9, v46, 1.0
	s_delay_alu instid0(VALU_DEP_1)
	v_xor_b32_e32 v48, 0x80000000, v50
	v_mul_f32_e64 v51, v7, -v50
.LBB20_6:
	s_or_b32 exec_lo, exec_lo, s0
	s_delay_alu instid0(VALU_DEP_1)
	v_xor_b32_e32 v49, 0x80000000, v51
	s_mov_b32 s0, 0
	scratch_store_b64 v1, v[50:51], off
	ds_store_b64 v44, v[48:49]
.LBB20_7:
	s_and_b32 vcc_lo, exec_lo, s0
	s_cbranch_vccz .LBB20_9
; %bb.8:
	s_mov_b64 s[0:1], 0xbf800000
	s_wait_xcnt 0x3
	v_mov_b64_e32 v[46:47], s[0:1]
	ds_store_b64 v44, v[46:47]
.LBB20_9:
	v_dual_ashrrev_i32 v7, 31, v6 :: v_dual_ashrrev_i32 v9, 31, v8
	v_dual_ashrrev_i32 v11, 31, v10 :: v_dual_ashrrev_i32 v13, 31, v12
	;; [unrolled: 1-line block ×9, first 2 shown]
	v_dual_ashrrev_i32 v43, 31, v42 :: v_dual_mov_b32 v45, v44
	s_wait_xcnt 0x0
	v_add_nc_u32_e32 v1, 0xb0, v44
	s_cmp_eq_u32 s4, 0x79
	s_cbranch_scc1 .LBB20_13
; %bb.10:
	scratch_load_b64 v[46:47], off, off offset:152
	v_cmp_eq_u32_e64 s1, 20, v0
	s_movk_i32 s0, 0x50
	s_movk_i32 s10, 0x60
	;; [unrolled: 1-line block ×5, first 2 shown]
	s_wait_loadcnt 0x0
	ds_store_b64 v1, v[46:47]
	s_wait_storecnt_dscnt 0x0
	s_barrier_signal -1
	s_barrier_wait -1
	s_wait_xcnt 0x0
	s_and_saveexec_b32 s2, s1
	s_cbranch_execz .LBB20_17
; %bb.11:
	s_and_b32 vcc_lo, exec_lo, s3
	s_cbranch_vccz .LBB20_14
; %bb.12:
	scratch_load_b64 v[46:47], v45, off
	ds_load_b64 v[48:49], v1
	s_wait_loadcnt_dscnt 0x0
	v_pk_mul_f32 v[50:51], v[48:49], v[46:47] op_sel:[1,1] op_sel_hi:[0,1]
	v_pk_mul_f32 v[52:53], v[48:49], v[46:47] op_sel_hi:[1,0]
	s_delay_alu instid0(VALU_DEP_2) | instskip(NEXT) | instid1(VALU_DEP_2)
	v_pk_fma_f32 v[46:47], v[48:49], v[46:47], v[50:51] op_sel_hi:[1,0,1]
	v_sub_f32_e32 v46, v52, v50
	s_cbranch_execz .LBB20_15
	s_branch .LBB20_16
.LBB20_13:
	s_mov_b32 s1, 0
                                        ; implicit-def: $vgpr52
                                        ; implicit-def: $sgpr5
	s_cbranch_execnz .LBB20_206
	s_branch .LBB20_401
.LBB20_14:
                                        ; implicit-def: $vgpr47
.LBB20_15:
	ds_load_b64 v[46:47], v1
.LBB20_16:
	s_wait_dscnt 0x0
	v_dual_mov_b32 v48, 0 :: v_dual_mov_b32 v50, v47
	v_mov_b32_e32 v51, v46
	ds_load_b64 v[48:49], v48 offset:152
	s_wait_dscnt 0x0
	v_pk_mul_f32 v[50:51], v[50:51], v[48:49] op_sel:[0,1]
	s_delay_alu instid0(VALU_DEP_1) | instskip(SKIP_1) | instid1(VALU_DEP_2)
	v_pk_fma_f32 v[52:53], v[46:47], v[48:49], v[50:51] op_sel_hi:[1,0,1]
	v_pk_fma_f32 v[46:47], v[46:47], v[48:49], v[50:51] neg_lo:[0,0,1] neg_hi:[0,0,1]
	v_mov_b32_e32 v47, v53
	scratch_store_b64 off, v[46:47], off offset:152
.LBB20_17:
	s_wait_xcnt 0x0
	s_or_b32 exec_lo, exec_lo, s2
	scratch_load_b64 v[46:47], off, off offset:144
	s_mov_b32 s9, s0
	v_cmp_lt_u32_e64 s0, 18, v0
	s_mov_b32 s4, 16
	s_mov_b32 s5, 32
	;; [unrolled: 1-line block ×4, first 2 shown]
	s_wait_loadcnt 0x0
	ds_store_b64 v1, v[46:47]
	s_wait_storecnt_dscnt 0x0
	s_barrier_signal -1
	s_barrier_wait -1
	s_wait_xcnt 0x0
	s_and_saveexec_b32 s14, s0
	s_cbranch_execz .LBB20_25
; %bb.18:
	s_and_not1_b32 vcc_lo, exec_lo, s3
	s_cbranch_vccnz .LBB20_20
; %bb.19:
	scratch_load_b64 v[46:47], v45, off
	ds_load_b64 v[48:49], v1
	s_wait_loadcnt_dscnt 0x0
	v_pk_mul_f32 v[50:51], v[48:49], v[46:47] op_sel:[1,1] op_sel_hi:[0,1]
	s_delay_alu instid0(VALU_DEP_1) | instskip(SKIP_1) | instid1(VALU_DEP_2)
	v_pk_fma_f32 v[52:53], v[48:49], v[46:47], v[50:51] op_sel_hi:[1,0,1]
	v_pk_fma_f32 v[46:47], v[48:49], v[46:47], v[50:51] neg_lo:[0,0,1] neg_hi:[0,0,1]
	v_mov_b32_e32 v47, v53
	s_cbranch_execz .LBB20_21
	s_branch .LBB20_22
.LBB20_20:
                                        ; implicit-def: $vgpr46_vgpr47
.LBB20_21:
	ds_load_b64 v[46:47], v1
.LBB20_22:
	s_and_saveexec_b32 s15, s1
	s_cbranch_execz .LBB20_24
; %bb.23:
	scratch_load_b64 v[48:49], off, off offset:152
	v_mov_b32_e32 v50, 0
	ds_load_b64 v[50:51], v50 offset:328
	s_wait_loadcnt_dscnt 0x0
	v_pk_mul_f32 v[52:53], v[50:51], v[48:49] op_sel:[1,1] op_sel_hi:[0,1]
	s_delay_alu instid0(VALU_DEP_1) | instskip(SKIP_1) | instid1(VALU_DEP_2)
	v_pk_fma_f32 v[54:55], v[50:51], v[48:49], v[52:53] op_sel_hi:[1,0,1]
	v_pk_fma_f32 v[48:49], v[50:51], v[48:49], v[52:53] neg_lo:[0,0,1] neg_hi:[0,0,1]
	v_mov_b32_e32 v49, v55
	s_delay_alu instid0(VALU_DEP_1)
	v_pk_add_f32 v[46:47], v[46:47], v[48:49]
.LBB20_24:
	s_or_b32 exec_lo, exec_lo, s15
	v_mov_b32_e32 v48, 0
	ds_load_b64 v[48:49], v48 offset:144
	s_wait_dscnt 0x0
	v_pk_mul_f32 v[50:51], v[46:47], v[48:49] op_sel:[1,1] op_sel_hi:[0,1]
	s_delay_alu instid0(VALU_DEP_1) | instskip(SKIP_1) | instid1(VALU_DEP_2)
	v_pk_fma_f32 v[52:53], v[46:47], v[48:49], v[50:51] op_sel_hi:[1,0,1]
	v_pk_fma_f32 v[46:47], v[46:47], v[48:49], v[50:51] neg_lo:[0,0,1] neg_hi:[0,0,1]
	v_mov_b32_e32 v47, v53
	scratch_store_b64 off, v[46:47], off offset:144
.LBB20_25:
	s_wait_xcnt 0x0
	s_or_b32 exec_lo, exec_lo, s14
	scratch_load_b64 v[46:47], off, off offset:136
	v_cmp_lt_u32_e64 s1, 17, v0
	s_wait_loadcnt 0x0
	ds_store_b64 v1, v[46:47]
	s_wait_storecnt_dscnt 0x0
	s_barrier_signal -1
	s_barrier_wait -1
	s_wait_xcnt 0x0
	s_and_saveexec_b32 s14, s1
	s_cbranch_execz .LBB20_35
; %bb.26:
	s_and_not1_b32 vcc_lo, exec_lo, s3
	s_cbranch_vccnz .LBB20_28
; %bb.27:
	scratch_load_b64 v[46:47], v45, off
	ds_load_b64 v[48:49], v1
	s_wait_loadcnt_dscnt 0x0
	v_pk_mul_f32 v[50:51], v[48:49], v[46:47] op_sel:[1,1] op_sel_hi:[0,1]
	s_delay_alu instid0(VALU_DEP_1) | instskip(SKIP_1) | instid1(VALU_DEP_2)
	v_pk_fma_f32 v[52:53], v[48:49], v[46:47], v[50:51] op_sel_hi:[1,0,1]
	v_pk_fma_f32 v[46:47], v[48:49], v[46:47], v[50:51] neg_lo:[0,0,1] neg_hi:[0,0,1]
	v_mov_b32_e32 v47, v53
	s_cbranch_execz .LBB20_29
	s_branch .LBB20_30
.LBB20_28:
                                        ; implicit-def: $vgpr46_vgpr47
.LBB20_29:
	ds_load_b64 v[46:47], v1
.LBB20_30:
	s_and_saveexec_b32 s15, s0
	s_cbranch_execz .LBB20_34
; %bb.31:
	v_subrev_nc_u32_e32 v48, 18, v0
	s_movk_i32 s16, 0x140
	s_mov_b32 s0, 0
.LBB20_32:                              ; =>This Inner Loop Header: Depth=1
	scratch_load_b64 v[50:51], off, s13
	v_dual_mov_b32 v49, s16 :: v_dual_add_nc_u32 v48, -1, v48
	s_add_co_i32 s16, s16, 8
	s_wait_xcnt 0x0
	s_add_co_i32 s13, s13, 8
	ds_load_b64 v[52:53], v49
	v_cmp_eq_u32_e32 vcc_lo, 0, v48
	s_or_b32 s0, vcc_lo, s0
	s_wait_loadcnt_dscnt 0x0
	v_pk_mul_f32 v[54:55], v[52:53], v[50:51] op_sel:[1,1] op_sel_hi:[0,1]
	s_delay_alu instid0(VALU_DEP_1) | instskip(SKIP_1) | instid1(VALU_DEP_2)
	v_pk_fma_f32 v[56:57], v[52:53], v[50:51], v[54:55] op_sel_hi:[1,0,1]
	v_pk_fma_f32 v[50:51], v[52:53], v[50:51], v[54:55] neg_lo:[0,0,1] neg_hi:[0,0,1]
	v_mov_b32_e32 v51, v57
	s_delay_alu instid0(VALU_DEP_1)
	v_pk_add_f32 v[46:47], v[46:47], v[50:51]
	s_and_not1_b32 exec_lo, exec_lo, s0
	s_cbranch_execnz .LBB20_32
; %bb.33:
	s_or_b32 exec_lo, exec_lo, s0
.LBB20_34:
	s_delay_alu instid0(SALU_CYCLE_1) | instskip(SKIP_4) | instid1(VALU_DEP_1)
	s_or_b32 exec_lo, exec_lo, s15
	v_mov_b32_e32 v48, 0
	ds_load_b64 v[48:49], v48 offset:136
	s_wait_dscnt 0x0
	v_pk_mul_f32 v[50:51], v[46:47], v[48:49] op_sel:[1,1] op_sel_hi:[0,1]
	v_pk_fma_f32 v[52:53], v[46:47], v[48:49], v[50:51] op_sel_hi:[1,0,1]
	v_pk_fma_f32 v[46:47], v[46:47], v[48:49], v[50:51] neg_lo:[0,0,1] neg_hi:[0,0,1]
	s_delay_alu instid0(VALU_DEP_2)
	v_mov_b32_e32 v47, v53
	scratch_store_b64 off, v[46:47], off offset:136
.LBB20_35:
	s_wait_xcnt 0x0
	s_or_b32 exec_lo, exec_lo, s14
	scratch_load_b64 v[46:47], off, off offset:128
	v_cmp_lt_u32_e64 s0, 16, v0
	s_wait_loadcnt 0x0
	ds_store_b64 v1, v[46:47]
	s_wait_storecnt_dscnt 0x0
	s_barrier_signal -1
	s_barrier_wait -1
	s_wait_xcnt 0x0
	s_and_saveexec_b32 s13, s0
	s_cbranch_execz .LBB20_45
; %bb.36:
	s_and_not1_b32 vcc_lo, exec_lo, s3
	s_cbranch_vccnz .LBB20_38
; %bb.37:
	scratch_load_b64 v[46:47], v45, off
	ds_load_b64 v[48:49], v1
	s_wait_loadcnt_dscnt 0x0
	v_pk_mul_f32 v[50:51], v[48:49], v[46:47] op_sel:[1,1] op_sel_hi:[0,1]
	s_delay_alu instid0(VALU_DEP_1) | instskip(SKIP_1) | instid1(VALU_DEP_2)
	v_pk_fma_f32 v[52:53], v[48:49], v[46:47], v[50:51] op_sel_hi:[1,0,1]
	v_pk_fma_f32 v[46:47], v[48:49], v[46:47], v[50:51] neg_lo:[0,0,1] neg_hi:[0,0,1]
	v_mov_b32_e32 v47, v53
	s_cbranch_execz .LBB20_39
	s_branch .LBB20_40
.LBB20_38:
                                        ; implicit-def: $vgpr46_vgpr47
.LBB20_39:
	ds_load_b64 v[46:47], v1
.LBB20_40:
	s_and_saveexec_b32 s14, s1
	s_cbranch_execz .LBB20_44
; %bb.41:
	v_subrev_nc_u32_e32 v48, 17, v0
	s_movk_i32 s1, 0x88
	s_movk_i32 s16, 0x138
	s_mov_b32 s15, 0
.LBB20_42:                              ; =>This Inner Loop Header: Depth=1
	scratch_load_b64 v[50:51], off, s1
	v_dual_mov_b32 v49, s16 :: v_dual_add_nc_u32 v48, -1, v48
	s_add_co_i32 s16, s16, 8
	s_wait_xcnt 0x0
	s_add_co_i32 s1, s1, 8
	ds_load_b64 v[52:53], v49
	v_cmp_eq_u32_e32 vcc_lo, 0, v48
	s_or_b32 s15, vcc_lo, s15
	s_wait_loadcnt_dscnt 0x0
	v_pk_mul_f32 v[54:55], v[52:53], v[50:51] op_sel:[1,1] op_sel_hi:[0,1]
	s_delay_alu instid0(VALU_DEP_1) | instskip(SKIP_1) | instid1(VALU_DEP_2)
	v_pk_fma_f32 v[56:57], v[52:53], v[50:51], v[54:55] op_sel_hi:[1,0,1]
	v_pk_fma_f32 v[50:51], v[52:53], v[50:51], v[54:55] neg_lo:[0,0,1] neg_hi:[0,0,1]
	v_mov_b32_e32 v51, v57
	s_delay_alu instid0(VALU_DEP_1)
	v_pk_add_f32 v[46:47], v[46:47], v[50:51]
	s_and_not1_b32 exec_lo, exec_lo, s15
	s_cbranch_execnz .LBB20_42
; %bb.43:
	s_or_b32 exec_lo, exec_lo, s15
.LBB20_44:
	s_delay_alu instid0(SALU_CYCLE_1) | instskip(SKIP_4) | instid1(VALU_DEP_1)
	s_or_b32 exec_lo, exec_lo, s14
	v_mov_b32_e32 v48, 0
	ds_load_b64 v[48:49], v48 offset:128
	s_wait_dscnt 0x0
	v_pk_mul_f32 v[50:51], v[46:47], v[48:49] op_sel:[1,1] op_sel_hi:[0,1]
	v_pk_fma_f32 v[52:53], v[46:47], v[48:49], v[50:51] op_sel_hi:[1,0,1]
	v_pk_fma_f32 v[46:47], v[46:47], v[48:49], v[50:51] neg_lo:[0,0,1] neg_hi:[0,0,1]
	s_delay_alu instid0(VALU_DEP_2)
	v_mov_b32_e32 v47, v53
	scratch_store_b64 off, v[46:47], off offset:128
.LBB20_45:
	s_wait_xcnt 0x0
	s_or_b32 exec_lo, exec_lo, s13
	scratch_load_b64 v[46:47], off, off offset:120
	v_cmp_lt_u32_e64 s1, 15, v0
	s_wait_loadcnt 0x0
	ds_store_b64 v1, v[46:47]
	s_wait_storecnt_dscnt 0x0
	s_barrier_signal -1
	s_barrier_wait -1
	s_wait_xcnt 0x0
	s_and_saveexec_b32 s13, s1
	s_cbranch_execz .LBB20_55
; %bb.46:
	s_and_not1_b32 vcc_lo, exec_lo, s3
	s_cbranch_vccnz .LBB20_48
; %bb.47:
	scratch_load_b64 v[46:47], v45, off
	ds_load_b64 v[48:49], v1
	s_wait_loadcnt_dscnt 0x0
	v_pk_mul_f32 v[50:51], v[48:49], v[46:47] op_sel:[1,1] op_sel_hi:[0,1]
	s_delay_alu instid0(VALU_DEP_1) | instskip(SKIP_1) | instid1(VALU_DEP_2)
	v_pk_fma_f32 v[52:53], v[48:49], v[46:47], v[50:51] op_sel_hi:[1,0,1]
	v_pk_fma_f32 v[46:47], v[48:49], v[46:47], v[50:51] neg_lo:[0,0,1] neg_hi:[0,0,1]
	v_mov_b32_e32 v47, v53
	s_cbranch_execz .LBB20_49
	s_branch .LBB20_50
.LBB20_48:
                                        ; implicit-def: $vgpr46_vgpr47
.LBB20_49:
	ds_load_b64 v[46:47], v1
.LBB20_50:
	s_and_saveexec_b32 s14, s0
	s_cbranch_execz .LBB20_54
; %bb.51:
	v_add_nc_u32_e32 v48, -16, v0
	s_movk_i32 s15, 0x130
	s_mov_b32 s0, 0
.LBB20_52:                              ; =>This Inner Loop Header: Depth=1
	scratch_load_b64 v[50:51], off, s12
	v_dual_mov_b32 v49, s15 :: v_dual_add_nc_u32 v48, -1, v48
	s_add_co_i32 s15, s15, 8
	s_wait_xcnt 0x0
	s_add_co_i32 s12, s12, 8
	ds_load_b64 v[52:53], v49
	v_cmp_eq_u32_e32 vcc_lo, 0, v48
	s_or_b32 s0, vcc_lo, s0
	s_wait_loadcnt_dscnt 0x0
	v_pk_mul_f32 v[54:55], v[52:53], v[50:51] op_sel:[1,1] op_sel_hi:[0,1]
	s_delay_alu instid0(VALU_DEP_1) | instskip(SKIP_1) | instid1(VALU_DEP_2)
	v_pk_fma_f32 v[56:57], v[52:53], v[50:51], v[54:55] op_sel_hi:[1,0,1]
	v_pk_fma_f32 v[50:51], v[52:53], v[50:51], v[54:55] neg_lo:[0,0,1] neg_hi:[0,0,1]
	v_mov_b32_e32 v51, v57
	s_delay_alu instid0(VALU_DEP_1)
	v_pk_add_f32 v[46:47], v[46:47], v[50:51]
	s_and_not1_b32 exec_lo, exec_lo, s0
	s_cbranch_execnz .LBB20_52
; %bb.53:
	s_or_b32 exec_lo, exec_lo, s0
.LBB20_54:
	s_delay_alu instid0(SALU_CYCLE_1) | instskip(SKIP_4) | instid1(VALU_DEP_1)
	s_or_b32 exec_lo, exec_lo, s14
	v_mov_b32_e32 v48, 0
	ds_load_b64 v[48:49], v48 offset:120
	s_wait_dscnt 0x0
	v_pk_mul_f32 v[50:51], v[46:47], v[48:49] op_sel:[1,1] op_sel_hi:[0,1]
	v_pk_fma_f32 v[52:53], v[46:47], v[48:49], v[50:51] op_sel_hi:[1,0,1]
	v_pk_fma_f32 v[46:47], v[46:47], v[48:49], v[50:51] neg_lo:[0,0,1] neg_hi:[0,0,1]
	s_delay_alu instid0(VALU_DEP_2)
	v_mov_b32_e32 v47, v53
	scratch_store_b64 off, v[46:47], off offset:120
.LBB20_55:
	s_wait_xcnt 0x0
	s_or_b32 exec_lo, exec_lo, s13
	scratch_load_b64 v[46:47], off, off offset:112
	v_cmp_lt_u32_e64 s0, 14, v0
	s_wait_loadcnt 0x0
	ds_store_b64 v1, v[46:47]
	s_wait_storecnt_dscnt 0x0
	s_barrier_signal -1
	s_barrier_wait -1
	s_wait_xcnt 0x0
	s_and_saveexec_b32 s12, s0
	s_cbranch_execz .LBB20_65
; %bb.56:
	s_and_not1_b32 vcc_lo, exec_lo, s3
	s_cbranch_vccnz .LBB20_58
; %bb.57:
	scratch_load_b64 v[46:47], v45, off
	ds_load_b64 v[48:49], v1
	s_wait_loadcnt_dscnt 0x0
	v_pk_mul_f32 v[50:51], v[48:49], v[46:47] op_sel:[1,1] op_sel_hi:[0,1]
	s_delay_alu instid0(VALU_DEP_1) | instskip(SKIP_1) | instid1(VALU_DEP_2)
	v_pk_fma_f32 v[52:53], v[48:49], v[46:47], v[50:51] op_sel_hi:[1,0,1]
	v_pk_fma_f32 v[46:47], v[48:49], v[46:47], v[50:51] neg_lo:[0,0,1] neg_hi:[0,0,1]
	v_mov_b32_e32 v47, v53
	s_cbranch_execz .LBB20_59
	s_branch .LBB20_60
.LBB20_58:
                                        ; implicit-def: $vgpr46_vgpr47
.LBB20_59:
	ds_load_b64 v[46:47], v1
.LBB20_60:
	s_and_saveexec_b32 s13, s1
	s_cbranch_execz .LBB20_64
; %bb.61:
	v_add_nc_u32_e32 v48, -15, v0
	s_movk_i32 s1, 0x78
	s_movk_i32 s15, 0x128
	s_mov_b32 s14, 0
.LBB20_62:                              ; =>This Inner Loop Header: Depth=1
	scratch_load_b64 v[50:51], off, s1
	v_dual_mov_b32 v49, s15 :: v_dual_add_nc_u32 v48, -1, v48
	s_add_co_i32 s15, s15, 8
	s_wait_xcnt 0x0
	s_add_co_i32 s1, s1, 8
	ds_load_b64 v[52:53], v49
	v_cmp_eq_u32_e32 vcc_lo, 0, v48
	s_or_b32 s14, vcc_lo, s14
	s_wait_loadcnt_dscnt 0x0
	v_pk_mul_f32 v[54:55], v[52:53], v[50:51] op_sel:[1,1] op_sel_hi:[0,1]
	s_delay_alu instid0(VALU_DEP_1) | instskip(SKIP_1) | instid1(VALU_DEP_2)
	v_pk_fma_f32 v[56:57], v[52:53], v[50:51], v[54:55] op_sel_hi:[1,0,1]
	v_pk_fma_f32 v[50:51], v[52:53], v[50:51], v[54:55] neg_lo:[0,0,1] neg_hi:[0,0,1]
	v_mov_b32_e32 v51, v57
	s_delay_alu instid0(VALU_DEP_1)
	v_pk_add_f32 v[46:47], v[46:47], v[50:51]
	s_and_not1_b32 exec_lo, exec_lo, s14
	s_cbranch_execnz .LBB20_62
; %bb.63:
	s_or_b32 exec_lo, exec_lo, s14
.LBB20_64:
	s_delay_alu instid0(SALU_CYCLE_1) | instskip(SKIP_4) | instid1(VALU_DEP_1)
	s_or_b32 exec_lo, exec_lo, s13
	v_mov_b32_e32 v48, 0
	ds_load_b64 v[48:49], v48 offset:112
	s_wait_dscnt 0x0
	v_pk_mul_f32 v[50:51], v[46:47], v[48:49] op_sel:[1,1] op_sel_hi:[0,1]
	v_pk_fma_f32 v[52:53], v[46:47], v[48:49], v[50:51] op_sel_hi:[1,0,1]
	v_pk_fma_f32 v[46:47], v[46:47], v[48:49], v[50:51] neg_lo:[0,0,1] neg_hi:[0,0,1]
	s_delay_alu instid0(VALU_DEP_2)
	v_mov_b32_e32 v47, v53
	scratch_store_b64 off, v[46:47], off offset:112
.LBB20_65:
	s_wait_xcnt 0x0
	s_or_b32 exec_lo, exec_lo, s12
	scratch_load_b64 v[46:47], off, off offset:104
	v_cmp_lt_u32_e64 s1, 13, v0
	s_wait_loadcnt 0x0
	ds_store_b64 v1, v[46:47]
	s_wait_storecnt_dscnt 0x0
	s_barrier_signal -1
	s_barrier_wait -1
	s_wait_xcnt 0x0
	s_and_saveexec_b32 s12, s1
	s_cbranch_execz .LBB20_75
; %bb.66:
	s_and_not1_b32 vcc_lo, exec_lo, s3
	s_cbranch_vccnz .LBB20_68
; %bb.67:
	scratch_load_b64 v[46:47], v45, off
	ds_load_b64 v[48:49], v1
	s_wait_loadcnt_dscnt 0x0
	v_pk_mul_f32 v[50:51], v[48:49], v[46:47] op_sel:[1,1] op_sel_hi:[0,1]
	s_delay_alu instid0(VALU_DEP_1) | instskip(SKIP_1) | instid1(VALU_DEP_2)
	v_pk_fma_f32 v[52:53], v[48:49], v[46:47], v[50:51] op_sel_hi:[1,0,1]
	v_pk_fma_f32 v[46:47], v[48:49], v[46:47], v[50:51] neg_lo:[0,0,1] neg_hi:[0,0,1]
	v_mov_b32_e32 v47, v53
	s_cbranch_execz .LBB20_69
	s_branch .LBB20_70
.LBB20_68:
                                        ; implicit-def: $vgpr46_vgpr47
.LBB20_69:
	ds_load_b64 v[46:47], v1
.LBB20_70:
	s_and_saveexec_b32 s13, s0
	s_cbranch_execz .LBB20_74
; %bb.71:
	v_add_nc_u32_e32 v48, -14, v0
	s_movk_i32 s14, 0x120
	s_mov_b32 s0, 0
.LBB20_72:                              ; =>This Inner Loop Header: Depth=1
	scratch_load_b64 v[50:51], off, s11
	v_dual_mov_b32 v49, s14 :: v_dual_add_nc_u32 v48, -1, v48
	s_add_co_i32 s14, s14, 8
	s_wait_xcnt 0x0
	s_add_co_i32 s11, s11, 8
	ds_load_b64 v[52:53], v49
	v_cmp_eq_u32_e32 vcc_lo, 0, v48
	s_or_b32 s0, vcc_lo, s0
	s_wait_loadcnt_dscnt 0x0
	v_pk_mul_f32 v[54:55], v[52:53], v[50:51] op_sel:[1,1] op_sel_hi:[0,1]
	s_delay_alu instid0(VALU_DEP_1) | instskip(SKIP_1) | instid1(VALU_DEP_2)
	v_pk_fma_f32 v[56:57], v[52:53], v[50:51], v[54:55] op_sel_hi:[1,0,1]
	v_pk_fma_f32 v[50:51], v[52:53], v[50:51], v[54:55] neg_lo:[0,0,1] neg_hi:[0,0,1]
	v_mov_b32_e32 v51, v57
	s_delay_alu instid0(VALU_DEP_1)
	v_pk_add_f32 v[46:47], v[46:47], v[50:51]
	s_and_not1_b32 exec_lo, exec_lo, s0
	s_cbranch_execnz .LBB20_72
; %bb.73:
	s_or_b32 exec_lo, exec_lo, s0
.LBB20_74:
	s_delay_alu instid0(SALU_CYCLE_1) | instskip(SKIP_4) | instid1(VALU_DEP_1)
	s_or_b32 exec_lo, exec_lo, s13
	v_mov_b32_e32 v48, 0
	ds_load_b64 v[48:49], v48 offset:104
	s_wait_dscnt 0x0
	v_pk_mul_f32 v[50:51], v[46:47], v[48:49] op_sel:[1,1] op_sel_hi:[0,1]
	v_pk_fma_f32 v[52:53], v[46:47], v[48:49], v[50:51] op_sel_hi:[1,0,1]
	v_pk_fma_f32 v[46:47], v[46:47], v[48:49], v[50:51] neg_lo:[0,0,1] neg_hi:[0,0,1]
	s_delay_alu instid0(VALU_DEP_2)
	v_mov_b32_e32 v47, v53
	scratch_store_b64 off, v[46:47], off offset:104
.LBB20_75:
	s_wait_xcnt 0x0
	s_or_b32 exec_lo, exec_lo, s12
	scratch_load_b64 v[46:47], off, off offset:96
	v_cmp_lt_u32_e64 s0, 12, v0
	s_wait_loadcnt 0x0
	ds_store_b64 v1, v[46:47]
	s_wait_storecnt_dscnt 0x0
	s_barrier_signal -1
	s_barrier_wait -1
	s_wait_xcnt 0x0
	s_and_saveexec_b32 s11, s0
	s_cbranch_execz .LBB20_85
; %bb.76:
	s_and_not1_b32 vcc_lo, exec_lo, s3
	s_cbranch_vccnz .LBB20_78
; %bb.77:
	scratch_load_b64 v[46:47], v45, off
	ds_load_b64 v[48:49], v1
	s_wait_loadcnt_dscnt 0x0
	v_pk_mul_f32 v[50:51], v[48:49], v[46:47] op_sel:[1,1] op_sel_hi:[0,1]
	s_delay_alu instid0(VALU_DEP_1) | instskip(SKIP_1) | instid1(VALU_DEP_2)
	v_pk_fma_f32 v[52:53], v[48:49], v[46:47], v[50:51] op_sel_hi:[1,0,1]
	v_pk_fma_f32 v[46:47], v[48:49], v[46:47], v[50:51] neg_lo:[0,0,1] neg_hi:[0,0,1]
	v_mov_b32_e32 v47, v53
	s_cbranch_execz .LBB20_79
	s_branch .LBB20_80
.LBB20_78:
                                        ; implicit-def: $vgpr46_vgpr47
.LBB20_79:
	ds_load_b64 v[46:47], v1
.LBB20_80:
	s_and_saveexec_b32 s12, s1
	s_cbranch_execz .LBB20_84
; %bb.81:
	v_add_nc_u32_e32 v48, -13, v0
	s_movk_i32 s1, 0x68
	s_movk_i32 s14, 0x118
	s_mov_b32 s13, 0
.LBB20_82:                              ; =>This Inner Loop Header: Depth=1
	scratch_load_b64 v[50:51], off, s1
	v_dual_mov_b32 v49, s14 :: v_dual_add_nc_u32 v48, -1, v48
	s_add_co_i32 s14, s14, 8
	s_wait_xcnt 0x0
	s_add_co_i32 s1, s1, 8
	ds_load_b64 v[52:53], v49
	v_cmp_eq_u32_e32 vcc_lo, 0, v48
	s_or_b32 s13, vcc_lo, s13
	s_wait_loadcnt_dscnt 0x0
	v_pk_mul_f32 v[54:55], v[52:53], v[50:51] op_sel:[1,1] op_sel_hi:[0,1]
	s_delay_alu instid0(VALU_DEP_1) | instskip(SKIP_1) | instid1(VALU_DEP_2)
	v_pk_fma_f32 v[56:57], v[52:53], v[50:51], v[54:55] op_sel_hi:[1,0,1]
	v_pk_fma_f32 v[50:51], v[52:53], v[50:51], v[54:55] neg_lo:[0,0,1] neg_hi:[0,0,1]
	v_mov_b32_e32 v51, v57
	s_delay_alu instid0(VALU_DEP_1)
	v_pk_add_f32 v[46:47], v[46:47], v[50:51]
	s_and_not1_b32 exec_lo, exec_lo, s13
	s_cbranch_execnz .LBB20_82
; %bb.83:
	s_or_b32 exec_lo, exec_lo, s13
.LBB20_84:
	s_delay_alu instid0(SALU_CYCLE_1) | instskip(SKIP_4) | instid1(VALU_DEP_1)
	s_or_b32 exec_lo, exec_lo, s12
	v_mov_b32_e32 v48, 0
	ds_load_b64 v[48:49], v48 offset:96
	s_wait_dscnt 0x0
	v_pk_mul_f32 v[50:51], v[46:47], v[48:49] op_sel:[1,1] op_sel_hi:[0,1]
	v_pk_fma_f32 v[52:53], v[46:47], v[48:49], v[50:51] op_sel_hi:[1,0,1]
	v_pk_fma_f32 v[46:47], v[46:47], v[48:49], v[50:51] neg_lo:[0,0,1] neg_hi:[0,0,1]
	s_delay_alu instid0(VALU_DEP_2)
	v_mov_b32_e32 v47, v53
	scratch_store_b64 off, v[46:47], off offset:96
.LBB20_85:
	s_wait_xcnt 0x0
	s_or_b32 exec_lo, exec_lo, s11
	scratch_load_b64 v[46:47], off, off offset:88
	v_cmp_lt_u32_e64 s1, 11, v0
	s_wait_loadcnt 0x0
	ds_store_b64 v1, v[46:47]
	s_wait_storecnt_dscnt 0x0
	s_barrier_signal -1
	s_barrier_wait -1
	s_wait_xcnt 0x0
	s_and_saveexec_b32 s11, s1
	s_cbranch_execz .LBB20_95
; %bb.86:
	s_and_not1_b32 vcc_lo, exec_lo, s3
	s_cbranch_vccnz .LBB20_88
; %bb.87:
	scratch_load_b64 v[46:47], v45, off
	ds_load_b64 v[48:49], v1
	s_wait_loadcnt_dscnt 0x0
	v_pk_mul_f32 v[50:51], v[48:49], v[46:47] op_sel:[1,1] op_sel_hi:[0,1]
	s_delay_alu instid0(VALU_DEP_1) | instskip(SKIP_1) | instid1(VALU_DEP_2)
	v_pk_fma_f32 v[52:53], v[48:49], v[46:47], v[50:51] op_sel_hi:[1,0,1]
	v_pk_fma_f32 v[46:47], v[48:49], v[46:47], v[50:51] neg_lo:[0,0,1] neg_hi:[0,0,1]
	v_mov_b32_e32 v47, v53
	s_cbranch_execz .LBB20_89
	s_branch .LBB20_90
.LBB20_88:
                                        ; implicit-def: $vgpr46_vgpr47
.LBB20_89:
	ds_load_b64 v[46:47], v1
.LBB20_90:
	s_and_saveexec_b32 s12, s0
	s_cbranch_execz .LBB20_94
; %bb.91:
	v_add_nc_u32_e32 v48, -12, v0
	s_movk_i32 s13, 0x110
	s_mov_b32 s0, 0
.LBB20_92:                              ; =>This Inner Loop Header: Depth=1
	scratch_load_b64 v[50:51], off, s10
	v_dual_mov_b32 v49, s13 :: v_dual_add_nc_u32 v48, -1, v48
	s_add_co_i32 s13, s13, 8
	s_wait_xcnt 0x0
	s_add_co_i32 s10, s10, 8
	ds_load_b64 v[52:53], v49
	v_cmp_eq_u32_e32 vcc_lo, 0, v48
	s_or_b32 s0, vcc_lo, s0
	s_wait_loadcnt_dscnt 0x0
	v_pk_mul_f32 v[54:55], v[52:53], v[50:51] op_sel:[1,1] op_sel_hi:[0,1]
	s_delay_alu instid0(VALU_DEP_1) | instskip(SKIP_1) | instid1(VALU_DEP_2)
	v_pk_fma_f32 v[56:57], v[52:53], v[50:51], v[54:55] op_sel_hi:[1,0,1]
	v_pk_fma_f32 v[50:51], v[52:53], v[50:51], v[54:55] neg_lo:[0,0,1] neg_hi:[0,0,1]
	v_mov_b32_e32 v51, v57
	s_delay_alu instid0(VALU_DEP_1)
	v_pk_add_f32 v[46:47], v[46:47], v[50:51]
	s_and_not1_b32 exec_lo, exec_lo, s0
	s_cbranch_execnz .LBB20_92
; %bb.93:
	s_or_b32 exec_lo, exec_lo, s0
.LBB20_94:
	s_delay_alu instid0(SALU_CYCLE_1) | instskip(SKIP_4) | instid1(VALU_DEP_1)
	s_or_b32 exec_lo, exec_lo, s12
	v_mov_b32_e32 v48, 0
	ds_load_b64 v[48:49], v48 offset:88
	s_wait_dscnt 0x0
	v_pk_mul_f32 v[50:51], v[46:47], v[48:49] op_sel:[1,1] op_sel_hi:[0,1]
	v_pk_fma_f32 v[52:53], v[46:47], v[48:49], v[50:51] op_sel_hi:[1,0,1]
	v_pk_fma_f32 v[46:47], v[46:47], v[48:49], v[50:51] neg_lo:[0,0,1] neg_hi:[0,0,1]
	s_delay_alu instid0(VALU_DEP_2)
	v_mov_b32_e32 v47, v53
	scratch_store_b64 off, v[46:47], off offset:88
.LBB20_95:
	s_wait_xcnt 0x0
	s_or_b32 exec_lo, exec_lo, s11
	scratch_load_b64 v[46:47], off, off offset:80
	v_cmp_lt_u32_e64 s0, 10, v0
	s_wait_loadcnt 0x0
	ds_store_b64 v1, v[46:47]
	s_wait_storecnt_dscnt 0x0
	s_barrier_signal -1
	s_barrier_wait -1
	s_wait_xcnt 0x0
	s_and_saveexec_b32 s10, s0
	s_cbranch_execz .LBB20_105
; %bb.96:
	s_and_not1_b32 vcc_lo, exec_lo, s3
	s_cbranch_vccnz .LBB20_98
; %bb.97:
	scratch_load_b64 v[46:47], v45, off
	ds_load_b64 v[48:49], v1
	s_wait_loadcnt_dscnt 0x0
	v_pk_mul_f32 v[50:51], v[48:49], v[46:47] op_sel:[1,1] op_sel_hi:[0,1]
	s_delay_alu instid0(VALU_DEP_1) | instskip(SKIP_1) | instid1(VALU_DEP_2)
	v_pk_fma_f32 v[52:53], v[48:49], v[46:47], v[50:51] op_sel_hi:[1,0,1]
	v_pk_fma_f32 v[46:47], v[48:49], v[46:47], v[50:51] neg_lo:[0,0,1] neg_hi:[0,0,1]
	v_mov_b32_e32 v47, v53
	s_cbranch_execz .LBB20_99
	s_branch .LBB20_100
.LBB20_98:
                                        ; implicit-def: $vgpr46_vgpr47
.LBB20_99:
	ds_load_b64 v[46:47], v1
.LBB20_100:
	s_and_saveexec_b32 s11, s1
	s_cbranch_execz .LBB20_104
; %bb.101:
	v_add_nc_u32_e32 v48, -11, v0
	s_movk_i32 s1, 0x58
	s_movk_i32 s13, 0x108
	s_mov_b32 s12, 0
.LBB20_102:                             ; =>This Inner Loop Header: Depth=1
	scratch_load_b64 v[50:51], off, s1
	v_dual_mov_b32 v49, s13 :: v_dual_add_nc_u32 v48, -1, v48
	s_add_co_i32 s13, s13, 8
	s_wait_xcnt 0x0
	s_add_co_i32 s1, s1, 8
	ds_load_b64 v[52:53], v49
	v_cmp_eq_u32_e32 vcc_lo, 0, v48
	s_or_b32 s12, vcc_lo, s12
	s_wait_loadcnt_dscnt 0x0
	v_pk_mul_f32 v[54:55], v[52:53], v[50:51] op_sel:[1,1] op_sel_hi:[0,1]
	s_delay_alu instid0(VALU_DEP_1) | instskip(SKIP_1) | instid1(VALU_DEP_2)
	v_pk_fma_f32 v[56:57], v[52:53], v[50:51], v[54:55] op_sel_hi:[1,0,1]
	v_pk_fma_f32 v[50:51], v[52:53], v[50:51], v[54:55] neg_lo:[0,0,1] neg_hi:[0,0,1]
	v_mov_b32_e32 v51, v57
	s_delay_alu instid0(VALU_DEP_1)
	v_pk_add_f32 v[46:47], v[46:47], v[50:51]
	s_and_not1_b32 exec_lo, exec_lo, s12
	s_cbranch_execnz .LBB20_102
; %bb.103:
	s_or_b32 exec_lo, exec_lo, s12
.LBB20_104:
	s_delay_alu instid0(SALU_CYCLE_1) | instskip(SKIP_4) | instid1(VALU_DEP_1)
	s_or_b32 exec_lo, exec_lo, s11
	v_mov_b32_e32 v48, 0
	ds_load_b64 v[48:49], v48 offset:80
	s_wait_dscnt 0x0
	v_pk_mul_f32 v[50:51], v[46:47], v[48:49] op_sel:[1,1] op_sel_hi:[0,1]
	v_pk_fma_f32 v[52:53], v[46:47], v[48:49], v[50:51] op_sel_hi:[1,0,1]
	v_pk_fma_f32 v[46:47], v[46:47], v[48:49], v[50:51] neg_lo:[0,0,1] neg_hi:[0,0,1]
	s_delay_alu instid0(VALU_DEP_2)
	v_mov_b32_e32 v47, v53
	scratch_store_b64 off, v[46:47], off offset:80
.LBB20_105:
	s_wait_xcnt 0x0
	s_or_b32 exec_lo, exec_lo, s10
	scratch_load_b64 v[46:47], off, off offset:72
	v_cmp_lt_u32_e64 s1, 9, v0
	s_wait_loadcnt 0x0
	ds_store_b64 v1, v[46:47]
	s_wait_storecnt_dscnt 0x0
	s_barrier_signal -1
	s_barrier_wait -1
	s_wait_xcnt 0x0
	s_and_saveexec_b32 s10, s1
	s_cbranch_execz .LBB20_115
; %bb.106:
	s_and_not1_b32 vcc_lo, exec_lo, s3
	s_cbranch_vccnz .LBB20_108
; %bb.107:
	scratch_load_b64 v[46:47], v45, off
	ds_load_b64 v[48:49], v1
	s_wait_loadcnt_dscnt 0x0
	v_pk_mul_f32 v[50:51], v[48:49], v[46:47] op_sel:[1,1] op_sel_hi:[0,1]
	s_delay_alu instid0(VALU_DEP_1) | instskip(SKIP_1) | instid1(VALU_DEP_2)
	v_pk_fma_f32 v[52:53], v[48:49], v[46:47], v[50:51] op_sel_hi:[1,0,1]
	v_pk_fma_f32 v[46:47], v[48:49], v[46:47], v[50:51] neg_lo:[0,0,1] neg_hi:[0,0,1]
	v_mov_b32_e32 v47, v53
	s_cbranch_execz .LBB20_109
	s_branch .LBB20_110
.LBB20_108:
                                        ; implicit-def: $vgpr46_vgpr47
.LBB20_109:
	ds_load_b64 v[46:47], v1
.LBB20_110:
	s_and_saveexec_b32 s11, s0
	s_cbranch_execz .LBB20_114
; %bb.111:
	v_add_nc_u32_e32 v48, -10, v0
	s_movk_i32 s12, 0x100
	s_mov_b32 s0, 0
.LBB20_112:                             ; =>This Inner Loop Header: Depth=1
	scratch_load_b64 v[50:51], off, s9
	v_dual_mov_b32 v49, s12 :: v_dual_add_nc_u32 v48, -1, v48
	s_add_co_i32 s12, s12, 8
	s_wait_xcnt 0x0
	s_add_co_i32 s9, s9, 8
	ds_load_b64 v[52:53], v49
	v_cmp_eq_u32_e32 vcc_lo, 0, v48
	s_or_b32 s0, vcc_lo, s0
	s_wait_loadcnt_dscnt 0x0
	v_pk_mul_f32 v[54:55], v[52:53], v[50:51] op_sel:[1,1] op_sel_hi:[0,1]
	s_delay_alu instid0(VALU_DEP_1) | instskip(SKIP_1) | instid1(VALU_DEP_2)
	v_pk_fma_f32 v[56:57], v[52:53], v[50:51], v[54:55] op_sel_hi:[1,0,1]
	v_pk_fma_f32 v[50:51], v[52:53], v[50:51], v[54:55] neg_lo:[0,0,1] neg_hi:[0,0,1]
	v_mov_b32_e32 v51, v57
	s_delay_alu instid0(VALU_DEP_1)
	v_pk_add_f32 v[46:47], v[46:47], v[50:51]
	s_and_not1_b32 exec_lo, exec_lo, s0
	s_cbranch_execnz .LBB20_112
; %bb.113:
	s_or_b32 exec_lo, exec_lo, s0
.LBB20_114:
	s_delay_alu instid0(SALU_CYCLE_1) | instskip(SKIP_4) | instid1(VALU_DEP_1)
	s_or_b32 exec_lo, exec_lo, s11
	v_mov_b32_e32 v48, 0
	ds_load_b64 v[48:49], v48 offset:72
	s_wait_dscnt 0x0
	v_pk_mul_f32 v[50:51], v[46:47], v[48:49] op_sel:[1,1] op_sel_hi:[0,1]
	v_pk_fma_f32 v[52:53], v[46:47], v[48:49], v[50:51] op_sel_hi:[1,0,1]
	v_pk_fma_f32 v[46:47], v[46:47], v[48:49], v[50:51] neg_lo:[0,0,1] neg_hi:[0,0,1]
	s_delay_alu instid0(VALU_DEP_2)
	v_mov_b32_e32 v47, v53
	scratch_store_b64 off, v[46:47], off offset:72
.LBB20_115:
	s_wait_xcnt 0x0
	s_or_b32 exec_lo, exec_lo, s10
	scratch_load_b64 v[46:47], off, off offset:64
	v_cmp_lt_u32_e64 s0, 8, v0
	s_wait_loadcnt 0x0
	ds_store_b64 v1, v[46:47]
	s_wait_storecnt_dscnt 0x0
	s_barrier_signal -1
	s_barrier_wait -1
	s_wait_xcnt 0x0
	s_and_saveexec_b32 s9, s0
	s_cbranch_execz .LBB20_125
; %bb.116:
	s_and_not1_b32 vcc_lo, exec_lo, s3
	s_cbranch_vccnz .LBB20_118
; %bb.117:
	scratch_load_b64 v[46:47], v45, off
	ds_load_b64 v[48:49], v1
	s_wait_loadcnt_dscnt 0x0
	v_pk_mul_f32 v[50:51], v[48:49], v[46:47] op_sel:[1,1] op_sel_hi:[0,1]
	s_delay_alu instid0(VALU_DEP_1) | instskip(SKIP_1) | instid1(VALU_DEP_2)
	v_pk_fma_f32 v[52:53], v[48:49], v[46:47], v[50:51] op_sel_hi:[1,0,1]
	v_pk_fma_f32 v[46:47], v[48:49], v[46:47], v[50:51] neg_lo:[0,0,1] neg_hi:[0,0,1]
	v_mov_b32_e32 v47, v53
	s_cbranch_execz .LBB20_119
	s_branch .LBB20_120
.LBB20_118:
                                        ; implicit-def: $vgpr46_vgpr47
.LBB20_119:
	ds_load_b64 v[46:47], v1
.LBB20_120:
	s_and_saveexec_b32 s10, s1
	s_cbranch_execz .LBB20_124
; %bb.121:
	v_add_nc_u32_e32 v48, -9, v0
	s_movk_i32 s1, 0x48
	s_movk_i32 s12, 0xf8
	s_mov_b32 s11, 0
.LBB20_122:                             ; =>This Inner Loop Header: Depth=1
	scratch_load_b64 v[50:51], off, s1
	v_dual_mov_b32 v49, s12 :: v_dual_add_nc_u32 v48, -1, v48
	s_add_co_i32 s12, s12, 8
	s_wait_xcnt 0x0
	s_add_co_i32 s1, s1, 8
	ds_load_b64 v[52:53], v49
	v_cmp_eq_u32_e32 vcc_lo, 0, v48
	s_or_b32 s11, vcc_lo, s11
	s_wait_loadcnt_dscnt 0x0
	v_pk_mul_f32 v[54:55], v[52:53], v[50:51] op_sel:[1,1] op_sel_hi:[0,1]
	s_delay_alu instid0(VALU_DEP_1) | instskip(SKIP_1) | instid1(VALU_DEP_2)
	v_pk_fma_f32 v[56:57], v[52:53], v[50:51], v[54:55] op_sel_hi:[1,0,1]
	v_pk_fma_f32 v[50:51], v[52:53], v[50:51], v[54:55] neg_lo:[0,0,1] neg_hi:[0,0,1]
	v_mov_b32_e32 v51, v57
	s_delay_alu instid0(VALU_DEP_1)
	v_pk_add_f32 v[46:47], v[46:47], v[50:51]
	s_and_not1_b32 exec_lo, exec_lo, s11
	s_cbranch_execnz .LBB20_122
; %bb.123:
	s_or_b32 exec_lo, exec_lo, s11
.LBB20_124:
	s_delay_alu instid0(SALU_CYCLE_1) | instskip(SKIP_4) | instid1(VALU_DEP_1)
	s_or_b32 exec_lo, exec_lo, s10
	v_mov_b32_e32 v48, 0
	ds_load_b64 v[48:49], v48 offset:64
	s_wait_dscnt 0x0
	v_pk_mul_f32 v[50:51], v[46:47], v[48:49] op_sel:[1,1] op_sel_hi:[0,1]
	v_pk_fma_f32 v[52:53], v[46:47], v[48:49], v[50:51] op_sel_hi:[1,0,1]
	v_pk_fma_f32 v[46:47], v[46:47], v[48:49], v[50:51] neg_lo:[0,0,1] neg_hi:[0,0,1]
	s_delay_alu instid0(VALU_DEP_2)
	v_mov_b32_e32 v47, v53
	scratch_store_b64 off, v[46:47], off offset:64
.LBB20_125:
	s_wait_xcnt 0x0
	s_or_b32 exec_lo, exec_lo, s9
	scratch_load_b64 v[46:47], off, off offset:56
	v_cmp_lt_u32_e64 s1, 7, v0
	s_wait_loadcnt 0x0
	ds_store_b64 v1, v[46:47]
	s_wait_storecnt_dscnt 0x0
	s_barrier_signal -1
	s_barrier_wait -1
	s_wait_xcnt 0x0
	s_and_saveexec_b32 s9, s1
	s_cbranch_execz .LBB20_135
; %bb.126:
	s_and_not1_b32 vcc_lo, exec_lo, s3
	s_cbranch_vccnz .LBB20_128
; %bb.127:
	scratch_load_b64 v[46:47], v45, off
	ds_load_b64 v[48:49], v1
	s_wait_loadcnt_dscnt 0x0
	v_pk_mul_f32 v[50:51], v[48:49], v[46:47] op_sel:[1,1] op_sel_hi:[0,1]
	s_delay_alu instid0(VALU_DEP_1) | instskip(SKIP_1) | instid1(VALU_DEP_2)
	v_pk_fma_f32 v[52:53], v[48:49], v[46:47], v[50:51] op_sel_hi:[1,0,1]
	v_pk_fma_f32 v[46:47], v[48:49], v[46:47], v[50:51] neg_lo:[0,0,1] neg_hi:[0,0,1]
	v_mov_b32_e32 v47, v53
	s_cbranch_execz .LBB20_129
	s_branch .LBB20_130
.LBB20_128:
                                        ; implicit-def: $vgpr46_vgpr47
.LBB20_129:
	ds_load_b64 v[46:47], v1
.LBB20_130:
	s_and_saveexec_b32 s10, s0
	s_cbranch_execz .LBB20_134
; %bb.131:
	v_add_nc_u32_e32 v48, -8, v0
	s_movk_i32 s11, 0xf0
	s_mov_b32 s0, 0
.LBB20_132:                             ; =>This Inner Loop Header: Depth=1
	scratch_load_b64 v[50:51], off, s8
	v_dual_mov_b32 v49, s11 :: v_dual_add_nc_u32 v48, -1, v48
	s_add_co_i32 s11, s11, 8
	s_wait_xcnt 0x0
	s_add_co_i32 s8, s8, 8
	ds_load_b64 v[52:53], v49
	v_cmp_eq_u32_e32 vcc_lo, 0, v48
	s_or_b32 s0, vcc_lo, s0
	s_wait_loadcnt_dscnt 0x0
	v_pk_mul_f32 v[54:55], v[52:53], v[50:51] op_sel:[1,1] op_sel_hi:[0,1]
	s_delay_alu instid0(VALU_DEP_1) | instskip(SKIP_1) | instid1(VALU_DEP_2)
	v_pk_fma_f32 v[56:57], v[52:53], v[50:51], v[54:55] op_sel_hi:[1,0,1]
	v_pk_fma_f32 v[50:51], v[52:53], v[50:51], v[54:55] neg_lo:[0,0,1] neg_hi:[0,0,1]
	v_mov_b32_e32 v51, v57
	s_delay_alu instid0(VALU_DEP_1)
	v_pk_add_f32 v[46:47], v[46:47], v[50:51]
	s_and_not1_b32 exec_lo, exec_lo, s0
	s_cbranch_execnz .LBB20_132
; %bb.133:
	s_or_b32 exec_lo, exec_lo, s0
.LBB20_134:
	s_delay_alu instid0(SALU_CYCLE_1) | instskip(SKIP_4) | instid1(VALU_DEP_1)
	s_or_b32 exec_lo, exec_lo, s10
	v_mov_b32_e32 v48, 0
	ds_load_b64 v[48:49], v48 offset:56
	s_wait_dscnt 0x0
	v_pk_mul_f32 v[50:51], v[46:47], v[48:49] op_sel:[1,1] op_sel_hi:[0,1]
	v_pk_fma_f32 v[52:53], v[46:47], v[48:49], v[50:51] op_sel_hi:[1,0,1]
	v_pk_fma_f32 v[46:47], v[46:47], v[48:49], v[50:51] neg_lo:[0,0,1] neg_hi:[0,0,1]
	s_delay_alu instid0(VALU_DEP_2)
	v_mov_b32_e32 v47, v53
	scratch_store_b64 off, v[46:47], off offset:56
.LBB20_135:
	s_wait_xcnt 0x0
	s_or_b32 exec_lo, exec_lo, s9
	scratch_load_b64 v[46:47], off, off offset:48
	v_cmp_lt_u32_e64 s0, 6, v0
	s_wait_loadcnt 0x0
	ds_store_b64 v1, v[46:47]
	s_wait_storecnt_dscnt 0x0
	s_barrier_signal -1
	s_barrier_wait -1
	s_wait_xcnt 0x0
	s_and_saveexec_b32 s8, s0
	s_cbranch_execz .LBB20_145
; %bb.136:
	s_and_not1_b32 vcc_lo, exec_lo, s3
	s_cbranch_vccnz .LBB20_138
; %bb.137:
	scratch_load_b64 v[46:47], v45, off
	ds_load_b64 v[48:49], v1
	s_wait_loadcnt_dscnt 0x0
	v_pk_mul_f32 v[50:51], v[48:49], v[46:47] op_sel:[1,1] op_sel_hi:[0,1]
	s_delay_alu instid0(VALU_DEP_1) | instskip(SKIP_1) | instid1(VALU_DEP_2)
	v_pk_fma_f32 v[52:53], v[48:49], v[46:47], v[50:51] op_sel_hi:[1,0,1]
	v_pk_fma_f32 v[46:47], v[48:49], v[46:47], v[50:51] neg_lo:[0,0,1] neg_hi:[0,0,1]
	v_mov_b32_e32 v47, v53
	s_cbranch_execz .LBB20_139
	s_branch .LBB20_140
.LBB20_138:
                                        ; implicit-def: $vgpr46_vgpr47
.LBB20_139:
	ds_load_b64 v[46:47], v1
.LBB20_140:
	s_and_saveexec_b32 s9, s1
	s_cbranch_execz .LBB20_144
; %bb.141:
	v_add_nc_u32_e32 v48, -7, v0
	s_mov_b32 s1, 56
	s_movk_i32 s11, 0xe8
	s_mov_b32 s10, 0
.LBB20_142:                             ; =>This Inner Loop Header: Depth=1
	scratch_load_b64 v[50:51], off, s1
	v_dual_mov_b32 v49, s11 :: v_dual_add_nc_u32 v48, -1, v48
	s_add_co_i32 s11, s11, 8
	s_wait_xcnt 0x0
	s_add_co_i32 s1, s1, 8
	ds_load_b64 v[52:53], v49
	v_cmp_eq_u32_e32 vcc_lo, 0, v48
	s_or_b32 s10, vcc_lo, s10
	s_wait_loadcnt_dscnt 0x0
	v_pk_mul_f32 v[54:55], v[52:53], v[50:51] op_sel:[1,1] op_sel_hi:[0,1]
	s_delay_alu instid0(VALU_DEP_1) | instskip(SKIP_1) | instid1(VALU_DEP_2)
	v_pk_fma_f32 v[56:57], v[52:53], v[50:51], v[54:55] op_sel_hi:[1,0,1]
	v_pk_fma_f32 v[50:51], v[52:53], v[50:51], v[54:55] neg_lo:[0,0,1] neg_hi:[0,0,1]
	v_mov_b32_e32 v51, v57
	s_delay_alu instid0(VALU_DEP_1)
	v_pk_add_f32 v[46:47], v[46:47], v[50:51]
	s_and_not1_b32 exec_lo, exec_lo, s10
	s_cbranch_execnz .LBB20_142
; %bb.143:
	s_or_b32 exec_lo, exec_lo, s10
.LBB20_144:
	s_delay_alu instid0(SALU_CYCLE_1) | instskip(SKIP_4) | instid1(VALU_DEP_1)
	s_or_b32 exec_lo, exec_lo, s9
	v_mov_b32_e32 v48, 0
	ds_load_b64 v[48:49], v48 offset:48
	s_wait_dscnt 0x0
	v_pk_mul_f32 v[50:51], v[46:47], v[48:49] op_sel:[1,1] op_sel_hi:[0,1]
	v_pk_fma_f32 v[52:53], v[46:47], v[48:49], v[50:51] op_sel_hi:[1,0,1]
	v_pk_fma_f32 v[46:47], v[46:47], v[48:49], v[50:51] neg_lo:[0,0,1] neg_hi:[0,0,1]
	s_delay_alu instid0(VALU_DEP_2)
	v_mov_b32_e32 v47, v53
	scratch_store_b64 off, v[46:47], off offset:48
.LBB20_145:
	s_wait_xcnt 0x0
	s_or_b32 exec_lo, exec_lo, s8
	scratch_load_b64 v[46:47], off, off offset:40
	v_cmp_lt_u32_e64 s1, 5, v0
	s_wait_loadcnt 0x0
	ds_store_b64 v1, v[46:47]
	s_wait_storecnt_dscnt 0x0
	s_barrier_signal -1
	s_barrier_wait -1
	s_wait_xcnt 0x0
	s_and_saveexec_b32 s8, s1
	s_cbranch_execz .LBB20_155
; %bb.146:
	s_and_not1_b32 vcc_lo, exec_lo, s3
	s_cbranch_vccnz .LBB20_148
; %bb.147:
	scratch_load_b64 v[46:47], v45, off
	ds_load_b64 v[48:49], v1
	s_wait_loadcnt_dscnt 0x0
	v_pk_mul_f32 v[50:51], v[48:49], v[46:47] op_sel:[1,1] op_sel_hi:[0,1]
	s_delay_alu instid0(VALU_DEP_1) | instskip(SKIP_1) | instid1(VALU_DEP_2)
	v_pk_fma_f32 v[52:53], v[48:49], v[46:47], v[50:51] op_sel_hi:[1,0,1]
	v_pk_fma_f32 v[46:47], v[48:49], v[46:47], v[50:51] neg_lo:[0,0,1] neg_hi:[0,0,1]
	v_mov_b32_e32 v47, v53
	s_cbranch_execz .LBB20_149
	s_branch .LBB20_150
.LBB20_148:
                                        ; implicit-def: $vgpr46_vgpr47
.LBB20_149:
	ds_load_b64 v[46:47], v1
.LBB20_150:
	s_and_saveexec_b32 s9, s0
	s_cbranch_execz .LBB20_154
; %bb.151:
	v_add_nc_u32_e32 v48, -6, v0
	s_movk_i32 s10, 0xe0
	s_mov_b32 s0, 0
.LBB20_152:                             ; =>This Inner Loop Header: Depth=1
	scratch_load_b64 v[50:51], off, s2
	v_dual_mov_b32 v49, s10 :: v_dual_add_nc_u32 v48, -1, v48
	s_add_co_i32 s10, s10, 8
	s_wait_xcnt 0x0
	s_add_co_i32 s2, s2, 8
	ds_load_b64 v[52:53], v49
	v_cmp_eq_u32_e32 vcc_lo, 0, v48
	s_or_b32 s0, vcc_lo, s0
	s_wait_loadcnt_dscnt 0x0
	v_pk_mul_f32 v[54:55], v[52:53], v[50:51] op_sel:[1,1] op_sel_hi:[0,1]
	s_delay_alu instid0(VALU_DEP_1) | instskip(SKIP_1) | instid1(VALU_DEP_2)
	v_pk_fma_f32 v[56:57], v[52:53], v[50:51], v[54:55] op_sel_hi:[1,0,1]
	v_pk_fma_f32 v[50:51], v[52:53], v[50:51], v[54:55] neg_lo:[0,0,1] neg_hi:[0,0,1]
	v_mov_b32_e32 v51, v57
	s_delay_alu instid0(VALU_DEP_1)
	v_pk_add_f32 v[46:47], v[46:47], v[50:51]
	s_and_not1_b32 exec_lo, exec_lo, s0
	s_cbranch_execnz .LBB20_152
; %bb.153:
	s_or_b32 exec_lo, exec_lo, s0
.LBB20_154:
	s_delay_alu instid0(SALU_CYCLE_1) | instskip(SKIP_4) | instid1(VALU_DEP_1)
	s_or_b32 exec_lo, exec_lo, s9
	v_mov_b32_e32 v48, 0
	ds_load_b64 v[48:49], v48 offset:40
	s_wait_dscnt 0x0
	v_pk_mul_f32 v[50:51], v[46:47], v[48:49] op_sel:[1,1] op_sel_hi:[0,1]
	v_pk_fma_f32 v[52:53], v[46:47], v[48:49], v[50:51] op_sel_hi:[1,0,1]
	v_pk_fma_f32 v[46:47], v[46:47], v[48:49], v[50:51] neg_lo:[0,0,1] neg_hi:[0,0,1]
	s_delay_alu instid0(VALU_DEP_2)
	v_mov_b32_e32 v47, v53
	scratch_store_b64 off, v[46:47], off offset:40
.LBB20_155:
	s_wait_xcnt 0x0
	s_or_b32 exec_lo, exec_lo, s8
	scratch_load_b64 v[46:47], off, off offset:32
	v_cmp_lt_u32_e64 s0, 4, v0
	s_wait_loadcnt 0x0
	ds_store_b64 v1, v[46:47]
	s_wait_storecnt_dscnt 0x0
	s_barrier_signal -1
	s_barrier_wait -1
	s_wait_xcnt 0x0
	s_and_saveexec_b32 s2, s0
	s_cbranch_execz .LBB20_165
; %bb.156:
	s_and_not1_b32 vcc_lo, exec_lo, s3
	s_cbranch_vccnz .LBB20_158
; %bb.157:
	scratch_load_b64 v[46:47], v45, off
	ds_load_b64 v[48:49], v1
	s_wait_loadcnt_dscnt 0x0
	v_pk_mul_f32 v[50:51], v[48:49], v[46:47] op_sel:[1,1] op_sel_hi:[0,1]
	s_delay_alu instid0(VALU_DEP_1) | instskip(SKIP_1) | instid1(VALU_DEP_2)
	v_pk_fma_f32 v[52:53], v[48:49], v[46:47], v[50:51] op_sel_hi:[1,0,1]
	v_pk_fma_f32 v[46:47], v[48:49], v[46:47], v[50:51] neg_lo:[0,0,1] neg_hi:[0,0,1]
	v_mov_b32_e32 v47, v53
	s_cbranch_execz .LBB20_159
	s_branch .LBB20_160
.LBB20_158:
                                        ; implicit-def: $vgpr46_vgpr47
.LBB20_159:
	ds_load_b64 v[46:47], v1
.LBB20_160:
	s_and_saveexec_b32 s8, s1
	s_cbranch_execz .LBB20_164
; %bb.161:
	v_add_nc_u32_e32 v48, -5, v0
	s_mov_b32 s1, 40
	s_movk_i32 s10, 0xd8
	s_mov_b32 s9, 0
.LBB20_162:                             ; =>This Inner Loop Header: Depth=1
	scratch_load_b64 v[50:51], off, s1
	v_dual_mov_b32 v49, s10 :: v_dual_add_nc_u32 v48, -1, v48
	s_add_co_i32 s10, s10, 8
	s_wait_xcnt 0x0
	s_add_co_i32 s1, s1, 8
	ds_load_b64 v[52:53], v49
	v_cmp_eq_u32_e32 vcc_lo, 0, v48
	s_or_b32 s9, vcc_lo, s9
	s_wait_loadcnt_dscnt 0x0
	v_pk_mul_f32 v[54:55], v[52:53], v[50:51] op_sel:[1,1] op_sel_hi:[0,1]
	s_delay_alu instid0(VALU_DEP_1) | instskip(SKIP_1) | instid1(VALU_DEP_2)
	v_pk_fma_f32 v[56:57], v[52:53], v[50:51], v[54:55] op_sel_hi:[1,0,1]
	v_pk_fma_f32 v[50:51], v[52:53], v[50:51], v[54:55] neg_lo:[0,0,1] neg_hi:[0,0,1]
	v_mov_b32_e32 v51, v57
	s_delay_alu instid0(VALU_DEP_1)
	v_pk_add_f32 v[46:47], v[46:47], v[50:51]
	s_and_not1_b32 exec_lo, exec_lo, s9
	s_cbranch_execnz .LBB20_162
; %bb.163:
	s_or_b32 exec_lo, exec_lo, s9
.LBB20_164:
	s_delay_alu instid0(SALU_CYCLE_1) | instskip(SKIP_4) | instid1(VALU_DEP_1)
	s_or_b32 exec_lo, exec_lo, s8
	v_mov_b32_e32 v48, 0
	ds_load_b64 v[48:49], v48 offset:32
	s_wait_dscnt 0x0
	v_pk_mul_f32 v[50:51], v[46:47], v[48:49] op_sel:[1,1] op_sel_hi:[0,1]
	v_pk_fma_f32 v[52:53], v[46:47], v[48:49], v[50:51] op_sel_hi:[1,0,1]
	v_pk_fma_f32 v[46:47], v[46:47], v[48:49], v[50:51] neg_lo:[0,0,1] neg_hi:[0,0,1]
	s_delay_alu instid0(VALU_DEP_2)
	v_mov_b32_e32 v47, v53
	scratch_store_b64 off, v[46:47], off offset:32
.LBB20_165:
	s_wait_xcnt 0x0
	s_or_b32 exec_lo, exec_lo, s2
	scratch_load_b64 v[46:47], off, off offset:24
	v_cmp_lt_u32_e64 s2, 3, v0
	s_wait_loadcnt 0x0
	ds_store_b64 v1, v[46:47]
	s_wait_storecnt_dscnt 0x0
	s_barrier_signal -1
	s_barrier_wait -1
	s_wait_xcnt 0x0
	s_and_saveexec_b32 s1, s2
	s_cbranch_execz .LBB20_175
; %bb.166:
	s_and_not1_b32 vcc_lo, exec_lo, s3
	s_cbranch_vccnz .LBB20_168
; %bb.167:
	scratch_load_b64 v[46:47], v45, off
	ds_load_b64 v[48:49], v1
	s_wait_loadcnt_dscnt 0x0
	v_pk_mul_f32 v[50:51], v[48:49], v[46:47] op_sel:[1,1] op_sel_hi:[0,1]
	s_delay_alu instid0(VALU_DEP_1) | instskip(SKIP_1) | instid1(VALU_DEP_2)
	v_pk_fma_f32 v[52:53], v[48:49], v[46:47], v[50:51] op_sel_hi:[1,0,1]
	v_pk_fma_f32 v[46:47], v[48:49], v[46:47], v[50:51] neg_lo:[0,0,1] neg_hi:[0,0,1]
	v_mov_b32_e32 v47, v53
	s_cbranch_execz .LBB20_169
	s_branch .LBB20_170
.LBB20_168:
                                        ; implicit-def: $vgpr46_vgpr47
.LBB20_169:
	ds_load_b64 v[46:47], v1
.LBB20_170:
	s_and_saveexec_b32 s8, s0
	s_cbranch_execz .LBB20_174
; %bb.171:
	v_add_nc_u32_e32 v48, -4, v0
	s_movk_i32 s9, 0xd0
	s_mov_b32 s0, 0
.LBB20_172:                             ; =>This Inner Loop Header: Depth=1
	scratch_load_b64 v[50:51], off, s5
	v_dual_mov_b32 v49, s9 :: v_dual_add_nc_u32 v48, -1, v48
	s_add_co_i32 s9, s9, 8
	s_wait_xcnt 0x0
	s_add_co_i32 s5, s5, 8
	ds_load_b64 v[52:53], v49
	v_cmp_eq_u32_e32 vcc_lo, 0, v48
	s_or_b32 s0, vcc_lo, s0
	s_wait_loadcnt_dscnt 0x0
	v_pk_mul_f32 v[54:55], v[52:53], v[50:51] op_sel:[1,1] op_sel_hi:[0,1]
	s_delay_alu instid0(VALU_DEP_1) | instskip(SKIP_1) | instid1(VALU_DEP_2)
	v_pk_fma_f32 v[56:57], v[52:53], v[50:51], v[54:55] op_sel_hi:[1,0,1]
	v_pk_fma_f32 v[50:51], v[52:53], v[50:51], v[54:55] neg_lo:[0,0,1] neg_hi:[0,0,1]
	v_mov_b32_e32 v51, v57
	s_delay_alu instid0(VALU_DEP_1)
	v_pk_add_f32 v[46:47], v[46:47], v[50:51]
	s_and_not1_b32 exec_lo, exec_lo, s0
	s_cbranch_execnz .LBB20_172
; %bb.173:
	s_or_b32 exec_lo, exec_lo, s0
.LBB20_174:
	s_delay_alu instid0(SALU_CYCLE_1) | instskip(SKIP_4) | instid1(VALU_DEP_1)
	s_or_b32 exec_lo, exec_lo, s8
	v_mov_b32_e32 v48, 0
	ds_load_b64 v[48:49], v48 offset:24
	s_wait_dscnt 0x0
	v_pk_mul_f32 v[50:51], v[46:47], v[48:49] op_sel:[1,1] op_sel_hi:[0,1]
	v_pk_fma_f32 v[52:53], v[46:47], v[48:49], v[50:51] op_sel_hi:[1,0,1]
	v_pk_fma_f32 v[46:47], v[46:47], v[48:49], v[50:51] neg_lo:[0,0,1] neg_hi:[0,0,1]
	s_delay_alu instid0(VALU_DEP_2)
	v_mov_b32_e32 v47, v53
	scratch_store_b64 off, v[46:47], off offset:24
.LBB20_175:
	s_wait_xcnt 0x0
	s_or_b32 exec_lo, exec_lo, s1
	scratch_load_b64 v[46:47], off, off offset:16
	v_cmp_lt_u32_e64 s1, 2, v0
	s_wait_loadcnt 0x0
	ds_store_b64 v1, v[46:47]
	s_wait_storecnt_dscnt 0x0
	s_barrier_signal -1
	s_barrier_wait -1
	s_wait_xcnt 0x0
	s_and_saveexec_b32 s0, s1
	s_cbranch_execz .LBB20_185
; %bb.176:
	s_and_not1_b32 vcc_lo, exec_lo, s3
	s_cbranch_vccnz .LBB20_178
; %bb.177:
	scratch_load_b64 v[46:47], v45, off
	ds_load_b64 v[48:49], v1
	s_wait_loadcnt_dscnt 0x0
	v_pk_mul_f32 v[50:51], v[48:49], v[46:47] op_sel:[1,1] op_sel_hi:[0,1]
	s_delay_alu instid0(VALU_DEP_1) | instskip(SKIP_1) | instid1(VALU_DEP_2)
	v_pk_fma_f32 v[52:53], v[48:49], v[46:47], v[50:51] op_sel_hi:[1,0,1]
	v_pk_fma_f32 v[46:47], v[48:49], v[46:47], v[50:51] neg_lo:[0,0,1] neg_hi:[0,0,1]
	v_mov_b32_e32 v47, v53
	s_cbranch_execz .LBB20_179
	s_branch .LBB20_180
.LBB20_178:
                                        ; implicit-def: $vgpr46_vgpr47
.LBB20_179:
	ds_load_b64 v[46:47], v1
.LBB20_180:
	s_and_saveexec_b32 s5, s2
	s_cbranch_execz .LBB20_184
; %bb.181:
	v_add_nc_u32_e32 v48, -3, v0
	s_mov_b32 s2, 24
	s_movk_i32 s9, 0xc8
	s_mov_b32 s8, 0
.LBB20_182:                             ; =>This Inner Loop Header: Depth=1
	scratch_load_b64 v[50:51], off, s2
	v_dual_mov_b32 v49, s9 :: v_dual_add_nc_u32 v48, -1, v48
	s_add_co_i32 s9, s9, 8
	s_wait_xcnt 0x0
	s_add_co_i32 s2, s2, 8
	ds_load_b64 v[52:53], v49
	v_cmp_eq_u32_e32 vcc_lo, 0, v48
	s_or_b32 s8, vcc_lo, s8
	s_wait_loadcnt_dscnt 0x0
	v_pk_mul_f32 v[54:55], v[52:53], v[50:51] op_sel:[1,1] op_sel_hi:[0,1]
	s_delay_alu instid0(VALU_DEP_1) | instskip(SKIP_1) | instid1(VALU_DEP_2)
	v_pk_fma_f32 v[56:57], v[52:53], v[50:51], v[54:55] op_sel_hi:[1,0,1]
	v_pk_fma_f32 v[50:51], v[52:53], v[50:51], v[54:55] neg_lo:[0,0,1] neg_hi:[0,0,1]
	v_mov_b32_e32 v51, v57
	s_delay_alu instid0(VALU_DEP_1)
	v_pk_add_f32 v[46:47], v[46:47], v[50:51]
	s_and_not1_b32 exec_lo, exec_lo, s8
	s_cbranch_execnz .LBB20_182
; %bb.183:
	s_or_b32 exec_lo, exec_lo, s8
.LBB20_184:
	s_delay_alu instid0(SALU_CYCLE_1) | instskip(SKIP_4) | instid1(VALU_DEP_1)
	s_or_b32 exec_lo, exec_lo, s5
	v_mov_b32_e32 v48, 0
	ds_load_b64 v[48:49], v48 offset:16
	s_wait_dscnt 0x0
	v_pk_mul_f32 v[50:51], v[46:47], v[48:49] op_sel:[1,1] op_sel_hi:[0,1]
	v_pk_fma_f32 v[52:53], v[46:47], v[48:49], v[50:51] op_sel_hi:[1,0,1]
	v_pk_fma_f32 v[46:47], v[46:47], v[48:49], v[50:51] neg_lo:[0,0,1] neg_hi:[0,0,1]
	s_delay_alu instid0(VALU_DEP_2)
	v_mov_b32_e32 v47, v53
	scratch_store_b64 off, v[46:47], off offset:16
.LBB20_185:
	s_wait_xcnt 0x0
	s_or_b32 exec_lo, exec_lo, s0
	scratch_load_b64 v[46:47], off, off offset:8
	v_cmp_lt_u32_e64 s0, 1, v0
	s_wait_loadcnt 0x0
	ds_store_b64 v1, v[46:47]
	s_wait_storecnt_dscnt 0x0
	s_barrier_signal -1
	s_barrier_wait -1
	s_wait_xcnt 0x0
	s_and_saveexec_b32 s2, s0
	s_cbranch_execz .LBB20_195
; %bb.186:
	s_and_not1_b32 vcc_lo, exec_lo, s3
	s_cbranch_vccnz .LBB20_188
; %bb.187:
	scratch_load_b64 v[46:47], v45, off
	ds_load_b64 v[48:49], v1
	s_wait_loadcnt_dscnt 0x0
	v_pk_mul_f32 v[50:51], v[48:49], v[46:47] op_sel:[1,1] op_sel_hi:[0,1]
	s_delay_alu instid0(VALU_DEP_1) | instskip(SKIP_1) | instid1(VALU_DEP_2)
	v_pk_fma_f32 v[52:53], v[48:49], v[46:47], v[50:51] op_sel_hi:[1,0,1]
	v_pk_fma_f32 v[46:47], v[48:49], v[46:47], v[50:51] neg_lo:[0,0,1] neg_hi:[0,0,1]
	v_mov_b32_e32 v47, v53
	s_cbranch_execz .LBB20_189
	s_branch .LBB20_190
.LBB20_188:
                                        ; implicit-def: $vgpr46_vgpr47
.LBB20_189:
	ds_load_b64 v[46:47], v1
.LBB20_190:
	s_and_saveexec_b32 s5, s1
	s_cbranch_execz .LBB20_194
; %bb.191:
	v_add_nc_u32_e32 v48, -2, v0
	s_movk_i32 s8, 0xc0
	s_mov_b32 s1, 0
.LBB20_192:                             ; =>This Inner Loop Header: Depth=1
	scratch_load_b64 v[50:51], off, s4
	v_dual_mov_b32 v49, s8 :: v_dual_add_nc_u32 v48, -1, v48
	s_add_co_i32 s8, s8, 8
	s_wait_xcnt 0x0
	s_add_co_i32 s4, s4, 8
	ds_load_b64 v[52:53], v49
	v_cmp_eq_u32_e32 vcc_lo, 0, v48
	s_or_b32 s1, vcc_lo, s1
	s_wait_loadcnt_dscnt 0x0
	v_pk_mul_f32 v[54:55], v[52:53], v[50:51] op_sel:[1,1] op_sel_hi:[0,1]
	s_delay_alu instid0(VALU_DEP_1) | instskip(SKIP_1) | instid1(VALU_DEP_2)
	v_pk_fma_f32 v[56:57], v[52:53], v[50:51], v[54:55] op_sel_hi:[1,0,1]
	v_pk_fma_f32 v[50:51], v[52:53], v[50:51], v[54:55] neg_lo:[0,0,1] neg_hi:[0,0,1]
	v_mov_b32_e32 v51, v57
	s_delay_alu instid0(VALU_DEP_1)
	v_pk_add_f32 v[46:47], v[46:47], v[50:51]
	s_and_not1_b32 exec_lo, exec_lo, s1
	s_cbranch_execnz .LBB20_192
; %bb.193:
	s_or_b32 exec_lo, exec_lo, s1
.LBB20_194:
	s_delay_alu instid0(SALU_CYCLE_1) | instskip(SKIP_4) | instid1(VALU_DEP_1)
	s_or_b32 exec_lo, exec_lo, s5
	v_mov_b32_e32 v48, 0
	ds_load_b64 v[48:49], v48 offset:8
	s_wait_dscnt 0x0
	v_pk_mul_f32 v[50:51], v[46:47], v[48:49] op_sel:[1,1] op_sel_hi:[0,1]
	v_pk_fma_f32 v[52:53], v[46:47], v[48:49], v[50:51] op_sel_hi:[1,0,1]
	v_pk_fma_f32 v[46:47], v[46:47], v[48:49], v[50:51] neg_lo:[0,0,1] neg_hi:[0,0,1]
	s_delay_alu instid0(VALU_DEP_2)
	v_mov_b32_e32 v47, v53
	scratch_store_b64 off, v[46:47], off offset:8
.LBB20_195:
	s_wait_xcnt 0x0
	s_or_b32 exec_lo, exec_lo, s2
	scratch_load_b64 v[46:47], off, off
	s_mov_b32 s2, 0
	s_mov_b32 s1, 0
	s_mov_b32 s4, exec_lo
                                        ; implicit-def: $vgpr52
                                        ; implicit-def: $sgpr5
	s_wait_loadcnt 0x0
	ds_store_b64 v1, v[46:47]
	s_wait_storecnt_dscnt 0x0
	s_barrier_signal -1
	s_barrier_wait -1
	s_wait_xcnt 0x0
	v_cmpx_ne_u32_e32 0, v0
	s_cbranch_execz .LBB20_205
; %bb.196:
	s_and_not1_b32 vcc_lo, exec_lo, s3
	s_cbranch_vccnz .LBB20_198
; %bb.197:
	scratch_load_b64 v[48:49], v45, off
	ds_load_b64 v[50:51], v1
	s_wait_loadcnt_dscnt 0x0
	v_dual_mul_f32 v46, v51, v49 :: v_dual_mul_f32 v47, v50, v49
	s_delay_alu instid0(VALU_DEP_1)
	v_dual_fma_f32 v46, v50, v48, -v46 :: v_dual_fmac_f32 v47, v51, v48
	s_and_not1_b32 vcc_lo, exec_lo, s1
	s_cbranch_vccz .LBB20_199
	s_branch .LBB20_200
.LBB20_198:
                                        ; implicit-def: $vgpr46
.LBB20_199:
	ds_load_b64 v[46:47], v1
.LBB20_200:
	s_and_saveexec_b32 s1, s0
	s_cbranch_execz .LBB20_204
; %bb.201:
	v_add_nc_u32_e32 v48, -1, v0
	s_or_b32 s0, 0, 8
	s_movk_i32 s8, 0xb8
	s_mov_b32 s5, 0
.LBB20_202:                             ; =>This Inner Loop Header: Depth=1
	scratch_load_b64 v[50:51], off, s0
	v_mov_b32_e32 v49, s8
	s_add_co_i32 s8, s8, 8
	s_wait_xcnt 0x0
	s_add_co_i32 s0, s0, 8
	v_add_nc_u32_e32 v48, -1, v48
	ds_load_b64 v[52:53], v49
	v_cmp_eq_u32_e32 vcc_lo, 0, v48
	s_or_b32 s5, vcc_lo, s5
	s_wait_loadcnt_dscnt 0x0
	v_dual_mul_f32 v49, v53, v51 :: v_dual_mul_f32 v51, v52, v51
	s_delay_alu instid0(VALU_DEP_1) | instskip(NEXT) | instid1(VALU_DEP_1)
	v_dual_fma_f32 v49, v52, v50, -v49 :: v_dual_fmac_f32 v51, v53, v50
	v_dual_add_f32 v46, v46, v49 :: v_dual_add_f32 v47, v47, v51
	s_and_not1_b32 exec_lo, exec_lo, s5
	s_cbranch_execnz .LBB20_202
; %bb.203:
	s_or_b32 exec_lo, exec_lo, s5
.LBB20_204:
	s_delay_alu instid0(SALU_CYCLE_1)
	s_or_b32 exec_lo, exec_lo, s1
	v_mov_b32_e32 v48, 0
	s_mov_b32 s1, exec_lo
	s_or_b32 s5, 0, 4
	ds_load_b64 v[48:49], v48
	s_wait_dscnt 0x0
	v_dual_mul_f32 v50, v47, v49 :: v_dual_mul_f32 v52, v46, v49
	s_delay_alu instid0(VALU_DEP_1)
	v_dual_fma_f32 v46, v46, v48, -v50 :: v_dual_fmac_f32 v52, v47, v48
	scratch_store_b32 off, v46, off
.LBB20_205:
	s_wait_xcnt 0x0
	s_or_b32 exec_lo, exec_lo, s4
	s_delay_alu instid0(SALU_CYCLE_1)
	s_and_b32 vcc_lo, exec_lo, s2
	s_cbranch_vccz .LBB20_401
.LBB20_206:
	scratch_load_b64 v[46:47], off, off offset:8
	v_cmp_eq_u32_e64 s0, 0, v0
	s_wait_loadcnt 0x0
	ds_store_b64 v1, v[46:47]
	s_wait_storecnt_dscnt 0x0
	s_barrier_signal -1
	s_barrier_wait -1
	s_wait_xcnt 0x0
	s_and_saveexec_b32 s2, s0
	s_cbranch_execz .LBB20_212
; %bb.207:
	s_and_b32 vcc_lo, exec_lo, s3
	s_cbranch_vccz .LBB20_209
; %bb.208:
	scratch_load_b64 v[46:47], v45, off
	ds_load_b64 v[48:49], v1
	s_wait_loadcnt_dscnt 0x0
	v_pk_mul_f32 v[50:51], v[48:49], v[46:47] op_sel:[1,1] op_sel_hi:[0,1]
	v_pk_mul_f32 v[52:53], v[48:49], v[46:47] op_sel_hi:[1,0]
	s_delay_alu instid0(VALU_DEP_2) | instskip(NEXT) | instid1(VALU_DEP_2)
	v_pk_fma_f32 v[46:47], v[48:49], v[46:47], v[50:51] op_sel_hi:[1,0,1]
	v_sub_f32_e32 v46, v52, v50
	s_cbranch_execz .LBB20_210
	s_branch .LBB20_211
.LBB20_209:
                                        ; implicit-def: $vgpr47
.LBB20_210:
	ds_load_b64 v[46:47], v1
.LBB20_211:
	s_wait_dscnt 0x0
	v_dual_mov_b32 v48, 0 :: v_dual_mov_b32 v50, v47
	v_mov_b32_e32 v51, v46
	ds_load_b64 v[48:49], v48 offset:8
	s_wait_dscnt 0x0
	v_pk_mul_f32 v[50:51], v[50:51], v[48:49] op_sel:[0,1]
	s_delay_alu instid0(VALU_DEP_1) | instskip(SKIP_1) | instid1(VALU_DEP_2)
	v_pk_fma_f32 v[52:53], v[46:47], v[48:49], v[50:51] op_sel_hi:[1,0,1]
	v_pk_fma_f32 v[46:47], v[46:47], v[48:49], v[50:51] neg_lo:[0,0,1] neg_hi:[0,0,1]
	v_mov_b32_e32 v47, v53
	scratch_store_b64 off, v[46:47], off offset:8
.LBB20_212:
	s_wait_xcnt 0x0
	s_or_b32 exec_lo, exec_lo, s2
	scratch_load_b64 v[46:47], off, off offset:16
	v_cndmask_b32_e64 v48, 0, 1, s3
	s_mov_b32 s2, exec_lo
	s_wait_loadcnt 0x0
	ds_store_b64 v1, v[46:47]
	s_wait_storecnt_dscnt 0x0
	s_barrier_signal -1
	s_barrier_wait -1
	s_wait_xcnt 0x0
	v_cmpx_gt_u32_e32 2, v0
	s_cbranch_execz .LBB20_220
; %bb.213:
	s_and_not1_b32 vcc_lo, exec_lo, s3
	s_cbranch_vccnz .LBB20_215
; %bb.214:
	scratch_load_b64 v[46:47], v45, off
	ds_load_b64 v[50:51], v1
	s_wait_loadcnt_dscnt 0x0
	v_pk_mul_f32 v[52:53], v[50:51], v[46:47] op_sel:[1,1] op_sel_hi:[0,1]
	s_delay_alu instid0(VALU_DEP_1) | instskip(SKIP_1) | instid1(VALU_DEP_2)
	v_pk_fma_f32 v[54:55], v[50:51], v[46:47], v[52:53] op_sel_hi:[1,0,1]
	v_pk_fma_f32 v[46:47], v[50:51], v[46:47], v[52:53] neg_lo:[0,0,1] neg_hi:[0,0,1]
	v_mov_b32_e32 v47, v55
	s_cbranch_execz .LBB20_216
	s_branch .LBB20_217
.LBB20_215:
                                        ; implicit-def: $vgpr46_vgpr47
.LBB20_216:
	ds_load_b64 v[46:47], v1
.LBB20_217:
	s_and_saveexec_b32 s3, s0
	s_cbranch_execz .LBB20_219
; %bb.218:
	scratch_load_b64 v[50:51], off, off offset:8
	v_mov_b32_e32 v49, 0
	ds_load_b64 v[52:53], v49 offset:184
	s_wait_loadcnt_dscnt 0x0
	v_pk_mul_f32 v[54:55], v[52:53], v[50:51] op_sel:[1,1] op_sel_hi:[0,1]
	s_delay_alu instid0(VALU_DEP_1) | instskip(SKIP_1) | instid1(VALU_DEP_2)
	v_pk_fma_f32 v[56:57], v[52:53], v[50:51], v[54:55] op_sel_hi:[1,0,1]
	v_pk_fma_f32 v[50:51], v[52:53], v[50:51], v[54:55] neg_lo:[0,0,1] neg_hi:[0,0,1]
	v_mov_b32_e32 v51, v57
	s_delay_alu instid0(VALU_DEP_1)
	v_pk_add_f32 v[46:47], v[46:47], v[50:51]
.LBB20_219:
	s_or_b32 exec_lo, exec_lo, s3
	v_mov_b32_e32 v49, 0
	ds_load_b64 v[50:51], v49 offset:16
	s_wait_dscnt 0x0
	v_pk_mul_f32 v[52:53], v[46:47], v[50:51] op_sel:[1,1] op_sel_hi:[0,1]
	s_delay_alu instid0(VALU_DEP_1) | instskip(SKIP_1) | instid1(VALU_DEP_2)
	v_pk_fma_f32 v[54:55], v[46:47], v[50:51], v[52:53] op_sel_hi:[1,0,1]
	v_pk_fma_f32 v[46:47], v[46:47], v[50:51], v[52:53] neg_lo:[0,0,1] neg_hi:[0,0,1]
	v_mov_b32_e32 v47, v55
	scratch_store_b64 off, v[46:47], off offset:16
.LBB20_220:
	s_wait_xcnt 0x0
	s_or_b32 exec_lo, exec_lo, s2
	scratch_load_b64 v[46:47], off, off offset:24
	s_mov_b32 s2, exec_lo
	s_wait_loadcnt 0x0
	ds_store_b64 v1, v[46:47]
	s_wait_storecnt_dscnt 0x0
	s_barrier_signal -1
	s_barrier_wait -1
	s_wait_xcnt 0x0
	v_cmpx_gt_u32_e32 3, v0
	s_cbranch_execz .LBB20_230
; %bb.221:
	v_cmp_ne_u32_e32 vcc_lo, 1, v48
	s_cbranch_vccnz .LBB20_223
; %bb.222:
	scratch_load_b64 v[46:47], v45, off
	ds_load_b64 v[50:51], v1
	s_wait_loadcnt_dscnt 0x0
	v_pk_mul_f32 v[52:53], v[50:51], v[46:47] op_sel:[1,1] op_sel_hi:[0,1]
	s_delay_alu instid0(VALU_DEP_1) | instskip(SKIP_1) | instid1(VALU_DEP_2)
	v_pk_fma_f32 v[54:55], v[50:51], v[46:47], v[52:53] op_sel_hi:[1,0,1]
	v_pk_fma_f32 v[46:47], v[50:51], v[46:47], v[52:53] neg_lo:[0,0,1] neg_hi:[0,0,1]
	v_mov_b32_e32 v47, v55
	s_cbranch_execz .LBB20_224
	s_branch .LBB20_225
.LBB20_223:
                                        ; implicit-def: $vgpr46_vgpr47
.LBB20_224:
	ds_load_b64 v[46:47], v1
.LBB20_225:
	s_mov_b32 s3, exec_lo
	v_cmpx_ne_u32_e32 2, v0
	s_cbranch_execz .LBB20_229
; %bb.226:
	scratch_load_b64 v[50:51], v45, off offset:8
	ds_load_b64 v[52:53], v1 offset:8
	s_wait_loadcnt_dscnt 0x0
	v_pk_mul_f32 v[54:55], v[52:53], v[50:51] op_sel:[1,1] op_sel_hi:[0,1]
	s_delay_alu instid0(VALU_DEP_1) | instskip(SKIP_1) | instid1(VALU_DEP_2)
	v_pk_fma_f32 v[56:57], v[52:53], v[50:51], v[54:55] op_sel_hi:[1,0,1]
	v_pk_fma_f32 v[50:51], v[52:53], v[50:51], v[54:55] neg_lo:[0,0,1] neg_hi:[0,0,1]
	v_mov_b32_e32 v51, v57
	s_delay_alu instid0(VALU_DEP_1)
	v_pk_add_f32 v[46:47], v[46:47], v[50:51]
	s_and_saveexec_b32 s4, s0
	s_cbranch_execz .LBB20_228
; %bb.227:
	scratch_load_b64 v[50:51], off, off offset:16
	v_mov_b32_e32 v49, 0
	ds_load_b64 v[52:53], v49 offset:192
	s_wait_loadcnt_dscnt 0x0
	v_pk_mul_f32 v[54:55], v[52:53], v[50:51] op_sel:[1,1] op_sel_hi:[0,1]
	s_delay_alu instid0(VALU_DEP_1) | instskip(SKIP_1) | instid1(VALU_DEP_2)
	v_pk_fma_f32 v[56:57], v[52:53], v[50:51], v[54:55] op_sel_hi:[1,0,1]
	v_pk_fma_f32 v[50:51], v[52:53], v[50:51], v[54:55] neg_lo:[0,0,1] neg_hi:[0,0,1]
	v_mov_b32_e32 v51, v57
	s_delay_alu instid0(VALU_DEP_1)
	v_pk_add_f32 v[46:47], v[46:47], v[50:51]
.LBB20_228:
	s_or_b32 exec_lo, exec_lo, s4
.LBB20_229:
	s_delay_alu instid0(SALU_CYCLE_1) | instskip(SKIP_4) | instid1(VALU_DEP_1)
	s_or_b32 exec_lo, exec_lo, s3
	v_mov_b32_e32 v49, 0
	ds_load_b64 v[50:51], v49 offset:24
	s_wait_dscnt 0x0
	v_pk_mul_f32 v[52:53], v[46:47], v[50:51] op_sel:[1,1] op_sel_hi:[0,1]
	v_pk_fma_f32 v[54:55], v[46:47], v[50:51], v[52:53] op_sel_hi:[1,0,1]
	v_pk_fma_f32 v[46:47], v[46:47], v[50:51], v[52:53] neg_lo:[0,0,1] neg_hi:[0,0,1]
	s_delay_alu instid0(VALU_DEP_2)
	v_mov_b32_e32 v47, v55
	scratch_store_b64 off, v[46:47], off offset:24
.LBB20_230:
	s_wait_xcnt 0x0
	s_or_b32 exec_lo, exec_lo, s2
	scratch_load_b64 v[46:47], off, off offset:32
	s_mov_b32 s0, exec_lo
	s_wait_loadcnt 0x0
	ds_store_b64 v1, v[46:47]
	s_wait_storecnt_dscnt 0x0
	s_barrier_signal -1
	s_barrier_wait -1
	s_wait_xcnt 0x0
	v_cmpx_gt_u32_e32 4, v0
	s_cbranch_execz .LBB20_240
; %bb.231:
	v_cmp_ne_u32_e32 vcc_lo, 1, v48
	s_cbranch_vccnz .LBB20_233
; %bb.232:
	scratch_load_b64 v[46:47], v45, off
	ds_load_b64 v[50:51], v1
	s_wait_loadcnt_dscnt 0x0
	v_pk_mul_f32 v[52:53], v[50:51], v[46:47] op_sel:[1,1] op_sel_hi:[0,1]
	s_delay_alu instid0(VALU_DEP_1) | instskip(SKIP_1) | instid1(VALU_DEP_2)
	v_pk_fma_f32 v[54:55], v[50:51], v[46:47], v[52:53] op_sel_hi:[1,0,1]
	v_pk_fma_f32 v[46:47], v[50:51], v[46:47], v[52:53] neg_lo:[0,0,1] neg_hi:[0,0,1]
	v_mov_b32_e32 v47, v55
	s_cbranch_execz .LBB20_234
	s_branch .LBB20_235
.LBB20_233:
                                        ; implicit-def: $vgpr46_vgpr47
.LBB20_234:
	ds_load_b64 v[46:47], v1
.LBB20_235:
	s_mov_b32 s2, exec_lo
	v_cmpx_ne_u32_e32 3, v0
	s_cbranch_execz .LBB20_239
; %bb.236:
	v_add_nc_u32_e32 v49, 0xb8, v44
	v_add3_u32 v50, 0, v44, 8
	v_mov_b32_e32 v51, v0
	s_mov_b32 s3, 0
.LBB20_237:                             ; =>This Inner Loop Header: Depth=1
	scratch_load_b64 v[52:53], v50, off
	ds_load_b64 v[54:55], v49
	s_wait_xcnt 0x0
	v_dual_add_nc_u32 v49, 8, v49 :: v_dual_add_nc_u32 v50, 8, v50
	s_wait_loadcnt_dscnt 0x0
	v_pk_mul_f32 v[56:57], v[54:55], v[52:53] op_sel:[1,1] op_sel_hi:[0,1]
	s_delay_alu instid0(VALU_DEP_1) | instskip(SKIP_2) | instid1(VALU_DEP_3)
	v_pk_fma_f32 v[58:59], v[54:55], v[52:53], v[56:57] op_sel_hi:[1,0,1]
	v_add_nc_u32_e32 v51, 1, v51
	v_pk_fma_f32 v[52:53], v[54:55], v[52:53], v[56:57] neg_lo:[0,0,1] neg_hi:[0,0,1]
	v_mov_b32_e32 v53, v59
	s_delay_alu instid0(VALU_DEP_3) | instskip(NEXT) | instid1(VALU_DEP_2)
	v_cmp_lt_u32_e32 vcc_lo, 2, v51
	v_pk_add_f32 v[46:47], v[46:47], v[52:53]
	s_or_b32 s3, vcc_lo, s3
	s_delay_alu instid0(SALU_CYCLE_1)
	s_and_not1_b32 exec_lo, exec_lo, s3
	s_cbranch_execnz .LBB20_237
; %bb.238:
	s_or_b32 exec_lo, exec_lo, s3
.LBB20_239:
	s_delay_alu instid0(SALU_CYCLE_1) | instskip(SKIP_4) | instid1(VALU_DEP_1)
	s_or_b32 exec_lo, exec_lo, s2
	v_mov_b32_e32 v49, 0
	ds_load_b64 v[50:51], v49 offset:32
	s_wait_dscnt 0x0
	v_pk_mul_f32 v[52:53], v[46:47], v[50:51] op_sel:[1,1] op_sel_hi:[0,1]
	v_pk_fma_f32 v[54:55], v[46:47], v[50:51], v[52:53] op_sel_hi:[1,0,1]
	v_pk_fma_f32 v[46:47], v[46:47], v[50:51], v[52:53] neg_lo:[0,0,1] neg_hi:[0,0,1]
	s_delay_alu instid0(VALU_DEP_2)
	v_mov_b32_e32 v47, v55
	scratch_store_b64 off, v[46:47], off offset:32
.LBB20_240:
	s_wait_xcnt 0x0
	s_or_b32 exec_lo, exec_lo, s0
	scratch_load_b64 v[46:47], off, off offset:40
	s_mov_b32 s0, exec_lo
	s_wait_loadcnt 0x0
	ds_store_b64 v1, v[46:47]
	s_wait_storecnt_dscnt 0x0
	s_barrier_signal -1
	s_barrier_wait -1
	s_wait_xcnt 0x0
	v_cmpx_gt_u32_e32 5, v0
	s_cbranch_execz .LBB20_250
; %bb.241:
	v_cmp_ne_u32_e32 vcc_lo, 1, v48
	s_cbranch_vccnz .LBB20_243
; %bb.242:
	scratch_load_b64 v[46:47], v45, off
	ds_load_b64 v[50:51], v1
	s_wait_loadcnt_dscnt 0x0
	v_pk_mul_f32 v[52:53], v[50:51], v[46:47] op_sel:[1,1] op_sel_hi:[0,1]
	s_delay_alu instid0(VALU_DEP_1) | instskip(SKIP_1) | instid1(VALU_DEP_2)
	v_pk_fma_f32 v[54:55], v[50:51], v[46:47], v[52:53] op_sel_hi:[1,0,1]
	v_pk_fma_f32 v[46:47], v[50:51], v[46:47], v[52:53] neg_lo:[0,0,1] neg_hi:[0,0,1]
	v_mov_b32_e32 v47, v55
	s_cbranch_execz .LBB20_244
	s_branch .LBB20_245
.LBB20_243:
                                        ; implicit-def: $vgpr46_vgpr47
.LBB20_244:
	ds_load_b64 v[46:47], v1
.LBB20_245:
	s_mov_b32 s2, exec_lo
	v_cmpx_ne_u32_e32 4, v0
	s_cbranch_execz .LBB20_249
; %bb.246:
	v_add_nc_u32_e32 v49, 0xb8, v44
	v_add3_u32 v50, 0, v44, 8
	v_mov_b32_e32 v51, v0
	s_mov_b32 s3, 0
.LBB20_247:                             ; =>This Inner Loop Header: Depth=1
	scratch_load_b64 v[52:53], v50, off
	ds_load_b64 v[54:55], v49
	s_wait_xcnt 0x0
	v_dual_add_nc_u32 v49, 8, v49 :: v_dual_add_nc_u32 v50, 8, v50
	s_wait_loadcnt_dscnt 0x0
	v_pk_mul_f32 v[56:57], v[54:55], v[52:53] op_sel:[1,1] op_sel_hi:[0,1]
	s_delay_alu instid0(VALU_DEP_1) | instskip(SKIP_2) | instid1(VALU_DEP_3)
	v_pk_fma_f32 v[58:59], v[54:55], v[52:53], v[56:57] op_sel_hi:[1,0,1]
	v_add_nc_u32_e32 v51, 1, v51
	v_pk_fma_f32 v[52:53], v[54:55], v[52:53], v[56:57] neg_lo:[0,0,1] neg_hi:[0,0,1]
	v_mov_b32_e32 v53, v59
	s_delay_alu instid0(VALU_DEP_3) | instskip(NEXT) | instid1(VALU_DEP_2)
	v_cmp_lt_u32_e32 vcc_lo, 3, v51
	v_pk_add_f32 v[46:47], v[46:47], v[52:53]
	s_or_b32 s3, vcc_lo, s3
	s_delay_alu instid0(SALU_CYCLE_1)
	s_and_not1_b32 exec_lo, exec_lo, s3
	s_cbranch_execnz .LBB20_247
; %bb.248:
	s_or_b32 exec_lo, exec_lo, s3
.LBB20_249:
	s_delay_alu instid0(SALU_CYCLE_1) | instskip(SKIP_4) | instid1(VALU_DEP_1)
	s_or_b32 exec_lo, exec_lo, s2
	v_mov_b32_e32 v49, 0
	ds_load_b64 v[50:51], v49 offset:40
	s_wait_dscnt 0x0
	v_pk_mul_f32 v[52:53], v[46:47], v[50:51] op_sel:[1,1] op_sel_hi:[0,1]
	v_pk_fma_f32 v[54:55], v[46:47], v[50:51], v[52:53] op_sel_hi:[1,0,1]
	v_pk_fma_f32 v[46:47], v[46:47], v[50:51], v[52:53] neg_lo:[0,0,1] neg_hi:[0,0,1]
	s_delay_alu instid0(VALU_DEP_2)
	v_mov_b32_e32 v47, v55
	scratch_store_b64 off, v[46:47], off offset:40
.LBB20_250:
	s_wait_xcnt 0x0
	s_or_b32 exec_lo, exec_lo, s0
	scratch_load_b64 v[46:47], off, off offset:48
	s_mov_b32 s0, exec_lo
	s_wait_loadcnt 0x0
	ds_store_b64 v1, v[46:47]
	s_wait_storecnt_dscnt 0x0
	s_barrier_signal -1
	s_barrier_wait -1
	s_wait_xcnt 0x0
	v_cmpx_gt_u32_e32 6, v0
	s_cbranch_execz .LBB20_260
; %bb.251:
	v_cmp_ne_u32_e32 vcc_lo, 1, v48
	s_cbranch_vccnz .LBB20_253
; %bb.252:
	scratch_load_b64 v[46:47], v45, off
	ds_load_b64 v[50:51], v1
	s_wait_loadcnt_dscnt 0x0
	v_pk_mul_f32 v[52:53], v[50:51], v[46:47] op_sel:[1,1] op_sel_hi:[0,1]
	s_delay_alu instid0(VALU_DEP_1) | instskip(SKIP_1) | instid1(VALU_DEP_2)
	v_pk_fma_f32 v[54:55], v[50:51], v[46:47], v[52:53] op_sel_hi:[1,0,1]
	v_pk_fma_f32 v[46:47], v[50:51], v[46:47], v[52:53] neg_lo:[0,0,1] neg_hi:[0,0,1]
	v_mov_b32_e32 v47, v55
	s_cbranch_execz .LBB20_254
	s_branch .LBB20_255
.LBB20_253:
                                        ; implicit-def: $vgpr46_vgpr47
.LBB20_254:
	ds_load_b64 v[46:47], v1
.LBB20_255:
	s_mov_b32 s2, exec_lo
	v_cmpx_ne_u32_e32 5, v0
	s_cbranch_execz .LBB20_259
; %bb.256:
	v_add_nc_u32_e32 v49, 0xb8, v44
	v_add3_u32 v50, 0, v44, 8
	v_mov_b32_e32 v51, v0
	s_mov_b32 s3, 0
.LBB20_257:                             ; =>This Inner Loop Header: Depth=1
	scratch_load_b64 v[52:53], v50, off
	ds_load_b64 v[54:55], v49
	s_wait_xcnt 0x0
	v_dual_add_nc_u32 v49, 8, v49 :: v_dual_add_nc_u32 v50, 8, v50
	s_wait_loadcnt_dscnt 0x0
	v_pk_mul_f32 v[56:57], v[54:55], v[52:53] op_sel:[1,1] op_sel_hi:[0,1]
	s_delay_alu instid0(VALU_DEP_1) | instskip(SKIP_2) | instid1(VALU_DEP_3)
	v_pk_fma_f32 v[58:59], v[54:55], v[52:53], v[56:57] op_sel_hi:[1,0,1]
	v_add_nc_u32_e32 v51, 1, v51
	v_pk_fma_f32 v[52:53], v[54:55], v[52:53], v[56:57] neg_lo:[0,0,1] neg_hi:[0,0,1]
	v_mov_b32_e32 v53, v59
	s_delay_alu instid0(VALU_DEP_3) | instskip(NEXT) | instid1(VALU_DEP_2)
	v_cmp_lt_u32_e32 vcc_lo, 4, v51
	v_pk_add_f32 v[46:47], v[46:47], v[52:53]
	s_or_b32 s3, vcc_lo, s3
	s_delay_alu instid0(SALU_CYCLE_1)
	s_and_not1_b32 exec_lo, exec_lo, s3
	s_cbranch_execnz .LBB20_257
; %bb.258:
	s_or_b32 exec_lo, exec_lo, s3
.LBB20_259:
	s_delay_alu instid0(SALU_CYCLE_1) | instskip(SKIP_4) | instid1(VALU_DEP_1)
	s_or_b32 exec_lo, exec_lo, s2
	v_mov_b32_e32 v49, 0
	ds_load_b64 v[50:51], v49 offset:48
	s_wait_dscnt 0x0
	v_pk_mul_f32 v[52:53], v[46:47], v[50:51] op_sel:[1,1] op_sel_hi:[0,1]
	v_pk_fma_f32 v[54:55], v[46:47], v[50:51], v[52:53] op_sel_hi:[1,0,1]
	v_pk_fma_f32 v[46:47], v[46:47], v[50:51], v[52:53] neg_lo:[0,0,1] neg_hi:[0,0,1]
	s_delay_alu instid0(VALU_DEP_2)
	v_mov_b32_e32 v47, v55
	scratch_store_b64 off, v[46:47], off offset:48
.LBB20_260:
	s_wait_xcnt 0x0
	s_or_b32 exec_lo, exec_lo, s0
	scratch_load_b64 v[46:47], off, off offset:56
	s_mov_b32 s0, exec_lo
	s_wait_loadcnt 0x0
	ds_store_b64 v1, v[46:47]
	s_wait_storecnt_dscnt 0x0
	s_barrier_signal -1
	s_barrier_wait -1
	s_wait_xcnt 0x0
	v_cmpx_gt_u32_e32 7, v0
	s_cbranch_execz .LBB20_270
; %bb.261:
	v_cmp_ne_u32_e32 vcc_lo, 1, v48
	s_cbranch_vccnz .LBB20_263
; %bb.262:
	scratch_load_b64 v[46:47], v45, off
	ds_load_b64 v[50:51], v1
	s_wait_loadcnt_dscnt 0x0
	v_pk_mul_f32 v[52:53], v[50:51], v[46:47] op_sel:[1,1] op_sel_hi:[0,1]
	s_delay_alu instid0(VALU_DEP_1) | instskip(SKIP_1) | instid1(VALU_DEP_2)
	v_pk_fma_f32 v[54:55], v[50:51], v[46:47], v[52:53] op_sel_hi:[1,0,1]
	v_pk_fma_f32 v[46:47], v[50:51], v[46:47], v[52:53] neg_lo:[0,0,1] neg_hi:[0,0,1]
	v_mov_b32_e32 v47, v55
	s_cbranch_execz .LBB20_264
	s_branch .LBB20_265
.LBB20_263:
                                        ; implicit-def: $vgpr46_vgpr47
.LBB20_264:
	ds_load_b64 v[46:47], v1
.LBB20_265:
	s_mov_b32 s2, exec_lo
	v_cmpx_ne_u32_e32 6, v0
	s_cbranch_execz .LBB20_269
; %bb.266:
	v_add_nc_u32_e32 v49, 0xb8, v44
	v_add3_u32 v50, 0, v44, 8
	v_mov_b32_e32 v51, v0
	s_mov_b32 s3, 0
.LBB20_267:                             ; =>This Inner Loop Header: Depth=1
	scratch_load_b64 v[52:53], v50, off
	ds_load_b64 v[54:55], v49
	s_wait_xcnt 0x0
	v_dual_add_nc_u32 v49, 8, v49 :: v_dual_add_nc_u32 v50, 8, v50
	s_wait_loadcnt_dscnt 0x0
	v_pk_mul_f32 v[56:57], v[54:55], v[52:53] op_sel:[1,1] op_sel_hi:[0,1]
	s_delay_alu instid0(VALU_DEP_1) | instskip(SKIP_2) | instid1(VALU_DEP_3)
	v_pk_fma_f32 v[58:59], v[54:55], v[52:53], v[56:57] op_sel_hi:[1,0,1]
	v_add_nc_u32_e32 v51, 1, v51
	v_pk_fma_f32 v[52:53], v[54:55], v[52:53], v[56:57] neg_lo:[0,0,1] neg_hi:[0,0,1]
	v_mov_b32_e32 v53, v59
	s_delay_alu instid0(VALU_DEP_3) | instskip(NEXT) | instid1(VALU_DEP_2)
	v_cmp_lt_u32_e32 vcc_lo, 5, v51
	v_pk_add_f32 v[46:47], v[46:47], v[52:53]
	s_or_b32 s3, vcc_lo, s3
	s_delay_alu instid0(SALU_CYCLE_1)
	s_and_not1_b32 exec_lo, exec_lo, s3
	s_cbranch_execnz .LBB20_267
; %bb.268:
	s_or_b32 exec_lo, exec_lo, s3
.LBB20_269:
	s_delay_alu instid0(SALU_CYCLE_1) | instskip(SKIP_4) | instid1(VALU_DEP_1)
	s_or_b32 exec_lo, exec_lo, s2
	v_mov_b32_e32 v49, 0
	ds_load_b64 v[50:51], v49 offset:56
	s_wait_dscnt 0x0
	v_pk_mul_f32 v[52:53], v[46:47], v[50:51] op_sel:[1,1] op_sel_hi:[0,1]
	v_pk_fma_f32 v[54:55], v[46:47], v[50:51], v[52:53] op_sel_hi:[1,0,1]
	v_pk_fma_f32 v[46:47], v[46:47], v[50:51], v[52:53] neg_lo:[0,0,1] neg_hi:[0,0,1]
	s_delay_alu instid0(VALU_DEP_2)
	v_mov_b32_e32 v47, v55
	scratch_store_b64 off, v[46:47], off offset:56
.LBB20_270:
	s_wait_xcnt 0x0
	s_or_b32 exec_lo, exec_lo, s0
	scratch_load_b64 v[46:47], off, off offset:64
	s_mov_b32 s0, exec_lo
	s_wait_loadcnt 0x0
	ds_store_b64 v1, v[46:47]
	s_wait_storecnt_dscnt 0x0
	s_barrier_signal -1
	s_barrier_wait -1
	s_wait_xcnt 0x0
	v_cmpx_gt_u32_e32 8, v0
	s_cbranch_execz .LBB20_280
; %bb.271:
	v_cmp_ne_u32_e32 vcc_lo, 1, v48
	s_cbranch_vccnz .LBB20_273
; %bb.272:
	scratch_load_b64 v[46:47], v45, off
	ds_load_b64 v[50:51], v1
	s_wait_loadcnt_dscnt 0x0
	v_pk_mul_f32 v[52:53], v[50:51], v[46:47] op_sel:[1,1] op_sel_hi:[0,1]
	s_delay_alu instid0(VALU_DEP_1) | instskip(SKIP_1) | instid1(VALU_DEP_2)
	v_pk_fma_f32 v[54:55], v[50:51], v[46:47], v[52:53] op_sel_hi:[1,0,1]
	v_pk_fma_f32 v[46:47], v[50:51], v[46:47], v[52:53] neg_lo:[0,0,1] neg_hi:[0,0,1]
	v_mov_b32_e32 v47, v55
	s_cbranch_execz .LBB20_274
	s_branch .LBB20_275
.LBB20_273:
                                        ; implicit-def: $vgpr46_vgpr47
.LBB20_274:
	ds_load_b64 v[46:47], v1
.LBB20_275:
	s_mov_b32 s2, exec_lo
	v_cmpx_ne_u32_e32 7, v0
	s_cbranch_execz .LBB20_279
; %bb.276:
	v_add_nc_u32_e32 v49, 0xb8, v44
	v_add3_u32 v50, 0, v44, 8
	v_mov_b32_e32 v51, v0
	s_mov_b32 s3, 0
.LBB20_277:                             ; =>This Inner Loop Header: Depth=1
	scratch_load_b64 v[52:53], v50, off
	ds_load_b64 v[54:55], v49
	s_wait_xcnt 0x0
	v_dual_add_nc_u32 v49, 8, v49 :: v_dual_add_nc_u32 v50, 8, v50
	s_wait_loadcnt_dscnt 0x0
	v_pk_mul_f32 v[56:57], v[54:55], v[52:53] op_sel:[1,1] op_sel_hi:[0,1]
	s_delay_alu instid0(VALU_DEP_1) | instskip(SKIP_2) | instid1(VALU_DEP_3)
	v_pk_fma_f32 v[58:59], v[54:55], v[52:53], v[56:57] op_sel_hi:[1,0,1]
	v_add_nc_u32_e32 v51, 1, v51
	v_pk_fma_f32 v[52:53], v[54:55], v[52:53], v[56:57] neg_lo:[0,0,1] neg_hi:[0,0,1]
	v_mov_b32_e32 v53, v59
	s_delay_alu instid0(VALU_DEP_3) | instskip(NEXT) | instid1(VALU_DEP_2)
	v_cmp_lt_u32_e32 vcc_lo, 6, v51
	v_pk_add_f32 v[46:47], v[46:47], v[52:53]
	s_or_b32 s3, vcc_lo, s3
	s_delay_alu instid0(SALU_CYCLE_1)
	s_and_not1_b32 exec_lo, exec_lo, s3
	s_cbranch_execnz .LBB20_277
; %bb.278:
	s_or_b32 exec_lo, exec_lo, s3
.LBB20_279:
	s_delay_alu instid0(SALU_CYCLE_1) | instskip(SKIP_4) | instid1(VALU_DEP_1)
	s_or_b32 exec_lo, exec_lo, s2
	v_mov_b32_e32 v49, 0
	ds_load_b64 v[50:51], v49 offset:64
	s_wait_dscnt 0x0
	v_pk_mul_f32 v[52:53], v[46:47], v[50:51] op_sel:[1,1] op_sel_hi:[0,1]
	v_pk_fma_f32 v[54:55], v[46:47], v[50:51], v[52:53] op_sel_hi:[1,0,1]
	v_pk_fma_f32 v[46:47], v[46:47], v[50:51], v[52:53] neg_lo:[0,0,1] neg_hi:[0,0,1]
	s_delay_alu instid0(VALU_DEP_2)
	v_mov_b32_e32 v47, v55
	scratch_store_b64 off, v[46:47], off offset:64
.LBB20_280:
	s_wait_xcnt 0x0
	s_or_b32 exec_lo, exec_lo, s0
	scratch_load_b64 v[46:47], off, off offset:72
	s_mov_b32 s0, exec_lo
	s_wait_loadcnt 0x0
	ds_store_b64 v1, v[46:47]
	s_wait_storecnt_dscnt 0x0
	s_barrier_signal -1
	s_barrier_wait -1
	s_wait_xcnt 0x0
	v_cmpx_gt_u32_e32 9, v0
	s_cbranch_execz .LBB20_290
; %bb.281:
	v_cmp_ne_u32_e32 vcc_lo, 1, v48
	s_cbranch_vccnz .LBB20_283
; %bb.282:
	scratch_load_b64 v[46:47], v45, off
	ds_load_b64 v[50:51], v1
	s_wait_loadcnt_dscnt 0x0
	v_pk_mul_f32 v[52:53], v[50:51], v[46:47] op_sel:[1,1] op_sel_hi:[0,1]
	s_delay_alu instid0(VALU_DEP_1) | instskip(SKIP_1) | instid1(VALU_DEP_2)
	v_pk_fma_f32 v[54:55], v[50:51], v[46:47], v[52:53] op_sel_hi:[1,0,1]
	v_pk_fma_f32 v[46:47], v[50:51], v[46:47], v[52:53] neg_lo:[0,0,1] neg_hi:[0,0,1]
	v_mov_b32_e32 v47, v55
	s_cbranch_execz .LBB20_284
	s_branch .LBB20_285
.LBB20_283:
                                        ; implicit-def: $vgpr46_vgpr47
.LBB20_284:
	ds_load_b64 v[46:47], v1
.LBB20_285:
	s_mov_b32 s2, exec_lo
	v_cmpx_ne_u32_e32 8, v0
	s_cbranch_execz .LBB20_289
; %bb.286:
	v_add_nc_u32_e32 v49, 0xb8, v44
	v_add3_u32 v50, 0, v44, 8
	v_mov_b32_e32 v51, v0
	s_mov_b32 s3, 0
.LBB20_287:                             ; =>This Inner Loop Header: Depth=1
	scratch_load_b64 v[52:53], v50, off
	ds_load_b64 v[54:55], v49
	s_wait_xcnt 0x0
	v_dual_add_nc_u32 v49, 8, v49 :: v_dual_add_nc_u32 v50, 8, v50
	s_wait_loadcnt_dscnt 0x0
	v_pk_mul_f32 v[56:57], v[54:55], v[52:53] op_sel:[1,1] op_sel_hi:[0,1]
	s_delay_alu instid0(VALU_DEP_1) | instskip(SKIP_2) | instid1(VALU_DEP_3)
	v_pk_fma_f32 v[58:59], v[54:55], v[52:53], v[56:57] op_sel_hi:[1,0,1]
	v_add_nc_u32_e32 v51, 1, v51
	v_pk_fma_f32 v[52:53], v[54:55], v[52:53], v[56:57] neg_lo:[0,0,1] neg_hi:[0,0,1]
	v_mov_b32_e32 v53, v59
	s_delay_alu instid0(VALU_DEP_3) | instskip(NEXT) | instid1(VALU_DEP_2)
	v_cmp_lt_u32_e32 vcc_lo, 7, v51
	v_pk_add_f32 v[46:47], v[46:47], v[52:53]
	s_or_b32 s3, vcc_lo, s3
	s_delay_alu instid0(SALU_CYCLE_1)
	s_and_not1_b32 exec_lo, exec_lo, s3
	s_cbranch_execnz .LBB20_287
; %bb.288:
	s_or_b32 exec_lo, exec_lo, s3
.LBB20_289:
	s_delay_alu instid0(SALU_CYCLE_1) | instskip(SKIP_4) | instid1(VALU_DEP_1)
	s_or_b32 exec_lo, exec_lo, s2
	v_mov_b32_e32 v49, 0
	ds_load_b64 v[50:51], v49 offset:72
	s_wait_dscnt 0x0
	v_pk_mul_f32 v[52:53], v[46:47], v[50:51] op_sel:[1,1] op_sel_hi:[0,1]
	v_pk_fma_f32 v[54:55], v[46:47], v[50:51], v[52:53] op_sel_hi:[1,0,1]
	v_pk_fma_f32 v[46:47], v[46:47], v[50:51], v[52:53] neg_lo:[0,0,1] neg_hi:[0,0,1]
	s_delay_alu instid0(VALU_DEP_2)
	v_mov_b32_e32 v47, v55
	scratch_store_b64 off, v[46:47], off offset:72
.LBB20_290:
	s_wait_xcnt 0x0
	s_or_b32 exec_lo, exec_lo, s0
	scratch_load_b64 v[46:47], off, off offset:80
	s_mov_b32 s0, exec_lo
	s_wait_loadcnt 0x0
	ds_store_b64 v1, v[46:47]
	s_wait_storecnt_dscnt 0x0
	s_barrier_signal -1
	s_barrier_wait -1
	s_wait_xcnt 0x0
	v_cmpx_gt_u32_e32 10, v0
	s_cbranch_execz .LBB20_300
; %bb.291:
	v_cmp_ne_u32_e32 vcc_lo, 1, v48
	s_cbranch_vccnz .LBB20_293
; %bb.292:
	scratch_load_b64 v[46:47], v45, off
	ds_load_b64 v[50:51], v1
	s_wait_loadcnt_dscnt 0x0
	v_pk_mul_f32 v[52:53], v[50:51], v[46:47] op_sel:[1,1] op_sel_hi:[0,1]
	s_delay_alu instid0(VALU_DEP_1) | instskip(SKIP_1) | instid1(VALU_DEP_2)
	v_pk_fma_f32 v[54:55], v[50:51], v[46:47], v[52:53] op_sel_hi:[1,0,1]
	v_pk_fma_f32 v[46:47], v[50:51], v[46:47], v[52:53] neg_lo:[0,0,1] neg_hi:[0,0,1]
	v_mov_b32_e32 v47, v55
	s_cbranch_execz .LBB20_294
	s_branch .LBB20_295
.LBB20_293:
                                        ; implicit-def: $vgpr46_vgpr47
.LBB20_294:
	ds_load_b64 v[46:47], v1
.LBB20_295:
	s_mov_b32 s2, exec_lo
	v_cmpx_ne_u32_e32 9, v0
	s_cbranch_execz .LBB20_299
; %bb.296:
	v_add_nc_u32_e32 v49, 0xb8, v44
	v_add3_u32 v50, 0, v44, 8
	v_mov_b32_e32 v51, v0
	s_mov_b32 s3, 0
.LBB20_297:                             ; =>This Inner Loop Header: Depth=1
	scratch_load_b64 v[52:53], v50, off
	ds_load_b64 v[54:55], v49
	s_wait_xcnt 0x0
	v_dual_add_nc_u32 v49, 8, v49 :: v_dual_add_nc_u32 v50, 8, v50
	s_wait_loadcnt_dscnt 0x0
	v_pk_mul_f32 v[56:57], v[54:55], v[52:53] op_sel:[1,1] op_sel_hi:[0,1]
	s_delay_alu instid0(VALU_DEP_1) | instskip(SKIP_2) | instid1(VALU_DEP_3)
	v_pk_fma_f32 v[58:59], v[54:55], v[52:53], v[56:57] op_sel_hi:[1,0,1]
	v_add_nc_u32_e32 v51, 1, v51
	v_pk_fma_f32 v[52:53], v[54:55], v[52:53], v[56:57] neg_lo:[0,0,1] neg_hi:[0,0,1]
	v_mov_b32_e32 v53, v59
	s_delay_alu instid0(VALU_DEP_3) | instskip(NEXT) | instid1(VALU_DEP_2)
	v_cmp_lt_u32_e32 vcc_lo, 8, v51
	v_pk_add_f32 v[46:47], v[46:47], v[52:53]
	s_or_b32 s3, vcc_lo, s3
	s_delay_alu instid0(SALU_CYCLE_1)
	s_and_not1_b32 exec_lo, exec_lo, s3
	s_cbranch_execnz .LBB20_297
; %bb.298:
	s_or_b32 exec_lo, exec_lo, s3
.LBB20_299:
	s_delay_alu instid0(SALU_CYCLE_1) | instskip(SKIP_4) | instid1(VALU_DEP_1)
	s_or_b32 exec_lo, exec_lo, s2
	v_mov_b32_e32 v49, 0
	ds_load_b64 v[50:51], v49 offset:80
	s_wait_dscnt 0x0
	v_pk_mul_f32 v[52:53], v[46:47], v[50:51] op_sel:[1,1] op_sel_hi:[0,1]
	v_pk_fma_f32 v[54:55], v[46:47], v[50:51], v[52:53] op_sel_hi:[1,0,1]
	v_pk_fma_f32 v[46:47], v[46:47], v[50:51], v[52:53] neg_lo:[0,0,1] neg_hi:[0,0,1]
	s_delay_alu instid0(VALU_DEP_2)
	v_mov_b32_e32 v47, v55
	scratch_store_b64 off, v[46:47], off offset:80
.LBB20_300:
	s_wait_xcnt 0x0
	s_or_b32 exec_lo, exec_lo, s0
	scratch_load_b64 v[46:47], off, off offset:88
	s_mov_b32 s0, exec_lo
	s_wait_loadcnt 0x0
	ds_store_b64 v1, v[46:47]
	s_wait_storecnt_dscnt 0x0
	s_barrier_signal -1
	s_barrier_wait -1
	s_wait_xcnt 0x0
	v_cmpx_gt_u32_e32 11, v0
	s_cbranch_execz .LBB20_310
; %bb.301:
	v_cmp_ne_u32_e32 vcc_lo, 1, v48
	s_cbranch_vccnz .LBB20_303
; %bb.302:
	scratch_load_b64 v[46:47], v45, off
	ds_load_b64 v[50:51], v1
	s_wait_loadcnt_dscnt 0x0
	v_pk_mul_f32 v[52:53], v[50:51], v[46:47] op_sel:[1,1] op_sel_hi:[0,1]
	s_delay_alu instid0(VALU_DEP_1) | instskip(SKIP_1) | instid1(VALU_DEP_2)
	v_pk_fma_f32 v[54:55], v[50:51], v[46:47], v[52:53] op_sel_hi:[1,0,1]
	v_pk_fma_f32 v[46:47], v[50:51], v[46:47], v[52:53] neg_lo:[0,0,1] neg_hi:[0,0,1]
	v_mov_b32_e32 v47, v55
	s_cbranch_execz .LBB20_304
	s_branch .LBB20_305
.LBB20_303:
                                        ; implicit-def: $vgpr46_vgpr47
.LBB20_304:
	ds_load_b64 v[46:47], v1
.LBB20_305:
	s_mov_b32 s2, exec_lo
	v_cmpx_ne_u32_e32 10, v0
	s_cbranch_execz .LBB20_309
; %bb.306:
	v_add_nc_u32_e32 v49, 0xb8, v44
	v_add3_u32 v50, 0, v44, 8
	v_mov_b32_e32 v51, v0
	s_mov_b32 s3, 0
.LBB20_307:                             ; =>This Inner Loop Header: Depth=1
	scratch_load_b64 v[52:53], v50, off
	ds_load_b64 v[54:55], v49
	s_wait_xcnt 0x0
	v_dual_add_nc_u32 v49, 8, v49 :: v_dual_add_nc_u32 v50, 8, v50
	s_wait_loadcnt_dscnt 0x0
	v_pk_mul_f32 v[56:57], v[54:55], v[52:53] op_sel:[1,1] op_sel_hi:[0,1]
	s_delay_alu instid0(VALU_DEP_1) | instskip(SKIP_2) | instid1(VALU_DEP_3)
	v_pk_fma_f32 v[58:59], v[54:55], v[52:53], v[56:57] op_sel_hi:[1,0,1]
	v_add_nc_u32_e32 v51, 1, v51
	v_pk_fma_f32 v[52:53], v[54:55], v[52:53], v[56:57] neg_lo:[0,0,1] neg_hi:[0,0,1]
	v_mov_b32_e32 v53, v59
	s_delay_alu instid0(VALU_DEP_3) | instskip(NEXT) | instid1(VALU_DEP_2)
	v_cmp_lt_u32_e32 vcc_lo, 9, v51
	v_pk_add_f32 v[46:47], v[46:47], v[52:53]
	s_or_b32 s3, vcc_lo, s3
	s_delay_alu instid0(SALU_CYCLE_1)
	s_and_not1_b32 exec_lo, exec_lo, s3
	s_cbranch_execnz .LBB20_307
; %bb.308:
	s_or_b32 exec_lo, exec_lo, s3
.LBB20_309:
	s_delay_alu instid0(SALU_CYCLE_1) | instskip(SKIP_4) | instid1(VALU_DEP_1)
	s_or_b32 exec_lo, exec_lo, s2
	v_mov_b32_e32 v49, 0
	ds_load_b64 v[50:51], v49 offset:88
	s_wait_dscnt 0x0
	v_pk_mul_f32 v[52:53], v[46:47], v[50:51] op_sel:[1,1] op_sel_hi:[0,1]
	v_pk_fma_f32 v[54:55], v[46:47], v[50:51], v[52:53] op_sel_hi:[1,0,1]
	v_pk_fma_f32 v[46:47], v[46:47], v[50:51], v[52:53] neg_lo:[0,0,1] neg_hi:[0,0,1]
	s_delay_alu instid0(VALU_DEP_2)
	v_mov_b32_e32 v47, v55
	scratch_store_b64 off, v[46:47], off offset:88
.LBB20_310:
	s_wait_xcnt 0x0
	s_or_b32 exec_lo, exec_lo, s0
	scratch_load_b64 v[46:47], off, off offset:96
	s_mov_b32 s0, exec_lo
	s_wait_loadcnt 0x0
	ds_store_b64 v1, v[46:47]
	s_wait_storecnt_dscnt 0x0
	s_barrier_signal -1
	s_barrier_wait -1
	s_wait_xcnt 0x0
	v_cmpx_gt_u32_e32 12, v0
	s_cbranch_execz .LBB20_320
; %bb.311:
	v_cmp_ne_u32_e32 vcc_lo, 1, v48
	s_cbranch_vccnz .LBB20_313
; %bb.312:
	scratch_load_b64 v[46:47], v45, off
	ds_load_b64 v[50:51], v1
	s_wait_loadcnt_dscnt 0x0
	v_pk_mul_f32 v[52:53], v[50:51], v[46:47] op_sel:[1,1] op_sel_hi:[0,1]
	s_delay_alu instid0(VALU_DEP_1) | instskip(SKIP_1) | instid1(VALU_DEP_2)
	v_pk_fma_f32 v[54:55], v[50:51], v[46:47], v[52:53] op_sel_hi:[1,0,1]
	v_pk_fma_f32 v[46:47], v[50:51], v[46:47], v[52:53] neg_lo:[0,0,1] neg_hi:[0,0,1]
	v_mov_b32_e32 v47, v55
	s_cbranch_execz .LBB20_314
	s_branch .LBB20_315
.LBB20_313:
                                        ; implicit-def: $vgpr46_vgpr47
.LBB20_314:
	ds_load_b64 v[46:47], v1
.LBB20_315:
	s_mov_b32 s2, exec_lo
	v_cmpx_ne_u32_e32 11, v0
	s_cbranch_execz .LBB20_319
; %bb.316:
	v_add_nc_u32_e32 v49, 0xb8, v44
	v_add3_u32 v50, 0, v44, 8
	v_mov_b32_e32 v51, v0
	s_mov_b32 s3, 0
.LBB20_317:                             ; =>This Inner Loop Header: Depth=1
	scratch_load_b64 v[52:53], v50, off
	ds_load_b64 v[54:55], v49
	s_wait_xcnt 0x0
	v_dual_add_nc_u32 v49, 8, v49 :: v_dual_add_nc_u32 v50, 8, v50
	s_wait_loadcnt_dscnt 0x0
	v_pk_mul_f32 v[56:57], v[54:55], v[52:53] op_sel:[1,1] op_sel_hi:[0,1]
	s_delay_alu instid0(VALU_DEP_1) | instskip(SKIP_2) | instid1(VALU_DEP_3)
	v_pk_fma_f32 v[58:59], v[54:55], v[52:53], v[56:57] op_sel_hi:[1,0,1]
	v_add_nc_u32_e32 v51, 1, v51
	v_pk_fma_f32 v[52:53], v[54:55], v[52:53], v[56:57] neg_lo:[0,0,1] neg_hi:[0,0,1]
	v_mov_b32_e32 v53, v59
	s_delay_alu instid0(VALU_DEP_3) | instskip(NEXT) | instid1(VALU_DEP_2)
	v_cmp_lt_u32_e32 vcc_lo, 10, v51
	v_pk_add_f32 v[46:47], v[46:47], v[52:53]
	s_or_b32 s3, vcc_lo, s3
	s_delay_alu instid0(SALU_CYCLE_1)
	s_and_not1_b32 exec_lo, exec_lo, s3
	s_cbranch_execnz .LBB20_317
; %bb.318:
	s_or_b32 exec_lo, exec_lo, s3
.LBB20_319:
	s_delay_alu instid0(SALU_CYCLE_1) | instskip(SKIP_4) | instid1(VALU_DEP_1)
	s_or_b32 exec_lo, exec_lo, s2
	v_mov_b32_e32 v49, 0
	ds_load_b64 v[50:51], v49 offset:96
	s_wait_dscnt 0x0
	v_pk_mul_f32 v[52:53], v[46:47], v[50:51] op_sel:[1,1] op_sel_hi:[0,1]
	v_pk_fma_f32 v[54:55], v[46:47], v[50:51], v[52:53] op_sel_hi:[1,0,1]
	v_pk_fma_f32 v[46:47], v[46:47], v[50:51], v[52:53] neg_lo:[0,0,1] neg_hi:[0,0,1]
	s_delay_alu instid0(VALU_DEP_2)
	v_mov_b32_e32 v47, v55
	scratch_store_b64 off, v[46:47], off offset:96
.LBB20_320:
	s_wait_xcnt 0x0
	s_or_b32 exec_lo, exec_lo, s0
	scratch_load_b64 v[46:47], off, off offset:104
	s_mov_b32 s0, exec_lo
	s_wait_loadcnt 0x0
	ds_store_b64 v1, v[46:47]
	s_wait_storecnt_dscnt 0x0
	s_barrier_signal -1
	s_barrier_wait -1
	s_wait_xcnt 0x0
	v_cmpx_gt_u32_e32 13, v0
	s_cbranch_execz .LBB20_330
; %bb.321:
	v_cmp_ne_u32_e32 vcc_lo, 1, v48
	s_cbranch_vccnz .LBB20_323
; %bb.322:
	scratch_load_b64 v[46:47], v45, off
	ds_load_b64 v[50:51], v1
	s_wait_loadcnt_dscnt 0x0
	v_pk_mul_f32 v[52:53], v[50:51], v[46:47] op_sel:[1,1] op_sel_hi:[0,1]
	s_delay_alu instid0(VALU_DEP_1) | instskip(SKIP_1) | instid1(VALU_DEP_2)
	v_pk_fma_f32 v[54:55], v[50:51], v[46:47], v[52:53] op_sel_hi:[1,0,1]
	v_pk_fma_f32 v[46:47], v[50:51], v[46:47], v[52:53] neg_lo:[0,0,1] neg_hi:[0,0,1]
	v_mov_b32_e32 v47, v55
	s_cbranch_execz .LBB20_324
	s_branch .LBB20_325
.LBB20_323:
                                        ; implicit-def: $vgpr46_vgpr47
.LBB20_324:
	ds_load_b64 v[46:47], v1
.LBB20_325:
	s_mov_b32 s2, exec_lo
	v_cmpx_ne_u32_e32 12, v0
	s_cbranch_execz .LBB20_329
; %bb.326:
	v_add_nc_u32_e32 v49, 0xb8, v44
	v_add3_u32 v50, 0, v44, 8
	v_mov_b32_e32 v51, v0
	s_mov_b32 s3, 0
.LBB20_327:                             ; =>This Inner Loop Header: Depth=1
	scratch_load_b64 v[52:53], v50, off
	ds_load_b64 v[54:55], v49
	s_wait_xcnt 0x0
	v_dual_add_nc_u32 v49, 8, v49 :: v_dual_add_nc_u32 v50, 8, v50
	s_wait_loadcnt_dscnt 0x0
	v_pk_mul_f32 v[56:57], v[54:55], v[52:53] op_sel:[1,1] op_sel_hi:[0,1]
	s_delay_alu instid0(VALU_DEP_1) | instskip(SKIP_2) | instid1(VALU_DEP_3)
	v_pk_fma_f32 v[58:59], v[54:55], v[52:53], v[56:57] op_sel_hi:[1,0,1]
	v_add_nc_u32_e32 v51, 1, v51
	v_pk_fma_f32 v[52:53], v[54:55], v[52:53], v[56:57] neg_lo:[0,0,1] neg_hi:[0,0,1]
	v_mov_b32_e32 v53, v59
	s_delay_alu instid0(VALU_DEP_3) | instskip(NEXT) | instid1(VALU_DEP_2)
	v_cmp_lt_u32_e32 vcc_lo, 11, v51
	v_pk_add_f32 v[46:47], v[46:47], v[52:53]
	s_or_b32 s3, vcc_lo, s3
	s_delay_alu instid0(SALU_CYCLE_1)
	s_and_not1_b32 exec_lo, exec_lo, s3
	s_cbranch_execnz .LBB20_327
; %bb.328:
	s_or_b32 exec_lo, exec_lo, s3
.LBB20_329:
	s_delay_alu instid0(SALU_CYCLE_1) | instskip(SKIP_4) | instid1(VALU_DEP_1)
	s_or_b32 exec_lo, exec_lo, s2
	v_mov_b32_e32 v49, 0
	ds_load_b64 v[50:51], v49 offset:104
	s_wait_dscnt 0x0
	v_pk_mul_f32 v[52:53], v[46:47], v[50:51] op_sel:[1,1] op_sel_hi:[0,1]
	v_pk_fma_f32 v[54:55], v[46:47], v[50:51], v[52:53] op_sel_hi:[1,0,1]
	v_pk_fma_f32 v[46:47], v[46:47], v[50:51], v[52:53] neg_lo:[0,0,1] neg_hi:[0,0,1]
	s_delay_alu instid0(VALU_DEP_2)
	v_mov_b32_e32 v47, v55
	scratch_store_b64 off, v[46:47], off offset:104
.LBB20_330:
	s_wait_xcnt 0x0
	s_or_b32 exec_lo, exec_lo, s0
	scratch_load_b64 v[46:47], off, off offset:112
	s_mov_b32 s0, exec_lo
	s_wait_loadcnt 0x0
	ds_store_b64 v1, v[46:47]
	s_wait_storecnt_dscnt 0x0
	s_barrier_signal -1
	s_barrier_wait -1
	s_wait_xcnt 0x0
	v_cmpx_gt_u32_e32 14, v0
	s_cbranch_execz .LBB20_340
; %bb.331:
	v_cmp_ne_u32_e32 vcc_lo, 1, v48
	s_cbranch_vccnz .LBB20_333
; %bb.332:
	scratch_load_b64 v[46:47], v45, off
	ds_load_b64 v[50:51], v1
	s_wait_loadcnt_dscnt 0x0
	v_pk_mul_f32 v[52:53], v[50:51], v[46:47] op_sel:[1,1] op_sel_hi:[0,1]
	s_delay_alu instid0(VALU_DEP_1) | instskip(SKIP_1) | instid1(VALU_DEP_2)
	v_pk_fma_f32 v[54:55], v[50:51], v[46:47], v[52:53] op_sel_hi:[1,0,1]
	v_pk_fma_f32 v[46:47], v[50:51], v[46:47], v[52:53] neg_lo:[0,0,1] neg_hi:[0,0,1]
	v_mov_b32_e32 v47, v55
	s_cbranch_execz .LBB20_334
	s_branch .LBB20_335
.LBB20_333:
                                        ; implicit-def: $vgpr46_vgpr47
.LBB20_334:
	ds_load_b64 v[46:47], v1
.LBB20_335:
	s_mov_b32 s2, exec_lo
	v_cmpx_ne_u32_e32 13, v0
	s_cbranch_execz .LBB20_339
; %bb.336:
	v_add_nc_u32_e32 v49, 0xb8, v44
	v_add3_u32 v50, 0, v44, 8
	v_mov_b32_e32 v51, v0
	s_mov_b32 s3, 0
.LBB20_337:                             ; =>This Inner Loop Header: Depth=1
	scratch_load_b64 v[52:53], v50, off
	ds_load_b64 v[54:55], v49
	s_wait_xcnt 0x0
	v_dual_add_nc_u32 v49, 8, v49 :: v_dual_add_nc_u32 v50, 8, v50
	s_wait_loadcnt_dscnt 0x0
	v_pk_mul_f32 v[56:57], v[54:55], v[52:53] op_sel:[1,1] op_sel_hi:[0,1]
	s_delay_alu instid0(VALU_DEP_1) | instskip(SKIP_2) | instid1(VALU_DEP_3)
	v_pk_fma_f32 v[58:59], v[54:55], v[52:53], v[56:57] op_sel_hi:[1,0,1]
	v_add_nc_u32_e32 v51, 1, v51
	v_pk_fma_f32 v[52:53], v[54:55], v[52:53], v[56:57] neg_lo:[0,0,1] neg_hi:[0,0,1]
	v_mov_b32_e32 v53, v59
	s_delay_alu instid0(VALU_DEP_3) | instskip(NEXT) | instid1(VALU_DEP_2)
	v_cmp_lt_u32_e32 vcc_lo, 12, v51
	v_pk_add_f32 v[46:47], v[46:47], v[52:53]
	s_or_b32 s3, vcc_lo, s3
	s_delay_alu instid0(SALU_CYCLE_1)
	s_and_not1_b32 exec_lo, exec_lo, s3
	s_cbranch_execnz .LBB20_337
; %bb.338:
	s_or_b32 exec_lo, exec_lo, s3
.LBB20_339:
	s_delay_alu instid0(SALU_CYCLE_1) | instskip(SKIP_4) | instid1(VALU_DEP_1)
	s_or_b32 exec_lo, exec_lo, s2
	v_mov_b32_e32 v49, 0
	ds_load_b64 v[50:51], v49 offset:112
	s_wait_dscnt 0x0
	v_pk_mul_f32 v[52:53], v[46:47], v[50:51] op_sel:[1,1] op_sel_hi:[0,1]
	v_pk_fma_f32 v[54:55], v[46:47], v[50:51], v[52:53] op_sel_hi:[1,0,1]
	v_pk_fma_f32 v[46:47], v[46:47], v[50:51], v[52:53] neg_lo:[0,0,1] neg_hi:[0,0,1]
	s_delay_alu instid0(VALU_DEP_2)
	v_mov_b32_e32 v47, v55
	scratch_store_b64 off, v[46:47], off offset:112
.LBB20_340:
	s_wait_xcnt 0x0
	s_or_b32 exec_lo, exec_lo, s0
	scratch_load_b64 v[46:47], off, off offset:120
	s_mov_b32 s0, exec_lo
	s_wait_loadcnt 0x0
	ds_store_b64 v1, v[46:47]
	s_wait_storecnt_dscnt 0x0
	s_barrier_signal -1
	s_barrier_wait -1
	s_wait_xcnt 0x0
	v_cmpx_gt_u32_e32 15, v0
	s_cbranch_execz .LBB20_350
; %bb.341:
	v_cmp_ne_u32_e32 vcc_lo, 1, v48
	s_cbranch_vccnz .LBB20_343
; %bb.342:
	scratch_load_b64 v[46:47], v45, off
	ds_load_b64 v[50:51], v1
	s_wait_loadcnt_dscnt 0x0
	v_pk_mul_f32 v[52:53], v[50:51], v[46:47] op_sel:[1,1] op_sel_hi:[0,1]
	s_delay_alu instid0(VALU_DEP_1) | instskip(SKIP_1) | instid1(VALU_DEP_2)
	v_pk_fma_f32 v[54:55], v[50:51], v[46:47], v[52:53] op_sel_hi:[1,0,1]
	v_pk_fma_f32 v[46:47], v[50:51], v[46:47], v[52:53] neg_lo:[0,0,1] neg_hi:[0,0,1]
	v_mov_b32_e32 v47, v55
	s_cbranch_execz .LBB20_344
	s_branch .LBB20_345
.LBB20_343:
                                        ; implicit-def: $vgpr46_vgpr47
.LBB20_344:
	ds_load_b64 v[46:47], v1
.LBB20_345:
	s_mov_b32 s2, exec_lo
	v_cmpx_ne_u32_e32 14, v0
	s_cbranch_execz .LBB20_349
; %bb.346:
	v_add_nc_u32_e32 v49, 0xb8, v44
	v_add3_u32 v50, 0, v44, 8
	v_mov_b32_e32 v51, v0
	s_mov_b32 s3, 0
.LBB20_347:                             ; =>This Inner Loop Header: Depth=1
	scratch_load_b64 v[52:53], v50, off
	ds_load_b64 v[54:55], v49
	s_wait_xcnt 0x0
	v_dual_add_nc_u32 v49, 8, v49 :: v_dual_add_nc_u32 v50, 8, v50
	s_wait_loadcnt_dscnt 0x0
	v_pk_mul_f32 v[56:57], v[54:55], v[52:53] op_sel:[1,1] op_sel_hi:[0,1]
	s_delay_alu instid0(VALU_DEP_1) | instskip(SKIP_2) | instid1(VALU_DEP_3)
	v_pk_fma_f32 v[58:59], v[54:55], v[52:53], v[56:57] op_sel_hi:[1,0,1]
	v_add_nc_u32_e32 v51, 1, v51
	v_pk_fma_f32 v[52:53], v[54:55], v[52:53], v[56:57] neg_lo:[0,0,1] neg_hi:[0,0,1]
	v_mov_b32_e32 v53, v59
	s_delay_alu instid0(VALU_DEP_3) | instskip(NEXT) | instid1(VALU_DEP_2)
	v_cmp_lt_u32_e32 vcc_lo, 13, v51
	v_pk_add_f32 v[46:47], v[46:47], v[52:53]
	s_or_b32 s3, vcc_lo, s3
	s_delay_alu instid0(SALU_CYCLE_1)
	s_and_not1_b32 exec_lo, exec_lo, s3
	s_cbranch_execnz .LBB20_347
; %bb.348:
	s_or_b32 exec_lo, exec_lo, s3
.LBB20_349:
	s_delay_alu instid0(SALU_CYCLE_1) | instskip(SKIP_4) | instid1(VALU_DEP_1)
	s_or_b32 exec_lo, exec_lo, s2
	v_mov_b32_e32 v49, 0
	ds_load_b64 v[50:51], v49 offset:120
	s_wait_dscnt 0x0
	v_pk_mul_f32 v[52:53], v[46:47], v[50:51] op_sel:[1,1] op_sel_hi:[0,1]
	v_pk_fma_f32 v[54:55], v[46:47], v[50:51], v[52:53] op_sel_hi:[1,0,1]
	v_pk_fma_f32 v[46:47], v[46:47], v[50:51], v[52:53] neg_lo:[0,0,1] neg_hi:[0,0,1]
	s_delay_alu instid0(VALU_DEP_2)
	v_mov_b32_e32 v47, v55
	scratch_store_b64 off, v[46:47], off offset:120
.LBB20_350:
	s_wait_xcnt 0x0
	s_or_b32 exec_lo, exec_lo, s0
	scratch_load_b64 v[46:47], off, off offset:128
	s_mov_b32 s0, exec_lo
	s_wait_loadcnt 0x0
	ds_store_b64 v1, v[46:47]
	s_wait_storecnt_dscnt 0x0
	s_barrier_signal -1
	s_barrier_wait -1
	s_wait_xcnt 0x0
	v_cmpx_gt_u32_e32 16, v0
	s_cbranch_execz .LBB20_360
; %bb.351:
	v_cmp_ne_u32_e32 vcc_lo, 1, v48
	s_cbranch_vccnz .LBB20_353
; %bb.352:
	scratch_load_b64 v[46:47], v45, off
	ds_load_b64 v[50:51], v1
	s_wait_loadcnt_dscnt 0x0
	v_pk_mul_f32 v[52:53], v[50:51], v[46:47] op_sel:[1,1] op_sel_hi:[0,1]
	s_delay_alu instid0(VALU_DEP_1) | instskip(SKIP_1) | instid1(VALU_DEP_2)
	v_pk_fma_f32 v[54:55], v[50:51], v[46:47], v[52:53] op_sel_hi:[1,0,1]
	v_pk_fma_f32 v[46:47], v[50:51], v[46:47], v[52:53] neg_lo:[0,0,1] neg_hi:[0,0,1]
	v_mov_b32_e32 v47, v55
	s_cbranch_execz .LBB20_354
	s_branch .LBB20_355
.LBB20_353:
                                        ; implicit-def: $vgpr46_vgpr47
.LBB20_354:
	ds_load_b64 v[46:47], v1
.LBB20_355:
	s_mov_b32 s2, exec_lo
	v_cmpx_ne_u32_e32 15, v0
	s_cbranch_execz .LBB20_359
; %bb.356:
	v_add_nc_u32_e32 v49, 0xb8, v44
	v_add3_u32 v50, 0, v44, 8
	v_mov_b32_e32 v51, v0
	s_mov_b32 s3, 0
.LBB20_357:                             ; =>This Inner Loop Header: Depth=1
	scratch_load_b64 v[52:53], v50, off
	ds_load_b64 v[54:55], v49
	s_wait_xcnt 0x0
	v_dual_add_nc_u32 v49, 8, v49 :: v_dual_add_nc_u32 v50, 8, v50
	s_wait_loadcnt_dscnt 0x0
	v_pk_mul_f32 v[56:57], v[54:55], v[52:53] op_sel:[1,1] op_sel_hi:[0,1]
	s_delay_alu instid0(VALU_DEP_1) | instskip(SKIP_2) | instid1(VALU_DEP_3)
	v_pk_fma_f32 v[58:59], v[54:55], v[52:53], v[56:57] op_sel_hi:[1,0,1]
	v_add_nc_u32_e32 v51, 1, v51
	v_pk_fma_f32 v[52:53], v[54:55], v[52:53], v[56:57] neg_lo:[0,0,1] neg_hi:[0,0,1]
	v_mov_b32_e32 v53, v59
	s_delay_alu instid0(VALU_DEP_3) | instskip(NEXT) | instid1(VALU_DEP_2)
	v_cmp_lt_u32_e32 vcc_lo, 14, v51
	v_pk_add_f32 v[46:47], v[46:47], v[52:53]
	s_or_b32 s3, vcc_lo, s3
	s_delay_alu instid0(SALU_CYCLE_1)
	s_and_not1_b32 exec_lo, exec_lo, s3
	s_cbranch_execnz .LBB20_357
; %bb.358:
	s_or_b32 exec_lo, exec_lo, s3
.LBB20_359:
	s_delay_alu instid0(SALU_CYCLE_1) | instskip(SKIP_4) | instid1(VALU_DEP_1)
	s_or_b32 exec_lo, exec_lo, s2
	v_mov_b32_e32 v49, 0
	ds_load_b64 v[50:51], v49 offset:128
	s_wait_dscnt 0x0
	v_pk_mul_f32 v[52:53], v[46:47], v[50:51] op_sel:[1,1] op_sel_hi:[0,1]
	v_pk_fma_f32 v[54:55], v[46:47], v[50:51], v[52:53] op_sel_hi:[1,0,1]
	v_pk_fma_f32 v[46:47], v[46:47], v[50:51], v[52:53] neg_lo:[0,0,1] neg_hi:[0,0,1]
	s_delay_alu instid0(VALU_DEP_2)
	v_mov_b32_e32 v47, v55
	scratch_store_b64 off, v[46:47], off offset:128
.LBB20_360:
	s_wait_xcnt 0x0
	s_or_b32 exec_lo, exec_lo, s0
	scratch_load_b64 v[46:47], off, off offset:136
	s_mov_b32 s0, exec_lo
	s_wait_loadcnt 0x0
	ds_store_b64 v1, v[46:47]
	s_wait_storecnt_dscnt 0x0
	s_barrier_signal -1
	s_barrier_wait -1
	s_wait_xcnt 0x0
	v_cmpx_gt_u32_e32 17, v0
	s_cbranch_execz .LBB20_370
; %bb.361:
	v_cmp_ne_u32_e32 vcc_lo, 1, v48
	s_cbranch_vccnz .LBB20_363
; %bb.362:
	scratch_load_b64 v[46:47], v45, off
	ds_load_b64 v[50:51], v1
	s_wait_loadcnt_dscnt 0x0
	v_pk_mul_f32 v[52:53], v[50:51], v[46:47] op_sel:[1,1] op_sel_hi:[0,1]
	s_delay_alu instid0(VALU_DEP_1) | instskip(SKIP_1) | instid1(VALU_DEP_2)
	v_pk_fma_f32 v[54:55], v[50:51], v[46:47], v[52:53] op_sel_hi:[1,0,1]
	v_pk_fma_f32 v[46:47], v[50:51], v[46:47], v[52:53] neg_lo:[0,0,1] neg_hi:[0,0,1]
	v_mov_b32_e32 v47, v55
	s_cbranch_execz .LBB20_364
	s_branch .LBB20_365
.LBB20_363:
                                        ; implicit-def: $vgpr46_vgpr47
.LBB20_364:
	ds_load_b64 v[46:47], v1
.LBB20_365:
	s_mov_b32 s2, exec_lo
	v_cmpx_ne_u32_e32 16, v0
	s_cbranch_execz .LBB20_369
; %bb.366:
	v_add_nc_u32_e32 v49, 0xb8, v44
	v_add3_u32 v50, 0, v44, 8
	v_mov_b32_e32 v51, v0
	s_mov_b32 s3, 0
.LBB20_367:                             ; =>This Inner Loop Header: Depth=1
	scratch_load_b64 v[52:53], v50, off
	ds_load_b64 v[54:55], v49
	s_wait_xcnt 0x0
	v_dual_add_nc_u32 v49, 8, v49 :: v_dual_add_nc_u32 v50, 8, v50
	s_wait_loadcnt_dscnt 0x0
	v_pk_mul_f32 v[56:57], v[54:55], v[52:53] op_sel:[1,1] op_sel_hi:[0,1]
	s_delay_alu instid0(VALU_DEP_1) | instskip(SKIP_2) | instid1(VALU_DEP_3)
	v_pk_fma_f32 v[58:59], v[54:55], v[52:53], v[56:57] op_sel_hi:[1,0,1]
	v_add_nc_u32_e32 v51, 1, v51
	v_pk_fma_f32 v[52:53], v[54:55], v[52:53], v[56:57] neg_lo:[0,0,1] neg_hi:[0,0,1]
	v_mov_b32_e32 v53, v59
	s_delay_alu instid0(VALU_DEP_3) | instskip(NEXT) | instid1(VALU_DEP_2)
	v_cmp_lt_u32_e32 vcc_lo, 15, v51
	v_pk_add_f32 v[46:47], v[46:47], v[52:53]
	s_or_b32 s3, vcc_lo, s3
	s_delay_alu instid0(SALU_CYCLE_1)
	s_and_not1_b32 exec_lo, exec_lo, s3
	s_cbranch_execnz .LBB20_367
; %bb.368:
	s_or_b32 exec_lo, exec_lo, s3
.LBB20_369:
	s_delay_alu instid0(SALU_CYCLE_1) | instskip(SKIP_4) | instid1(VALU_DEP_1)
	s_or_b32 exec_lo, exec_lo, s2
	v_mov_b32_e32 v49, 0
	ds_load_b64 v[50:51], v49 offset:136
	s_wait_dscnt 0x0
	v_pk_mul_f32 v[52:53], v[46:47], v[50:51] op_sel:[1,1] op_sel_hi:[0,1]
	v_pk_fma_f32 v[54:55], v[46:47], v[50:51], v[52:53] op_sel_hi:[1,0,1]
	v_pk_fma_f32 v[46:47], v[46:47], v[50:51], v[52:53] neg_lo:[0,0,1] neg_hi:[0,0,1]
	s_delay_alu instid0(VALU_DEP_2)
	v_mov_b32_e32 v47, v55
	scratch_store_b64 off, v[46:47], off offset:136
.LBB20_370:
	s_wait_xcnt 0x0
	s_or_b32 exec_lo, exec_lo, s0
	scratch_load_b64 v[46:47], off, off offset:144
	s_mov_b32 s0, exec_lo
	s_wait_loadcnt 0x0
	ds_store_b64 v1, v[46:47]
	s_wait_storecnt_dscnt 0x0
	s_barrier_signal -1
	s_barrier_wait -1
	s_wait_xcnt 0x0
	v_cmpx_gt_u32_e32 18, v0
	s_cbranch_execz .LBB20_380
; %bb.371:
	v_cmp_ne_u32_e32 vcc_lo, 1, v48
	s_cbranch_vccnz .LBB20_373
; %bb.372:
	scratch_load_b64 v[46:47], v45, off
	ds_load_b64 v[50:51], v1
	s_wait_loadcnt_dscnt 0x0
	v_pk_mul_f32 v[52:53], v[50:51], v[46:47] op_sel:[1,1] op_sel_hi:[0,1]
	s_delay_alu instid0(VALU_DEP_1) | instskip(SKIP_1) | instid1(VALU_DEP_2)
	v_pk_fma_f32 v[54:55], v[50:51], v[46:47], v[52:53] op_sel_hi:[1,0,1]
	v_pk_fma_f32 v[46:47], v[50:51], v[46:47], v[52:53] neg_lo:[0,0,1] neg_hi:[0,0,1]
	v_mov_b32_e32 v47, v55
	s_cbranch_execz .LBB20_374
	s_branch .LBB20_375
.LBB20_373:
                                        ; implicit-def: $vgpr46_vgpr47
.LBB20_374:
	ds_load_b64 v[46:47], v1
.LBB20_375:
	s_mov_b32 s2, exec_lo
	v_cmpx_ne_u32_e32 17, v0
	s_cbranch_execz .LBB20_379
; %bb.376:
	v_add_nc_u32_e32 v49, 0xb8, v44
	v_add3_u32 v50, 0, v44, 8
	v_mov_b32_e32 v51, v0
	s_mov_b32 s3, 0
.LBB20_377:                             ; =>This Inner Loop Header: Depth=1
	scratch_load_b64 v[52:53], v50, off
	ds_load_b64 v[54:55], v49
	s_wait_xcnt 0x0
	v_dual_add_nc_u32 v49, 8, v49 :: v_dual_add_nc_u32 v50, 8, v50
	s_wait_loadcnt_dscnt 0x0
	v_pk_mul_f32 v[56:57], v[54:55], v[52:53] op_sel:[1,1] op_sel_hi:[0,1]
	s_delay_alu instid0(VALU_DEP_1) | instskip(SKIP_2) | instid1(VALU_DEP_3)
	v_pk_fma_f32 v[58:59], v[54:55], v[52:53], v[56:57] op_sel_hi:[1,0,1]
	v_add_nc_u32_e32 v51, 1, v51
	v_pk_fma_f32 v[52:53], v[54:55], v[52:53], v[56:57] neg_lo:[0,0,1] neg_hi:[0,0,1]
	v_mov_b32_e32 v53, v59
	s_delay_alu instid0(VALU_DEP_3) | instskip(NEXT) | instid1(VALU_DEP_2)
	v_cmp_lt_u32_e32 vcc_lo, 16, v51
	v_pk_add_f32 v[46:47], v[46:47], v[52:53]
	s_or_b32 s3, vcc_lo, s3
	s_delay_alu instid0(SALU_CYCLE_1)
	s_and_not1_b32 exec_lo, exec_lo, s3
	s_cbranch_execnz .LBB20_377
; %bb.378:
	s_or_b32 exec_lo, exec_lo, s3
.LBB20_379:
	s_delay_alu instid0(SALU_CYCLE_1) | instskip(SKIP_4) | instid1(VALU_DEP_1)
	s_or_b32 exec_lo, exec_lo, s2
	v_mov_b32_e32 v49, 0
	ds_load_b64 v[50:51], v49 offset:144
	s_wait_dscnt 0x0
	v_pk_mul_f32 v[52:53], v[46:47], v[50:51] op_sel:[1,1] op_sel_hi:[0,1]
	v_pk_fma_f32 v[54:55], v[46:47], v[50:51], v[52:53] op_sel_hi:[1,0,1]
	v_pk_fma_f32 v[46:47], v[46:47], v[50:51], v[52:53] neg_lo:[0,0,1] neg_hi:[0,0,1]
	s_delay_alu instid0(VALU_DEP_2)
	v_mov_b32_e32 v47, v55
	scratch_store_b64 off, v[46:47], off offset:144
.LBB20_380:
	s_wait_xcnt 0x0
	s_or_b32 exec_lo, exec_lo, s0
	scratch_load_b64 v[46:47], off, off offset:152
	v_cmp_gt_u32_e64 s0, 19, v0
	s_wait_loadcnt 0x0
	ds_store_b64 v1, v[46:47]
	s_wait_storecnt_dscnt 0x0
	s_barrier_signal -1
	s_barrier_wait -1
	s_wait_xcnt 0x0
	s_and_saveexec_b32 s2, s0
	s_cbranch_execz .LBB20_390
; %bb.381:
	v_cmp_ne_u32_e32 vcc_lo, 1, v48
	s_cbranch_vccnz .LBB20_383
; %bb.382:
	scratch_load_b64 v[46:47], v45, off
	ds_load_b64 v[50:51], v1
	s_wait_loadcnt_dscnt 0x0
	v_pk_mul_f32 v[52:53], v[50:51], v[46:47] op_sel:[1,1] op_sel_hi:[0,1]
	s_delay_alu instid0(VALU_DEP_1) | instskip(SKIP_1) | instid1(VALU_DEP_2)
	v_pk_fma_f32 v[54:55], v[50:51], v[46:47], v[52:53] op_sel_hi:[1,0,1]
	v_pk_fma_f32 v[46:47], v[50:51], v[46:47], v[52:53] neg_lo:[0,0,1] neg_hi:[0,0,1]
	v_mov_b32_e32 v47, v55
	s_cbranch_execz .LBB20_384
	s_branch .LBB20_385
.LBB20_383:
                                        ; implicit-def: $vgpr46_vgpr47
.LBB20_384:
	ds_load_b64 v[46:47], v1
.LBB20_385:
	s_mov_b32 s3, exec_lo
	v_cmpx_ne_u32_e32 18, v0
	s_cbranch_execz .LBB20_389
; %bb.386:
	v_add_nc_u32_e32 v49, 0xb8, v44
	v_add3_u32 v50, 0, v44, 8
	v_mov_b32_e32 v51, v0
	s_mov_b32 s4, 0
.LBB20_387:                             ; =>This Inner Loop Header: Depth=1
	scratch_load_b64 v[52:53], v50, off
	ds_load_b64 v[54:55], v49
	s_wait_xcnt 0x0
	v_dual_add_nc_u32 v49, 8, v49 :: v_dual_add_nc_u32 v50, 8, v50
	s_wait_loadcnt_dscnt 0x0
	v_pk_mul_f32 v[56:57], v[54:55], v[52:53] op_sel:[1,1] op_sel_hi:[0,1]
	s_delay_alu instid0(VALU_DEP_1) | instskip(SKIP_2) | instid1(VALU_DEP_3)
	v_pk_fma_f32 v[58:59], v[54:55], v[52:53], v[56:57] op_sel_hi:[1,0,1]
	v_add_nc_u32_e32 v51, 1, v51
	v_pk_fma_f32 v[52:53], v[54:55], v[52:53], v[56:57] neg_lo:[0,0,1] neg_hi:[0,0,1]
	v_mov_b32_e32 v53, v59
	s_delay_alu instid0(VALU_DEP_3) | instskip(NEXT) | instid1(VALU_DEP_2)
	v_cmp_lt_u32_e32 vcc_lo, 17, v51
	v_pk_add_f32 v[46:47], v[46:47], v[52:53]
	s_or_b32 s4, vcc_lo, s4
	s_delay_alu instid0(SALU_CYCLE_1)
	s_and_not1_b32 exec_lo, exec_lo, s4
	s_cbranch_execnz .LBB20_387
; %bb.388:
	s_or_b32 exec_lo, exec_lo, s4
.LBB20_389:
	s_delay_alu instid0(SALU_CYCLE_1) | instskip(SKIP_4) | instid1(VALU_DEP_1)
	s_or_b32 exec_lo, exec_lo, s3
	v_mov_b32_e32 v49, 0
	ds_load_b64 v[50:51], v49 offset:152
	s_wait_dscnt 0x0
	v_pk_mul_f32 v[52:53], v[46:47], v[50:51] op_sel:[1,1] op_sel_hi:[0,1]
	v_pk_fma_f32 v[54:55], v[46:47], v[50:51], v[52:53] op_sel_hi:[1,0,1]
	v_pk_fma_f32 v[46:47], v[46:47], v[50:51], v[52:53] neg_lo:[0,0,1] neg_hi:[0,0,1]
	s_delay_alu instid0(VALU_DEP_2)
	v_mov_b32_e32 v47, v55
	scratch_store_b64 off, v[46:47], off offset:152
.LBB20_390:
	s_wait_xcnt 0x0
	s_or_b32 exec_lo, exec_lo, s2
	scratch_load_b64 v[46:47], off, off offset:160
	s_mov_b32 s2, exec_lo
                                        ; implicit-def: $vgpr52
                                        ; implicit-def: $sgpr5
	s_wait_loadcnt 0x0
	ds_store_b64 v1, v[46:47]
	s_wait_storecnt_dscnt 0x0
	s_barrier_signal -1
	s_barrier_wait -1
	s_wait_xcnt 0x0
	v_cmpx_ne_u32_e32 20, v0
	s_cbranch_execz .LBB20_400
; %bb.391:
	v_cmp_ne_u32_e32 vcc_lo, 1, v48
	s_cbranch_vccnz .LBB20_393
; %bb.392:
	scratch_load_b64 v[48:49], v45, off
	ds_load_b64 v[50:51], v1
	s_wait_loadcnt_dscnt 0x0
	v_dual_mul_f32 v45, v51, v49 :: v_dual_mul_f32 v47, v50, v49
	s_delay_alu instid0(VALU_DEP_1)
	v_dual_fma_f32 v46, v50, v48, -v45 :: v_dual_fmac_f32 v47, v51, v48
	s_cbranch_execz .LBB20_394
	s_branch .LBB20_395
.LBB20_393:
                                        ; implicit-def: $vgpr47
.LBB20_394:
	ds_load_b64 v[46:47], v1
.LBB20_395:
	s_and_saveexec_b32 s3, s0
	s_cbranch_execz .LBB20_399
; %bb.396:
	v_add_nc_u32_e32 v1, 0xb8, v44
	v_add3_u32 v44, 0, v44, 8
	s_mov_b32 s0, 0
.LBB20_397:                             ; =>This Inner Loop Header: Depth=1
	scratch_load_b64 v[48:49], v44, off
	ds_load_b64 v[50:51], v1
	v_dual_add_nc_u32 v0, 1, v0 :: v_dual_add_nc_u32 v1, 8, v1
	s_wait_xcnt 0x0
	v_add_nc_u32_e32 v44, 8, v44
	s_delay_alu instid0(VALU_DEP_2) | instskip(SKIP_3) | instid1(VALU_DEP_1)
	v_cmp_lt_u32_e32 vcc_lo, 18, v0
	s_or_b32 s0, vcc_lo, s0
	s_wait_loadcnt_dscnt 0x0
	v_dual_mul_f32 v45, v51, v49 :: v_dual_mul_f32 v49, v50, v49
	v_fmac_f32_e32 v49, v51, v48
	s_delay_alu instid0(VALU_DEP_1) | instskip(NEXT) | instid1(VALU_DEP_1)
	v_dual_fma_f32 v45, v50, v48, -v45 :: v_dual_add_f32 v47, v47, v49
	v_add_f32_e32 v46, v46, v45
	s_and_not1_b32 exec_lo, exec_lo, s0
	s_cbranch_execnz .LBB20_397
; %bb.398:
	s_or_b32 exec_lo, exec_lo, s0
.LBB20_399:
	s_delay_alu instid0(SALU_CYCLE_1)
	s_or_b32 exec_lo, exec_lo, s3
	v_mov_b32_e32 v0, 0
	s_movk_i32 s5, 0xa4
	s_or_b32 s1, s1, exec_lo
	ds_load_b64 v[0:1], v0 offset:160
	s_wait_dscnt 0x0
	v_dual_mul_f32 v44, v47, v1 :: v_dual_mul_f32 v52, v46, v1
	s_delay_alu instid0(VALU_DEP_1) | instskip(NEXT) | instid1(VALU_DEP_2)
	v_fma_f32 v1, v46, v0, -v44
	v_fmac_f32_e32 v52, v47, v0
	scratch_store_b32 off, v1, off offset:160
.LBB20_400:
	s_wait_xcnt 0x0
	s_or_b32 exec_lo, exec_lo, s2
.LBB20_401:
	v_lshl_add_u64 v[50:51], v[6:7], 3, s[6:7]
	v_lshl_add_u64 v[48:49], v[8:9], 3, s[6:7]
	;; [unrolled: 1-line block ×19, first 2 shown]
	s_and_saveexec_b32 s0, s1
	s_cbranch_execz .LBB20_403
; %bb.402:
	scratch_store_b32 off, v52, s5
.LBB20_403:
	s_wait_xcnt 0x0
	s_or_b32 exec_lo, exec_lo, s0
	s_clause 0x4
	scratch_load_b128 v[34:37], off, off
	scratch_load_b128 v[38:41], off, off offset:16
	scratch_load_b128 v[52:55], off, off offset:32
	;; [unrolled: 1-line block ×4, first 2 shown]
	s_wait_loadcnt 0x4
	s_clause 0x1
	global_store_b64 v[2:3], v[34:35], off
	global_store_b64 v[4:5], v[36:37], off
	s_wait_loadcnt 0x3
	s_clause 0x1
	global_store_b64 v[50:51], v[38:39], off
	global_store_b64 v[48:49], v[40:41], off
	;; [unrolled: 4-line block ×3, first 2 shown]
	s_clause 0x5
	scratch_load_b128 v[2:5], off, off offset:80
	scratch_load_b128 v[34:37], off, off offset:96
	;; [unrolled: 1-line block ×5, first 2 shown]
	scratch_load_b64 v[50:51], off, off offset:160
	s_wait_loadcnt 0x7
	s_clause 0x1
	global_store_b64 v[0:1], v[56:57], off
	global_store_b64 v[6:7], v[58:59], off
	s_wait_loadcnt 0x6
	s_clause 0x1
	global_store_b64 v[8:9], v[60:61], off
	global_store_b64 v[10:11], v[62:63], off
	;; [unrolled: 4-line block ×7, first 2 shown]
	s_wait_loadcnt 0x0
	global_store_b64 v[32:33], v[50:51], off
.LBB20_404:
	s_endpgm
	.section	.rodata,"a",@progbits
	.p2align	6, 0x0
	.amdhsa_kernel _ZN9rocsolver6v33100L18trti2_kernel_smallILi21E19rocblas_complex_numIfEPS3_EEv13rocblas_fill_17rocblas_diagonal_T1_iil
		.amdhsa_group_segment_fixed_size 344
		.amdhsa_private_segment_fixed_size 176
		.amdhsa_kernarg_size 32
		.amdhsa_user_sgpr_count 2
		.amdhsa_user_sgpr_dispatch_ptr 0
		.amdhsa_user_sgpr_queue_ptr 0
		.amdhsa_user_sgpr_kernarg_segment_ptr 1
		.amdhsa_user_sgpr_dispatch_id 0
		.amdhsa_user_sgpr_kernarg_preload_length 0
		.amdhsa_user_sgpr_kernarg_preload_offset 0
		.amdhsa_user_sgpr_private_segment_size 0
		.amdhsa_wavefront_size32 1
		.amdhsa_uses_dynamic_stack 0
		.amdhsa_enable_private_segment 1
		.amdhsa_system_sgpr_workgroup_id_x 1
		.amdhsa_system_sgpr_workgroup_id_y 0
		.amdhsa_system_sgpr_workgroup_id_z 0
		.amdhsa_system_sgpr_workgroup_info 0
		.amdhsa_system_vgpr_workitem_id 0
		.amdhsa_next_free_vgpr 64
		.amdhsa_next_free_sgpr 17
		.amdhsa_named_barrier_count 0
		.amdhsa_reserve_vcc 1
		.amdhsa_float_round_mode_32 0
		.amdhsa_float_round_mode_16_64 0
		.amdhsa_float_denorm_mode_32 3
		.amdhsa_float_denorm_mode_16_64 3
		.amdhsa_fp16_overflow 0
		.amdhsa_memory_ordered 1
		.amdhsa_forward_progress 1
		.amdhsa_inst_pref_size 123
		.amdhsa_round_robin_scheduling 0
		.amdhsa_exception_fp_ieee_invalid_op 0
		.amdhsa_exception_fp_denorm_src 0
		.amdhsa_exception_fp_ieee_div_zero 0
		.amdhsa_exception_fp_ieee_overflow 0
		.amdhsa_exception_fp_ieee_underflow 0
		.amdhsa_exception_fp_ieee_inexact 0
		.amdhsa_exception_int_div_zero 0
	.end_amdhsa_kernel
	.section	.text._ZN9rocsolver6v33100L18trti2_kernel_smallILi21E19rocblas_complex_numIfEPS3_EEv13rocblas_fill_17rocblas_diagonal_T1_iil,"axG",@progbits,_ZN9rocsolver6v33100L18trti2_kernel_smallILi21E19rocblas_complex_numIfEPS3_EEv13rocblas_fill_17rocblas_diagonal_T1_iil,comdat
.Lfunc_end20:
	.size	_ZN9rocsolver6v33100L18trti2_kernel_smallILi21E19rocblas_complex_numIfEPS3_EEv13rocblas_fill_17rocblas_diagonal_T1_iil, .Lfunc_end20-_ZN9rocsolver6v33100L18trti2_kernel_smallILi21E19rocblas_complex_numIfEPS3_EEv13rocblas_fill_17rocblas_diagonal_T1_iil
                                        ; -- End function
	.set _ZN9rocsolver6v33100L18trti2_kernel_smallILi21E19rocblas_complex_numIfEPS3_EEv13rocblas_fill_17rocblas_diagonal_T1_iil.num_vgpr, 64
	.set _ZN9rocsolver6v33100L18trti2_kernel_smallILi21E19rocblas_complex_numIfEPS3_EEv13rocblas_fill_17rocblas_diagonal_T1_iil.num_agpr, 0
	.set _ZN9rocsolver6v33100L18trti2_kernel_smallILi21E19rocblas_complex_numIfEPS3_EEv13rocblas_fill_17rocblas_diagonal_T1_iil.numbered_sgpr, 17
	.set _ZN9rocsolver6v33100L18trti2_kernel_smallILi21E19rocblas_complex_numIfEPS3_EEv13rocblas_fill_17rocblas_diagonal_T1_iil.num_named_barrier, 0
	.set _ZN9rocsolver6v33100L18trti2_kernel_smallILi21E19rocblas_complex_numIfEPS3_EEv13rocblas_fill_17rocblas_diagonal_T1_iil.private_seg_size, 176
	.set _ZN9rocsolver6v33100L18trti2_kernel_smallILi21E19rocblas_complex_numIfEPS3_EEv13rocblas_fill_17rocblas_diagonal_T1_iil.uses_vcc, 1
	.set _ZN9rocsolver6v33100L18trti2_kernel_smallILi21E19rocblas_complex_numIfEPS3_EEv13rocblas_fill_17rocblas_diagonal_T1_iil.uses_flat_scratch, 1
	.set _ZN9rocsolver6v33100L18trti2_kernel_smallILi21E19rocblas_complex_numIfEPS3_EEv13rocblas_fill_17rocblas_diagonal_T1_iil.has_dyn_sized_stack, 0
	.set _ZN9rocsolver6v33100L18trti2_kernel_smallILi21E19rocblas_complex_numIfEPS3_EEv13rocblas_fill_17rocblas_diagonal_T1_iil.has_recursion, 0
	.set _ZN9rocsolver6v33100L18trti2_kernel_smallILi21E19rocblas_complex_numIfEPS3_EEv13rocblas_fill_17rocblas_diagonal_T1_iil.has_indirect_call, 0
	.section	.AMDGPU.csdata,"",@progbits
; Kernel info:
; codeLenInByte = 15736
; TotalNumSgprs: 19
; NumVgprs: 64
; ScratchSize: 176
; MemoryBound: 0
; FloatMode: 240
; IeeeMode: 1
; LDSByteSize: 344 bytes/workgroup (compile time only)
; SGPRBlocks: 0
; VGPRBlocks: 3
; NumSGPRsForWavesPerEU: 19
; NumVGPRsForWavesPerEU: 64
; NamedBarCnt: 0
; Occupancy: 16
; WaveLimiterHint : 0
; COMPUTE_PGM_RSRC2:SCRATCH_EN: 1
; COMPUTE_PGM_RSRC2:USER_SGPR: 2
; COMPUTE_PGM_RSRC2:TRAP_HANDLER: 0
; COMPUTE_PGM_RSRC2:TGID_X_EN: 1
; COMPUTE_PGM_RSRC2:TGID_Y_EN: 0
; COMPUTE_PGM_RSRC2:TGID_Z_EN: 0
; COMPUTE_PGM_RSRC2:TIDIG_COMP_CNT: 0
	.section	.text._ZN9rocsolver6v33100L18trti2_kernel_smallILi22E19rocblas_complex_numIfEPS3_EEv13rocblas_fill_17rocblas_diagonal_T1_iil,"axG",@progbits,_ZN9rocsolver6v33100L18trti2_kernel_smallILi22E19rocblas_complex_numIfEPS3_EEv13rocblas_fill_17rocblas_diagonal_T1_iil,comdat
	.globl	_ZN9rocsolver6v33100L18trti2_kernel_smallILi22E19rocblas_complex_numIfEPS3_EEv13rocblas_fill_17rocblas_diagonal_T1_iil ; -- Begin function _ZN9rocsolver6v33100L18trti2_kernel_smallILi22E19rocblas_complex_numIfEPS3_EEv13rocblas_fill_17rocblas_diagonal_T1_iil
	.p2align	8
	.type	_ZN9rocsolver6v33100L18trti2_kernel_smallILi22E19rocblas_complex_numIfEPS3_EEv13rocblas_fill_17rocblas_diagonal_T1_iil,@function
_ZN9rocsolver6v33100L18trti2_kernel_smallILi22E19rocblas_complex_numIfEPS3_EEv13rocblas_fill_17rocblas_diagonal_T1_iil: ; @_ZN9rocsolver6v33100L18trti2_kernel_smallILi22E19rocblas_complex_numIfEPS3_EEv13rocblas_fill_17rocblas_diagonal_T1_iil
; %bb.0:
	s_mov_b32 s2, exec_lo
	v_cmpx_gt_u32_e32 22, v0
	s_cbranch_execz .LBB21_424
; %bb.1:
	s_load_b256 s[4:11], s[0:1], 0x0
	s_wait_xcnt 0x0
	s_bfe_u32 s0, ttmp6, 0x4000c
	s_and_b32 s1, ttmp6, 15
	s_add_co_i32 s0, s0, 1
	s_getreg_b32 s2, hwreg(HW_REG_IB_STS2, 6, 4)
	s_mul_i32 s0, ttmp9, s0
	v_dual_mov_b32 v43, 0 :: v_dual_lshlrev_b32 v42, 3, v0
	s_add_co_i32 s0, s1, s0
	s_wait_kmcnt 0x0
	v_add3_u32 v6, s9, s9, v0
	s_ashr_i32 s1, s8, 31
	s_cmp_eq_u32 s2, 0
	s_cselect_b32 s2, ttmp9, s0
	s_delay_alu instid0(VALU_DEP_1)
	v_add_nc_u32_e32 v8, s9, v6
	s_ashr_i32 s3, s2, 31
	s_mov_b32 s0, s8
	s_mul_u64 s[2:3], s[10:11], s[2:3]
	s_lshl_b64 s[0:1], s[0:1], 3
	v_add_nc_u32_e32 v10, s9, v8
	s_lshl_b64 s[2:3], s[2:3], 3
	s_delay_alu instid0(SALU_CYCLE_1) | instskip(NEXT) | instid1(SALU_CYCLE_1)
	s_add_nc_u64 s[2:3], s[6:7], s[2:3]
	s_add_nc_u64 s[6:7], s[2:3], s[0:1]
	s_delay_alu instid0(VALU_DEP_1)
	v_add_nc_u32_e32 v12, s9, v10
	v_add_nc_u64_e32 v[2:3], s[6:7], v[42:43]
	s_mov_b32 s0, s9
	s_ashr_i32 s1, s9, 31
	s_cmp_lg_u32 s5, 0x84
	v_add_nc_u32_e32 v14, s9, v12
	s_cselect_b32 s3, -1, 0
	s_delay_alu instid0(VALU_DEP_2) | instskip(SKIP_1) | instid1(VALU_DEP_2)
	v_lshl_add_u64 v[4:5], s[0:1], 3, v[2:3]
	s_mov_b32 s0, -1
	v_add_nc_u32_e32 v16, s9, v14
	s_and_b32 vcc_lo, exec_lo, s3
	s_delay_alu instid0(VALU_DEP_1)
	v_add_nc_u32_e32 v18, s9, v16
	s_clause 0x7
	global_load_b64 v[32:33], v10, s[6:7] scale_offset
	global_load_b64 v[34:35], v12, s[6:7] scale_offset
	global_load_b64 v[36:37], v0, s[6:7] scale_offset
	global_load_b64 v[38:39], v[4:5], off
	global_load_b64 v[44:45], v6, s[6:7] scale_offset
	global_load_b64 v[46:47], v8, s[6:7] scale_offset
	;; [unrolled: 1-line block ×4, first 2 shown]
	v_add_nc_u32_e32 v20, s9, v18
	s_delay_alu instid0(VALU_DEP_1) | instskip(NEXT) | instid1(VALU_DEP_1)
	v_add_nc_u32_e32 v22, s9, v20
	v_add_nc_u32_e32 v24, s9, v22
	s_delay_alu instid0(VALU_DEP_1) | instskip(SKIP_4) | instid1(VALU_DEP_1)
	v_add_nc_u32_e32 v26, s9, v24
	s_clause 0x1
	global_load_b64 v[52:53], v18, s[6:7] scale_offset
	global_load_b64 v[54:55], v20, s[6:7] scale_offset
	v_add_nc_u32_e32 v28, s9, v26
	v_add_nc_u32_e32 v30, s9, v28
	s_clause 0x1
	global_load_b64 v[56:57], v22, s[6:7] scale_offset
	global_load_b64 v[58:59], v24, s[6:7] scale_offset
	s_wait_loadcnt 0xa
	scratch_store_b128 off, v[32:35], off offset:32
	s_wait_xcnt 0x0
	v_add_nc_u32_e32 v32, s9, v30
	s_clause 0x1
	global_load_b64 v[60:61], v26, s[6:7] scale_offset
	global_load_b64 v[62:63], v28, s[6:7] scale_offset
	s_wait_loadcnt 0xa
	scratch_store_b128 off, v[36:39], off
	v_add_nc_u32_e32 v34, s9, v32
	s_wait_xcnt 0x0
	s_delay_alu instid0(VALU_DEP_1) | instskip(NEXT) | instid1(VALU_DEP_1)
	v_add_nc_u32_e32 v36, s9, v34
	v_add_nc_u32_e32 v38, s9, v36
	s_clause 0x1
	global_load_b64 v[64:65], v30, s[6:7] scale_offset
	global_load_b64 v[66:67], v32, s[6:7] scale_offset
	s_wait_loadcnt 0xa
	scratch_store_b128 off, v[44:47], off offset:16
	s_wait_loadcnt 0x8
	scratch_store_b128 off, v[48:51], off offset:48
	;; [unrolled: 2-line block ×3, first 2 shown]
	v_add_nc_u32_e32 v40, s9, v38
	s_wait_loadcnt 0x4
	scratch_store_b128 off, v[56:59], off offset:80
	s_wait_loadcnt 0x2
	scratch_store_b128 off, v[60:63], off offset:96
	s_wait_xcnt 0x4
	v_add_nc_u32_e32 v44, s9, v40
	s_clause 0x3
	global_load_b64 v[48:49], v34, s[6:7] scale_offset
	global_load_b64 v[50:51], v36, s[6:7] scale_offset
	;; [unrolled: 1-line block ×4, first 2 shown]
	v_add_nc_u32_e32 v46, s9, v44
	s_wait_loadcnt 0x4
	scratch_store_b128 off, v[64:67], off offset:112
	s_clause 0x1
	global_load_b64 v[56:57], v44, s[6:7] scale_offset
	global_load_b64 v[58:59], v46, s[6:7] scale_offset
	s_wait_loadcnt 0x4
	scratch_store_b128 off, v[48:51], off offset:128
	s_wait_loadcnt 0x2
	scratch_store_b128 off, v[52:55], off offset:144
	;; [unrolled: 2-line block ×3, first 2 shown]
	s_cbranch_vccz .LBB21_7
; %bb.2:
	scratch_load_b64 v[48:49], v0, off scale_offset
                                        ; implicit-def: $vgpr53
                                        ; implicit-def: $vgpr50
	s_wait_loadcnt 0x0
	v_cmp_ngt_f32_e64 s0, |v48|, |v49|
	s_wait_xcnt 0x0
	s_and_saveexec_b32 s1, s0
	s_delay_alu instid0(SALU_CYCLE_1)
	s_xor_b32 s0, exec_lo, s1
	s_cbranch_execz .LBB21_4
; %bb.3:
	v_div_scale_f32 v1, null, v49, v49, v48
	v_div_scale_f32 v11, vcc_lo, v48, v49, v48
	s_delay_alu instid0(VALU_DEP_2) | instskip(SKIP_1) | instid1(TRANS32_DEP_1)
	v_rcp_f32_e32 v7, v1
	v_nop
	v_fma_f32 v9, -v1, v7, 1.0
	s_delay_alu instid0(VALU_DEP_1) | instskip(NEXT) | instid1(VALU_DEP_1)
	v_fmac_f32_e32 v7, v9, v7
	v_mul_f32_e32 v9, v11, v7
	s_delay_alu instid0(VALU_DEP_1) | instskip(NEXT) | instid1(VALU_DEP_1)
	v_fma_f32 v13, -v1, v9, v11
	v_fmac_f32_e32 v9, v13, v7
	s_delay_alu instid0(VALU_DEP_1) | instskip(NEXT) | instid1(VALU_DEP_1)
	v_fma_f32 v1, -v1, v9, v11
	v_div_fmas_f32 v1, v1, v7, v9
	s_delay_alu instid0(VALU_DEP_1) | instskip(NEXT) | instid1(VALU_DEP_1)
	v_div_fixup_f32 v1, v1, v49, v48
	v_fmac_f32_e32 v49, v48, v1
	s_delay_alu instid0(VALU_DEP_1) | instskip(NEXT) | instid1(VALU_DEP_1)
	v_div_scale_f32 v7, null, v49, v49, -1.0
	v_rcp_f32_e32 v9, v7
	v_nop
	s_delay_alu instid0(TRANS32_DEP_1) | instskip(NEXT) | instid1(VALU_DEP_1)
	v_fma_f32 v11, -v7, v9, 1.0
	v_fmac_f32_e32 v9, v11, v9
	v_div_scale_f32 v11, vcc_lo, -1.0, v49, -1.0
	s_delay_alu instid0(VALU_DEP_1) | instskip(NEXT) | instid1(VALU_DEP_1)
	v_mul_f32_e32 v13, v11, v9
	v_fma_f32 v15, -v7, v13, v11
	s_delay_alu instid0(VALU_DEP_1) | instskip(NEXT) | instid1(VALU_DEP_1)
	v_fmac_f32_e32 v13, v15, v9
	v_fma_f32 v7, -v7, v13, v11
	s_delay_alu instid0(VALU_DEP_1) | instskip(NEXT) | instid1(VALU_DEP_1)
	v_div_fmas_f32 v7, v7, v9, v13
	v_div_fixup_f32 v53, v7, v49, -1.0
                                        ; implicit-def: $vgpr48_vgpr49
	s_delay_alu instid0(VALU_DEP_1) | instskip(NEXT) | instid1(VALU_DEP_1)
	v_mul_f32_e32 v50, v1, v53
	v_xor_b32_e32 v52, 0x80000000, v50
.LBB21_4:
	s_or_saveexec_b32 s0, s0
	v_lshl_add_u32 v1, v0, 3, 0
	s_xor_b32 exec_lo, exec_lo, s0
	s_cbranch_execz .LBB21_6
; %bb.5:
	v_div_scale_f32 v7, null, v48, v48, v49
	v_div_scale_f32 v13, vcc_lo, v49, v48, v49
	s_delay_alu instid0(VALU_DEP_2) | instskip(SKIP_1) | instid1(TRANS32_DEP_1)
	v_rcp_f32_e32 v9, v7
	v_nop
	v_fma_f32 v11, -v7, v9, 1.0
	s_delay_alu instid0(VALU_DEP_1) | instskip(NEXT) | instid1(VALU_DEP_1)
	v_fmac_f32_e32 v9, v11, v9
	v_mul_f32_e32 v11, v13, v9
	s_delay_alu instid0(VALU_DEP_1) | instskip(NEXT) | instid1(VALU_DEP_1)
	v_fma_f32 v15, -v7, v11, v13
	v_fmac_f32_e32 v11, v15, v9
	s_delay_alu instid0(VALU_DEP_1) | instskip(NEXT) | instid1(VALU_DEP_1)
	v_fma_f32 v7, -v7, v11, v13
	v_div_fmas_f32 v7, v7, v9, v11
	s_delay_alu instid0(VALU_DEP_1) | instskip(NEXT) | instid1(VALU_DEP_1)
	v_div_fixup_f32 v7, v7, v48, v49
	v_fmac_f32_e32 v48, v49, v7
	s_delay_alu instid0(VALU_DEP_1) | instskip(SKIP_1) | instid1(VALU_DEP_2)
	v_div_scale_f32 v9, null, v48, v48, 1.0
	v_div_scale_f32 v15, vcc_lo, 1.0, v48, 1.0
	v_rcp_f32_e32 v11, v9
	v_nop
	s_delay_alu instid0(TRANS32_DEP_1) | instskip(NEXT) | instid1(VALU_DEP_1)
	v_fma_f32 v13, -v9, v11, 1.0
	v_fmac_f32_e32 v11, v13, v11
	s_delay_alu instid0(VALU_DEP_1) | instskip(NEXT) | instid1(VALU_DEP_1)
	v_mul_f32_e32 v13, v15, v11
	v_fma_f32 v17, -v9, v13, v15
	s_delay_alu instid0(VALU_DEP_1) | instskip(NEXT) | instid1(VALU_DEP_1)
	v_fmac_f32_e32 v13, v17, v11
	v_fma_f32 v9, -v9, v13, v15
	s_delay_alu instid0(VALU_DEP_1) | instskip(NEXT) | instid1(VALU_DEP_1)
	v_div_fmas_f32 v9, v9, v11, v13
	v_div_fixup_f32 v52, v9, v48, 1.0
	s_delay_alu instid0(VALU_DEP_1)
	v_xor_b32_e32 v50, 0x80000000, v52
	v_mul_f32_e64 v53, v7, -v52
.LBB21_6:
	s_or_b32 exec_lo, exec_lo, s0
	s_delay_alu instid0(VALU_DEP_1)
	v_xor_b32_e32 v51, 0x80000000, v53
	s_mov_b32 s0, 0
	scratch_store_b64 v1, v[52:53], off
	ds_store_b64 v42, v[50:51]
.LBB21_7:
	s_and_b32 vcc_lo, exec_lo, s0
	s_cbranch_vccz .LBB21_9
; %bb.8:
	s_mov_b64 s[0:1], 0xbf800000
	s_wait_xcnt 0x2
	v_mov_b64_e32 v[48:49], s[0:1]
	ds_store_b64 v42, v[48:49]
.LBB21_9:
	v_dual_ashrrev_i32 v7, 31, v6 :: v_dual_ashrrev_i32 v9, 31, v8
	v_dual_ashrrev_i32 v11, 31, v10 :: v_dual_ashrrev_i32 v13, 31, v12
	;; [unrolled: 1-line block ×10, first 2 shown]
	s_wait_xcnt 0x0
	v_add_nc_u32_e32 v1, 0xb0, v42
	v_mov_b32_e32 v43, v42
	s_cmp_eq_u32 s4, 0x79
	s_cbranch_scc1 .LBB21_13
; %bb.10:
	scratch_load_b64 v[48:49], off, off offset:160
	v_cmp_eq_u32_e64 s0, 21, v0
	s_movk_i32 s1, 0x50
	s_movk_i32 s10, 0x60
	;; [unrolled: 1-line block ×5, first 2 shown]
	s_wait_loadcnt 0x0
	ds_store_b64 v1, v[48:49]
	s_wait_storecnt_dscnt 0x0
	s_barrier_signal -1
	s_barrier_wait -1
	s_wait_xcnt 0x0
	s_and_saveexec_b32 s2, s0
	s_cbranch_execz .LBB21_17
; %bb.11:
	s_and_b32 vcc_lo, exec_lo, s3
	s_cbranch_vccz .LBB21_14
; %bb.12:
	scratch_load_b64 v[48:49], v43, off
	ds_load_b64 v[50:51], v1
	s_wait_loadcnt_dscnt 0x0
	v_pk_mul_f32 v[52:53], v[50:51], v[48:49] op_sel:[1,1] op_sel_hi:[0,1]
	v_pk_mul_f32 v[54:55], v[50:51], v[48:49] op_sel_hi:[1,0]
	s_delay_alu instid0(VALU_DEP_2) | instskip(NEXT) | instid1(VALU_DEP_2)
	v_pk_fma_f32 v[48:49], v[50:51], v[48:49], v[52:53] op_sel_hi:[1,0,1]
	v_sub_f32_e32 v48, v54, v52
	s_cbranch_execz .LBB21_15
	s_branch .LBB21_16
.LBB21_13:
	s_mov_b32 s1, 0
                                        ; implicit-def: $vgpr58
                                        ; implicit-def: $sgpr5
	s_cbranch_execnz .LBB21_216
	s_branch .LBB21_421
.LBB21_14:
                                        ; implicit-def: $vgpr49
.LBB21_15:
	ds_load_b64 v[48:49], v1
.LBB21_16:
	s_wait_dscnt 0x0
	v_dual_mov_b32 v50, 0 :: v_dual_mov_b32 v52, v49
	v_mov_b32_e32 v53, v48
	ds_load_b64 v[50:51], v50 offset:160
	s_wait_dscnt 0x0
	v_pk_mul_f32 v[52:53], v[52:53], v[50:51] op_sel:[0,1]
	s_delay_alu instid0(VALU_DEP_1) | instskip(SKIP_1) | instid1(VALU_DEP_2)
	v_pk_fma_f32 v[54:55], v[48:49], v[50:51], v[52:53] op_sel_hi:[1,0,1]
	v_pk_fma_f32 v[48:49], v[48:49], v[50:51], v[52:53] neg_lo:[0,0,1] neg_hi:[0,0,1]
	v_mov_b32_e32 v49, v55
	scratch_store_b64 off, v[48:49], off offset:160
.LBB21_17:
	s_wait_xcnt 0x0
	s_or_b32 exec_lo, exec_lo, s2
	scratch_load_b64 v[48:49], off, off offset:152
	s_mov_b32 s9, s1
	v_cmp_lt_u32_e64 s1, 19, v0
	s_mov_b32 s4, 16
	s_mov_b32 s5, 32
	;; [unrolled: 1-line block ×4, first 2 shown]
	s_wait_loadcnt 0x0
	ds_store_b64 v1, v[48:49]
	s_wait_storecnt_dscnt 0x0
	s_barrier_signal -1
	s_barrier_wait -1
	s_wait_xcnt 0x0
	s_and_saveexec_b32 s14, s1
	s_cbranch_execz .LBB21_25
; %bb.18:
	s_and_not1_b32 vcc_lo, exec_lo, s3
	s_cbranch_vccnz .LBB21_20
; %bb.19:
	scratch_load_b64 v[48:49], v43, off
	ds_load_b64 v[50:51], v1
	s_wait_loadcnt_dscnt 0x0
	v_pk_mul_f32 v[52:53], v[50:51], v[48:49] op_sel:[1,1] op_sel_hi:[0,1]
	s_delay_alu instid0(VALU_DEP_1) | instskip(SKIP_1) | instid1(VALU_DEP_2)
	v_pk_fma_f32 v[54:55], v[50:51], v[48:49], v[52:53] op_sel_hi:[1,0,1]
	v_pk_fma_f32 v[48:49], v[50:51], v[48:49], v[52:53] neg_lo:[0,0,1] neg_hi:[0,0,1]
	v_mov_b32_e32 v49, v55
	s_cbranch_execz .LBB21_21
	s_branch .LBB21_22
.LBB21_20:
                                        ; implicit-def: $vgpr48_vgpr49
.LBB21_21:
	ds_load_b64 v[48:49], v1
.LBB21_22:
	s_and_saveexec_b32 s15, s0
	s_cbranch_execz .LBB21_24
; %bb.23:
	scratch_load_b64 v[50:51], off, off offset:160
	v_mov_b32_e32 v52, 0
	ds_load_b64 v[52:53], v52 offset:336
	s_wait_loadcnt_dscnt 0x0
	v_pk_mul_f32 v[54:55], v[52:53], v[50:51] op_sel:[1,1] op_sel_hi:[0,1]
	s_delay_alu instid0(VALU_DEP_1) | instskip(SKIP_1) | instid1(VALU_DEP_2)
	v_pk_fma_f32 v[56:57], v[52:53], v[50:51], v[54:55] op_sel_hi:[1,0,1]
	v_pk_fma_f32 v[50:51], v[52:53], v[50:51], v[54:55] neg_lo:[0,0,1] neg_hi:[0,0,1]
	v_mov_b32_e32 v51, v57
	s_delay_alu instid0(VALU_DEP_1)
	v_pk_add_f32 v[48:49], v[48:49], v[50:51]
.LBB21_24:
	s_or_b32 exec_lo, exec_lo, s15
	v_mov_b32_e32 v50, 0
	ds_load_b64 v[50:51], v50 offset:152
	s_wait_dscnt 0x0
	v_pk_mul_f32 v[52:53], v[48:49], v[50:51] op_sel:[1,1] op_sel_hi:[0,1]
	s_delay_alu instid0(VALU_DEP_1) | instskip(SKIP_1) | instid1(VALU_DEP_2)
	v_pk_fma_f32 v[54:55], v[48:49], v[50:51], v[52:53] op_sel_hi:[1,0,1]
	v_pk_fma_f32 v[48:49], v[48:49], v[50:51], v[52:53] neg_lo:[0,0,1] neg_hi:[0,0,1]
	v_mov_b32_e32 v49, v55
	scratch_store_b64 off, v[48:49], off offset:152
.LBB21_25:
	s_wait_xcnt 0x0
	s_or_b32 exec_lo, exec_lo, s14
	scratch_load_b64 v[48:49], off, off offset:144
	v_cmp_lt_u32_e64 s0, 18, v0
	s_wait_loadcnt 0x0
	ds_store_b64 v1, v[48:49]
	s_wait_storecnt_dscnt 0x0
	s_barrier_signal -1
	s_barrier_wait -1
	s_wait_xcnt 0x0
	s_and_saveexec_b32 s14, s0
	s_cbranch_execz .LBB21_35
; %bb.26:
	s_and_not1_b32 vcc_lo, exec_lo, s3
	s_cbranch_vccnz .LBB21_28
; %bb.27:
	scratch_load_b64 v[48:49], v43, off
	ds_load_b64 v[50:51], v1
	s_wait_loadcnt_dscnt 0x0
	v_pk_mul_f32 v[52:53], v[50:51], v[48:49] op_sel:[1,1] op_sel_hi:[0,1]
	s_delay_alu instid0(VALU_DEP_1) | instskip(SKIP_1) | instid1(VALU_DEP_2)
	v_pk_fma_f32 v[54:55], v[50:51], v[48:49], v[52:53] op_sel_hi:[1,0,1]
	v_pk_fma_f32 v[48:49], v[50:51], v[48:49], v[52:53] neg_lo:[0,0,1] neg_hi:[0,0,1]
	v_mov_b32_e32 v49, v55
	s_cbranch_execz .LBB21_29
	s_branch .LBB21_30
.LBB21_28:
                                        ; implicit-def: $vgpr48_vgpr49
.LBB21_29:
	ds_load_b64 v[48:49], v1
.LBB21_30:
	s_and_saveexec_b32 s15, s1
	s_cbranch_execz .LBB21_34
; %bb.31:
	v_subrev_nc_u32_e32 v50, 19, v0
	s_movk_i32 s1, 0x98
	s_movk_i32 s17, 0x148
	s_mov_b32 s16, 0
.LBB21_32:                              ; =>This Inner Loop Header: Depth=1
	scratch_load_b64 v[52:53], off, s1
	v_dual_mov_b32 v51, s17 :: v_dual_add_nc_u32 v50, -1, v50
	s_add_co_i32 s17, s17, 8
	s_wait_xcnt 0x0
	s_add_co_i32 s1, s1, 8
	ds_load_b64 v[54:55], v51
	v_cmp_eq_u32_e32 vcc_lo, 0, v50
	s_or_b32 s16, vcc_lo, s16
	s_wait_loadcnt_dscnt 0x0
	v_pk_mul_f32 v[56:57], v[54:55], v[52:53] op_sel:[1,1] op_sel_hi:[0,1]
	s_delay_alu instid0(VALU_DEP_1) | instskip(SKIP_1) | instid1(VALU_DEP_2)
	v_pk_fma_f32 v[58:59], v[54:55], v[52:53], v[56:57] op_sel_hi:[1,0,1]
	v_pk_fma_f32 v[52:53], v[54:55], v[52:53], v[56:57] neg_lo:[0,0,1] neg_hi:[0,0,1]
	v_mov_b32_e32 v53, v59
	s_delay_alu instid0(VALU_DEP_1)
	v_pk_add_f32 v[48:49], v[48:49], v[52:53]
	s_and_not1_b32 exec_lo, exec_lo, s16
	s_cbranch_execnz .LBB21_32
; %bb.33:
	s_or_b32 exec_lo, exec_lo, s16
.LBB21_34:
	s_delay_alu instid0(SALU_CYCLE_1) | instskip(SKIP_4) | instid1(VALU_DEP_1)
	s_or_b32 exec_lo, exec_lo, s15
	v_mov_b32_e32 v50, 0
	ds_load_b64 v[50:51], v50 offset:144
	s_wait_dscnt 0x0
	v_pk_mul_f32 v[52:53], v[48:49], v[50:51] op_sel:[1,1] op_sel_hi:[0,1]
	v_pk_fma_f32 v[54:55], v[48:49], v[50:51], v[52:53] op_sel_hi:[1,0,1]
	v_pk_fma_f32 v[48:49], v[48:49], v[50:51], v[52:53] neg_lo:[0,0,1] neg_hi:[0,0,1]
	s_delay_alu instid0(VALU_DEP_2)
	v_mov_b32_e32 v49, v55
	scratch_store_b64 off, v[48:49], off offset:144
.LBB21_35:
	s_wait_xcnt 0x0
	s_or_b32 exec_lo, exec_lo, s14
	scratch_load_b64 v[48:49], off, off offset:136
	v_cmp_lt_u32_e64 s1, 17, v0
	s_wait_loadcnt 0x0
	ds_store_b64 v1, v[48:49]
	s_wait_storecnt_dscnt 0x0
	s_barrier_signal -1
	s_barrier_wait -1
	s_wait_xcnt 0x0
	s_and_saveexec_b32 s14, s1
	s_cbranch_execz .LBB21_45
; %bb.36:
	s_and_not1_b32 vcc_lo, exec_lo, s3
	s_cbranch_vccnz .LBB21_38
; %bb.37:
	scratch_load_b64 v[48:49], v43, off
	ds_load_b64 v[50:51], v1
	s_wait_loadcnt_dscnt 0x0
	v_pk_mul_f32 v[52:53], v[50:51], v[48:49] op_sel:[1,1] op_sel_hi:[0,1]
	s_delay_alu instid0(VALU_DEP_1) | instskip(SKIP_1) | instid1(VALU_DEP_2)
	v_pk_fma_f32 v[54:55], v[50:51], v[48:49], v[52:53] op_sel_hi:[1,0,1]
	v_pk_fma_f32 v[48:49], v[50:51], v[48:49], v[52:53] neg_lo:[0,0,1] neg_hi:[0,0,1]
	v_mov_b32_e32 v49, v55
	s_cbranch_execz .LBB21_39
	s_branch .LBB21_40
.LBB21_38:
                                        ; implicit-def: $vgpr48_vgpr49
.LBB21_39:
	ds_load_b64 v[48:49], v1
.LBB21_40:
	s_and_saveexec_b32 s15, s0
	s_cbranch_execz .LBB21_44
; %bb.41:
	v_subrev_nc_u32_e32 v50, 18, v0
	s_movk_i32 s16, 0x140
	s_mov_b32 s0, 0
.LBB21_42:                              ; =>This Inner Loop Header: Depth=1
	scratch_load_b64 v[52:53], off, s13
	v_dual_mov_b32 v51, s16 :: v_dual_add_nc_u32 v50, -1, v50
	s_add_co_i32 s16, s16, 8
	s_wait_xcnt 0x0
	s_add_co_i32 s13, s13, 8
	ds_load_b64 v[54:55], v51
	v_cmp_eq_u32_e32 vcc_lo, 0, v50
	s_or_b32 s0, vcc_lo, s0
	s_wait_loadcnt_dscnt 0x0
	v_pk_mul_f32 v[56:57], v[54:55], v[52:53] op_sel:[1,1] op_sel_hi:[0,1]
	s_delay_alu instid0(VALU_DEP_1) | instskip(SKIP_1) | instid1(VALU_DEP_2)
	v_pk_fma_f32 v[58:59], v[54:55], v[52:53], v[56:57] op_sel_hi:[1,0,1]
	v_pk_fma_f32 v[52:53], v[54:55], v[52:53], v[56:57] neg_lo:[0,0,1] neg_hi:[0,0,1]
	v_mov_b32_e32 v53, v59
	s_delay_alu instid0(VALU_DEP_1)
	v_pk_add_f32 v[48:49], v[48:49], v[52:53]
	s_and_not1_b32 exec_lo, exec_lo, s0
	s_cbranch_execnz .LBB21_42
; %bb.43:
	s_or_b32 exec_lo, exec_lo, s0
.LBB21_44:
	s_delay_alu instid0(SALU_CYCLE_1) | instskip(SKIP_4) | instid1(VALU_DEP_1)
	s_or_b32 exec_lo, exec_lo, s15
	v_mov_b32_e32 v50, 0
	ds_load_b64 v[50:51], v50 offset:136
	s_wait_dscnt 0x0
	v_pk_mul_f32 v[52:53], v[48:49], v[50:51] op_sel:[1,1] op_sel_hi:[0,1]
	v_pk_fma_f32 v[54:55], v[48:49], v[50:51], v[52:53] op_sel_hi:[1,0,1]
	v_pk_fma_f32 v[48:49], v[48:49], v[50:51], v[52:53] neg_lo:[0,0,1] neg_hi:[0,0,1]
	s_delay_alu instid0(VALU_DEP_2)
	v_mov_b32_e32 v49, v55
	scratch_store_b64 off, v[48:49], off offset:136
.LBB21_45:
	s_wait_xcnt 0x0
	s_or_b32 exec_lo, exec_lo, s14
	scratch_load_b64 v[48:49], off, off offset:128
	v_cmp_lt_u32_e64 s0, 16, v0
	s_wait_loadcnt 0x0
	ds_store_b64 v1, v[48:49]
	s_wait_storecnt_dscnt 0x0
	s_barrier_signal -1
	s_barrier_wait -1
	s_wait_xcnt 0x0
	s_and_saveexec_b32 s13, s0
	s_cbranch_execz .LBB21_55
; %bb.46:
	s_and_not1_b32 vcc_lo, exec_lo, s3
	s_cbranch_vccnz .LBB21_48
; %bb.47:
	scratch_load_b64 v[48:49], v43, off
	ds_load_b64 v[50:51], v1
	s_wait_loadcnt_dscnt 0x0
	v_pk_mul_f32 v[52:53], v[50:51], v[48:49] op_sel:[1,1] op_sel_hi:[0,1]
	s_delay_alu instid0(VALU_DEP_1) | instskip(SKIP_1) | instid1(VALU_DEP_2)
	v_pk_fma_f32 v[54:55], v[50:51], v[48:49], v[52:53] op_sel_hi:[1,0,1]
	v_pk_fma_f32 v[48:49], v[50:51], v[48:49], v[52:53] neg_lo:[0,0,1] neg_hi:[0,0,1]
	v_mov_b32_e32 v49, v55
	s_cbranch_execz .LBB21_49
	s_branch .LBB21_50
.LBB21_48:
                                        ; implicit-def: $vgpr48_vgpr49
.LBB21_49:
	ds_load_b64 v[48:49], v1
.LBB21_50:
	s_and_saveexec_b32 s14, s1
	s_cbranch_execz .LBB21_54
; %bb.51:
	v_subrev_nc_u32_e32 v50, 17, v0
	s_movk_i32 s1, 0x88
	s_movk_i32 s16, 0x138
	s_mov_b32 s15, 0
.LBB21_52:                              ; =>This Inner Loop Header: Depth=1
	scratch_load_b64 v[52:53], off, s1
	v_dual_mov_b32 v51, s16 :: v_dual_add_nc_u32 v50, -1, v50
	s_add_co_i32 s16, s16, 8
	s_wait_xcnt 0x0
	s_add_co_i32 s1, s1, 8
	ds_load_b64 v[54:55], v51
	v_cmp_eq_u32_e32 vcc_lo, 0, v50
	s_or_b32 s15, vcc_lo, s15
	s_wait_loadcnt_dscnt 0x0
	v_pk_mul_f32 v[56:57], v[54:55], v[52:53] op_sel:[1,1] op_sel_hi:[0,1]
	s_delay_alu instid0(VALU_DEP_1) | instskip(SKIP_1) | instid1(VALU_DEP_2)
	v_pk_fma_f32 v[58:59], v[54:55], v[52:53], v[56:57] op_sel_hi:[1,0,1]
	v_pk_fma_f32 v[52:53], v[54:55], v[52:53], v[56:57] neg_lo:[0,0,1] neg_hi:[0,0,1]
	v_mov_b32_e32 v53, v59
	s_delay_alu instid0(VALU_DEP_1)
	v_pk_add_f32 v[48:49], v[48:49], v[52:53]
	s_and_not1_b32 exec_lo, exec_lo, s15
	s_cbranch_execnz .LBB21_52
; %bb.53:
	s_or_b32 exec_lo, exec_lo, s15
.LBB21_54:
	s_delay_alu instid0(SALU_CYCLE_1) | instskip(SKIP_4) | instid1(VALU_DEP_1)
	s_or_b32 exec_lo, exec_lo, s14
	v_mov_b32_e32 v50, 0
	ds_load_b64 v[50:51], v50 offset:128
	s_wait_dscnt 0x0
	v_pk_mul_f32 v[52:53], v[48:49], v[50:51] op_sel:[1,1] op_sel_hi:[0,1]
	v_pk_fma_f32 v[54:55], v[48:49], v[50:51], v[52:53] op_sel_hi:[1,0,1]
	v_pk_fma_f32 v[48:49], v[48:49], v[50:51], v[52:53] neg_lo:[0,0,1] neg_hi:[0,0,1]
	s_delay_alu instid0(VALU_DEP_2)
	v_mov_b32_e32 v49, v55
	scratch_store_b64 off, v[48:49], off offset:128
.LBB21_55:
	s_wait_xcnt 0x0
	s_or_b32 exec_lo, exec_lo, s13
	scratch_load_b64 v[48:49], off, off offset:120
	v_cmp_lt_u32_e64 s1, 15, v0
	s_wait_loadcnt 0x0
	ds_store_b64 v1, v[48:49]
	s_wait_storecnt_dscnt 0x0
	s_barrier_signal -1
	s_barrier_wait -1
	s_wait_xcnt 0x0
	s_and_saveexec_b32 s13, s1
	s_cbranch_execz .LBB21_65
; %bb.56:
	s_and_not1_b32 vcc_lo, exec_lo, s3
	s_cbranch_vccnz .LBB21_58
; %bb.57:
	scratch_load_b64 v[48:49], v43, off
	ds_load_b64 v[50:51], v1
	s_wait_loadcnt_dscnt 0x0
	v_pk_mul_f32 v[52:53], v[50:51], v[48:49] op_sel:[1,1] op_sel_hi:[0,1]
	s_delay_alu instid0(VALU_DEP_1) | instskip(SKIP_1) | instid1(VALU_DEP_2)
	v_pk_fma_f32 v[54:55], v[50:51], v[48:49], v[52:53] op_sel_hi:[1,0,1]
	v_pk_fma_f32 v[48:49], v[50:51], v[48:49], v[52:53] neg_lo:[0,0,1] neg_hi:[0,0,1]
	v_mov_b32_e32 v49, v55
	s_cbranch_execz .LBB21_59
	s_branch .LBB21_60
.LBB21_58:
                                        ; implicit-def: $vgpr48_vgpr49
.LBB21_59:
	ds_load_b64 v[48:49], v1
.LBB21_60:
	s_and_saveexec_b32 s14, s0
	s_cbranch_execz .LBB21_64
; %bb.61:
	v_add_nc_u32_e32 v50, -16, v0
	s_movk_i32 s15, 0x130
	s_mov_b32 s0, 0
.LBB21_62:                              ; =>This Inner Loop Header: Depth=1
	scratch_load_b64 v[52:53], off, s12
	v_dual_mov_b32 v51, s15 :: v_dual_add_nc_u32 v50, -1, v50
	s_add_co_i32 s15, s15, 8
	s_wait_xcnt 0x0
	s_add_co_i32 s12, s12, 8
	ds_load_b64 v[54:55], v51
	v_cmp_eq_u32_e32 vcc_lo, 0, v50
	s_or_b32 s0, vcc_lo, s0
	s_wait_loadcnt_dscnt 0x0
	v_pk_mul_f32 v[56:57], v[54:55], v[52:53] op_sel:[1,1] op_sel_hi:[0,1]
	s_delay_alu instid0(VALU_DEP_1) | instskip(SKIP_1) | instid1(VALU_DEP_2)
	v_pk_fma_f32 v[58:59], v[54:55], v[52:53], v[56:57] op_sel_hi:[1,0,1]
	v_pk_fma_f32 v[52:53], v[54:55], v[52:53], v[56:57] neg_lo:[0,0,1] neg_hi:[0,0,1]
	v_mov_b32_e32 v53, v59
	s_delay_alu instid0(VALU_DEP_1)
	v_pk_add_f32 v[48:49], v[48:49], v[52:53]
	s_and_not1_b32 exec_lo, exec_lo, s0
	s_cbranch_execnz .LBB21_62
; %bb.63:
	s_or_b32 exec_lo, exec_lo, s0
.LBB21_64:
	s_delay_alu instid0(SALU_CYCLE_1) | instskip(SKIP_4) | instid1(VALU_DEP_1)
	s_or_b32 exec_lo, exec_lo, s14
	v_mov_b32_e32 v50, 0
	ds_load_b64 v[50:51], v50 offset:120
	s_wait_dscnt 0x0
	v_pk_mul_f32 v[52:53], v[48:49], v[50:51] op_sel:[1,1] op_sel_hi:[0,1]
	v_pk_fma_f32 v[54:55], v[48:49], v[50:51], v[52:53] op_sel_hi:[1,0,1]
	v_pk_fma_f32 v[48:49], v[48:49], v[50:51], v[52:53] neg_lo:[0,0,1] neg_hi:[0,0,1]
	s_delay_alu instid0(VALU_DEP_2)
	v_mov_b32_e32 v49, v55
	scratch_store_b64 off, v[48:49], off offset:120
.LBB21_65:
	s_wait_xcnt 0x0
	s_or_b32 exec_lo, exec_lo, s13
	scratch_load_b64 v[48:49], off, off offset:112
	v_cmp_lt_u32_e64 s0, 14, v0
	s_wait_loadcnt 0x0
	ds_store_b64 v1, v[48:49]
	s_wait_storecnt_dscnt 0x0
	s_barrier_signal -1
	s_barrier_wait -1
	s_wait_xcnt 0x0
	s_and_saveexec_b32 s12, s0
	s_cbranch_execz .LBB21_75
; %bb.66:
	s_and_not1_b32 vcc_lo, exec_lo, s3
	s_cbranch_vccnz .LBB21_68
; %bb.67:
	scratch_load_b64 v[48:49], v43, off
	ds_load_b64 v[50:51], v1
	s_wait_loadcnt_dscnt 0x0
	v_pk_mul_f32 v[52:53], v[50:51], v[48:49] op_sel:[1,1] op_sel_hi:[0,1]
	s_delay_alu instid0(VALU_DEP_1) | instskip(SKIP_1) | instid1(VALU_DEP_2)
	v_pk_fma_f32 v[54:55], v[50:51], v[48:49], v[52:53] op_sel_hi:[1,0,1]
	v_pk_fma_f32 v[48:49], v[50:51], v[48:49], v[52:53] neg_lo:[0,0,1] neg_hi:[0,0,1]
	v_mov_b32_e32 v49, v55
	s_cbranch_execz .LBB21_69
	s_branch .LBB21_70
.LBB21_68:
                                        ; implicit-def: $vgpr48_vgpr49
.LBB21_69:
	ds_load_b64 v[48:49], v1
.LBB21_70:
	s_and_saveexec_b32 s13, s1
	s_cbranch_execz .LBB21_74
; %bb.71:
	v_add_nc_u32_e32 v50, -15, v0
	s_movk_i32 s1, 0x78
	s_movk_i32 s15, 0x128
	s_mov_b32 s14, 0
.LBB21_72:                              ; =>This Inner Loop Header: Depth=1
	scratch_load_b64 v[52:53], off, s1
	v_dual_mov_b32 v51, s15 :: v_dual_add_nc_u32 v50, -1, v50
	s_add_co_i32 s15, s15, 8
	s_wait_xcnt 0x0
	s_add_co_i32 s1, s1, 8
	ds_load_b64 v[54:55], v51
	v_cmp_eq_u32_e32 vcc_lo, 0, v50
	s_or_b32 s14, vcc_lo, s14
	s_wait_loadcnt_dscnt 0x0
	v_pk_mul_f32 v[56:57], v[54:55], v[52:53] op_sel:[1,1] op_sel_hi:[0,1]
	s_delay_alu instid0(VALU_DEP_1) | instskip(SKIP_1) | instid1(VALU_DEP_2)
	v_pk_fma_f32 v[58:59], v[54:55], v[52:53], v[56:57] op_sel_hi:[1,0,1]
	v_pk_fma_f32 v[52:53], v[54:55], v[52:53], v[56:57] neg_lo:[0,0,1] neg_hi:[0,0,1]
	v_mov_b32_e32 v53, v59
	s_delay_alu instid0(VALU_DEP_1)
	v_pk_add_f32 v[48:49], v[48:49], v[52:53]
	s_and_not1_b32 exec_lo, exec_lo, s14
	s_cbranch_execnz .LBB21_72
; %bb.73:
	s_or_b32 exec_lo, exec_lo, s14
.LBB21_74:
	s_delay_alu instid0(SALU_CYCLE_1) | instskip(SKIP_4) | instid1(VALU_DEP_1)
	s_or_b32 exec_lo, exec_lo, s13
	v_mov_b32_e32 v50, 0
	ds_load_b64 v[50:51], v50 offset:112
	s_wait_dscnt 0x0
	v_pk_mul_f32 v[52:53], v[48:49], v[50:51] op_sel:[1,1] op_sel_hi:[0,1]
	v_pk_fma_f32 v[54:55], v[48:49], v[50:51], v[52:53] op_sel_hi:[1,0,1]
	v_pk_fma_f32 v[48:49], v[48:49], v[50:51], v[52:53] neg_lo:[0,0,1] neg_hi:[0,0,1]
	s_delay_alu instid0(VALU_DEP_2)
	v_mov_b32_e32 v49, v55
	scratch_store_b64 off, v[48:49], off offset:112
.LBB21_75:
	s_wait_xcnt 0x0
	s_or_b32 exec_lo, exec_lo, s12
	scratch_load_b64 v[48:49], off, off offset:104
	v_cmp_lt_u32_e64 s1, 13, v0
	s_wait_loadcnt 0x0
	ds_store_b64 v1, v[48:49]
	s_wait_storecnt_dscnt 0x0
	s_barrier_signal -1
	s_barrier_wait -1
	s_wait_xcnt 0x0
	s_and_saveexec_b32 s12, s1
	s_cbranch_execz .LBB21_85
; %bb.76:
	s_and_not1_b32 vcc_lo, exec_lo, s3
	s_cbranch_vccnz .LBB21_78
; %bb.77:
	scratch_load_b64 v[48:49], v43, off
	ds_load_b64 v[50:51], v1
	s_wait_loadcnt_dscnt 0x0
	v_pk_mul_f32 v[52:53], v[50:51], v[48:49] op_sel:[1,1] op_sel_hi:[0,1]
	s_delay_alu instid0(VALU_DEP_1) | instskip(SKIP_1) | instid1(VALU_DEP_2)
	v_pk_fma_f32 v[54:55], v[50:51], v[48:49], v[52:53] op_sel_hi:[1,0,1]
	v_pk_fma_f32 v[48:49], v[50:51], v[48:49], v[52:53] neg_lo:[0,0,1] neg_hi:[0,0,1]
	v_mov_b32_e32 v49, v55
	s_cbranch_execz .LBB21_79
	s_branch .LBB21_80
.LBB21_78:
                                        ; implicit-def: $vgpr48_vgpr49
.LBB21_79:
	ds_load_b64 v[48:49], v1
.LBB21_80:
	s_and_saveexec_b32 s13, s0
	s_cbranch_execz .LBB21_84
; %bb.81:
	v_add_nc_u32_e32 v50, -14, v0
	s_movk_i32 s14, 0x120
	s_mov_b32 s0, 0
.LBB21_82:                              ; =>This Inner Loop Header: Depth=1
	scratch_load_b64 v[52:53], off, s11
	v_dual_mov_b32 v51, s14 :: v_dual_add_nc_u32 v50, -1, v50
	s_add_co_i32 s14, s14, 8
	s_wait_xcnt 0x0
	s_add_co_i32 s11, s11, 8
	ds_load_b64 v[54:55], v51
	v_cmp_eq_u32_e32 vcc_lo, 0, v50
	s_or_b32 s0, vcc_lo, s0
	s_wait_loadcnt_dscnt 0x0
	v_pk_mul_f32 v[56:57], v[54:55], v[52:53] op_sel:[1,1] op_sel_hi:[0,1]
	s_delay_alu instid0(VALU_DEP_1) | instskip(SKIP_1) | instid1(VALU_DEP_2)
	v_pk_fma_f32 v[58:59], v[54:55], v[52:53], v[56:57] op_sel_hi:[1,0,1]
	v_pk_fma_f32 v[52:53], v[54:55], v[52:53], v[56:57] neg_lo:[0,0,1] neg_hi:[0,0,1]
	v_mov_b32_e32 v53, v59
	s_delay_alu instid0(VALU_DEP_1)
	v_pk_add_f32 v[48:49], v[48:49], v[52:53]
	s_and_not1_b32 exec_lo, exec_lo, s0
	s_cbranch_execnz .LBB21_82
; %bb.83:
	s_or_b32 exec_lo, exec_lo, s0
.LBB21_84:
	s_delay_alu instid0(SALU_CYCLE_1) | instskip(SKIP_4) | instid1(VALU_DEP_1)
	s_or_b32 exec_lo, exec_lo, s13
	v_mov_b32_e32 v50, 0
	ds_load_b64 v[50:51], v50 offset:104
	s_wait_dscnt 0x0
	v_pk_mul_f32 v[52:53], v[48:49], v[50:51] op_sel:[1,1] op_sel_hi:[0,1]
	v_pk_fma_f32 v[54:55], v[48:49], v[50:51], v[52:53] op_sel_hi:[1,0,1]
	v_pk_fma_f32 v[48:49], v[48:49], v[50:51], v[52:53] neg_lo:[0,0,1] neg_hi:[0,0,1]
	s_delay_alu instid0(VALU_DEP_2)
	v_mov_b32_e32 v49, v55
	scratch_store_b64 off, v[48:49], off offset:104
.LBB21_85:
	s_wait_xcnt 0x0
	s_or_b32 exec_lo, exec_lo, s12
	scratch_load_b64 v[48:49], off, off offset:96
	v_cmp_lt_u32_e64 s0, 12, v0
	s_wait_loadcnt 0x0
	ds_store_b64 v1, v[48:49]
	s_wait_storecnt_dscnt 0x0
	s_barrier_signal -1
	s_barrier_wait -1
	s_wait_xcnt 0x0
	s_and_saveexec_b32 s11, s0
	s_cbranch_execz .LBB21_95
; %bb.86:
	s_and_not1_b32 vcc_lo, exec_lo, s3
	s_cbranch_vccnz .LBB21_88
; %bb.87:
	scratch_load_b64 v[48:49], v43, off
	ds_load_b64 v[50:51], v1
	s_wait_loadcnt_dscnt 0x0
	v_pk_mul_f32 v[52:53], v[50:51], v[48:49] op_sel:[1,1] op_sel_hi:[0,1]
	s_delay_alu instid0(VALU_DEP_1) | instskip(SKIP_1) | instid1(VALU_DEP_2)
	v_pk_fma_f32 v[54:55], v[50:51], v[48:49], v[52:53] op_sel_hi:[1,0,1]
	v_pk_fma_f32 v[48:49], v[50:51], v[48:49], v[52:53] neg_lo:[0,0,1] neg_hi:[0,0,1]
	v_mov_b32_e32 v49, v55
	s_cbranch_execz .LBB21_89
	s_branch .LBB21_90
.LBB21_88:
                                        ; implicit-def: $vgpr48_vgpr49
.LBB21_89:
	ds_load_b64 v[48:49], v1
.LBB21_90:
	s_and_saveexec_b32 s12, s1
	s_cbranch_execz .LBB21_94
; %bb.91:
	v_add_nc_u32_e32 v50, -13, v0
	s_movk_i32 s1, 0x68
	s_movk_i32 s14, 0x118
	s_mov_b32 s13, 0
.LBB21_92:                              ; =>This Inner Loop Header: Depth=1
	scratch_load_b64 v[52:53], off, s1
	v_dual_mov_b32 v51, s14 :: v_dual_add_nc_u32 v50, -1, v50
	s_add_co_i32 s14, s14, 8
	s_wait_xcnt 0x0
	s_add_co_i32 s1, s1, 8
	ds_load_b64 v[54:55], v51
	v_cmp_eq_u32_e32 vcc_lo, 0, v50
	s_or_b32 s13, vcc_lo, s13
	s_wait_loadcnt_dscnt 0x0
	v_pk_mul_f32 v[56:57], v[54:55], v[52:53] op_sel:[1,1] op_sel_hi:[0,1]
	s_delay_alu instid0(VALU_DEP_1) | instskip(SKIP_1) | instid1(VALU_DEP_2)
	v_pk_fma_f32 v[58:59], v[54:55], v[52:53], v[56:57] op_sel_hi:[1,0,1]
	v_pk_fma_f32 v[52:53], v[54:55], v[52:53], v[56:57] neg_lo:[0,0,1] neg_hi:[0,0,1]
	v_mov_b32_e32 v53, v59
	s_delay_alu instid0(VALU_DEP_1)
	v_pk_add_f32 v[48:49], v[48:49], v[52:53]
	s_and_not1_b32 exec_lo, exec_lo, s13
	s_cbranch_execnz .LBB21_92
; %bb.93:
	s_or_b32 exec_lo, exec_lo, s13
.LBB21_94:
	s_delay_alu instid0(SALU_CYCLE_1) | instskip(SKIP_4) | instid1(VALU_DEP_1)
	s_or_b32 exec_lo, exec_lo, s12
	v_mov_b32_e32 v50, 0
	ds_load_b64 v[50:51], v50 offset:96
	s_wait_dscnt 0x0
	v_pk_mul_f32 v[52:53], v[48:49], v[50:51] op_sel:[1,1] op_sel_hi:[0,1]
	v_pk_fma_f32 v[54:55], v[48:49], v[50:51], v[52:53] op_sel_hi:[1,0,1]
	v_pk_fma_f32 v[48:49], v[48:49], v[50:51], v[52:53] neg_lo:[0,0,1] neg_hi:[0,0,1]
	s_delay_alu instid0(VALU_DEP_2)
	v_mov_b32_e32 v49, v55
	scratch_store_b64 off, v[48:49], off offset:96
.LBB21_95:
	s_wait_xcnt 0x0
	s_or_b32 exec_lo, exec_lo, s11
	scratch_load_b64 v[48:49], off, off offset:88
	v_cmp_lt_u32_e64 s1, 11, v0
	s_wait_loadcnt 0x0
	ds_store_b64 v1, v[48:49]
	s_wait_storecnt_dscnt 0x0
	s_barrier_signal -1
	s_barrier_wait -1
	s_wait_xcnt 0x0
	s_and_saveexec_b32 s11, s1
	s_cbranch_execz .LBB21_105
; %bb.96:
	s_and_not1_b32 vcc_lo, exec_lo, s3
	s_cbranch_vccnz .LBB21_98
; %bb.97:
	scratch_load_b64 v[48:49], v43, off
	ds_load_b64 v[50:51], v1
	s_wait_loadcnt_dscnt 0x0
	v_pk_mul_f32 v[52:53], v[50:51], v[48:49] op_sel:[1,1] op_sel_hi:[0,1]
	s_delay_alu instid0(VALU_DEP_1) | instskip(SKIP_1) | instid1(VALU_DEP_2)
	v_pk_fma_f32 v[54:55], v[50:51], v[48:49], v[52:53] op_sel_hi:[1,0,1]
	v_pk_fma_f32 v[48:49], v[50:51], v[48:49], v[52:53] neg_lo:[0,0,1] neg_hi:[0,0,1]
	v_mov_b32_e32 v49, v55
	s_cbranch_execz .LBB21_99
	s_branch .LBB21_100
.LBB21_98:
                                        ; implicit-def: $vgpr48_vgpr49
.LBB21_99:
	ds_load_b64 v[48:49], v1
.LBB21_100:
	s_and_saveexec_b32 s12, s0
	s_cbranch_execz .LBB21_104
; %bb.101:
	v_add_nc_u32_e32 v50, -12, v0
	s_movk_i32 s13, 0x110
	s_mov_b32 s0, 0
.LBB21_102:                             ; =>This Inner Loop Header: Depth=1
	scratch_load_b64 v[52:53], off, s10
	v_dual_mov_b32 v51, s13 :: v_dual_add_nc_u32 v50, -1, v50
	s_add_co_i32 s13, s13, 8
	s_wait_xcnt 0x0
	s_add_co_i32 s10, s10, 8
	ds_load_b64 v[54:55], v51
	v_cmp_eq_u32_e32 vcc_lo, 0, v50
	s_or_b32 s0, vcc_lo, s0
	s_wait_loadcnt_dscnt 0x0
	v_pk_mul_f32 v[56:57], v[54:55], v[52:53] op_sel:[1,1] op_sel_hi:[0,1]
	s_delay_alu instid0(VALU_DEP_1) | instskip(SKIP_1) | instid1(VALU_DEP_2)
	v_pk_fma_f32 v[58:59], v[54:55], v[52:53], v[56:57] op_sel_hi:[1,0,1]
	v_pk_fma_f32 v[52:53], v[54:55], v[52:53], v[56:57] neg_lo:[0,0,1] neg_hi:[0,0,1]
	v_mov_b32_e32 v53, v59
	s_delay_alu instid0(VALU_DEP_1)
	v_pk_add_f32 v[48:49], v[48:49], v[52:53]
	s_and_not1_b32 exec_lo, exec_lo, s0
	s_cbranch_execnz .LBB21_102
; %bb.103:
	s_or_b32 exec_lo, exec_lo, s0
.LBB21_104:
	s_delay_alu instid0(SALU_CYCLE_1) | instskip(SKIP_4) | instid1(VALU_DEP_1)
	s_or_b32 exec_lo, exec_lo, s12
	v_mov_b32_e32 v50, 0
	ds_load_b64 v[50:51], v50 offset:88
	s_wait_dscnt 0x0
	v_pk_mul_f32 v[52:53], v[48:49], v[50:51] op_sel:[1,1] op_sel_hi:[0,1]
	v_pk_fma_f32 v[54:55], v[48:49], v[50:51], v[52:53] op_sel_hi:[1,0,1]
	v_pk_fma_f32 v[48:49], v[48:49], v[50:51], v[52:53] neg_lo:[0,0,1] neg_hi:[0,0,1]
	s_delay_alu instid0(VALU_DEP_2)
	v_mov_b32_e32 v49, v55
	scratch_store_b64 off, v[48:49], off offset:88
.LBB21_105:
	s_wait_xcnt 0x0
	s_or_b32 exec_lo, exec_lo, s11
	scratch_load_b64 v[48:49], off, off offset:80
	v_cmp_lt_u32_e64 s0, 10, v0
	s_wait_loadcnt 0x0
	ds_store_b64 v1, v[48:49]
	s_wait_storecnt_dscnt 0x0
	s_barrier_signal -1
	s_barrier_wait -1
	s_wait_xcnt 0x0
	s_and_saveexec_b32 s10, s0
	s_cbranch_execz .LBB21_115
; %bb.106:
	s_and_not1_b32 vcc_lo, exec_lo, s3
	s_cbranch_vccnz .LBB21_108
; %bb.107:
	scratch_load_b64 v[48:49], v43, off
	ds_load_b64 v[50:51], v1
	s_wait_loadcnt_dscnt 0x0
	v_pk_mul_f32 v[52:53], v[50:51], v[48:49] op_sel:[1,1] op_sel_hi:[0,1]
	s_delay_alu instid0(VALU_DEP_1) | instskip(SKIP_1) | instid1(VALU_DEP_2)
	v_pk_fma_f32 v[54:55], v[50:51], v[48:49], v[52:53] op_sel_hi:[1,0,1]
	v_pk_fma_f32 v[48:49], v[50:51], v[48:49], v[52:53] neg_lo:[0,0,1] neg_hi:[0,0,1]
	v_mov_b32_e32 v49, v55
	s_cbranch_execz .LBB21_109
	s_branch .LBB21_110
.LBB21_108:
                                        ; implicit-def: $vgpr48_vgpr49
.LBB21_109:
	ds_load_b64 v[48:49], v1
.LBB21_110:
	s_and_saveexec_b32 s11, s1
	s_cbranch_execz .LBB21_114
; %bb.111:
	v_add_nc_u32_e32 v50, -11, v0
	s_movk_i32 s1, 0x58
	s_movk_i32 s13, 0x108
	s_mov_b32 s12, 0
.LBB21_112:                             ; =>This Inner Loop Header: Depth=1
	scratch_load_b64 v[52:53], off, s1
	v_dual_mov_b32 v51, s13 :: v_dual_add_nc_u32 v50, -1, v50
	s_add_co_i32 s13, s13, 8
	s_wait_xcnt 0x0
	s_add_co_i32 s1, s1, 8
	ds_load_b64 v[54:55], v51
	v_cmp_eq_u32_e32 vcc_lo, 0, v50
	s_or_b32 s12, vcc_lo, s12
	s_wait_loadcnt_dscnt 0x0
	v_pk_mul_f32 v[56:57], v[54:55], v[52:53] op_sel:[1,1] op_sel_hi:[0,1]
	s_delay_alu instid0(VALU_DEP_1) | instskip(SKIP_1) | instid1(VALU_DEP_2)
	v_pk_fma_f32 v[58:59], v[54:55], v[52:53], v[56:57] op_sel_hi:[1,0,1]
	v_pk_fma_f32 v[52:53], v[54:55], v[52:53], v[56:57] neg_lo:[0,0,1] neg_hi:[0,0,1]
	v_mov_b32_e32 v53, v59
	s_delay_alu instid0(VALU_DEP_1)
	v_pk_add_f32 v[48:49], v[48:49], v[52:53]
	s_and_not1_b32 exec_lo, exec_lo, s12
	s_cbranch_execnz .LBB21_112
; %bb.113:
	s_or_b32 exec_lo, exec_lo, s12
.LBB21_114:
	s_delay_alu instid0(SALU_CYCLE_1) | instskip(SKIP_4) | instid1(VALU_DEP_1)
	s_or_b32 exec_lo, exec_lo, s11
	v_mov_b32_e32 v50, 0
	ds_load_b64 v[50:51], v50 offset:80
	s_wait_dscnt 0x0
	v_pk_mul_f32 v[52:53], v[48:49], v[50:51] op_sel:[1,1] op_sel_hi:[0,1]
	v_pk_fma_f32 v[54:55], v[48:49], v[50:51], v[52:53] op_sel_hi:[1,0,1]
	v_pk_fma_f32 v[48:49], v[48:49], v[50:51], v[52:53] neg_lo:[0,0,1] neg_hi:[0,0,1]
	s_delay_alu instid0(VALU_DEP_2)
	v_mov_b32_e32 v49, v55
	scratch_store_b64 off, v[48:49], off offset:80
.LBB21_115:
	s_wait_xcnt 0x0
	s_or_b32 exec_lo, exec_lo, s10
	scratch_load_b64 v[48:49], off, off offset:72
	v_cmp_lt_u32_e64 s1, 9, v0
	s_wait_loadcnt 0x0
	ds_store_b64 v1, v[48:49]
	s_wait_storecnt_dscnt 0x0
	s_barrier_signal -1
	s_barrier_wait -1
	s_wait_xcnt 0x0
	s_and_saveexec_b32 s10, s1
	s_cbranch_execz .LBB21_125
; %bb.116:
	s_and_not1_b32 vcc_lo, exec_lo, s3
	s_cbranch_vccnz .LBB21_118
; %bb.117:
	scratch_load_b64 v[48:49], v43, off
	ds_load_b64 v[50:51], v1
	s_wait_loadcnt_dscnt 0x0
	v_pk_mul_f32 v[52:53], v[50:51], v[48:49] op_sel:[1,1] op_sel_hi:[0,1]
	s_delay_alu instid0(VALU_DEP_1) | instskip(SKIP_1) | instid1(VALU_DEP_2)
	v_pk_fma_f32 v[54:55], v[50:51], v[48:49], v[52:53] op_sel_hi:[1,0,1]
	v_pk_fma_f32 v[48:49], v[50:51], v[48:49], v[52:53] neg_lo:[0,0,1] neg_hi:[0,0,1]
	v_mov_b32_e32 v49, v55
	s_cbranch_execz .LBB21_119
	s_branch .LBB21_120
.LBB21_118:
                                        ; implicit-def: $vgpr48_vgpr49
.LBB21_119:
	ds_load_b64 v[48:49], v1
.LBB21_120:
	s_and_saveexec_b32 s11, s0
	s_cbranch_execz .LBB21_124
; %bb.121:
	v_add_nc_u32_e32 v50, -10, v0
	s_movk_i32 s12, 0x100
	s_mov_b32 s0, 0
.LBB21_122:                             ; =>This Inner Loop Header: Depth=1
	scratch_load_b64 v[52:53], off, s9
	v_dual_mov_b32 v51, s12 :: v_dual_add_nc_u32 v50, -1, v50
	s_add_co_i32 s12, s12, 8
	s_wait_xcnt 0x0
	s_add_co_i32 s9, s9, 8
	ds_load_b64 v[54:55], v51
	v_cmp_eq_u32_e32 vcc_lo, 0, v50
	s_or_b32 s0, vcc_lo, s0
	s_wait_loadcnt_dscnt 0x0
	v_pk_mul_f32 v[56:57], v[54:55], v[52:53] op_sel:[1,1] op_sel_hi:[0,1]
	s_delay_alu instid0(VALU_DEP_1) | instskip(SKIP_1) | instid1(VALU_DEP_2)
	v_pk_fma_f32 v[58:59], v[54:55], v[52:53], v[56:57] op_sel_hi:[1,0,1]
	v_pk_fma_f32 v[52:53], v[54:55], v[52:53], v[56:57] neg_lo:[0,0,1] neg_hi:[0,0,1]
	v_mov_b32_e32 v53, v59
	s_delay_alu instid0(VALU_DEP_1)
	v_pk_add_f32 v[48:49], v[48:49], v[52:53]
	s_and_not1_b32 exec_lo, exec_lo, s0
	s_cbranch_execnz .LBB21_122
; %bb.123:
	s_or_b32 exec_lo, exec_lo, s0
.LBB21_124:
	s_delay_alu instid0(SALU_CYCLE_1) | instskip(SKIP_4) | instid1(VALU_DEP_1)
	s_or_b32 exec_lo, exec_lo, s11
	v_mov_b32_e32 v50, 0
	ds_load_b64 v[50:51], v50 offset:72
	s_wait_dscnt 0x0
	v_pk_mul_f32 v[52:53], v[48:49], v[50:51] op_sel:[1,1] op_sel_hi:[0,1]
	v_pk_fma_f32 v[54:55], v[48:49], v[50:51], v[52:53] op_sel_hi:[1,0,1]
	v_pk_fma_f32 v[48:49], v[48:49], v[50:51], v[52:53] neg_lo:[0,0,1] neg_hi:[0,0,1]
	s_delay_alu instid0(VALU_DEP_2)
	v_mov_b32_e32 v49, v55
	scratch_store_b64 off, v[48:49], off offset:72
.LBB21_125:
	s_wait_xcnt 0x0
	s_or_b32 exec_lo, exec_lo, s10
	scratch_load_b64 v[48:49], off, off offset:64
	v_cmp_lt_u32_e64 s0, 8, v0
	s_wait_loadcnt 0x0
	ds_store_b64 v1, v[48:49]
	s_wait_storecnt_dscnt 0x0
	s_barrier_signal -1
	s_barrier_wait -1
	s_wait_xcnt 0x0
	s_and_saveexec_b32 s9, s0
	s_cbranch_execz .LBB21_135
; %bb.126:
	s_and_not1_b32 vcc_lo, exec_lo, s3
	s_cbranch_vccnz .LBB21_128
; %bb.127:
	scratch_load_b64 v[48:49], v43, off
	ds_load_b64 v[50:51], v1
	s_wait_loadcnt_dscnt 0x0
	v_pk_mul_f32 v[52:53], v[50:51], v[48:49] op_sel:[1,1] op_sel_hi:[0,1]
	s_delay_alu instid0(VALU_DEP_1) | instskip(SKIP_1) | instid1(VALU_DEP_2)
	v_pk_fma_f32 v[54:55], v[50:51], v[48:49], v[52:53] op_sel_hi:[1,0,1]
	v_pk_fma_f32 v[48:49], v[50:51], v[48:49], v[52:53] neg_lo:[0,0,1] neg_hi:[0,0,1]
	v_mov_b32_e32 v49, v55
	s_cbranch_execz .LBB21_129
	s_branch .LBB21_130
.LBB21_128:
                                        ; implicit-def: $vgpr48_vgpr49
.LBB21_129:
	ds_load_b64 v[48:49], v1
.LBB21_130:
	s_and_saveexec_b32 s10, s1
	s_cbranch_execz .LBB21_134
; %bb.131:
	v_add_nc_u32_e32 v50, -9, v0
	s_movk_i32 s1, 0x48
	s_movk_i32 s12, 0xf8
	s_mov_b32 s11, 0
.LBB21_132:                             ; =>This Inner Loop Header: Depth=1
	scratch_load_b64 v[52:53], off, s1
	v_dual_mov_b32 v51, s12 :: v_dual_add_nc_u32 v50, -1, v50
	s_add_co_i32 s12, s12, 8
	s_wait_xcnt 0x0
	s_add_co_i32 s1, s1, 8
	ds_load_b64 v[54:55], v51
	v_cmp_eq_u32_e32 vcc_lo, 0, v50
	s_or_b32 s11, vcc_lo, s11
	s_wait_loadcnt_dscnt 0x0
	v_pk_mul_f32 v[56:57], v[54:55], v[52:53] op_sel:[1,1] op_sel_hi:[0,1]
	s_delay_alu instid0(VALU_DEP_1) | instskip(SKIP_1) | instid1(VALU_DEP_2)
	v_pk_fma_f32 v[58:59], v[54:55], v[52:53], v[56:57] op_sel_hi:[1,0,1]
	v_pk_fma_f32 v[52:53], v[54:55], v[52:53], v[56:57] neg_lo:[0,0,1] neg_hi:[0,0,1]
	v_mov_b32_e32 v53, v59
	s_delay_alu instid0(VALU_DEP_1)
	v_pk_add_f32 v[48:49], v[48:49], v[52:53]
	s_and_not1_b32 exec_lo, exec_lo, s11
	s_cbranch_execnz .LBB21_132
; %bb.133:
	s_or_b32 exec_lo, exec_lo, s11
.LBB21_134:
	s_delay_alu instid0(SALU_CYCLE_1) | instskip(SKIP_4) | instid1(VALU_DEP_1)
	s_or_b32 exec_lo, exec_lo, s10
	v_mov_b32_e32 v50, 0
	ds_load_b64 v[50:51], v50 offset:64
	s_wait_dscnt 0x0
	v_pk_mul_f32 v[52:53], v[48:49], v[50:51] op_sel:[1,1] op_sel_hi:[0,1]
	v_pk_fma_f32 v[54:55], v[48:49], v[50:51], v[52:53] op_sel_hi:[1,0,1]
	v_pk_fma_f32 v[48:49], v[48:49], v[50:51], v[52:53] neg_lo:[0,0,1] neg_hi:[0,0,1]
	s_delay_alu instid0(VALU_DEP_2)
	v_mov_b32_e32 v49, v55
	scratch_store_b64 off, v[48:49], off offset:64
.LBB21_135:
	s_wait_xcnt 0x0
	s_or_b32 exec_lo, exec_lo, s9
	scratch_load_b64 v[48:49], off, off offset:56
	v_cmp_lt_u32_e64 s1, 7, v0
	s_wait_loadcnt 0x0
	ds_store_b64 v1, v[48:49]
	s_wait_storecnt_dscnt 0x0
	s_barrier_signal -1
	s_barrier_wait -1
	s_wait_xcnt 0x0
	s_and_saveexec_b32 s9, s1
	s_cbranch_execz .LBB21_145
; %bb.136:
	s_and_not1_b32 vcc_lo, exec_lo, s3
	s_cbranch_vccnz .LBB21_138
; %bb.137:
	scratch_load_b64 v[48:49], v43, off
	ds_load_b64 v[50:51], v1
	s_wait_loadcnt_dscnt 0x0
	v_pk_mul_f32 v[52:53], v[50:51], v[48:49] op_sel:[1,1] op_sel_hi:[0,1]
	s_delay_alu instid0(VALU_DEP_1) | instskip(SKIP_1) | instid1(VALU_DEP_2)
	v_pk_fma_f32 v[54:55], v[50:51], v[48:49], v[52:53] op_sel_hi:[1,0,1]
	v_pk_fma_f32 v[48:49], v[50:51], v[48:49], v[52:53] neg_lo:[0,0,1] neg_hi:[0,0,1]
	v_mov_b32_e32 v49, v55
	s_cbranch_execz .LBB21_139
	s_branch .LBB21_140
.LBB21_138:
                                        ; implicit-def: $vgpr48_vgpr49
.LBB21_139:
	ds_load_b64 v[48:49], v1
.LBB21_140:
	s_and_saveexec_b32 s10, s0
	s_cbranch_execz .LBB21_144
; %bb.141:
	v_add_nc_u32_e32 v50, -8, v0
	s_movk_i32 s11, 0xf0
	s_mov_b32 s0, 0
.LBB21_142:                             ; =>This Inner Loop Header: Depth=1
	scratch_load_b64 v[52:53], off, s8
	v_dual_mov_b32 v51, s11 :: v_dual_add_nc_u32 v50, -1, v50
	s_add_co_i32 s11, s11, 8
	s_wait_xcnt 0x0
	s_add_co_i32 s8, s8, 8
	ds_load_b64 v[54:55], v51
	v_cmp_eq_u32_e32 vcc_lo, 0, v50
	s_or_b32 s0, vcc_lo, s0
	s_wait_loadcnt_dscnt 0x0
	v_pk_mul_f32 v[56:57], v[54:55], v[52:53] op_sel:[1,1] op_sel_hi:[0,1]
	s_delay_alu instid0(VALU_DEP_1) | instskip(SKIP_1) | instid1(VALU_DEP_2)
	v_pk_fma_f32 v[58:59], v[54:55], v[52:53], v[56:57] op_sel_hi:[1,0,1]
	v_pk_fma_f32 v[52:53], v[54:55], v[52:53], v[56:57] neg_lo:[0,0,1] neg_hi:[0,0,1]
	v_mov_b32_e32 v53, v59
	s_delay_alu instid0(VALU_DEP_1)
	v_pk_add_f32 v[48:49], v[48:49], v[52:53]
	s_and_not1_b32 exec_lo, exec_lo, s0
	s_cbranch_execnz .LBB21_142
; %bb.143:
	s_or_b32 exec_lo, exec_lo, s0
.LBB21_144:
	s_delay_alu instid0(SALU_CYCLE_1) | instskip(SKIP_4) | instid1(VALU_DEP_1)
	s_or_b32 exec_lo, exec_lo, s10
	v_mov_b32_e32 v50, 0
	ds_load_b64 v[50:51], v50 offset:56
	s_wait_dscnt 0x0
	v_pk_mul_f32 v[52:53], v[48:49], v[50:51] op_sel:[1,1] op_sel_hi:[0,1]
	v_pk_fma_f32 v[54:55], v[48:49], v[50:51], v[52:53] op_sel_hi:[1,0,1]
	v_pk_fma_f32 v[48:49], v[48:49], v[50:51], v[52:53] neg_lo:[0,0,1] neg_hi:[0,0,1]
	s_delay_alu instid0(VALU_DEP_2)
	v_mov_b32_e32 v49, v55
	scratch_store_b64 off, v[48:49], off offset:56
.LBB21_145:
	s_wait_xcnt 0x0
	s_or_b32 exec_lo, exec_lo, s9
	scratch_load_b64 v[48:49], off, off offset:48
	v_cmp_lt_u32_e64 s0, 6, v0
	s_wait_loadcnt 0x0
	ds_store_b64 v1, v[48:49]
	s_wait_storecnt_dscnt 0x0
	s_barrier_signal -1
	s_barrier_wait -1
	s_wait_xcnt 0x0
	s_and_saveexec_b32 s8, s0
	s_cbranch_execz .LBB21_155
; %bb.146:
	s_and_not1_b32 vcc_lo, exec_lo, s3
	s_cbranch_vccnz .LBB21_148
; %bb.147:
	scratch_load_b64 v[48:49], v43, off
	ds_load_b64 v[50:51], v1
	s_wait_loadcnt_dscnt 0x0
	v_pk_mul_f32 v[52:53], v[50:51], v[48:49] op_sel:[1,1] op_sel_hi:[0,1]
	s_delay_alu instid0(VALU_DEP_1) | instskip(SKIP_1) | instid1(VALU_DEP_2)
	v_pk_fma_f32 v[54:55], v[50:51], v[48:49], v[52:53] op_sel_hi:[1,0,1]
	v_pk_fma_f32 v[48:49], v[50:51], v[48:49], v[52:53] neg_lo:[0,0,1] neg_hi:[0,0,1]
	v_mov_b32_e32 v49, v55
	s_cbranch_execz .LBB21_149
	s_branch .LBB21_150
.LBB21_148:
                                        ; implicit-def: $vgpr48_vgpr49
.LBB21_149:
	ds_load_b64 v[48:49], v1
.LBB21_150:
	s_and_saveexec_b32 s9, s1
	s_cbranch_execz .LBB21_154
; %bb.151:
	v_add_nc_u32_e32 v50, -7, v0
	s_mov_b32 s1, 56
	s_movk_i32 s11, 0xe8
	s_mov_b32 s10, 0
.LBB21_152:                             ; =>This Inner Loop Header: Depth=1
	scratch_load_b64 v[52:53], off, s1
	v_dual_mov_b32 v51, s11 :: v_dual_add_nc_u32 v50, -1, v50
	s_add_co_i32 s11, s11, 8
	s_wait_xcnt 0x0
	s_add_co_i32 s1, s1, 8
	ds_load_b64 v[54:55], v51
	v_cmp_eq_u32_e32 vcc_lo, 0, v50
	s_or_b32 s10, vcc_lo, s10
	s_wait_loadcnt_dscnt 0x0
	v_pk_mul_f32 v[56:57], v[54:55], v[52:53] op_sel:[1,1] op_sel_hi:[0,1]
	s_delay_alu instid0(VALU_DEP_1) | instskip(SKIP_1) | instid1(VALU_DEP_2)
	v_pk_fma_f32 v[58:59], v[54:55], v[52:53], v[56:57] op_sel_hi:[1,0,1]
	v_pk_fma_f32 v[52:53], v[54:55], v[52:53], v[56:57] neg_lo:[0,0,1] neg_hi:[0,0,1]
	v_mov_b32_e32 v53, v59
	s_delay_alu instid0(VALU_DEP_1)
	v_pk_add_f32 v[48:49], v[48:49], v[52:53]
	s_and_not1_b32 exec_lo, exec_lo, s10
	s_cbranch_execnz .LBB21_152
; %bb.153:
	s_or_b32 exec_lo, exec_lo, s10
.LBB21_154:
	s_delay_alu instid0(SALU_CYCLE_1) | instskip(SKIP_4) | instid1(VALU_DEP_1)
	s_or_b32 exec_lo, exec_lo, s9
	v_mov_b32_e32 v50, 0
	ds_load_b64 v[50:51], v50 offset:48
	s_wait_dscnt 0x0
	v_pk_mul_f32 v[52:53], v[48:49], v[50:51] op_sel:[1,1] op_sel_hi:[0,1]
	v_pk_fma_f32 v[54:55], v[48:49], v[50:51], v[52:53] op_sel_hi:[1,0,1]
	v_pk_fma_f32 v[48:49], v[48:49], v[50:51], v[52:53] neg_lo:[0,0,1] neg_hi:[0,0,1]
	s_delay_alu instid0(VALU_DEP_2)
	v_mov_b32_e32 v49, v55
	scratch_store_b64 off, v[48:49], off offset:48
.LBB21_155:
	s_wait_xcnt 0x0
	s_or_b32 exec_lo, exec_lo, s8
	scratch_load_b64 v[48:49], off, off offset:40
	v_cmp_lt_u32_e64 s1, 5, v0
	s_wait_loadcnt 0x0
	ds_store_b64 v1, v[48:49]
	s_wait_storecnt_dscnt 0x0
	s_barrier_signal -1
	s_barrier_wait -1
	s_wait_xcnt 0x0
	s_and_saveexec_b32 s8, s1
	s_cbranch_execz .LBB21_165
; %bb.156:
	s_and_not1_b32 vcc_lo, exec_lo, s3
	s_cbranch_vccnz .LBB21_158
; %bb.157:
	scratch_load_b64 v[48:49], v43, off
	ds_load_b64 v[50:51], v1
	s_wait_loadcnt_dscnt 0x0
	v_pk_mul_f32 v[52:53], v[50:51], v[48:49] op_sel:[1,1] op_sel_hi:[0,1]
	s_delay_alu instid0(VALU_DEP_1) | instskip(SKIP_1) | instid1(VALU_DEP_2)
	v_pk_fma_f32 v[54:55], v[50:51], v[48:49], v[52:53] op_sel_hi:[1,0,1]
	v_pk_fma_f32 v[48:49], v[50:51], v[48:49], v[52:53] neg_lo:[0,0,1] neg_hi:[0,0,1]
	v_mov_b32_e32 v49, v55
	s_cbranch_execz .LBB21_159
	s_branch .LBB21_160
.LBB21_158:
                                        ; implicit-def: $vgpr48_vgpr49
.LBB21_159:
	ds_load_b64 v[48:49], v1
.LBB21_160:
	s_and_saveexec_b32 s9, s0
	s_cbranch_execz .LBB21_164
; %bb.161:
	v_add_nc_u32_e32 v50, -6, v0
	s_movk_i32 s10, 0xe0
	s_mov_b32 s0, 0
.LBB21_162:                             ; =>This Inner Loop Header: Depth=1
	scratch_load_b64 v[52:53], off, s2
	v_dual_mov_b32 v51, s10 :: v_dual_add_nc_u32 v50, -1, v50
	s_add_co_i32 s10, s10, 8
	s_wait_xcnt 0x0
	s_add_co_i32 s2, s2, 8
	ds_load_b64 v[54:55], v51
	v_cmp_eq_u32_e32 vcc_lo, 0, v50
	s_or_b32 s0, vcc_lo, s0
	s_wait_loadcnt_dscnt 0x0
	v_pk_mul_f32 v[56:57], v[54:55], v[52:53] op_sel:[1,1] op_sel_hi:[0,1]
	s_delay_alu instid0(VALU_DEP_1) | instskip(SKIP_1) | instid1(VALU_DEP_2)
	v_pk_fma_f32 v[58:59], v[54:55], v[52:53], v[56:57] op_sel_hi:[1,0,1]
	v_pk_fma_f32 v[52:53], v[54:55], v[52:53], v[56:57] neg_lo:[0,0,1] neg_hi:[0,0,1]
	v_mov_b32_e32 v53, v59
	s_delay_alu instid0(VALU_DEP_1)
	v_pk_add_f32 v[48:49], v[48:49], v[52:53]
	s_and_not1_b32 exec_lo, exec_lo, s0
	s_cbranch_execnz .LBB21_162
; %bb.163:
	s_or_b32 exec_lo, exec_lo, s0
.LBB21_164:
	s_delay_alu instid0(SALU_CYCLE_1) | instskip(SKIP_4) | instid1(VALU_DEP_1)
	s_or_b32 exec_lo, exec_lo, s9
	v_mov_b32_e32 v50, 0
	ds_load_b64 v[50:51], v50 offset:40
	s_wait_dscnt 0x0
	v_pk_mul_f32 v[52:53], v[48:49], v[50:51] op_sel:[1,1] op_sel_hi:[0,1]
	v_pk_fma_f32 v[54:55], v[48:49], v[50:51], v[52:53] op_sel_hi:[1,0,1]
	v_pk_fma_f32 v[48:49], v[48:49], v[50:51], v[52:53] neg_lo:[0,0,1] neg_hi:[0,0,1]
	s_delay_alu instid0(VALU_DEP_2)
	v_mov_b32_e32 v49, v55
	scratch_store_b64 off, v[48:49], off offset:40
.LBB21_165:
	s_wait_xcnt 0x0
	s_or_b32 exec_lo, exec_lo, s8
	scratch_load_b64 v[48:49], off, off offset:32
	v_cmp_lt_u32_e64 s0, 4, v0
	s_wait_loadcnt 0x0
	ds_store_b64 v1, v[48:49]
	s_wait_storecnt_dscnt 0x0
	s_barrier_signal -1
	s_barrier_wait -1
	s_wait_xcnt 0x0
	s_and_saveexec_b32 s2, s0
	s_cbranch_execz .LBB21_175
; %bb.166:
	s_and_not1_b32 vcc_lo, exec_lo, s3
	s_cbranch_vccnz .LBB21_168
; %bb.167:
	scratch_load_b64 v[48:49], v43, off
	ds_load_b64 v[50:51], v1
	s_wait_loadcnt_dscnt 0x0
	v_pk_mul_f32 v[52:53], v[50:51], v[48:49] op_sel:[1,1] op_sel_hi:[0,1]
	s_delay_alu instid0(VALU_DEP_1) | instskip(SKIP_1) | instid1(VALU_DEP_2)
	v_pk_fma_f32 v[54:55], v[50:51], v[48:49], v[52:53] op_sel_hi:[1,0,1]
	v_pk_fma_f32 v[48:49], v[50:51], v[48:49], v[52:53] neg_lo:[0,0,1] neg_hi:[0,0,1]
	v_mov_b32_e32 v49, v55
	s_cbranch_execz .LBB21_169
	s_branch .LBB21_170
.LBB21_168:
                                        ; implicit-def: $vgpr48_vgpr49
.LBB21_169:
	ds_load_b64 v[48:49], v1
.LBB21_170:
	s_and_saveexec_b32 s8, s1
	s_cbranch_execz .LBB21_174
; %bb.171:
	v_add_nc_u32_e32 v50, -5, v0
	s_mov_b32 s1, 40
	s_movk_i32 s10, 0xd8
	s_mov_b32 s9, 0
.LBB21_172:                             ; =>This Inner Loop Header: Depth=1
	scratch_load_b64 v[52:53], off, s1
	v_dual_mov_b32 v51, s10 :: v_dual_add_nc_u32 v50, -1, v50
	s_add_co_i32 s10, s10, 8
	s_wait_xcnt 0x0
	s_add_co_i32 s1, s1, 8
	ds_load_b64 v[54:55], v51
	v_cmp_eq_u32_e32 vcc_lo, 0, v50
	s_or_b32 s9, vcc_lo, s9
	s_wait_loadcnt_dscnt 0x0
	v_pk_mul_f32 v[56:57], v[54:55], v[52:53] op_sel:[1,1] op_sel_hi:[0,1]
	s_delay_alu instid0(VALU_DEP_1) | instskip(SKIP_1) | instid1(VALU_DEP_2)
	v_pk_fma_f32 v[58:59], v[54:55], v[52:53], v[56:57] op_sel_hi:[1,0,1]
	v_pk_fma_f32 v[52:53], v[54:55], v[52:53], v[56:57] neg_lo:[0,0,1] neg_hi:[0,0,1]
	v_mov_b32_e32 v53, v59
	s_delay_alu instid0(VALU_DEP_1)
	v_pk_add_f32 v[48:49], v[48:49], v[52:53]
	s_and_not1_b32 exec_lo, exec_lo, s9
	s_cbranch_execnz .LBB21_172
; %bb.173:
	s_or_b32 exec_lo, exec_lo, s9
.LBB21_174:
	s_delay_alu instid0(SALU_CYCLE_1) | instskip(SKIP_4) | instid1(VALU_DEP_1)
	s_or_b32 exec_lo, exec_lo, s8
	v_mov_b32_e32 v50, 0
	ds_load_b64 v[50:51], v50 offset:32
	s_wait_dscnt 0x0
	v_pk_mul_f32 v[52:53], v[48:49], v[50:51] op_sel:[1,1] op_sel_hi:[0,1]
	v_pk_fma_f32 v[54:55], v[48:49], v[50:51], v[52:53] op_sel_hi:[1,0,1]
	v_pk_fma_f32 v[48:49], v[48:49], v[50:51], v[52:53] neg_lo:[0,0,1] neg_hi:[0,0,1]
	s_delay_alu instid0(VALU_DEP_2)
	v_mov_b32_e32 v49, v55
	scratch_store_b64 off, v[48:49], off offset:32
.LBB21_175:
	s_wait_xcnt 0x0
	s_or_b32 exec_lo, exec_lo, s2
	scratch_load_b64 v[48:49], off, off offset:24
	v_cmp_lt_u32_e64 s2, 3, v0
	s_wait_loadcnt 0x0
	ds_store_b64 v1, v[48:49]
	s_wait_storecnt_dscnt 0x0
	s_barrier_signal -1
	s_barrier_wait -1
	s_wait_xcnt 0x0
	s_and_saveexec_b32 s1, s2
	s_cbranch_execz .LBB21_185
; %bb.176:
	s_and_not1_b32 vcc_lo, exec_lo, s3
	s_cbranch_vccnz .LBB21_178
; %bb.177:
	scratch_load_b64 v[48:49], v43, off
	ds_load_b64 v[50:51], v1
	s_wait_loadcnt_dscnt 0x0
	v_pk_mul_f32 v[52:53], v[50:51], v[48:49] op_sel:[1,1] op_sel_hi:[0,1]
	s_delay_alu instid0(VALU_DEP_1) | instskip(SKIP_1) | instid1(VALU_DEP_2)
	v_pk_fma_f32 v[54:55], v[50:51], v[48:49], v[52:53] op_sel_hi:[1,0,1]
	v_pk_fma_f32 v[48:49], v[50:51], v[48:49], v[52:53] neg_lo:[0,0,1] neg_hi:[0,0,1]
	v_mov_b32_e32 v49, v55
	s_cbranch_execz .LBB21_179
	s_branch .LBB21_180
.LBB21_178:
                                        ; implicit-def: $vgpr48_vgpr49
.LBB21_179:
	ds_load_b64 v[48:49], v1
.LBB21_180:
	s_and_saveexec_b32 s8, s0
	s_cbranch_execz .LBB21_184
; %bb.181:
	v_add_nc_u32_e32 v50, -4, v0
	s_movk_i32 s9, 0xd0
	s_mov_b32 s0, 0
.LBB21_182:                             ; =>This Inner Loop Header: Depth=1
	scratch_load_b64 v[52:53], off, s5
	v_dual_mov_b32 v51, s9 :: v_dual_add_nc_u32 v50, -1, v50
	s_add_co_i32 s9, s9, 8
	s_wait_xcnt 0x0
	s_add_co_i32 s5, s5, 8
	ds_load_b64 v[54:55], v51
	v_cmp_eq_u32_e32 vcc_lo, 0, v50
	s_or_b32 s0, vcc_lo, s0
	s_wait_loadcnt_dscnt 0x0
	v_pk_mul_f32 v[56:57], v[54:55], v[52:53] op_sel:[1,1] op_sel_hi:[0,1]
	s_delay_alu instid0(VALU_DEP_1) | instskip(SKIP_1) | instid1(VALU_DEP_2)
	v_pk_fma_f32 v[58:59], v[54:55], v[52:53], v[56:57] op_sel_hi:[1,0,1]
	v_pk_fma_f32 v[52:53], v[54:55], v[52:53], v[56:57] neg_lo:[0,0,1] neg_hi:[0,0,1]
	v_mov_b32_e32 v53, v59
	s_delay_alu instid0(VALU_DEP_1)
	v_pk_add_f32 v[48:49], v[48:49], v[52:53]
	s_and_not1_b32 exec_lo, exec_lo, s0
	s_cbranch_execnz .LBB21_182
; %bb.183:
	s_or_b32 exec_lo, exec_lo, s0
.LBB21_184:
	s_delay_alu instid0(SALU_CYCLE_1) | instskip(SKIP_4) | instid1(VALU_DEP_1)
	s_or_b32 exec_lo, exec_lo, s8
	v_mov_b32_e32 v50, 0
	ds_load_b64 v[50:51], v50 offset:24
	s_wait_dscnt 0x0
	v_pk_mul_f32 v[52:53], v[48:49], v[50:51] op_sel:[1,1] op_sel_hi:[0,1]
	v_pk_fma_f32 v[54:55], v[48:49], v[50:51], v[52:53] op_sel_hi:[1,0,1]
	v_pk_fma_f32 v[48:49], v[48:49], v[50:51], v[52:53] neg_lo:[0,0,1] neg_hi:[0,0,1]
	s_delay_alu instid0(VALU_DEP_2)
	v_mov_b32_e32 v49, v55
	scratch_store_b64 off, v[48:49], off offset:24
.LBB21_185:
	s_wait_xcnt 0x0
	s_or_b32 exec_lo, exec_lo, s1
	scratch_load_b64 v[48:49], off, off offset:16
	v_cmp_lt_u32_e64 s1, 2, v0
	s_wait_loadcnt 0x0
	ds_store_b64 v1, v[48:49]
	s_wait_storecnt_dscnt 0x0
	s_barrier_signal -1
	s_barrier_wait -1
	s_wait_xcnt 0x0
	s_and_saveexec_b32 s0, s1
	s_cbranch_execz .LBB21_195
; %bb.186:
	s_and_not1_b32 vcc_lo, exec_lo, s3
	s_cbranch_vccnz .LBB21_188
; %bb.187:
	scratch_load_b64 v[48:49], v43, off
	ds_load_b64 v[50:51], v1
	s_wait_loadcnt_dscnt 0x0
	v_pk_mul_f32 v[52:53], v[50:51], v[48:49] op_sel:[1,1] op_sel_hi:[0,1]
	s_delay_alu instid0(VALU_DEP_1) | instskip(SKIP_1) | instid1(VALU_DEP_2)
	v_pk_fma_f32 v[54:55], v[50:51], v[48:49], v[52:53] op_sel_hi:[1,0,1]
	v_pk_fma_f32 v[48:49], v[50:51], v[48:49], v[52:53] neg_lo:[0,0,1] neg_hi:[0,0,1]
	v_mov_b32_e32 v49, v55
	s_cbranch_execz .LBB21_189
	s_branch .LBB21_190
.LBB21_188:
                                        ; implicit-def: $vgpr48_vgpr49
.LBB21_189:
	ds_load_b64 v[48:49], v1
.LBB21_190:
	s_and_saveexec_b32 s5, s2
	s_cbranch_execz .LBB21_194
; %bb.191:
	v_add_nc_u32_e32 v50, -3, v0
	s_mov_b32 s2, 24
	s_movk_i32 s9, 0xc8
	s_mov_b32 s8, 0
.LBB21_192:                             ; =>This Inner Loop Header: Depth=1
	scratch_load_b64 v[52:53], off, s2
	v_dual_mov_b32 v51, s9 :: v_dual_add_nc_u32 v50, -1, v50
	s_add_co_i32 s9, s9, 8
	s_wait_xcnt 0x0
	s_add_co_i32 s2, s2, 8
	ds_load_b64 v[54:55], v51
	v_cmp_eq_u32_e32 vcc_lo, 0, v50
	s_or_b32 s8, vcc_lo, s8
	s_wait_loadcnt_dscnt 0x0
	v_pk_mul_f32 v[56:57], v[54:55], v[52:53] op_sel:[1,1] op_sel_hi:[0,1]
	s_delay_alu instid0(VALU_DEP_1) | instskip(SKIP_1) | instid1(VALU_DEP_2)
	v_pk_fma_f32 v[58:59], v[54:55], v[52:53], v[56:57] op_sel_hi:[1,0,1]
	v_pk_fma_f32 v[52:53], v[54:55], v[52:53], v[56:57] neg_lo:[0,0,1] neg_hi:[0,0,1]
	v_mov_b32_e32 v53, v59
	s_delay_alu instid0(VALU_DEP_1)
	v_pk_add_f32 v[48:49], v[48:49], v[52:53]
	s_and_not1_b32 exec_lo, exec_lo, s8
	s_cbranch_execnz .LBB21_192
; %bb.193:
	s_or_b32 exec_lo, exec_lo, s8
.LBB21_194:
	s_delay_alu instid0(SALU_CYCLE_1) | instskip(SKIP_4) | instid1(VALU_DEP_1)
	s_or_b32 exec_lo, exec_lo, s5
	v_mov_b32_e32 v50, 0
	ds_load_b64 v[50:51], v50 offset:16
	s_wait_dscnt 0x0
	v_pk_mul_f32 v[52:53], v[48:49], v[50:51] op_sel:[1,1] op_sel_hi:[0,1]
	v_pk_fma_f32 v[54:55], v[48:49], v[50:51], v[52:53] op_sel_hi:[1,0,1]
	v_pk_fma_f32 v[48:49], v[48:49], v[50:51], v[52:53] neg_lo:[0,0,1] neg_hi:[0,0,1]
	s_delay_alu instid0(VALU_DEP_2)
	v_mov_b32_e32 v49, v55
	scratch_store_b64 off, v[48:49], off offset:16
.LBB21_195:
	s_wait_xcnt 0x0
	s_or_b32 exec_lo, exec_lo, s0
	scratch_load_b64 v[48:49], off, off offset:8
	v_cmp_lt_u32_e64 s0, 1, v0
	s_wait_loadcnt 0x0
	ds_store_b64 v1, v[48:49]
	s_wait_storecnt_dscnt 0x0
	s_barrier_signal -1
	s_barrier_wait -1
	s_wait_xcnt 0x0
	s_and_saveexec_b32 s2, s0
	s_cbranch_execz .LBB21_205
; %bb.196:
	s_and_not1_b32 vcc_lo, exec_lo, s3
	s_cbranch_vccnz .LBB21_198
; %bb.197:
	scratch_load_b64 v[48:49], v43, off
	ds_load_b64 v[50:51], v1
	s_wait_loadcnt_dscnt 0x0
	v_pk_mul_f32 v[52:53], v[50:51], v[48:49] op_sel:[1,1] op_sel_hi:[0,1]
	s_delay_alu instid0(VALU_DEP_1) | instskip(SKIP_1) | instid1(VALU_DEP_2)
	v_pk_fma_f32 v[54:55], v[50:51], v[48:49], v[52:53] op_sel_hi:[1,0,1]
	v_pk_fma_f32 v[48:49], v[50:51], v[48:49], v[52:53] neg_lo:[0,0,1] neg_hi:[0,0,1]
	v_mov_b32_e32 v49, v55
	s_cbranch_execz .LBB21_199
	s_branch .LBB21_200
.LBB21_198:
                                        ; implicit-def: $vgpr48_vgpr49
.LBB21_199:
	ds_load_b64 v[48:49], v1
.LBB21_200:
	s_and_saveexec_b32 s5, s1
	s_cbranch_execz .LBB21_204
; %bb.201:
	v_add_nc_u32_e32 v50, -2, v0
	s_movk_i32 s8, 0xc0
	s_mov_b32 s1, 0
.LBB21_202:                             ; =>This Inner Loop Header: Depth=1
	scratch_load_b64 v[52:53], off, s4
	v_dual_mov_b32 v51, s8 :: v_dual_add_nc_u32 v50, -1, v50
	s_add_co_i32 s8, s8, 8
	s_wait_xcnt 0x0
	s_add_co_i32 s4, s4, 8
	ds_load_b64 v[54:55], v51
	v_cmp_eq_u32_e32 vcc_lo, 0, v50
	s_or_b32 s1, vcc_lo, s1
	s_wait_loadcnt_dscnt 0x0
	v_pk_mul_f32 v[56:57], v[54:55], v[52:53] op_sel:[1,1] op_sel_hi:[0,1]
	s_delay_alu instid0(VALU_DEP_1) | instskip(SKIP_1) | instid1(VALU_DEP_2)
	v_pk_fma_f32 v[58:59], v[54:55], v[52:53], v[56:57] op_sel_hi:[1,0,1]
	v_pk_fma_f32 v[52:53], v[54:55], v[52:53], v[56:57] neg_lo:[0,0,1] neg_hi:[0,0,1]
	v_mov_b32_e32 v53, v59
	s_delay_alu instid0(VALU_DEP_1)
	v_pk_add_f32 v[48:49], v[48:49], v[52:53]
	s_and_not1_b32 exec_lo, exec_lo, s1
	s_cbranch_execnz .LBB21_202
; %bb.203:
	s_or_b32 exec_lo, exec_lo, s1
.LBB21_204:
	s_delay_alu instid0(SALU_CYCLE_1) | instskip(SKIP_4) | instid1(VALU_DEP_1)
	s_or_b32 exec_lo, exec_lo, s5
	v_mov_b32_e32 v50, 0
	ds_load_b64 v[50:51], v50 offset:8
	s_wait_dscnt 0x0
	v_pk_mul_f32 v[52:53], v[48:49], v[50:51] op_sel:[1,1] op_sel_hi:[0,1]
	v_pk_fma_f32 v[54:55], v[48:49], v[50:51], v[52:53] op_sel_hi:[1,0,1]
	v_pk_fma_f32 v[48:49], v[48:49], v[50:51], v[52:53] neg_lo:[0,0,1] neg_hi:[0,0,1]
	s_delay_alu instid0(VALU_DEP_2)
	v_mov_b32_e32 v49, v55
	scratch_store_b64 off, v[48:49], off offset:8
.LBB21_205:
	s_wait_xcnt 0x0
	s_or_b32 exec_lo, exec_lo, s2
	scratch_load_b64 v[48:49], off, off
	s_mov_b32 s2, 0
	s_mov_b32 s1, 0
	s_mov_b32 s4, exec_lo
                                        ; implicit-def: $vgpr58
                                        ; implicit-def: $sgpr5
	s_wait_loadcnt 0x0
	ds_store_b64 v1, v[48:49]
	s_wait_storecnt_dscnt 0x0
	s_barrier_signal -1
	s_barrier_wait -1
	s_wait_xcnt 0x0
	v_cmpx_ne_u32_e32 0, v0
	s_cbranch_execz .LBB21_215
; %bb.206:
	s_and_not1_b32 vcc_lo, exec_lo, s3
	s_cbranch_vccnz .LBB21_208
; %bb.207:
	scratch_load_b64 v[50:51], v43, off
	ds_load_b64 v[52:53], v1
	s_wait_loadcnt_dscnt 0x0
	v_dual_mul_f32 v48, v53, v51 :: v_dual_mul_f32 v49, v52, v51
	s_delay_alu instid0(VALU_DEP_1)
	v_dual_fma_f32 v48, v52, v50, -v48 :: v_dual_fmac_f32 v49, v53, v50
	s_and_not1_b32 vcc_lo, exec_lo, s1
	s_cbranch_vccz .LBB21_209
	s_branch .LBB21_210
.LBB21_208:
                                        ; implicit-def: $vgpr48
.LBB21_209:
	ds_load_b64 v[48:49], v1
.LBB21_210:
	s_and_saveexec_b32 s1, s0
	s_cbranch_execz .LBB21_214
; %bb.211:
	v_add_nc_u32_e32 v50, -1, v0
	s_or_b32 s0, 0, 8
	s_movk_i32 s8, 0xb8
	s_mov_b32 s5, 0
.LBB21_212:                             ; =>This Inner Loop Header: Depth=1
	scratch_load_b64 v[52:53], off, s0
	v_mov_b32_e32 v51, s8
	s_add_co_i32 s8, s8, 8
	s_wait_xcnt 0x0
	s_add_co_i32 s0, s0, 8
	v_add_nc_u32_e32 v50, -1, v50
	ds_load_b64 v[54:55], v51
	v_cmp_eq_u32_e32 vcc_lo, 0, v50
	s_or_b32 s5, vcc_lo, s5
	s_wait_loadcnt_dscnt 0x0
	v_dual_mul_f32 v51, v55, v53 :: v_dual_mul_f32 v53, v54, v53
	s_delay_alu instid0(VALU_DEP_1) | instskip(NEXT) | instid1(VALU_DEP_1)
	v_dual_fma_f32 v51, v54, v52, -v51 :: v_dual_fmac_f32 v53, v55, v52
	v_dual_add_f32 v48, v48, v51 :: v_dual_add_f32 v49, v49, v53
	s_and_not1_b32 exec_lo, exec_lo, s5
	s_cbranch_execnz .LBB21_212
; %bb.213:
	s_or_b32 exec_lo, exec_lo, s5
.LBB21_214:
	s_delay_alu instid0(SALU_CYCLE_1)
	s_or_b32 exec_lo, exec_lo, s1
	v_mov_b32_e32 v50, 0
	s_mov_b32 s1, exec_lo
	s_or_b32 s5, 0, 4
	ds_load_b64 v[50:51], v50
	s_wait_dscnt 0x0
	v_dual_mul_f32 v52, v49, v51 :: v_dual_mul_f32 v58, v48, v51
	s_delay_alu instid0(VALU_DEP_1)
	v_dual_fma_f32 v48, v48, v50, -v52 :: v_dual_fmac_f32 v58, v49, v50
	scratch_store_b32 off, v48, off
.LBB21_215:
	s_wait_xcnt 0x0
	s_or_b32 exec_lo, exec_lo, s4
	s_delay_alu instid0(SALU_CYCLE_1)
	s_and_b32 vcc_lo, exec_lo, s2
	s_cbranch_vccz .LBB21_421
.LBB21_216:
	scratch_load_b64 v[48:49], off, off offset:8
	v_cmp_eq_u32_e64 s0, 0, v0
	s_wait_loadcnt 0x0
	ds_store_b64 v1, v[48:49]
	s_wait_storecnt_dscnt 0x0
	s_barrier_signal -1
	s_barrier_wait -1
	s_wait_xcnt 0x0
	s_and_saveexec_b32 s2, s0
	s_cbranch_execz .LBB21_222
; %bb.217:
	s_and_b32 vcc_lo, exec_lo, s3
	s_cbranch_vccz .LBB21_219
; %bb.218:
	scratch_load_b64 v[48:49], v43, off
	ds_load_b64 v[50:51], v1
	s_wait_loadcnt_dscnt 0x0
	v_pk_mul_f32 v[52:53], v[50:51], v[48:49] op_sel:[1,1] op_sel_hi:[0,1]
	v_pk_mul_f32 v[54:55], v[50:51], v[48:49] op_sel_hi:[1,0]
	s_delay_alu instid0(VALU_DEP_2) | instskip(NEXT) | instid1(VALU_DEP_2)
	v_pk_fma_f32 v[48:49], v[50:51], v[48:49], v[52:53] op_sel_hi:[1,0,1]
	v_sub_f32_e32 v48, v54, v52
	s_cbranch_execz .LBB21_220
	s_branch .LBB21_221
.LBB21_219:
                                        ; implicit-def: $vgpr49
.LBB21_220:
	ds_load_b64 v[48:49], v1
.LBB21_221:
	s_wait_dscnt 0x0
	v_dual_mov_b32 v50, 0 :: v_dual_mov_b32 v52, v49
	v_mov_b32_e32 v53, v48
	ds_load_b64 v[50:51], v50 offset:8
	s_wait_dscnt 0x0
	v_pk_mul_f32 v[52:53], v[52:53], v[50:51] op_sel:[0,1]
	s_delay_alu instid0(VALU_DEP_1) | instskip(SKIP_1) | instid1(VALU_DEP_2)
	v_pk_fma_f32 v[54:55], v[48:49], v[50:51], v[52:53] op_sel_hi:[1,0,1]
	v_pk_fma_f32 v[48:49], v[48:49], v[50:51], v[52:53] neg_lo:[0,0,1] neg_hi:[0,0,1]
	v_mov_b32_e32 v49, v55
	scratch_store_b64 off, v[48:49], off offset:8
.LBB21_222:
	s_wait_xcnt 0x0
	s_or_b32 exec_lo, exec_lo, s2
	scratch_load_b64 v[48:49], off, off offset:16
	v_cndmask_b32_e64 v50, 0, 1, s3
	s_mov_b32 s2, exec_lo
	s_wait_loadcnt 0x0
	ds_store_b64 v1, v[48:49]
	s_wait_storecnt_dscnt 0x0
	s_barrier_signal -1
	s_barrier_wait -1
	s_wait_xcnt 0x0
	v_cmpx_gt_u32_e32 2, v0
	s_cbranch_execz .LBB21_230
; %bb.223:
	s_and_not1_b32 vcc_lo, exec_lo, s3
	s_cbranch_vccnz .LBB21_225
; %bb.224:
	scratch_load_b64 v[48:49], v43, off
	ds_load_b64 v[52:53], v1
	s_wait_loadcnt_dscnt 0x0
	v_pk_mul_f32 v[54:55], v[52:53], v[48:49] op_sel:[1,1] op_sel_hi:[0,1]
	s_delay_alu instid0(VALU_DEP_1) | instskip(SKIP_1) | instid1(VALU_DEP_2)
	v_pk_fma_f32 v[56:57], v[52:53], v[48:49], v[54:55] op_sel_hi:[1,0,1]
	v_pk_fma_f32 v[48:49], v[52:53], v[48:49], v[54:55] neg_lo:[0,0,1] neg_hi:[0,0,1]
	v_mov_b32_e32 v49, v57
	s_cbranch_execz .LBB21_226
	s_branch .LBB21_227
.LBB21_225:
                                        ; implicit-def: $vgpr48_vgpr49
.LBB21_226:
	ds_load_b64 v[48:49], v1
.LBB21_227:
	s_and_saveexec_b32 s3, s0
	s_cbranch_execz .LBB21_229
; %bb.228:
	scratch_load_b64 v[52:53], off, off offset:8
	v_mov_b32_e32 v51, 0
	ds_load_b64 v[54:55], v51 offset:184
	s_wait_loadcnt_dscnt 0x0
	v_pk_mul_f32 v[56:57], v[54:55], v[52:53] op_sel:[1,1] op_sel_hi:[0,1]
	s_delay_alu instid0(VALU_DEP_1) | instskip(SKIP_1) | instid1(VALU_DEP_2)
	v_pk_fma_f32 v[58:59], v[54:55], v[52:53], v[56:57] op_sel_hi:[1,0,1]
	v_pk_fma_f32 v[52:53], v[54:55], v[52:53], v[56:57] neg_lo:[0,0,1] neg_hi:[0,0,1]
	v_mov_b32_e32 v53, v59
	s_delay_alu instid0(VALU_DEP_1)
	v_pk_add_f32 v[48:49], v[48:49], v[52:53]
.LBB21_229:
	s_or_b32 exec_lo, exec_lo, s3
	v_mov_b32_e32 v51, 0
	ds_load_b64 v[52:53], v51 offset:16
	s_wait_dscnt 0x0
	v_pk_mul_f32 v[54:55], v[48:49], v[52:53] op_sel:[1,1] op_sel_hi:[0,1]
	s_delay_alu instid0(VALU_DEP_1) | instskip(SKIP_1) | instid1(VALU_DEP_2)
	v_pk_fma_f32 v[56:57], v[48:49], v[52:53], v[54:55] op_sel_hi:[1,0,1]
	v_pk_fma_f32 v[48:49], v[48:49], v[52:53], v[54:55] neg_lo:[0,0,1] neg_hi:[0,0,1]
	v_mov_b32_e32 v49, v57
	scratch_store_b64 off, v[48:49], off offset:16
.LBB21_230:
	s_wait_xcnt 0x0
	s_or_b32 exec_lo, exec_lo, s2
	scratch_load_b64 v[48:49], off, off offset:24
	s_mov_b32 s2, exec_lo
	s_wait_loadcnt 0x0
	ds_store_b64 v1, v[48:49]
	s_wait_storecnt_dscnt 0x0
	s_barrier_signal -1
	s_barrier_wait -1
	s_wait_xcnt 0x0
	v_cmpx_gt_u32_e32 3, v0
	s_cbranch_execz .LBB21_240
; %bb.231:
	v_cmp_ne_u32_e32 vcc_lo, 1, v50
	s_cbranch_vccnz .LBB21_233
; %bb.232:
	scratch_load_b64 v[48:49], v43, off
	ds_load_b64 v[52:53], v1
	s_wait_loadcnt_dscnt 0x0
	v_pk_mul_f32 v[54:55], v[52:53], v[48:49] op_sel:[1,1] op_sel_hi:[0,1]
	s_delay_alu instid0(VALU_DEP_1) | instskip(SKIP_1) | instid1(VALU_DEP_2)
	v_pk_fma_f32 v[56:57], v[52:53], v[48:49], v[54:55] op_sel_hi:[1,0,1]
	v_pk_fma_f32 v[48:49], v[52:53], v[48:49], v[54:55] neg_lo:[0,0,1] neg_hi:[0,0,1]
	v_mov_b32_e32 v49, v57
	s_cbranch_execz .LBB21_234
	s_branch .LBB21_235
.LBB21_233:
                                        ; implicit-def: $vgpr48_vgpr49
.LBB21_234:
	ds_load_b64 v[48:49], v1
.LBB21_235:
	s_mov_b32 s3, exec_lo
	v_cmpx_ne_u32_e32 2, v0
	s_cbranch_execz .LBB21_239
; %bb.236:
	scratch_load_b64 v[52:53], v43, off offset:8
	ds_load_b64 v[54:55], v1 offset:8
	s_wait_loadcnt_dscnt 0x0
	v_pk_mul_f32 v[56:57], v[54:55], v[52:53] op_sel:[1,1] op_sel_hi:[0,1]
	s_delay_alu instid0(VALU_DEP_1) | instskip(SKIP_1) | instid1(VALU_DEP_2)
	v_pk_fma_f32 v[58:59], v[54:55], v[52:53], v[56:57] op_sel_hi:[1,0,1]
	v_pk_fma_f32 v[52:53], v[54:55], v[52:53], v[56:57] neg_lo:[0,0,1] neg_hi:[0,0,1]
	v_mov_b32_e32 v53, v59
	s_delay_alu instid0(VALU_DEP_1)
	v_pk_add_f32 v[48:49], v[48:49], v[52:53]
	s_and_saveexec_b32 s4, s0
	s_cbranch_execz .LBB21_238
; %bb.237:
	scratch_load_b64 v[52:53], off, off offset:16
	v_mov_b32_e32 v51, 0
	ds_load_b64 v[54:55], v51 offset:192
	s_wait_loadcnt_dscnt 0x0
	v_pk_mul_f32 v[56:57], v[54:55], v[52:53] op_sel:[1,1] op_sel_hi:[0,1]
	s_delay_alu instid0(VALU_DEP_1) | instskip(SKIP_1) | instid1(VALU_DEP_2)
	v_pk_fma_f32 v[58:59], v[54:55], v[52:53], v[56:57] op_sel_hi:[1,0,1]
	v_pk_fma_f32 v[52:53], v[54:55], v[52:53], v[56:57] neg_lo:[0,0,1] neg_hi:[0,0,1]
	v_mov_b32_e32 v53, v59
	s_delay_alu instid0(VALU_DEP_1)
	v_pk_add_f32 v[48:49], v[48:49], v[52:53]
.LBB21_238:
	s_or_b32 exec_lo, exec_lo, s4
.LBB21_239:
	s_delay_alu instid0(SALU_CYCLE_1) | instskip(SKIP_4) | instid1(VALU_DEP_1)
	s_or_b32 exec_lo, exec_lo, s3
	v_mov_b32_e32 v51, 0
	ds_load_b64 v[52:53], v51 offset:24
	s_wait_dscnt 0x0
	v_pk_mul_f32 v[54:55], v[48:49], v[52:53] op_sel:[1,1] op_sel_hi:[0,1]
	v_pk_fma_f32 v[56:57], v[48:49], v[52:53], v[54:55] op_sel_hi:[1,0,1]
	v_pk_fma_f32 v[48:49], v[48:49], v[52:53], v[54:55] neg_lo:[0,0,1] neg_hi:[0,0,1]
	s_delay_alu instid0(VALU_DEP_2)
	v_mov_b32_e32 v49, v57
	scratch_store_b64 off, v[48:49], off offset:24
.LBB21_240:
	s_wait_xcnt 0x0
	s_or_b32 exec_lo, exec_lo, s2
	scratch_load_b64 v[48:49], off, off offset:32
	s_mov_b32 s0, exec_lo
	s_wait_loadcnt 0x0
	ds_store_b64 v1, v[48:49]
	s_wait_storecnt_dscnt 0x0
	s_barrier_signal -1
	s_barrier_wait -1
	s_wait_xcnt 0x0
	v_cmpx_gt_u32_e32 4, v0
	s_cbranch_execz .LBB21_250
; %bb.241:
	v_cmp_ne_u32_e32 vcc_lo, 1, v50
	s_cbranch_vccnz .LBB21_243
; %bb.242:
	scratch_load_b64 v[48:49], v43, off
	ds_load_b64 v[52:53], v1
	s_wait_loadcnt_dscnt 0x0
	v_pk_mul_f32 v[54:55], v[52:53], v[48:49] op_sel:[1,1] op_sel_hi:[0,1]
	s_delay_alu instid0(VALU_DEP_1) | instskip(SKIP_1) | instid1(VALU_DEP_2)
	v_pk_fma_f32 v[56:57], v[52:53], v[48:49], v[54:55] op_sel_hi:[1,0,1]
	v_pk_fma_f32 v[48:49], v[52:53], v[48:49], v[54:55] neg_lo:[0,0,1] neg_hi:[0,0,1]
	v_mov_b32_e32 v49, v57
	s_cbranch_execz .LBB21_244
	s_branch .LBB21_245
.LBB21_243:
                                        ; implicit-def: $vgpr48_vgpr49
.LBB21_244:
	ds_load_b64 v[48:49], v1
.LBB21_245:
	s_mov_b32 s2, exec_lo
	v_cmpx_ne_u32_e32 3, v0
	s_cbranch_execz .LBB21_249
; %bb.246:
	v_add_nc_u32_e32 v51, 0xb8, v42
	v_add3_u32 v52, 0, v42, 8
	v_mov_b32_e32 v53, v0
	s_mov_b32 s3, 0
.LBB21_247:                             ; =>This Inner Loop Header: Depth=1
	scratch_load_b64 v[54:55], v52, off
	ds_load_b64 v[56:57], v51
	s_wait_xcnt 0x0
	v_dual_add_nc_u32 v51, 8, v51 :: v_dual_add_nc_u32 v52, 8, v52
	s_wait_loadcnt_dscnt 0x0
	v_pk_mul_f32 v[58:59], v[56:57], v[54:55] op_sel:[1,1] op_sel_hi:[0,1]
	s_delay_alu instid0(VALU_DEP_1) | instskip(SKIP_2) | instid1(VALU_DEP_3)
	v_pk_fma_f32 v[60:61], v[56:57], v[54:55], v[58:59] op_sel_hi:[1,0,1]
	v_add_nc_u32_e32 v53, 1, v53
	v_pk_fma_f32 v[54:55], v[56:57], v[54:55], v[58:59] neg_lo:[0,0,1] neg_hi:[0,0,1]
	v_mov_b32_e32 v55, v61
	s_delay_alu instid0(VALU_DEP_3) | instskip(NEXT) | instid1(VALU_DEP_2)
	v_cmp_lt_u32_e32 vcc_lo, 2, v53
	v_pk_add_f32 v[48:49], v[48:49], v[54:55]
	s_or_b32 s3, vcc_lo, s3
	s_delay_alu instid0(SALU_CYCLE_1)
	s_and_not1_b32 exec_lo, exec_lo, s3
	s_cbranch_execnz .LBB21_247
; %bb.248:
	s_or_b32 exec_lo, exec_lo, s3
.LBB21_249:
	s_delay_alu instid0(SALU_CYCLE_1) | instskip(SKIP_4) | instid1(VALU_DEP_1)
	s_or_b32 exec_lo, exec_lo, s2
	v_mov_b32_e32 v51, 0
	ds_load_b64 v[52:53], v51 offset:32
	s_wait_dscnt 0x0
	v_pk_mul_f32 v[54:55], v[48:49], v[52:53] op_sel:[1,1] op_sel_hi:[0,1]
	v_pk_fma_f32 v[56:57], v[48:49], v[52:53], v[54:55] op_sel_hi:[1,0,1]
	v_pk_fma_f32 v[48:49], v[48:49], v[52:53], v[54:55] neg_lo:[0,0,1] neg_hi:[0,0,1]
	s_delay_alu instid0(VALU_DEP_2)
	v_mov_b32_e32 v49, v57
	scratch_store_b64 off, v[48:49], off offset:32
.LBB21_250:
	s_wait_xcnt 0x0
	s_or_b32 exec_lo, exec_lo, s0
	scratch_load_b64 v[48:49], off, off offset:40
	s_mov_b32 s0, exec_lo
	s_wait_loadcnt 0x0
	ds_store_b64 v1, v[48:49]
	s_wait_storecnt_dscnt 0x0
	s_barrier_signal -1
	s_barrier_wait -1
	s_wait_xcnt 0x0
	v_cmpx_gt_u32_e32 5, v0
	s_cbranch_execz .LBB21_260
; %bb.251:
	v_cmp_ne_u32_e32 vcc_lo, 1, v50
	s_cbranch_vccnz .LBB21_253
; %bb.252:
	scratch_load_b64 v[48:49], v43, off
	ds_load_b64 v[52:53], v1
	s_wait_loadcnt_dscnt 0x0
	v_pk_mul_f32 v[54:55], v[52:53], v[48:49] op_sel:[1,1] op_sel_hi:[0,1]
	s_delay_alu instid0(VALU_DEP_1) | instskip(SKIP_1) | instid1(VALU_DEP_2)
	v_pk_fma_f32 v[56:57], v[52:53], v[48:49], v[54:55] op_sel_hi:[1,0,1]
	v_pk_fma_f32 v[48:49], v[52:53], v[48:49], v[54:55] neg_lo:[0,0,1] neg_hi:[0,0,1]
	v_mov_b32_e32 v49, v57
	s_cbranch_execz .LBB21_254
	s_branch .LBB21_255
.LBB21_253:
                                        ; implicit-def: $vgpr48_vgpr49
.LBB21_254:
	ds_load_b64 v[48:49], v1
.LBB21_255:
	s_mov_b32 s2, exec_lo
	v_cmpx_ne_u32_e32 4, v0
	s_cbranch_execz .LBB21_259
; %bb.256:
	v_add_nc_u32_e32 v51, 0xb8, v42
	v_add3_u32 v52, 0, v42, 8
	v_mov_b32_e32 v53, v0
	s_mov_b32 s3, 0
.LBB21_257:                             ; =>This Inner Loop Header: Depth=1
	scratch_load_b64 v[54:55], v52, off
	ds_load_b64 v[56:57], v51
	s_wait_xcnt 0x0
	v_dual_add_nc_u32 v51, 8, v51 :: v_dual_add_nc_u32 v52, 8, v52
	s_wait_loadcnt_dscnt 0x0
	v_pk_mul_f32 v[58:59], v[56:57], v[54:55] op_sel:[1,1] op_sel_hi:[0,1]
	s_delay_alu instid0(VALU_DEP_1) | instskip(SKIP_2) | instid1(VALU_DEP_3)
	v_pk_fma_f32 v[60:61], v[56:57], v[54:55], v[58:59] op_sel_hi:[1,0,1]
	v_add_nc_u32_e32 v53, 1, v53
	v_pk_fma_f32 v[54:55], v[56:57], v[54:55], v[58:59] neg_lo:[0,0,1] neg_hi:[0,0,1]
	v_mov_b32_e32 v55, v61
	s_delay_alu instid0(VALU_DEP_3) | instskip(NEXT) | instid1(VALU_DEP_2)
	v_cmp_lt_u32_e32 vcc_lo, 3, v53
	v_pk_add_f32 v[48:49], v[48:49], v[54:55]
	s_or_b32 s3, vcc_lo, s3
	s_delay_alu instid0(SALU_CYCLE_1)
	s_and_not1_b32 exec_lo, exec_lo, s3
	s_cbranch_execnz .LBB21_257
; %bb.258:
	s_or_b32 exec_lo, exec_lo, s3
.LBB21_259:
	s_delay_alu instid0(SALU_CYCLE_1) | instskip(SKIP_4) | instid1(VALU_DEP_1)
	s_or_b32 exec_lo, exec_lo, s2
	v_mov_b32_e32 v51, 0
	ds_load_b64 v[52:53], v51 offset:40
	s_wait_dscnt 0x0
	v_pk_mul_f32 v[54:55], v[48:49], v[52:53] op_sel:[1,1] op_sel_hi:[0,1]
	v_pk_fma_f32 v[56:57], v[48:49], v[52:53], v[54:55] op_sel_hi:[1,0,1]
	v_pk_fma_f32 v[48:49], v[48:49], v[52:53], v[54:55] neg_lo:[0,0,1] neg_hi:[0,0,1]
	s_delay_alu instid0(VALU_DEP_2)
	v_mov_b32_e32 v49, v57
	scratch_store_b64 off, v[48:49], off offset:40
.LBB21_260:
	s_wait_xcnt 0x0
	s_or_b32 exec_lo, exec_lo, s0
	scratch_load_b64 v[48:49], off, off offset:48
	s_mov_b32 s0, exec_lo
	s_wait_loadcnt 0x0
	ds_store_b64 v1, v[48:49]
	s_wait_storecnt_dscnt 0x0
	s_barrier_signal -1
	s_barrier_wait -1
	s_wait_xcnt 0x0
	v_cmpx_gt_u32_e32 6, v0
	s_cbranch_execz .LBB21_270
; %bb.261:
	v_cmp_ne_u32_e32 vcc_lo, 1, v50
	s_cbranch_vccnz .LBB21_263
; %bb.262:
	scratch_load_b64 v[48:49], v43, off
	ds_load_b64 v[52:53], v1
	s_wait_loadcnt_dscnt 0x0
	v_pk_mul_f32 v[54:55], v[52:53], v[48:49] op_sel:[1,1] op_sel_hi:[0,1]
	s_delay_alu instid0(VALU_DEP_1) | instskip(SKIP_1) | instid1(VALU_DEP_2)
	v_pk_fma_f32 v[56:57], v[52:53], v[48:49], v[54:55] op_sel_hi:[1,0,1]
	v_pk_fma_f32 v[48:49], v[52:53], v[48:49], v[54:55] neg_lo:[0,0,1] neg_hi:[0,0,1]
	v_mov_b32_e32 v49, v57
	s_cbranch_execz .LBB21_264
	s_branch .LBB21_265
.LBB21_263:
                                        ; implicit-def: $vgpr48_vgpr49
.LBB21_264:
	ds_load_b64 v[48:49], v1
.LBB21_265:
	s_mov_b32 s2, exec_lo
	v_cmpx_ne_u32_e32 5, v0
	s_cbranch_execz .LBB21_269
; %bb.266:
	v_add_nc_u32_e32 v51, 0xb8, v42
	v_add3_u32 v52, 0, v42, 8
	v_mov_b32_e32 v53, v0
	s_mov_b32 s3, 0
.LBB21_267:                             ; =>This Inner Loop Header: Depth=1
	scratch_load_b64 v[54:55], v52, off
	ds_load_b64 v[56:57], v51
	s_wait_xcnt 0x0
	v_dual_add_nc_u32 v51, 8, v51 :: v_dual_add_nc_u32 v52, 8, v52
	s_wait_loadcnt_dscnt 0x0
	v_pk_mul_f32 v[58:59], v[56:57], v[54:55] op_sel:[1,1] op_sel_hi:[0,1]
	s_delay_alu instid0(VALU_DEP_1) | instskip(SKIP_2) | instid1(VALU_DEP_3)
	v_pk_fma_f32 v[60:61], v[56:57], v[54:55], v[58:59] op_sel_hi:[1,0,1]
	v_add_nc_u32_e32 v53, 1, v53
	v_pk_fma_f32 v[54:55], v[56:57], v[54:55], v[58:59] neg_lo:[0,0,1] neg_hi:[0,0,1]
	v_mov_b32_e32 v55, v61
	s_delay_alu instid0(VALU_DEP_3) | instskip(NEXT) | instid1(VALU_DEP_2)
	v_cmp_lt_u32_e32 vcc_lo, 4, v53
	v_pk_add_f32 v[48:49], v[48:49], v[54:55]
	s_or_b32 s3, vcc_lo, s3
	s_delay_alu instid0(SALU_CYCLE_1)
	s_and_not1_b32 exec_lo, exec_lo, s3
	s_cbranch_execnz .LBB21_267
; %bb.268:
	s_or_b32 exec_lo, exec_lo, s3
.LBB21_269:
	s_delay_alu instid0(SALU_CYCLE_1) | instskip(SKIP_4) | instid1(VALU_DEP_1)
	s_or_b32 exec_lo, exec_lo, s2
	v_mov_b32_e32 v51, 0
	ds_load_b64 v[52:53], v51 offset:48
	s_wait_dscnt 0x0
	v_pk_mul_f32 v[54:55], v[48:49], v[52:53] op_sel:[1,1] op_sel_hi:[0,1]
	v_pk_fma_f32 v[56:57], v[48:49], v[52:53], v[54:55] op_sel_hi:[1,0,1]
	v_pk_fma_f32 v[48:49], v[48:49], v[52:53], v[54:55] neg_lo:[0,0,1] neg_hi:[0,0,1]
	s_delay_alu instid0(VALU_DEP_2)
	v_mov_b32_e32 v49, v57
	scratch_store_b64 off, v[48:49], off offset:48
.LBB21_270:
	s_wait_xcnt 0x0
	s_or_b32 exec_lo, exec_lo, s0
	scratch_load_b64 v[48:49], off, off offset:56
	s_mov_b32 s0, exec_lo
	s_wait_loadcnt 0x0
	ds_store_b64 v1, v[48:49]
	s_wait_storecnt_dscnt 0x0
	s_barrier_signal -1
	s_barrier_wait -1
	s_wait_xcnt 0x0
	v_cmpx_gt_u32_e32 7, v0
	s_cbranch_execz .LBB21_280
; %bb.271:
	v_cmp_ne_u32_e32 vcc_lo, 1, v50
	s_cbranch_vccnz .LBB21_273
; %bb.272:
	scratch_load_b64 v[48:49], v43, off
	ds_load_b64 v[52:53], v1
	s_wait_loadcnt_dscnt 0x0
	v_pk_mul_f32 v[54:55], v[52:53], v[48:49] op_sel:[1,1] op_sel_hi:[0,1]
	s_delay_alu instid0(VALU_DEP_1) | instskip(SKIP_1) | instid1(VALU_DEP_2)
	v_pk_fma_f32 v[56:57], v[52:53], v[48:49], v[54:55] op_sel_hi:[1,0,1]
	v_pk_fma_f32 v[48:49], v[52:53], v[48:49], v[54:55] neg_lo:[0,0,1] neg_hi:[0,0,1]
	v_mov_b32_e32 v49, v57
	s_cbranch_execz .LBB21_274
	s_branch .LBB21_275
.LBB21_273:
                                        ; implicit-def: $vgpr48_vgpr49
.LBB21_274:
	ds_load_b64 v[48:49], v1
.LBB21_275:
	s_mov_b32 s2, exec_lo
	v_cmpx_ne_u32_e32 6, v0
	s_cbranch_execz .LBB21_279
; %bb.276:
	v_add_nc_u32_e32 v51, 0xb8, v42
	v_add3_u32 v52, 0, v42, 8
	v_mov_b32_e32 v53, v0
	s_mov_b32 s3, 0
.LBB21_277:                             ; =>This Inner Loop Header: Depth=1
	scratch_load_b64 v[54:55], v52, off
	ds_load_b64 v[56:57], v51
	s_wait_xcnt 0x0
	v_dual_add_nc_u32 v51, 8, v51 :: v_dual_add_nc_u32 v52, 8, v52
	s_wait_loadcnt_dscnt 0x0
	v_pk_mul_f32 v[58:59], v[56:57], v[54:55] op_sel:[1,1] op_sel_hi:[0,1]
	s_delay_alu instid0(VALU_DEP_1) | instskip(SKIP_2) | instid1(VALU_DEP_3)
	v_pk_fma_f32 v[60:61], v[56:57], v[54:55], v[58:59] op_sel_hi:[1,0,1]
	v_add_nc_u32_e32 v53, 1, v53
	v_pk_fma_f32 v[54:55], v[56:57], v[54:55], v[58:59] neg_lo:[0,0,1] neg_hi:[0,0,1]
	v_mov_b32_e32 v55, v61
	s_delay_alu instid0(VALU_DEP_3) | instskip(NEXT) | instid1(VALU_DEP_2)
	v_cmp_lt_u32_e32 vcc_lo, 5, v53
	v_pk_add_f32 v[48:49], v[48:49], v[54:55]
	s_or_b32 s3, vcc_lo, s3
	s_delay_alu instid0(SALU_CYCLE_1)
	s_and_not1_b32 exec_lo, exec_lo, s3
	s_cbranch_execnz .LBB21_277
; %bb.278:
	s_or_b32 exec_lo, exec_lo, s3
.LBB21_279:
	s_delay_alu instid0(SALU_CYCLE_1) | instskip(SKIP_4) | instid1(VALU_DEP_1)
	s_or_b32 exec_lo, exec_lo, s2
	v_mov_b32_e32 v51, 0
	ds_load_b64 v[52:53], v51 offset:56
	s_wait_dscnt 0x0
	v_pk_mul_f32 v[54:55], v[48:49], v[52:53] op_sel:[1,1] op_sel_hi:[0,1]
	v_pk_fma_f32 v[56:57], v[48:49], v[52:53], v[54:55] op_sel_hi:[1,0,1]
	v_pk_fma_f32 v[48:49], v[48:49], v[52:53], v[54:55] neg_lo:[0,0,1] neg_hi:[0,0,1]
	s_delay_alu instid0(VALU_DEP_2)
	v_mov_b32_e32 v49, v57
	scratch_store_b64 off, v[48:49], off offset:56
.LBB21_280:
	s_wait_xcnt 0x0
	s_or_b32 exec_lo, exec_lo, s0
	scratch_load_b64 v[48:49], off, off offset:64
	s_mov_b32 s0, exec_lo
	s_wait_loadcnt 0x0
	ds_store_b64 v1, v[48:49]
	s_wait_storecnt_dscnt 0x0
	s_barrier_signal -1
	s_barrier_wait -1
	s_wait_xcnt 0x0
	v_cmpx_gt_u32_e32 8, v0
	s_cbranch_execz .LBB21_290
; %bb.281:
	v_cmp_ne_u32_e32 vcc_lo, 1, v50
	s_cbranch_vccnz .LBB21_283
; %bb.282:
	scratch_load_b64 v[48:49], v43, off
	ds_load_b64 v[52:53], v1
	s_wait_loadcnt_dscnt 0x0
	v_pk_mul_f32 v[54:55], v[52:53], v[48:49] op_sel:[1,1] op_sel_hi:[0,1]
	s_delay_alu instid0(VALU_DEP_1) | instskip(SKIP_1) | instid1(VALU_DEP_2)
	v_pk_fma_f32 v[56:57], v[52:53], v[48:49], v[54:55] op_sel_hi:[1,0,1]
	v_pk_fma_f32 v[48:49], v[52:53], v[48:49], v[54:55] neg_lo:[0,0,1] neg_hi:[0,0,1]
	v_mov_b32_e32 v49, v57
	s_cbranch_execz .LBB21_284
	s_branch .LBB21_285
.LBB21_283:
                                        ; implicit-def: $vgpr48_vgpr49
.LBB21_284:
	ds_load_b64 v[48:49], v1
.LBB21_285:
	s_mov_b32 s2, exec_lo
	v_cmpx_ne_u32_e32 7, v0
	s_cbranch_execz .LBB21_289
; %bb.286:
	v_add_nc_u32_e32 v51, 0xb8, v42
	v_add3_u32 v52, 0, v42, 8
	v_mov_b32_e32 v53, v0
	s_mov_b32 s3, 0
.LBB21_287:                             ; =>This Inner Loop Header: Depth=1
	scratch_load_b64 v[54:55], v52, off
	ds_load_b64 v[56:57], v51
	s_wait_xcnt 0x0
	v_dual_add_nc_u32 v51, 8, v51 :: v_dual_add_nc_u32 v52, 8, v52
	s_wait_loadcnt_dscnt 0x0
	v_pk_mul_f32 v[58:59], v[56:57], v[54:55] op_sel:[1,1] op_sel_hi:[0,1]
	s_delay_alu instid0(VALU_DEP_1) | instskip(SKIP_2) | instid1(VALU_DEP_3)
	v_pk_fma_f32 v[60:61], v[56:57], v[54:55], v[58:59] op_sel_hi:[1,0,1]
	v_add_nc_u32_e32 v53, 1, v53
	v_pk_fma_f32 v[54:55], v[56:57], v[54:55], v[58:59] neg_lo:[0,0,1] neg_hi:[0,0,1]
	v_mov_b32_e32 v55, v61
	s_delay_alu instid0(VALU_DEP_3) | instskip(NEXT) | instid1(VALU_DEP_2)
	v_cmp_lt_u32_e32 vcc_lo, 6, v53
	v_pk_add_f32 v[48:49], v[48:49], v[54:55]
	s_or_b32 s3, vcc_lo, s3
	s_delay_alu instid0(SALU_CYCLE_1)
	s_and_not1_b32 exec_lo, exec_lo, s3
	s_cbranch_execnz .LBB21_287
; %bb.288:
	s_or_b32 exec_lo, exec_lo, s3
.LBB21_289:
	s_delay_alu instid0(SALU_CYCLE_1) | instskip(SKIP_4) | instid1(VALU_DEP_1)
	s_or_b32 exec_lo, exec_lo, s2
	v_mov_b32_e32 v51, 0
	ds_load_b64 v[52:53], v51 offset:64
	s_wait_dscnt 0x0
	v_pk_mul_f32 v[54:55], v[48:49], v[52:53] op_sel:[1,1] op_sel_hi:[0,1]
	v_pk_fma_f32 v[56:57], v[48:49], v[52:53], v[54:55] op_sel_hi:[1,0,1]
	v_pk_fma_f32 v[48:49], v[48:49], v[52:53], v[54:55] neg_lo:[0,0,1] neg_hi:[0,0,1]
	s_delay_alu instid0(VALU_DEP_2)
	v_mov_b32_e32 v49, v57
	scratch_store_b64 off, v[48:49], off offset:64
.LBB21_290:
	s_wait_xcnt 0x0
	s_or_b32 exec_lo, exec_lo, s0
	scratch_load_b64 v[48:49], off, off offset:72
	s_mov_b32 s0, exec_lo
	s_wait_loadcnt 0x0
	ds_store_b64 v1, v[48:49]
	s_wait_storecnt_dscnt 0x0
	s_barrier_signal -1
	s_barrier_wait -1
	s_wait_xcnt 0x0
	v_cmpx_gt_u32_e32 9, v0
	s_cbranch_execz .LBB21_300
; %bb.291:
	v_cmp_ne_u32_e32 vcc_lo, 1, v50
	s_cbranch_vccnz .LBB21_293
; %bb.292:
	scratch_load_b64 v[48:49], v43, off
	ds_load_b64 v[52:53], v1
	s_wait_loadcnt_dscnt 0x0
	v_pk_mul_f32 v[54:55], v[52:53], v[48:49] op_sel:[1,1] op_sel_hi:[0,1]
	s_delay_alu instid0(VALU_DEP_1) | instskip(SKIP_1) | instid1(VALU_DEP_2)
	v_pk_fma_f32 v[56:57], v[52:53], v[48:49], v[54:55] op_sel_hi:[1,0,1]
	v_pk_fma_f32 v[48:49], v[52:53], v[48:49], v[54:55] neg_lo:[0,0,1] neg_hi:[0,0,1]
	v_mov_b32_e32 v49, v57
	s_cbranch_execz .LBB21_294
	s_branch .LBB21_295
.LBB21_293:
                                        ; implicit-def: $vgpr48_vgpr49
.LBB21_294:
	ds_load_b64 v[48:49], v1
.LBB21_295:
	s_mov_b32 s2, exec_lo
	v_cmpx_ne_u32_e32 8, v0
	s_cbranch_execz .LBB21_299
; %bb.296:
	v_add_nc_u32_e32 v51, 0xb8, v42
	v_add3_u32 v52, 0, v42, 8
	v_mov_b32_e32 v53, v0
	s_mov_b32 s3, 0
.LBB21_297:                             ; =>This Inner Loop Header: Depth=1
	scratch_load_b64 v[54:55], v52, off
	ds_load_b64 v[56:57], v51
	s_wait_xcnt 0x0
	v_dual_add_nc_u32 v51, 8, v51 :: v_dual_add_nc_u32 v52, 8, v52
	s_wait_loadcnt_dscnt 0x0
	v_pk_mul_f32 v[58:59], v[56:57], v[54:55] op_sel:[1,1] op_sel_hi:[0,1]
	s_delay_alu instid0(VALU_DEP_1) | instskip(SKIP_2) | instid1(VALU_DEP_3)
	v_pk_fma_f32 v[60:61], v[56:57], v[54:55], v[58:59] op_sel_hi:[1,0,1]
	v_add_nc_u32_e32 v53, 1, v53
	v_pk_fma_f32 v[54:55], v[56:57], v[54:55], v[58:59] neg_lo:[0,0,1] neg_hi:[0,0,1]
	v_mov_b32_e32 v55, v61
	s_delay_alu instid0(VALU_DEP_3) | instskip(NEXT) | instid1(VALU_DEP_2)
	v_cmp_lt_u32_e32 vcc_lo, 7, v53
	v_pk_add_f32 v[48:49], v[48:49], v[54:55]
	s_or_b32 s3, vcc_lo, s3
	s_delay_alu instid0(SALU_CYCLE_1)
	s_and_not1_b32 exec_lo, exec_lo, s3
	s_cbranch_execnz .LBB21_297
; %bb.298:
	s_or_b32 exec_lo, exec_lo, s3
.LBB21_299:
	s_delay_alu instid0(SALU_CYCLE_1) | instskip(SKIP_4) | instid1(VALU_DEP_1)
	s_or_b32 exec_lo, exec_lo, s2
	v_mov_b32_e32 v51, 0
	ds_load_b64 v[52:53], v51 offset:72
	s_wait_dscnt 0x0
	v_pk_mul_f32 v[54:55], v[48:49], v[52:53] op_sel:[1,1] op_sel_hi:[0,1]
	v_pk_fma_f32 v[56:57], v[48:49], v[52:53], v[54:55] op_sel_hi:[1,0,1]
	v_pk_fma_f32 v[48:49], v[48:49], v[52:53], v[54:55] neg_lo:[0,0,1] neg_hi:[0,0,1]
	s_delay_alu instid0(VALU_DEP_2)
	v_mov_b32_e32 v49, v57
	scratch_store_b64 off, v[48:49], off offset:72
.LBB21_300:
	s_wait_xcnt 0x0
	s_or_b32 exec_lo, exec_lo, s0
	scratch_load_b64 v[48:49], off, off offset:80
	s_mov_b32 s0, exec_lo
	s_wait_loadcnt 0x0
	ds_store_b64 v1, v[48:49]
	s_wait_storecnt_dscnt 0x0
	s_barrier_signal -1
	s_barrier_wait -1
	s_wait_xcnt 0x0
	v_cmpx_gt_u32_e32 10, v0
	s_cbranch_execz .LBB21_310
; %bb.301:
	v_cmp_ne_u32_e32 vcc_lo, 1, v50
	s_cbranch_vccnz .LBB21_303
; %bb.302:
	scratch_load_b64 v[48:49], v43, off
	ds_load_b64 v[52:53], v1
	s_wait_loadcnt_dscnt 0x0
	v_pk_mul_f32 v[54:55], v[52:53], v[48:49] op_sel:[1,1] op_sel_hi:[0,1]
	s_delay_alu instid0(VALU_DEP_1) | instskip(SKIP_1) | instid1(VALU_DEP_2)
	v_pk_fma_f32 v[56:57], v[52:53], v[48:49], v[54:55] op_sel_hi:[1,0,1]
	v_pk_fma_f32 v[48:49], v[52:53], v[48:49], v[54:55] neg_lo:[0,0,1] neg_hi:[0,0,1]
	v_mov_b32_e32 v49, v57
	s_cbranch_execz .LBB21_304
	s_branch .LBB21_305
.LBB21_303:
                                        ; implicit-def: $vgpr48_vgpr49
.LBB21_304:
	ds_load_b64 v[48:49], v1
.LBB21_305:
	s_mov_b32 s2, exec_lo
	v_cmpx_ne_u32_e32 9, v0
	s_cbranch_execz .LBB21_309
; %bb.306:
	v_add_nc_u32_e32 v51, 0xb8, v42
	v_add3_u32 v52, 0, v42, 8
	v_mov_b32_e32 v53, v0
	s_mov_b32 s3, 0
.LBB21_307:                             ; =>This Inner Loop Header: Depth=1
	scratch_load_b64 v[54:55], v52, off
	ds_load_b64 v[56:57], v51
	s_wait_xcnt 0x0
	v_dual_add_nc_u32 v51, 8, v51 :: v_dual_add_nc_u32 v52, 8, v52
	s_wait_loadcnt_dscnt 0x0
	v_pk_mul_f32 v[58:59], v[56:57], v[54:55] op_sel:[1,1] op_sel_hi:[0,1]
	s_delay_alu instid0(VALU_DEP_1) | instskip(SKIP_2) | instid1(VALU_DEP_3)
	v_pk_fma_f32 v[60:61], v[56:57], v[54:55], v[58:59] op_sel_hi:[1,0,1]
	v_add_nc_u32_e32 v53, 1, v53
	v_pk_fma_f32 v[54:55], v[56:57], v[54:55], v[58:59] neg_lo:[0,0,1] neg_hi:[0,0,1]
	v_mov_b32_e32 v55, v61
	s_delay_alu instid0(VALU_DEP_3) | instskip(NEXT) | instid1(VALU_DEP_2)
	v_cmp_lt_u32_e32 vcc_lo, 8, v53
	v_pk_add_f32 v[48:49], v[48:49], v[54:55]
	s_or_b32 s3, vcc_lo, s3
	s_delay_alu instid0(SALU_CYCLE_1)
	s_and_not1_b32 exec_lo, exec_lo, s3
	s_cbranch_execnz .LBB21_307
; %bb.308:
	s_or_b32 exec_lo, exec_lo, s3
.LBB21_309:
	s_delay_alu instid0(SALU_CYCLE_1) | instskip(SKIP_4) | instid1(VALU_DEP_1)
	s_or_b32 exec_lo, exec_lo, s2
	v_mov_b32_e32 v51, 0
	ds_load_b64 v[52:53], v51 offset:80
	s_wait_dscnt 0x0
	v_pk_mul_f32 v[54:55], v[48:49], v[52:53] op_sel:[1,1] op_sel_hi:[0,1]
	v_pk_fma_f32 v[56:57], v[48:49], v[52:53], v[54:55] op_sel_hi:[1,0,1]
	v_pk_fma_f32 v[48:49], v[48:49], v[52:53], v[54:55] neg_lo:[0,0,1] neg_hi:[0,0,1]
	s_delay_alu instid0(VALU_DEP_2)
	v_mov_b32_e32 v49, v57
	scratch_store_b64 off, v[48:49], off offset:80
.LBB21_310:
	s_wait_xcnt 0x0
	s_or_b32 exec_lo, exec_lo, s0
	scratch_load_b64 v[48:49], off, off offset:88
	s_mov_b32 s0, exec_lo
	s_wait_loadcnt 0x0
	ds_store_b64 v1, v[48:49]
	s_wait_storecnt_dscnt 0x0
	s_barrier_signal -1
	s_barrier_wait -1
	s_wait_xcnt 0x0
	v_cmpx_gt_u32_e32 11, v0
	s_cbranch_execz .LBB21_320
; %bb.311:
	v_cmp_ne_u32_e32 vcc_lo, 1, v50
	s_cbranch_vccnz .LBB21_313
; %bb.312:
	scratch_load_b64 v[48:49], v43, off
	ds_load_b64 v[52:53], v1
	s_wait_loadcnt_dscnt 0x0
	v_pk_mul_f32 v[54:55], v[52:53], v[48:49] op_sel:[1,1] op_sel_hi:[0,1]
	s_delay_alu instid0(VALU_DEP_1) | instskip(SKIP_1) | instid1(VALU_DEP_2)
	v_pk_fma_f32 v[56:57], v[52:53], v[48:49], v[54:55] op_sel_hi:[1,0,1]
	v_pk_fma_f32 v[48:49], v[52:53], v[48:49], v[54:55] neg_lo:[0,0,1] neg_hi:[0,0,1]
	v_mov_b32_e32 v49, v57
	s_cbranch_execz .LBB21_314
	s_branch .LBB21_315
.LBB21_313:
                                        ; implicit-def: $vgpr48_vgpr49
.LBB21_314:
	ds_load_b64 v[48:49], v1
.LBB21_315:
	s_mov_b32 s2, exec_lo
	v_cmpx_ne_u32_e32 10, v0
	s_cbranch_execz .LBB21_319
; %bb.316:
	v_add_nc_u32_e32 v51, 0xb8, v42
	v_add3_u32 v52, 0, v42, 8
	v_mov_b32_e32 v53, v0
	s_mov_b32 s3, 0
.LBB21_317:                             ; =>This Inner Loop Header: Depth=1
	scratch_load_b64 v[54:55], v52, off
	ds_load_b64 v[56:57], v51
	s_wait_xcnt 0x0
	v_dual_add_nc_u32 v51, 8, v51 :: v_dual_add_nc_u32 v52, 8, v52
	s_wait_loadcnt_dscnt 0x0
	v_pk_mul_f32 v[58:59], v[56:57], v[54:55] op_sel:[1,1] op_sel_hi:[0,1]
	s_delay_alu instid0(VALU_DEP_1) | instskip(SKIP_2) | instid1(VALU_DEP_3)
	v_pk_fma_f32 v[60:61], v[56:57], v[54:55], v[58:59] op_sel_hi:[1,0,1]
	v_add_nc_u32_e32 v53, 1, v53
	v_pk_fma_f32 v[54:55], v[56:57], v[54:55], v[58:59] neg_lo:[0,0,1] neg_hi:[0,0,1]
	v_mov_b32_e32 v55, v61
	s_delay_alu instid0(VALU_DEP_3) | instskip(NEXT) | instid1(VALU_DEP_2)
	v_cmp_lt_u32_e32 vcc_lo, 9, v53
	v_pk_add_f32 v[48:49], v[48:49], v[54:55]
	s_or_b32 s3, vcc_lo, s3
	s_delay_alu instid0(SALU_CYCLE_1)
	s_and_not1_b32 exec_lo, exec_lo, s3
	s_cbranch_execnz .LBB21_317
; %bb.318:
	s_or_b32 exec_lo, exec_lo, s3
.LBB21_319:
	s_delay_alu instid0(SALU_CYCLE_1) | instskip(SKIP_4) | instid1(VALU_DEP_1)
	s_or_b32 exec_lo, exec_lo, s2
	v_mov_b32_e32 v51, 0
	ds_load_b64 v[52:53], v51 offset:88
	s_wait_dscnt 0x0
	v_pk_mul_f32 v[54:55], v[48:49], v[52:53] op_sel:[1,1] op_sel_hi:[0,1]
	v_pk_fma_f32 v[56:57], v[48:49], v[52:53], v[54:55] op_sel_hi:[1,0,1]
	v_pk_fma_f32 v[48:49], v[48:49], v[52:53], v[54:55] neg_lo:[0,0,1] neg_hi:[0,0,1]
	s_delay_alu instid0(VALU_DEP_2)
	v_mov_b32_e32 v49, v57
	scratch_store_b64 off, v[48:49], off offset:88
.LBB21_320:
	s_wait_xcnt 0x0
	s_or_b32 exec_lo, exec_lo, s0
	scratch_load_b64 v[48:49], off, off offset:96
	s_mov_b32 s0, exec_lo
	s_wait_loadcnt 0x0
	ds_store_b64 v1, v[48:49]
	s_wait_storecnt_dscnt 0x0
	s_barrier_signal -1
	s_barrier_wait -1
	s_wait_xcnt 0x0
	v_cmpx_gt_u32_e32 12, v0
	s_cbranch_execz .LBB21_330
; %bb.321:
	v_cmp_ne_u32_e32 vcc_lo, 1, v50
	s_cbranch_vccnz .LBB21_323
; %bb.322:
	scratch_load_b64 v[48:49], v43, off
	ds_load_b64 v[52:53], v1
	s_wait_loadcnt_dscnt 0x0
	v_pk_mul_f32 v[54:55], v[52:53], v[48:49] op_sel:[1,1] op_sel_hi:[0,1]
	s_delay_alu instid0(VALU_DEP_1) | instskip(SKIP_1) | instid1(VALU_DEP_2)
	v_pk_fma_f32 v[56:57], v[52:53], v[48:49], v[54:55] op_sel_hi:[1,0,1]
	v_pk_fma_f32 v[48:49], v[52:53], v[48:49], v[54:55] neg_lo:[0,0,1] neg_hi:[0,0,1]
	v_mov_b32_e32 v49, v57
	s_cbranch_execz .LBB21_324
	s_branch .LBB21_325
.LBB21_323:
                                        ; implicit-def: $vgpr48_vgpr49
.LBB21_324:
	ds_load_b64 v[48:49], v1
.LBB21_325:
	s_mov_b32 s2, exec_lo
	v_cmpx_ne_u32_e32 11, v0
	s_cbranch_execz .LBB21_329
; %bb.326:
	v_add_nc_u32_e32 v51, 0xb8, v42
	v_add3_u32 v52, 0, v42, 8
	v_mov_b32_e32 v53, v0
	s_mov_b32 s3, 0
.LBB21_327:                             ; =>This Inner Loop Header: Depth=1
	scratch_load_b64 v[54:55], v52, off
	ds_load_b64 v[56:57], v51
	s_wait_xcnt 0x0
	v_dual_add_nc_u32 v51, 8, v51 :: v_dual_add_nc_u32 v52, 8, v52
	s_wait_loadcnt_dscnt 0x0
	v_pk_mul_f32 v[58:59], v[56:57], v[54:55] op_sel:[1,1] op_sel_hi:[0,1]
	s_delay_alu instid0(VALU_DEP_1) | instskip(SKIP_2) | instid1(VALU_DEP_3)
	v_pk_fma_f32 v[60:61], v[56:57], v[54:55], v[58:59] op_sel_hi:[1,0,1]
	v_add_nc_u32_e32 v53, 1, v53
	v_pk_fma_f32 v[54:55], v[56:57], v[54:55], v[58:59] neg_lo:[0,0,1] neg_hi:[0,0,1]
	v_mov_b32_e32 v55, v61
	s_delay_alu instid0(VALU_DEP_3) | instskip(NEXT) | instid1(VALU_DEP_2)
	v_cmp_lt_u32_e32 vcc_lo, 10, v53
	v_pk_add_f32 v[48:49], v[48:49], v[54:55]
	s_or_b32 s3, vcc_lo, s3
	s_delay_alu instid0(SALU_CYCLE_1)
	s_and_not1_b32 exec_lo, exec_lo, s3
	s_cbranch_execnz .LBB21_327
; %bb.328:
	s_or_b32 exec_lo, exec_lo, s3
.LBB21_329:
	s_delay_alu instid0(SALU_CYCLE_1) | instskip(SKIP_4) | instid1(VALU_DEP_1)
	s_or_b32 exec_lo, exec_lo, s2
	v_mov_b32_e32 v51, 0
	ds_load_b64 v[52:53], v51 offset:96
	s_wait_dscnt 0x0
	v_pk_mul_f32 v[54:55], v[48:49], v[52:53] op_sel:[1,1] op_sel_hi:[0,1]
	v_pk_fma_f32 v[56:57], v[48:49], v[52:53], v[54:55] op_sel_hi:[1,0,1]
	v_pk_fma_f32 v[48:49], v[48:49], v[52:53], v[54:55] neg_lo:[0,0,1] neg_hi:[0,0,1]
	s_delay_alu instid0(VALU_DEP_2)
	v_mov_b32_e32 v49, v57
	scratch_store_b64 off, v[48:49], off offset:96
.LBB21_330:
	s_wait_xcnt 0x0
	s_or_b32 exec_lo, exec_lo, s0
	scratch_load_b64 v[48:49], off, off offset:104
	s_mov_b32 s0, exec_lo
	s_wait_loadcnt 0x0
	ds_store_b64 v1, v[48:49]
	s_wait_storecnt_dscnt 0x0
	s_barrier_signal -1
	s_barrier_wait -1
	s_wait_xcnt 0x0
	v_cmpx_gt_u32_e32 13, v0
	s_cbranch_execz .LBB21_340
; %bb.331:
	v_cmp_ne_u32_e32 vcc_lo, 1, v50
	s_cbranch_vccnz .LBB21_333
; %bb.332:
	scratch_load_b64 v[48:49], v43, off
	ds_load_b64 v[52:53], v1
	s_wait_loadcnt_dscnt 0x0
	v_pk_mul_f32 v[54:55], v[52:53], v[48:49] op_sel:[1,1] op_sel_hi:[0,1]
	s_delay_alu instid0(VALU_DEP_1) | instskip(SKIP_1) | instid1(VALU_DEP_2)
	v_pk_fma_f32 v[56:57], v[52:53], v[48:49], v[54:55] op_sel_hi:[1,0,1]
	v_pk_fma_f32 v[48:49], v[52:53], v[48:49], v[54:55] neg_lo:[0,0,1] neg_hi:[0,0,1]
	v_mov_b32_e32 v49, v57
	s_cbranch_execz .LBB21_334
	s_branch .LBB21_335
.LBB21_333:
                                        ; implicit-def: $vgpr48_vgpr49
.LBB21_334:
	ds_load_b64 v[48:49], v1
.LBB21_335:
	s_mov_b32 s2, exec_lo
	v_cmpx_ne_u32_e32 12, v0
	s_cbranch_execz .LBB21_339
; %bb.336:
	v_add_nc_u32_e32 v51, 0xb8, v42
	v_add3_u32 v52, 0, v42, 8
	v_mov_b32_e32 v53, v0
	s_mov_b32 s3, 0
.LBB21_337:                             ; =>This Inner Loop Header: Depth=1
	scratch_load_b64 v[54:55], v52, off
	ds_load_b64 v[56:57], v51
	s_wait_xcnt 0x0
	v_dual_add_nc_u32 v51, 8, v51 :: v_dual_add_nc_u32 v52, 8, v52
	s_wait_loadcnt_dscnt 0x0
	v_pk_mul_f32 v[58:59], v[56:57], v[54:55] op_sel:[1,1] op_sel_hi:[0,1]
	s_delay_alu instid0(VALU_DEP_1) | instskip(SKIP_2) | instid1(VALU_DEP_3)
	v_pk_fma_f32 v[60:61], v[56:57], v[54:55], v[58:59] op_sel_hi:[1,0,1]
	v_add_nc_u32_e32 v53, 1, v53
	v_pk_fma_f32 v[54:55], v[56:57], v[54:55], v[58:59] neg_lo:[0,0,1] neg_hi:[0,0,1]
	v_mov_b32_e32 v55, v61
	s_delay_alu instid0(VALU_DEP_3) | instskip(NEXT) | instid1(VALU_DEP_2)
	v_cmp_lt_u32_e32 vcc_lo, 11, v53
	v_pk_add_f32 v[48:49], v[48:49], v[54:55]
	s_or_b32 s3, vcc_lo, s3
	s_delay_alu instid0(SALU_CYCLE_1)
	s_and_not1_b32 exec_lo, exec_lo, s3
	s_cbranch_execnz .LBB21_337
; %bb.338:
	s_or_b32 exec_lo, exec_lo, s3
.LBB21_339:
	s_delay_alu instid0(SALU_CYCLE_1) | instskip(SKIP_4) | instid1(VALU_DEP_1)
	s_or_b32 exec_lo, exec_lo, s2
	v_mov_b32_e32 v51, 0
	ds_load_b64 v[52:53], v51 offset:104
	s_wait_dscnt 0x0
	v_pk_mul_f32 v[54:55], v[48:49], v[52:53] op_sel:[1,1] op_sel_hi:[0,1]
	v_pk_fma_f32 v[56:57], v[48:49], v[52:53], v[54:55] op_sel_hi:[1,0,1]
	v_pk_fma_f32 v[48:49], v[48:49], v[52:53], v[54:55] neg_lo:[0,0,1] neg_hi:[0,0,1]
	s_delay_alu instid0(VALU_DEP_2)
	v_mov_b32_e32 v49, v57
	scratch_store_b64 off, v[48:49], off offset:104
.LBB21_340:
	s_wait_xcnt 0x0
	s_or_b32 exec_lo, exec_lo, s0
	scratch_load_b64 v[48:49], off, off offset:112
	s_mov_b32 s0, exec_lo
	s_wait_loadcnt 0x0
	ds_store_b64 v1, v[48:49]
	s_wait_storecnt_dscnt 0x0
	s_barrier_signal -1
	s_barrier_wait -1
	s_wait_xcnt 0x0
	v_cmpx_gt_u32_e32 14, v0
	s_cbranch_execz .LBB21_350
; %bb.341:
	v_cmp_ne_u32_e32 vcc_lo, 1, v50
	s_cbranch_vccnz .LBB21_343
; %bb.342:
	scratch_load_b64 v[48:49], v43, off
	ds_load_b64 v[52:53], v1
	s_wait_loadcnt_dscnt 0x0
	v_pk_mul_f32 v[54:55], v[52:53], v[48:49] op_sel:[1,1] op_sel_hi:[0,1]
	s_delay_alu instid0(VALU_DEP_1) | instskip(SKIP_1) | instid1(VALU_DEP_2)
	v_pk_fma_f32 v[56:57], v[52:53], v[48:49], v[54:55] op_sel_hi:[1,0,1]
	v_pk_fma_f32 v[48:49], v[52:53], v[48:49], v[54:55] neg_lo:[0,0,1] neg_hi:[0,0,1]
	v_mov_b32_e32 v49, v57
	s_cbranch_execz .LBB21_344
	s_branch .LBB21_345
.LBB21_343:
                                        ; implicit-def: $vgpr48_vgpr49
.LBB21_344:
	ds_load_b64 v[48:49], v1
.LBB21_345:
	s_mov_b32 s2, exec_lo
	v_cmpx_ne_u32_e32 13, v0
	s_cbranch_execz .LBB21_349
; %bb.346:
	v_add_nc_u32_e32 v51, 0xb8, v42
	v_add3_u32 v52, 0, v42, 8
	v_mov_b32_e32 v53, v0
	s_mov_b32 s3, 0
.LBB21_347:                             ; =>This Inner Loop Header: Depth=1
	scratch_load_b64 v[54:55], v52, off
	ds_load_b64 v[56:57], v51
	s_wait_xcnt 0x0
	v_dual_add_nc_u32 v51, 8, v51 :: v_dual_add_nc_u32 v52, 8, v52
	s_wait_loadcnt_dscnt 0x0
	v_pk_mul_f32 v[58:59], v[56:57], v[54:55] op_sel:[1,1] op_sel_hi:[0,1]
	s_delay_alu instid0(VALU_DEP_1) | instskip(SKIP_2) | instid1(VALU_DEP_3)
	v_pk_fma_f32 v[60:61], v[56:57], v[54:55], v[58:59] op_sel_hi:[1,0,1]
	v_add_nc_u32_e32 v53, 1, v53
	v_pk_fma_f32 v[54:55], v[56:57], v[54:55], v[58:59] neg_lo:[0,0,1] neg_hi:[0,0,1]
	v_mov_b32_e32 v55, v61
	s_delay_alu instid0(VALU_DEP_3) | instskip(NEXT) | instid1(VALU_DEP_2)
	v_cmp_lt_u32_e32 vcc_lo, 12, v53
	v_pk_add_f32 v[48:49], v[48:49], v[54:55]
	s_or_b32 s3, vcc_lo, s3
	s_delay_alu instid0(SALU_CYCLE_1)
	s_and_not1_b32 exec_lo, exec_lo, s3
	s_cbranch_execnz .LBB21_347
; %bb.348:
	s_or_b32 exec_lo, exec_lo, s3
.LBB21_349:
	s_delay_alu instid0(SALU_CYCLE_1) | instskip(SKIP_4) | instid1(VALU_DEP_1)
	s_or_b32 exec_lo, exec_lo, s2
	v_mov_b32_e32 v51, 0
	ds_load_b64 v[52:53], v51 offset:112
	s_wait_dscnt 0x0
	v_pk_mul_f32 v[54:55], v[48:49], v[52:53] op_sel:[1,1] op_sel_hi:[0,1]
	v_pk_fma_f32 v[56:57], v[48:49], v[52:53], v[54:55] op_sel_hi:[1,0,1]
	v_pk_fma_f32 v[48:49], v[48:49], v[52:53], v[54:55] neg_lo:[0,0,1] neg_hi:[0,0,1]
	s_delay_alu instid0(VALU_DEP_2)
	v_mov_b32_e32 v49, v57
	scratch_store_b64 off, v[48:49], off offset:112
.LBB21_350:
	s_wait_xcnt 0x0
	s_or_b32 exec_lo, exec_lo, s0
	scratch_load_b64 v[48:49], off, off offset:120
	s_mov_b32 s0, exec_lo
	s_wait_loadcnt 0x0
	ds_store_b64 v1, v[48:49]
	s_wait_storecnt_dscnt 0x0
	s_barrier_signal -1
	s_barrier_wait -1
	s_wait_xcnt 0x0
	v_cmpx_gt_u32_e32 15, v0
	s_cbranch_execz .LBB21_360
; %bb.351:
	v_cmp_ne_u32_e32 vcc_lo, 1, v50
	s_cbranch_vccnz .LBB21_353
; %bb.352:
	scratch_load_b64 v[48:49], v43, off
	ds_load_b64 v[52:53], v1
	s_wait_loadcnt_dscnt 0x0
	v_pk_mul_f32 v[54:55], v[52:53], v[48:49] op_sel:[1,1] op_sel_hi:[0,1]
	s_delay_alu instid0(VALU_DEP_1) | instskip(SKIP_1) | instid1(VALU_DEP_2)
	v_pk_fma_f32 v[56:57], v[52:53], v[48:49], v[54:55] op_sel_hi:[1,0,1]
	v_pk_fma_f32 v[48:49], v[52:53], v[48:49], v[54:55] neg_lo:[0,0,1] neg_hi:[0,0,1]
	v_mov_b32_e32 v49, v57
	s_cbranch_execz .LBB21_354
	s_branch .LBB21_355
.LBB21_353:
                                        ; implicit-def: $vgpr48_vgpr49
.LBB21_354:
	ds_load_b64 v[48:49], v1
.LBB21_355:
	s_mov_b32 s2, exec_lo
	v_cmpx_ne_u32_e32 14, v0
	s_cbranch_execz .LBB21_359
; %bb.356:
	v_add_nc_u32_e32 v51, 0xb8, v42
	v_add3_u32 v52, 0, v42, 8
	v_mov_b32_e32 v53, v0
	s_mov_b32 s3, 0
.LBB21_357:                             ; =>This Inner Loop Header: Depth=1
	scratch_load_b64 v[54:55], v52, off
	ds_load_b64 v[56:57], v51
	s_wait_xcnt 0x0
	v_dual_add_nc_u32 v51, 8, v51 :: v_dual_add_nc_u32 v52, 8, v52
	s_wait_loadcnt_dscnt 0x0
	v_pk_mul_f32 v[58:59], v[56:57], v[54:55] op_sel:[1,1] op_sel_hi:[0,1]
	s_delay_alu instid0(VALU_DEP_1) | instskip(SKIP_2) | instid1(VALU_DEP_3)
	v_pk_fma_f32 v[60:61], v[56:57], v[54:55], v[58:59] op_sel_hi:[1,0,1]
	v_add_nc_u32_e32 v53, 1, v53
	v_pk_fma_f32 v[54:55], v[56:57], v[54:55], v[58:59] neg_lo:[0,0,1] neg_hi:[0,0,1]
	v_mov_b32_e32 v55, v61
	s_delay_alu instid0(VALU_DEP_3) | instskip(NEXT) | instid1(VALU_DEP_2)
	v_cmp_lt_u32_e32 vcc_lo, 13, v53
	v_pk_add_f32 v[48:49], v[48:49], v[54:55]
	s_or_b32 s3, vcc_lo, s3
	s_delay_alu instid0(SALU_CYCLE_1)
	s_and_not1_b32 exec_lo, exec_lo, s3
	s_cbranch_execnz .LBB21_357
; %bb.358:
	s_or_b32 exec_lo, exec_lo, s3
.LBB21_359:
	s_delay_alu instid0(SALU_CYCLE_1) | instskip(SKIP_4) | instid1(VALU_DEP_1)
	s_or_b32 exec_lo, exec_lo, s2
	v_mov_b32_e32 v51, 0
	ds_load_b64 v[52:53], v51 offset:120
	s_wait_dscnt 0x0
	v_pk_mul_f32 v[54:55], v[48:49], v[52:53] op_sel:[1,1] op_sel_hi:[0,1]
	v_pk_fma_f32 v[56:57], v[48:49], v[52:53], v[54:55] op_sel_hi:[1,0,1]
	v_pk_fma_f32 v[48:49], v[48:49], v[52:53], v[54:55] neg_lo:[0,0,1] neg_hi:[0,0,1]
	s_delay_alu instid0(VALU_DEP_2)
	v_mov_b32_e32 v49, v57
	scratch_store_b64 off, v[48:49], off offset:120
.LBB21_360:
	s_wait_xcnt 0x0
	s_or_b32 exec_lo, exec_lo, s0
	scratch_load_b64 v[48:49], off, off offset:128
	s_mov_b32 s0, exec_lo
	s_wait_loadcnt 0x0
	ds_store_b64 v1, v[48:49]
	s_wait_storecnt_dscnt 0x0
	s_barrier_signal -1
	s_barrier_wait -1
	s_wait_xcnt 0x0
	v_cmpx_gt_u32_e32 16, v0
	s_cbranch_execz .LBB21_370
; %bb.361:
	v_cmp_ne_u32_e32 vcc_lo, 1, v50
	s_cbranch_vccnz .LBB21_363
; %bb.362:
	scratch_load_b64 v[48:49], v43, off
	ds_load_b64 v[52:53], v1
	s_wait_loadcnt_dscnt 0x0
	v_pk_mul_f32 v[54:55], v[52:53], v[48:49] op_sel:[1,1] op_sel_hi:[0,1]
	s_delay_alu instid0(VALU_DEP_1) | instskip(SKIP_1) | instid1(VALU_DEP_2)
	v_pk_fma_f32 v[56:57], v[52:53], v[48:49], v[54:55] op_sel_hi:[1,0,1]
	v_pk_fma_f32 v[48:49], v[52:53], v[48:49], v[54:55] neg_lo:[0,0,1] neg_hi:[0,0,1]
	v_mov_b32_e32 v49, v57
	s_cbranch_execz .LBB21_364
	s_branch .LBB21_365
.LBB21_363:
                                        ; implicit-def: $vgpr48_vgpr49
.LBB21_364:
	ds_load_b64 v[48:49], v1
.LBB21_365:
	s_mov_b32 s2, exec_lo
	v_cmpx_ne_u32_e32 15, v0
	s_cbranch_execz .LBB21_369
; %bb.366:
	v_add_nc_u32_e32 v51, 0xb8, v42
	v_add3_u32 v52, 0, v42, 8
	v_mov_b32_e32 v53, v0
	s_mov_b32 s3, 0
.LBB21_367:                             ; =>This Inner Loop Header: Depth=1
	scratch_load_b64 v[54:55], v52, off
	ds_load_b64 v[56:57], v51
	s_wait_xcnt 0x0
	v_dual_add_nc_u32 v51, 8, v51 :: v_dual_add_nc_u32 v52, 8, v52
	s_wait_loadcnt_dscnt 0x0
	v_pk_mul_f32 v[58:59], v[56:57], v[54:55] op_sel:[1,1] op_sel_hi:[0,1]
	s_delay_alu instid0(VALU_DEP_1) | instskip(SKIP_2) | instid1(VALU_DEP_3)
	v_pk_fma_f32 v[60:61], v[56:57], v[54:55], v[58:59] op_sel_hi:[1,0,1]
	v_add_nc_u32_e32 v53, 1, v53
	v_pk_fma_f32 v[54:55], v[56:57], v[54:55], v[58:59] neg_lo:[0,0,1] neg_hi:[0,0,1]
	v_mov_b32_e32 v55, v61
	s_delay_alu instid0(VALU_DEP_3) | instskip(NEXT) | instid1(VALU_DEP_2)
	v_cmp_lt_u32_e32 vcc_lo, 14, v53
	v_pk_add_f32 v[48:49], v[48:49], v[54:55]
	s_or_b32 s3, vcc_lo, s3
	s_delay_alu instid0(SALU_CYCLE_1)
	s_and_not1_b32 exec_lo, exec_lo, s3
	s_cbranch_execnz .LBB21_367
; %bb.368:
	s_or_b32 exec_lo, exec_lo, s3
.LBB21_369:
	s_delay_alu instid0(SALU_CYCLE_1) | instskip(SKIP_4) | instid1(VALU_DEP_1)
	s_or_b32 exec_lo, exec_lo, s2
	v_mov_b32_e32 v51, 0
	ds_load_b64 v[52:53], v51 offset:128
	s_wait_dscnt 0x0
	v_pk_mul_f32 v[54:55], v[48:49], v[52:53] op_sel:[1,1] op_sel_hi:[0,1]
	v_pk_fma_f32 v[56:57], v[48:49], v[52:53], v[54:55] op_sel_hi:[1,0,1]
	v_pk_fma_f32 v[48:49], v[48:49], v[52:53], v[54:55] neg_lo:[0,0,1] neg_hi:[0,0,1]
	s_delay_alu instid0(VALU_DEP_2)
	v_mov_b32_e32 v49, v57
	scratch_store_b64 off, v[48:49], off offset:128
.LBB21_370:
	s_wait_xcnt 0x0
	s_or_b32 exec_lo, exec_lo, s0
	scratch_load_b64 v[48:49], off, off offset:136
	s_mov_b32 s0, exec_lo
	s_wait_loadcnt 0x0
	ds_store_b64 v1, v[48:49]
	s_wait_storecnt_dscnt 0x0
	s_barrier_signal -1
	s_barrier_wait -1
	s_wait_xcnt 0x0
	v_cmpx_gt_u32_e32 17, v0
	s_cbranch_execz .LBB21_380
; %bb.371:
	v_cmp_ne_u32_e32 vcc_lo, 1, v50
	s_cbranch_vccnz .LBB21_373
; %bb.372:
	scratch_load_b64 v[48:49], v43, off
	ds_load_b64 v[52:53], v1
	s_wait_loadcnt_dscnt 0x0
	v_pk_mul_f32 v[54:55], v[52:53], v[48:49] op_sel:[1,1] op_sel_hi:[0,1]
	s_delay_alu instid0(VALU_DEP_1) | instskip(SKIP_1) | instid1(VALU_DEP_2)
	v_pk_fma_f32 v[56:57], v[52:53], v[48:49], v[54:55] op_sel_hi:[1,0,1]
	v_pk_fma_f32 v[48:49], v[52:53], v[48:49], v[54:55] neg_lo:[0,0,1] neg_hi:[0,0,1]
	v_mov_b32_e32 v49, v57
	s_cbranch_execz .LBB21_374
	s_branch .LBB21_375
.LBB21_373:
                                        ; implicit-def: $vgpr48_vgpr49
.LBB21_374:
	ds_load_b64 v[48:49], v1
.LBB21_375:
	s_mov_b32 s2, exec_lo
	v_cmpx_ne_u32_e32 16, v0
	s_cbranch_execz .LBB21_379
; %bb.376:
	v_add_nc_u32_e32 v51, 0xb8, v42
	v_add3_u32 v52, 0, v42, 8
	v_mov_b32_e32 v53, v0
	s_mov_b32 s3, 0
.LBB21_377:                             ; =>This Inner Loop Header: Depth=1
	scratch_load_b64 v[54:55], v52, off
	ds_load_b64 v[56:57], v51
	s_wait_xcnt 0x0
	v_dual_add_nc_u32 v51, 8, v51 :: v_dual_add_nc_u32 v52, 8, v52
	s_wait_loadcnt_dscnt 0x0
	v_pk_mul_f32 v[58:59], v[56:57], v[54:55] op_sel:[1,1] op_sel_hi:[0,1]
	s_delay_alu instid0(VALU_DEP_1) | instskip(SKIP_2) | instid1(VALU_DEP_3)
	v_pk_fma_f32 v[60:61], v[56:57], v[54:55], v[58:59] op_sel_hi:[1,0,1]
	v_add_nc_u32_e32 v53, 1, v53
	v_pk_fma_f32 v[54:55], v[56:57], v[54:55], v[58:59] neg_lo:[0,0,1] neg_hi:[0,0,1]
	v_mov_b32_e32 v55, v61
	s_delay_alu instid0(VALU_DEP_3) | instskip(NEXT) | instid1(VALU_DEP_2)
	v_cmp_lt_u32_e32 vcc_lo, 15, v53
	v_pk_add_f32 v[48:49], v[48:49], v[54:55]
	s_or_b32 s3, vcc_lo, s3
	s_delay_alu instid0(SALU_CYCLE_1)
	s_and_not1_b32 exec_lo, exec_lo, s3
	s_cbranch_execnz .LBB21_377
; %bb.378:
	s_or_b32 exec_lo, exec_lo, s3
.LBB21_379:
	s_delay_alu instid0(SALU_CYCLE_1) | instskip(SKIP_4) | instid1(VALU_DEP_1)
	s_or_b32 exec_lo, exec_lo, s2
	v_mov_b32_e32 v51, 0
	ds_load_b64 v[52:53], v51 offset:136
	s_wait_dscnt 0x0
	v_pk_mul_f32 v[54:55], v[48:49], v[52:53] op_sel:[1,1] op_sel_hi:[0,1]
	v_pk_fma_f32 v[56:57], v[48:49], v[52:53], v[54:55] op_sel_hi:[1,0,1]
	v_pk_fma_f32 v[48:49], v[48:49], v[52:53], v[54:55] neg_lo:[0,0,1] neg_hi:[0,0,1]
	s_delay_alu instid0(VALU_DEP_2)
	v_mov_b32_e32 v49, v57
	scratch_store_b64 off, v[48:49], off offset:136
.LBB21_380:
	s_wait_xcnt 0x0
	s_or_b32 exec_lo, exec_lo, s0
	scratch_load_b64 v[48:49], off, off offset:144
	s_mov_b32 s0, exec_lo
	s_wait_loadcnt 0x0
	ds_store_b64 v1, v[48:49]
	s_wait_storecnt_dscnt 0x0
	s_barrier_signal -1
	s_barrier_wait -1
	s_wait_xcnt 0x0
	v_cmpx_gt_u32_e32 18, v0
	s_cbranch_execz .LBB21_390
; %bb.381:
	v_cmp_ne_u32_e32 vcc_lo, 1, v50
	s_cbranch_vccnz .LBB21_383
; %bb.382:
	scratch_load_b64 v[48:49], v43, off
	ds_load_b64 v[52:53], v1
	s_wait_loadcnt_dscnt 0x0
	v_pk_mul_f32 v[54:55], v[52:53], v[48:49] op_sel:[1,1] op_sel_hi:[0,1]
	s_delay_alu instid0(VALU_DEP_1) | instskip(SKIP_1) | instid1(VALU_DEP_2)
	v_pk_fma_f32 v[56:57], v[52:53], v[48:49], v[54:55] op_sel_hi:[1,0,1]
	v_pk_fma_f32 v[48:49], v[52:53], v[48:49], v[54:55] neg_lo:[0,0,1] neg_hi:[0,0,1]
	v_mov_b32_e32 v49, v57
	s_cbranch_execz .LBB21_384
	s_branch .LBB21_385
.LBB21_383:
                                        ; implicit-def: $vgpr48_vgpr49
.LBB21_384:
	ds_load_b64 v[48:49], v1
.LBB21_385:
	s_mov_b32 s2, exec_lo
	v_cmpx_ne_u32_e32 17, v0
	s_cbranch_execz .LBB21_389
; %bb.386:
	v_add_nc_u32_e32 v51, 0xb8, v42
	v_add3_u32 v52, 0, v42, 8
	v_mov_b32_e32 v53, v0
	s_mov_b32 s3, 0
.LBB21_387:                             ; =>This Inner Loop Header: Depth=1
	scratch_load_b64 v[54:55], v52, off
	ds_load_b64 v[56:57], v51
	s_wait_xcnt 0x0
	v_dual_add_nc_u32 v51, 8, v51 :: v_dual_add_nc_u32 v52, 8, v52
	s_wait_loadcnt_dscnt 0x0
	v_pk_mul_f32 v[58:59], v[56:57], v[54:55] op_sel:[1,1] op_sel_hi:[0,1]
	s_delay_alu instid0(VALU_DEP_1) | instskip(SKIP_2) | instid1(VALU_DEP_3)
	v_pk_fma_f32 v[60:61], v[56:57], v[54:55], v[58:59] op_sel_hi:[1,0,1]
	v_add_nc_u32_e32 v53, 1, v53
	v_pk_fma_f32 v[54:55], v[56:57], v[54:55], v[58:59] neg_lo:[0,0,1] neg_hi:[0,0,1]
	v_mov_b32_e32 v55, v61
	s_delay_alu instid0(VALU_DEP_3) | instskip(NEXT) | instid1(VALU_DEP_2)
	v_cmp_lt_u32_e32 vcc_lo, 16, v53
	v_pk_add_f32 v[48:49], v[48:49], v[54:55]
	s_or_b32 s3, vcc_lo, s3
	s_delay_alu instid0(SALU_CYCLE_1)
	s_and_not1_b32 exec_lo, exec_lo, s3
	s_cbranch_execnz .LBB21_387
; %bb.388:
	s_or_b32 exec_lo, exec_lo, s3
.LBB21_389:
	s_delay_alu instid0(SALU_CYCLE_1) | instskip(SKIP_4) | instid1(VALU_DEP_1)
	s_or_b32 exec_lo, exec_lo, s2
	v_mov_b32_e32 v51, 0
	ds_load_b64 v[52:53], v51 offset:144
	s_wait_dscnt 0x0
	v_pk_mul_f32 v[54:55], v[48:49], v[52:53] op_sel:[1,1] op_sel_hi:[0,1]
	v_pk_fma_f32 v[56:57], v[48:49], v[52:53], v[54:55] op_sel_hi:[1,0,1]
	v_pk_fma_f32 v[48:49], v[48:49], v[52:53], v[54:55] neg_lo:[0,0,1] neg_hi:[0,0,1]
	s_delay_alu instid0(VALU_DEP_2)
	v_mov_b32_e32 v49, v57
	scratch_store_b64 off, v[48:49], off offset:144
.LBB21_390:
	s_wait_xcnt 0x0
	s_or_b32 exec_lo, exec_lo, s0
	scratch_load_b64 v[48:49], off, off offset:152
	s_mov_b32 s0, exec_lo
	s_wait_loadcnt 0x0
	ds_store_b64 v1, v[48:49]
	s_wait_storecnt_dscnt 0x0
	s_barrier_signal -1
	s_barrier_wait -1
	s_wait_xcnt 0x0
	v_cmpx_gt_u32_e32 19, v0
	s_cbranch_execz .LBB21_400
; %bb.391:
	v_cmp_ne_u32_e32 vcc_lo, 1, v50
	s_cbranch_vccnz .LBB21_393
; %bb.392:
	scratch_load_b64 v[48:49], v43, off
	ds_load_b64 v[52:53], v1
	s_wait_loadcnt_dscnt 0x0
	v_pk_mul_f32 v[54:55], v[52:53], v[48:49] op_sel:[1,1] op_sel_hi:[0,1]
	s_delay_alu instid0(VALU_DEP_1) | instskip(SKIP_1) | instid1(VALU_DEP_2)
	v_pk_fma_f32 v[56:57], v[52:53], v[48:49], v[54:55] op_sel_hi:[1,0,1]
	v_pk_fma_f32 v[48:49], v[52:53], v[48:49], v[54:55] neg_lo:[0,0,1] neg_hi:[0,0,1]
	v_mov_b32_e32 v49, v57
	s_cbranch_execz .LBB21_394
	s_branch .LBB21_395
.LBB21_393:
                                        ; implicit-def: $vgpr48_vgpr49
.LBB21_394:
	ds_load_b64 v[48:49], v1
.LBB21_395:
	s_mov_b32 s2, exec_lo
	v_cmpx_ne_u32_e32 18, v0
	s_cbranch_execz .LBB21_399
; %bb.396:
	v_add_nc_u32_e32 v51, 0xb8, v42
	v_add3_u32 v52, 0, v42, 8
	v_mov_b32_e32 v53, v0
	s_mov_b32 s3, 0
.LBB21_397:                             ; =>This Inner Loop Header: Depth=1
	scratch_load_b64 v[54:55], v52, off
	ds_load_b64 v[56:57], v51
	s_wait_xcnt 0x0
	v_dual_add_nc_u32 v51, 8, v51 :: v_dual_add_nc_u32 v52, 8, v52
	s_wait_loadcnt_dscnt 0x0
	v_pk_mul_f32 v[58:59], v[56:57], v[54:55] op_sel:[1,1] op_sel_hi:[0,1]
	s_delay_alu instid0(VALU_DEP_1) | instskip(SKIP_2) | instid1(VALU_DEP_3)
	v_pk_fma_f32 v[60:61], v[56:57], v[54:55], v[58:59] op_sel_hi:[1,0,1]
	v_add_nc_u32_e32 v53, 1, v53
	v_pk_fma_f32 v[54:55], v[56:57], v[54:55], v[58:59] neg_lo:[0,0,1] neg_hi:[0,0,1]
	v_mov_b32_e32 v55, v61
	s_delay_alu instid0(VALU_DEP_3) | instskip(NEXT) | instid1(VALU_DEP_2)
	v_cmp_lt_u32_e32 vcc_lo, 17, v53
	v_pk_add_f32 v[48:49], v[48:49], v[54:55]
	s_or_b32 s3, vcc_lo, s3
	s_delay_alu instid0(SALU_CYCLE_1)
	s_and_not1_b32 exec_lo, exec_lo, s3
	s_cbranch_execnz .LBB21_397
; %bb.398:
	s_or_b32 exec_lo, exec_lo, s3
.LBB21_399:
	s_delay_alu instid0(SALU_CYCLE_1) | instskip(SKIP_4) | instid1(VALU_DEP_1)
	s_or_b32 exec_lo, exec_lo, s2
	v_mov_b32_e32 v51, 0
	ds_load_b64 v[52:53], v51 offset:152
	s_wait_dscnt 0x0
	v_pk_mul_f32 v[54:55], v[48:49], v[52:53] op_sel:[1,1] op_sel_hi:[0,1]
	v_pk_fma_f32 v[56:57], v[48:49], v[52:53], v[54:55] op_sel_hi:[1,0,1]
	v_pk_fma_f32 v[48:49], v[48:49], v[52:53], v[54:55] neg_lo:[0,0,1] neg_hi:[0,0,1]
	s_delay_alu instid0(VALU_DEP_2)
	v_mov_b32_e32 v49, v57
	scratch_store_b64 off, v[48:49], off offset:152
.LBB21_400:
	s_wait_xcnt 0x0
	s_or_b32 exec_lo, exec_lo, s0
	scratch_load_b64 v[48:49], off, off offset:160
	v_cmp_gt_u32_e64 s0, 20, v0
	s_wait_loadcnt 0x0
	ds_store_b64 v1, v[48:49]
	s_wait_storecnt_dscnt 0x0
	s_barrier_signal -1
	s_barrier_wait -1
	s_wait_xcnt 0x0
	s_and_saveexec_b32 s2, s0
	s_cbranch_execz .LBB21_410
; %bb.401:
	v_cmp_ne_u32_e32 vcc_lo, 1, v50
	s_cbranch_vccnz .LBB21_403
; %bb.402:
	scratch_load_b64 v[48:49], v43, off
	ds_load_b64 v[52:53], v1
	s_wait_loadcnt_dscnt 0x0
	v_pk_mul_f32 v[54:55], v[52:53], v[48:49] op_sel:[1,1] op_sel_hi:[0,1]
	s_delay_alu instid0(VALU_DEP_1) | instskip(SKIP_1) | instid1(VALU_DEP_2)
	v_pk_fma_f32 v[56:57], v[52:53], v[48:49], v[54:55] op_sel_hi:[1,0,1]
	v_pk_fma_f32 v[48:49], v[52:53], v[48:49], v[54:55] neg_lo:[0,0,1] neg_hi:[0,0,1]
	v_mov_b32_e32 v49, v57
	s_cbranch_execz .LBB21_404
	s_branch .LBB21_405
.LBB21_403:
                                        ; implicit-def: $vgpr48_vgpr49
.LBB21_404:
	ds_load_b64 v[48:49], v1
.LBB21_405:
	s_mov_b32 s3, exec_lo
	v_cmpx_ne_u32_e32 19, v0
	s_cbranch_execz .LBB21_409
; %bb.406:
	v_add_nc_u32_e32 v51, 0xb8, v42
	v_add3_u32 v52, 0, v42, 8
	v_mov_b32_e32 v53, v0
	s_mov_b32 s4, 0
.LBB21_407:                             ; =>This Inner Loop Header: Depth=1
	scratch_load_b64 v[54:55], v52, off
	ds_load_b64 v[56:57], v51
	s_wait_xcnt 0x0
	v_dual_add_nc_u32 v51, 8, v51 :: v_dual_add_nc_u32 v52, 8, v52
	s_wait_loadcnt_dscnt 0x0
	v_pk_mul_f32 v[58:59], v[56:57], v[54:55] op_sel:[1,1] op_sel_hi:[0,1]
	s_delay_alu instid0(VALU_DEP_1) | instskip(SKIP_2) | instid1(VALU_DEP_3)
	v_pk_fma_f32 v[60:61], v[56:57], v[54:55], v[58:59] op_sel_hi:[1,0,1]
	v_add_nc_u32_e32 v53, 1, v53
	v_pk_fma_f32 v[54:55], v[56:57], v[54:55], v[58:59] neg_lo:[0,0,1] neg_hi:[0,0,1]
	v_mov_b32_e32 v55, v61
	s_delay_alu instid0(VALU_DEP_3) | instskip(NEXT) | instid1(VALU_DEP_2)
	v_cmp_lt_u32_e32 vcc_lo, 18, v53
	v_pk_add_f32 v[48:49], v[48:49], v[54:55]
	s_or_b32 s4, vcc_lo, s4
	s_delay_alu instid0(SALU_CYCLE_1)
	s_and_not1_b32 exec_lo, exec_lo, s4
	s_cbranch_execnz .LBB21_407
; %bb.408:
	s_or_b32 exec_lo, exec_lo, s4
.LBB21_409:
	s_delay_alu instid0(SALU_CYCLE_1) | instskip(SKIP_4) | instid1(VALU_DEP_1)
	s_or_b32 exec_lo, exec_lo, s3
	v_mov_b32_e32 v51, 0
	ds_load_b64 v[52:53], v51 offset:160
	s_wait_dscnt 0x0
	v_pk_mul_f32 v[54:55], v[48:49], v[52:53] op_sel:[1,1] op_sel_hi:[0,1]
	v_pk_fma_f32 v[56:57], v[48:49], v[52:53], v[54:55] op_sel_hi:[1,0,1]
	v_pk_fma_f32 v[48:49], v[48:49], v[52:53], v[54:55] neg_lo:[0,0,1] neg_hi:[0,0,1]
	s_delay_alu instid0(VALU_DEP_2)
	v_mov_b32_e32 v49, v57
	scratch_store_b64 off, v[48:49], off offset:160
.LBB21_410:
	s_wait_xcnt 0x0
	s_or_b32 exec_lo, exec_lo, s2
	scratch_load_b64 v[48:49], off, off offset:168
	s_mov_b32 s2, exec_lo
                                        ; implicit-def: $vgpr58
                                        ; implicit-def: $sgpr5
	s_wait_loadcnt 0x0
	ds_store_b64 v1, v[48:49]
	s_wait_storecnt_dscnt 0x0
	s_barrier_signal -1
	s_barrier_wait -1
	s_wait_xcnt 0x0
	v_cmpx_ne_u32_e32 21, v0
	s_cbranch_execz .LBB21_420
; %bb.411:
	v_cmp_ne_u32_e32 vcc_lo, 1, v50
	s_cbranch_vccnz .LBB21_413
; %bb.412:
	scratch_load_b64 v[50:51], v43, off
	ds_load_b64 v[52:53], v1
	s_wait_loadcnt_dscnt 0x0
	v_dual_mul_f32 v43, v53, v51 :: v_dual_mul_f32 v49, v52, v51
	s_delay_alu instid0(VALU_DEP_1)
	v_dual_fma_f32 v48, v52, v50, -v43 :: v_dual_fmac_f32 v49, v53, v50
	s_cbranch_execz .LBB21_414
	s_branch .LBB21_415
.LBB21_413:
                                        ; implicit-def: $vgpr49
.LBB21_414:
	ds_load_b64 v[48:49], v1
.LBB21_415:
	s_and_saveexec_b32 s3, s0
	s_cbranch_execz .LBB21_419
; %bb.416:
	v_add_nc_u32_e32 v1, 0xb8, v42
	v_add3_u32 v42, 0, v42, 8
	s_mov_b32 s0, 0
.LBB21_417:                             ; =>This Inner Loop Header: Depth=1
	scratch_load_b64 v[50:51], v42, off
	ds_load_b64 v[52:53], v1
	s_wait_loadcnt_dscnt 0x0
	v_dual_add_nc_u32 v1, 8, v1 :: v_dual_mul_f32 v43, v53, v51
	v_dual_mul_f32 v51, v52, v51 :: v_dual_add_nc_u32 v0, 1, v0
	s_delay_alu instid0(VALU_DEP_2) | instskip(NEXT) | instid1(VALU_DEP_2)
	v_fma_f32 v43, v52, v50, -v43
	v_fmac_f32_e32 v51, v53, v50
	s_delay_alu instid0(VALU_DEP_3) | instskip(NEXT) | instid1(VALU_DEP_3)
	v_cmp_lt_u32_e32 vcc_lo, 19, v0
	v_dual_add_nc_u32 v42, 8, v42 :: v_dual_add_f32 v48, v48, v43
	s_delay_alu instid0(VALU_DEP_3) | instskip(SKIP_1) | instid1(SALU_CYCLE_1)
	v_add_f32_e32 v49, v49, v51
	s_or_b32 s0, vcc_lo, s0
	s_and_not1_b32 exec_lo, exec_lo, s0
	s_cbranch_execnz .LBB21_417
; %bb.418:
	s_or_b32 exec_lo, exec_lo, s0
.LBB21_419:
	s_delay_alu instid0(SALU_CYCLE_1)
	s_or_b32 exec_lo, exec_lo, s3
	v_mov_b32_e32 v0, 0
	s_movk_i32 s5, 0xac
	s_or_b32 s1, s1, exec_lo
	ds_load_b64 v[0:1], v0 offset:168
	s_wait_dscnt 0x0
	v_dual_mul_f32 v42, v49, v1 :: v_dual_mul_f32 v58, v48, v1
	s_delay_alu instid0(VALU_DEP_1) | instskip(NEXT) | instid1(VALU_DEP_2)
	v_fma_f32 v1, v48, v0, -v42
	v_fmac_f32_e32 v58, v49, v0
	scratch_store_b32 off, v1, off offset:168
.LBB21_420:
	s_wait_xcnt 0x0
	s_or_b32 exec_lo, exec_lo, s2
.LBB21_421:
	v_lshl_add_u64 v[54:55], v[6:7], 3, s[6:7]
	v_lshl_add_u64 v[56:57], v[8:9], 3, s[6:7]
	;; [unrolled: 1-line block ×20, first 2 shown]
	s_and_saveexec_b32 s0, s1
	s_cbranch_execz .LBB21_423
; %bb.422:
	scratch_store_b32 off, v58, s5
.LBB21_423:
	s_wait_xcnt 0x0
	s_or_b32 exec_lo, exec_lo, s0
	s_clause 0x3
	scratch_load_b128 v[32:35], off, off
	scratch_load_b128 v[36:39], off, off offset:16
	scratch_load_b128 v[44:47], off, off offset:32
	;; [unrolled: 1-line block ×3, first 2 shown]
	s_wait_loadcnt 0x3
	s_clause 0x1
	global_store_b64 v[2:3], v[32:33], off
	global_store_b64 v[4:5], v[34:35], off
	s_clause 0x1
	scratch_load_b128 v[2:5], off, off offset:64
	scratch_load_b128 v[32:35], off, off offset:80
	s_wait_loadcnt 0x4
	s_clause 0x1
	global_store_b64 v[54:55], v[36:37], off
	global_store_b64 v[56:57], v[38:39], off
	s_clause 0x1
	scratch_load_b128 v[36:39], off, off offset:96
	scratch_load_b128 v[54:57], off, off offset:112
	;; [unrolled: 7-line block ×3, first 2 shown]
	s_wait_loadcnt 0x6
	s_clause 0x1
	global_store_b64 v[42:43], v[58:59], off
	global_store_b64 v[48:49], v[60:61], off
	scratch_load_b128 v[40:43], off, off offset:160
	s_wait_loadcnt 0x6
	s_clause 0x1
	global_store_b64 v[8:9], v[2:3], off
	global_store_b64 v[10:11], v[4:5], off
	s_wait_loadcnt 0x5
	s_clause 0x1
	global_store_b64 v[12:13], v[32:33], off
	global_store_b64 v[14:15], v[34:35], off
	;; [unrolled: 4-line block ×7, first 2 shown]
.LBB21_424:
	s_sendmsg sendmsg(MSG_DEALLOC_VGPRS)
	s_endpgm
	.section	.rodata,"a",@progbits
	.p2align	6, 0x0
	.amdhsa_kernel _ZN9rocsolver6v33100L18trti2_kernel_smallILi22E19rocblas_complex_numIfEPS3_EEv13rocblas_fill_17rocblas_diagonal_T1_iil
		.amdhsa_group_segment_fixed_size 352
		.amdhsa_private_segment_fixed_size 192
		.amdhsa_kernarg_size 32
		.amdhsa_user_sgpr_count 2
		.amdhsa_user_sgpr_dispatch_ptr 0
		.amdhsa_user_sgpr_queue_ptr 0
		.amdhsa_user_sgpr_kernarg_segment_ptr 1
		.amdhsa_user_sgpr_dispatch_id 0
		.amdhsa_user_sgpr_kernarg_preload_length 0
		.amdhsa_user_sgpr_kernarg_preload_offset 0
		.amdhsa_user_sgpr_private_segment_size 0
		.amdhsa_wavefront_size32 1
		.amdhsa_uses_dynamic_stack 0
		.amdhsa_enable_private_segment 1
		.amdhsa_system_sgpr_workgroup_id_x 1
		.amdhsa_system_sgpr_workgroup_id_y 0
		.amdhsa_system_sgpr_workgroup_id_z 0
		.amdhsa_system_sgpr_workgroup_info 0
		.amdhsa_system_vgpr_workitem_id 0
		.amdhsa_next_free_vgpr 68
		.amdhsa_next_free_sgpr 18
		.amdhsa_named_barrier_count 0
		.amdhsa_reserve_vcc 1
		.amdhsa_float_round_mode_32 0
		.amdhsa_float_round_mode_16_64 0
		.amdhsa_float_denorm_mode_32 3
		.amdhsa_float_denorm_mode_16_64 3
		.amdhsa_fp16_overflow 0
		.amdhsa_memory_ordered 1
		.amdhsa_forward_progress 1
		.amdhsa_inst_pref_size 129
		.amdhsa_round_robin_scheduling 0
		.amdhsa_exception_fp_ieee_invalid_op 0
		.amdhsa_exception_fp_denorm_src 0
		.amdhsa_exception_fp_ieee_div_zero 0
		.amdhsa_exception_fp_ieee_overflow 0
		.amdhsa_exception_fp_ieee_underflow 0
		.amdhsa_exception_fp_ieee_inexact 0
		.amdhsa_exception_int_div_zero 0
	.end_amdhsa_kernel
	.section	.text._ZN9rocsolver6v33100L18trti2_kernel_smallILi22E19rocblas_complex_numIfEPS3_EEv13rocblas_fill_17rocblas_diagonal_T1_iil,"axG",@progbits,_ZN9rocsolver6v33100L18trti2_kernel_smallILi22E19rocblas_complex_numIfEPS3_EEv13rocblas_fill_17rocblas_diagonal_T1_iil,comdat
.Lfunc_end21:
	.size	_ZN9rocsolver6v33100L18trti2_kernel_smallILi22E19rocblas_complex_numIfEPS3_EEv13rocblas_fill_17rocblas_diagonal_T1_iil, .Lfunc_end21-_ZN9rocsolver6v33100L18trti2_kernel_smallILi22E19rocblas_complex_numIfEPS3_EEv13rocblas_fill_17rocblas_diagonal_T1_iil
                                        ; -- End function
	.set _ZN9rocsolver6v33100L18trti2_kernel_smallILi22E19rocblas_complex_numIfEPS3_EEv13rocblas_fill_17rocblas_diagonal_T1_iil.num_vgpr, 68
	.set _ZN9rocsolver6v33100L18trti2_kernel_smallILi22E19rocblas_complex_numIfEPS3_EEv13rocblas_fill_17rocblas_diagonal_T1_iil.num_agpr, 0
	.set _ZN9rocsolver6v33100L18trti2_kernel_smallILi22E19rocblas_complex_numIfEPS3_EEv13rocblas_fill_17rocblas_diagonal_T1_iil.numbered_sgpr, 18
	.set _ZN9rocsolver6v33100L18trti2_kernel_smallILi22E19rocblas_complex_numIfEPS3_EEv13rocblas_fill_17rocblas_diagonal_T1_iil.num_named_barrier, 0
	.set _ZN9rocsolver6v33100L18trti2_kernel_smallILi22E19rocblas_complex_numIfEPS3_EEv13rocblas_fill_17rocblas_diagonal_T1_iil.private_seg_size, 192
	.set _ZN9rocsolver6v33100L18trti2_kernel_smallILi22E19rocblas_complex_numIfEPS3_EEv13rocblas_fill_17rocblas_diagonal_T1_iil.uses_vcc, 1
	.set _ZN9rocsolver6v33100L18trti2_kernel_smallILi22E19rocblas_complex_numIfEPS3_EEv13rocblas_fill_17rocblas_diagonal_T1_iil.uses_flat_scratch, 1
	.set _ZN9rocsolver6v33100L18trti2_kernel_smallILi22E19rocblas_complex_numIfEPS3_EEv13rocblas_fill_17rocblas_diagonal_T1_iil.has_dyn_sized_stack, 0
	.set _ZN9rocsolver6v33100L18trti2_kernel_smallILi22E19rocblas_complex_numIfEPS3_EEv13rocblas_fill_17rocblas_diagonal_T1_iil.has_recursion, 0
	.set _ZN9rocsolver6v33100L18trti2_kernel_smallILi22E19rocblas_complex_numIfEPS3_EEv13rocblas_fill_17rocblas_diagonal_T1_iil.has_indirect_call, 0
	.section	.AMDGPU.csdata,"",@progbits
; Kernel info:
; codeLenInByte = 16500
; TotalNumSgprs: 20
; NumVgprs: 68
; ScratchSize: 192
; MemoryBound: 0
; FloatMode: 240
; IeeeMode: 1
; LDSByteSize: 352 bytes/workgroup (compile time only)
; SGPRBlocks: 0
; VGPRBlocks: 4
; NumSGPRsForWavesPerEU: 20
; NumVGPRsForWavesPerEU: 68
; NamedBarCnt: 0
; Occupancy: 12
; WaveLimiterHint : 0
; COMPUTE_PGM_RSRC2:SCRATCH_EN: 1
; COMPUTE_PGM_RSRC2:USER_SGPR: 2
; COMPUTE_PGM_RSRC2:TRAP_HANDLER: 0
; COMPUTE_PGM_RSRC2:TGID_X_EN: 1
; COMPUTE_PGM_RSRC2:TGID_Y_EN: 0
; COMPUTE_PGM_RSRC2:TGID_Z_EN: 0
; COMPUTE_PGM_RSRC2:TIDIG_COMP_CNT: 0
	.section	.text._ZN9rocsolver6v33100L18trti2_kernel_smallILi23E19rocblas_complex_numIfEPS3_EEv13rocblas_fill_17rocblas_diagonal_T1_iil,"axG",@progbits,_ZN9rocsolver6v33100L18trti2_kernel_smallILi23E19rocblas_complex_numIfEPS3_EEv13rocblas_fill_17rocblas_diagonal_T1_iil,comdat
	.globl	_ZN9rocsolver6v33100L18trti2_kernel_smallILi23E19rocblas_complex_numIfEPS3_EEv13rocblas_fill_17rocblas_diagonal_T1_iil ; -- Begin function _ZN9rocsolver6v33100L18trti2_kernel_smallILi23E19rocblas_complex_numIfEPS3_EEv13rocblas_fill_17rocblas_diagonal_T1_iil
	.p2align	8
	.type	_ZN9rocsolver6v33100L18trti2_kernel_smallILi23E19rocblas_complex_numIfEPS3_EEv13rocblas_fill_17rocblas_diagonal_T1_iil,@function
_ZN9rocsolver6v33100L18trti2_kernel_smallILi23E19rocblas_complex_numIfEPS3_EEv13rocblas_fill_17rocblas_diagonal_T1_iil: ; @_ZN9rocsolver6v33100L18trti2_kernel_smallILi23E19rocblas_complex_numIfEPS3_EEv13rocblas_fill_17rocblas_diagonal_T1_iil
; %bb.0:
	s_mov_b32 s2, exec_lo
	v_cmpx_gt_u32_e32 23, v0
	s_cbranch_execz .LBB22_444
; %bb.1:
	s_load_b256 s[4:11], s[0:1], 0x0
	s_wait_xcnt 0x0
	s_bfe_u32 s0, ttmp6, 0x4000c
	s_and_b32 s1, ttmp6, 15
	s_add_co_i32 s0, s0, 1
	s_getreg_b32 s2, hwreg(HW_REG_IB_STS2, 6, 4)
	s_mul_i32 s0, ttmp9, s0
	s_delay_alu instid0(SALU_CYCLE_1)
	s_add_co_i32 s0, s1, s0
	s_wait_kmcnt 0x0
	v_add3_u32 v6, s9, s9, v0
	v_lshlrev_b32_e32 v38, 3, v0
	s_ashr_i32 s1, s8, 31
	s_cmp_eq_u32 s2, 0
	s_cselect_b32 s2, ttmp9, s0
	v_dual_mov_b32 v39, 0 :: v_dual_add_nc_u32 v8, s9, v6
	s_ashr_i32 s3, s2, 31
	s_mov_b32 s0, s8
	s_mul_u64 s[2:3], s[10:11], s[2:3]
	s_delay_alu instid0(VALU_DEP_1) | instskip(SKIP_3) | instid1(VALU_DEP_1)
	v_add_nc_u32_e32 v10, s9, v8
	s_lshl_b64 s[2:3], s[2:3], 3
	s_lshl_b64 s[0:1], s[0:1], 3
	s_add_nc_u64 s[2:3], s[6:7], s[2:3]
	v_add_nc_u32_e32 v12, s9, v10
	s_add_nc_u64 s[6:7], s[2:3], s[0:1]
	s_mov_b32 s0, s9
	v_add_nc_u64_e32 v[2:3], s[6:7], v[38:39]
	s_ashr_i32 s1, s9, 31
	v_add_nc_u32_e32 v14, s9, v12
	s_cmp_lg_u32 s5, 0x84
	s_cselect_b32 s3, -1, 0
	s_delay_alu instid0(VALU_DEP_1) | instskip(NEXT) | instid1(VALU_DEP_3)
	v_add_nc_u32_e32 v16, s9, v14
	v_lshl_add_u64 v[4:5], s[0:1], 3, v[2:3]
	s_clause 0x3
	global_load_b64 v[48:49], v0, s[6:7] scale_offset
	global_load_b64 v[50:51], v[4:5], off
	global_load_b64 v[52:53], v6, s[6:7] scale_offset
	global_load_b64 v[54:55], v8, s[6:7] scale_offset
	v_add_nc_u32_e32 v18, s9, v16
	s_mov_b32 s0, -1
	s_and_b32 vcc_lo, exec_lo, s3
	s_delay_alu instid0(VALU_DEP_1) | instskip(NEXT) | instid1(VALU_DEP_1)
	v_add_nc_u32_e32 v20, s9, v18
	v_add_nc_u32_e32 v22, s9, v20
	s_clause 0x5
	global_load_b64 v[56:57], v10, s[6:7] scale_offset
	global_load_b64 v[58:59], v12, s[6:7] scale_offset
	;; [unrolled: 1-line block ×6, first 2 shown]
	v_add_nc_u32_e32 v24, s9, v22
	s_delay_alu instid0(VALU_DEP_1) | instskip(NEXT) | instid1(VALU_DEP_1)
	v_add_nc_u32_e32 v26, s9, v24
	v_add_nc_u32_e32 v28, s9, v26
	s_delay_alu instid0(VALU_DEP_1) | instskip(SKIP_4) | instid1(VALU_DEP_1)
	v_add_nc_u32_e32 v30, s9, v28
	s_clause 0x1
	global_load_b64 v[68:69], v22, s[6:7] scale_offset
	global_load_b64 v[70:71], v24, s[6:7] scale_offset
	v_add_nc_u32_e32 v32, s9, v30
	v_add_nc_u32_e32 v34, s9, v32
	s_delay_alu instid0(VALU_DEP_1) | instskip(NEXT) | instid1(VALU_DEP_1)
	v_add_nc_u32_e32 v36, s9, v34
	v_add_nc_u32_e32 v40, s9, v36
	s_delay_alu instid0(VALU_DEP_1) | instskip(NEXT) | instid1(VALU_DEP_1)
	v_add_nc_u32_e32 v42, s9, v40
	v_add_nc_u32_e32 v44, s9, v42
	s_delay_alu instid0(VALU_DEP_1)
	v_add_nc_u32_e32 v46, s9, v44
	s_wait_loadcnt 0xa
	scratch_store_b128 off, v[48:51], off
	s_wait_xcnt 0x0
	v_add_nc_u32_e32 v48, s9, v46
	s_clause 0x3
	global_load_b64 v[72:73], v26, s[6:7] scale_offset
	global_load_b64 v[74:75], v28, s[6:7] scale_offset
	;; [unrolled: 1-line block ×4, first 2 shown]
	s_wait_loadcnt 0xc
	scratch_store_b128 off, v[52:55], off offset:16
	s_wait_loadcnt 0xa
	scratch_store_b128 off, v[56:59], off offset:32
	;; [unrolled: 2-line block ×3, first 2 shown]
	s_clause 0x3
	global_load_b64 v[50:51], v34, s[6:7] scale_offset
	global_load_b64 v[52:53], v36, s[6:7] scale_offset
	;; [unrolled: 1-line block ×4, first 2 shown]
	s_wait_loadcnt 0xa
	scratch_store_b128 off, v[64:67], off offset:64
	s_clause 0x2
	global_load_b64 v[58:59], v44, s[6:7] scale_offset
	global_load_b64 v[60:61], v46, s[6:7] scale_offset
	;; [unrolled: 1-line block ×3, first 2 shown]
	s_wait_loadcnt 0xb
	scratch_store_b128 off, v[68:71], off offset:80
	s_wait_loadcnt 0x9
	scratch_store_b128 off, v[72:75], off offset:96
	;; [unrolled: 2-line block ×6, first 2 shown]
	s_wait_loadcnt 0x0
	scratch_store_b64 off, v[62:63], off offset:176
	s_cbranch_vccz .LBB22_7
; %bb.2:
	scratch_load_b64 v[50:51], v0, off scale_offset
                                        ; implicit-def: $vgpr55
                                        ; implicit-def: $vgpr52
	s_wait_loadcnt 0x0
	v_cmp_ngt_f32_e64 s0, |v50|, |v51|
	s_wait_xcnt 0x0
	s_and_saveexec_b32 s1, s0
	s_delay_alu instid0(SALU_CYCLE_1)
	s_xor_b32 s0, exec_lo, s1
	s_cbranch_execz .LBB22_4
; %bb.3:
	v_div_scale_f32 v1, null, v51, v51, v50
	v_div_scale_f32 v11, vcc_lo, v50, v51, v50
	s_delay_alu instid0(VALU_DEP_2) | instskip(SKIP_1) | instid1(TRANS32_DEP_1)
	v_rcp_f32_e32 v7, v1
	v_nop
	v_fma_f32 v9, -v1, v7, 1.0
	s_delay_alu instid0(VALU_DEP_1) | instskip(NEXT) | instid1(VALU_DEP_1)
	v_fmac_f32_e32 v7, v9, v7
	v_mul_f32_e32 v9, v11, v7
	s_delay_alu instid0(VALU_DEP_1) | instskip(NEXT) | instid1(VALU_DEP_1)
	v_fma_f32 v13, -v1, v9, v11
	v_fmac_f32_e32 v9, v13, v7
	s_delay_alu instid0(VALU_DEP_1) | instskip(NEXT) | instid1(VALU_DEP_1)
	v_fma_f32 v1, -v1, v9, v11
	v_div_fmas_f32 v1, v1, v7, v9
	s_delay_alu instid0(VALU_DEP_1) | instskip(NEXT) | instid1(VALU_DEP_1)
	v_div_fixup_f32 v1, v1, v51, v50
	v_fmac_f32_e32 v51, v50, v1
	s_delay_alu instid0(VALU_DEP_1) | instskip(NEXT) | instid1(VALU_DEP_1)
	v_div_scale_f32 v7, null, v51, v51, -1.0
	v_rcp_f32_e32 v9, v7
	v_nop
	s_delay_alu instid0(TRANS32_DEP_1) | instskip(NEXT) | instid1(VALU_DEP_1)
	v_fma_f32 v11, -v7, v9, 1.0
	v_fmac_f32_e32 v9, v11, v9
	v_div_scale_f32 v11, vcc_lo, -1.0, v51, -1.0
	s_delay_alu instid0(VALU_DEP_1) | instskip(NEXT) | instid1(VALU_DEP_1)
	v_mul_f32_e32 v13, v11, v9
	v_fma_f32 v15, -v7, v13, v11
	s_delay_alu instid0(VALU_DEP_1) | instskip(NEXT) | instid1(VALU_DEP_1)
	v_fmac_f32_e32 v13, v15, v9
	v_fma_f32 v7, -v7, v13, v11
	s_delay_alu instid0(VALU_DEP_1) | instskip(NEXT) | instid1(VALU_DEP_1)
	v_div_fmas_f32 v7, v7, v9, v13
	v_div_fixup_f32 v55, v7, v51, -1.0
                                        ; implicit-def: $vgpr50_vgpr51
	s_delay_alu instid0(VALU_DEP_1) | instskip(NEXT) | instid1(VALU_DEP_1)
	v_mul_f32_e32 v52, v1, v55
	v_xor_b32_e32 v54, 0x80000000, v52
.LBB22_4:
	s_or_saveexec_b32 s0, s0
	v_lshl_add_u32 v1, v0, 3, 0
	s_xor_b32 exec_lo, exec_lo, s0
	s_cbranch_execz .LBB22_6
; %bb.5:
	v_div_scale_f32 v7, null, v50, v50, v51
	v_div_scale_f32 v13, vcc_lo, v51, v50, v51
	s_delay_alu instid0(VALU_DEP_2) | instskip(SKIP_1) | instid1(TRANS32_DEP_1)
	v_rcp_f32_e32 v9, v7
	v_nop
	v_fma_f32 v11, -v7, v9, 1.0
	s_delay_alu instid0(VALU_DEP_1) | instskip(NEXT) | instid1(VALU_DEP_1)
	v_fmac_f32_e32 v9, v11, v9
	v_mul_f32_e32 v11, v13, v9
	s_delay_alu instid0(VALU_DEP_1) | instskip(NEXT) | instid1(VALU_DEP_1)
	v_fma_f32 v15, -v7, v11, v13
	v_fmac_f32_e32 v11, v15, v9
	s_delay_alu instid0(VALU_DEP_1) | instskip(NEXT) | instid1(VALU_DEP_1)
	v_fma_f32 v7, -v7, v11, v13
	v_div_fmas_f32 v7, v7, v9, v11
	s_delay_alu instid0(VALU_DEP_1) | instskip(NEXT) | instid1(VALU_DEP_1)
	v_div_fixup_f32 v7, v7, v50, v51
	v_fmac_f32_e32 v50, v51, v7
	s_delay_alu instid0(VALU_DEP_1) | instskip(SKIP_1) | instid1(VALU_DEP_2)
	v_div_scale_f32 v9, null, v50, v50, 1.0
	v_div_scale_f32 v15, vcc_lo, 1.0, v50, 1.0
	v_rcp_f32_e32 v11, v9
	v_nop
	s_delay_alu instid0(TRANS32_DEP_1) | instskip(NEXT) | instid1(VALU_DEP_1)
	v_fma_f32 v13, -v9, v11, 1.0
	v_fmac_f32_e32 v11, v13, v11
	s_delay_alu instid0(VALU_DEP_1) | instskip(NEXT) | instid1(VALU_DEP_1)
	v_mul_f32_e32 v13, v15, v11
	v_fma_f32 v17, -v9, v13, v15
	s_delay_alu instid0(VALU_DEP_1) | instskip(NEXT) | instid1(VALU_DEP_1)
	v_fmac_f32_e32 v13, v17, v11
	v_fma_f32 v9, -v9, v13, v15
	s_delay_alu instid0(VALU_DEP_1) | instskip(NEXT) | instid1(VALU_DEP_1)
	v_div_fmas_f32 v9, v9, v11, v13
	v_div_fixup_f32 v54, v9, v50, 1.0
	s_delay_alu instid0(VALU_DEP_1)
	v_xor_b32_e32 v52, 0x80000000, v54
	v_mul_f32_e64 v55, v7, -v54
.LBB22_6:
	s_or_b32 exec_lo, exec_lo, s0
	s_delay_alu instid0(VALU_DEP_1)
	v_xor_b32_e32 v53, 0x80000000, v55
	s_mov_b32 s0, 0
	scratch_store_b64 v1, v[54:55], off
	ds_store_b64 v38, v[52:53]
.LBB22_7:
	s_and_b32 vcc_lo, exec_lo, s0
	s_cbranch_vccz .LBB22_9
; %bb.8:
	s_mov_b64 s[0:1], 0xbf800000
	s_wait_xcnt 0x3
	v_mov_b64_e32 v[50:51], s[0:1]
	ds_store_b64 v38, v[50:51]
.LBB22_9:
	v_dual_ashrrev_i32 v7, 31, v6 :: v_dual_ashrrev_i32 v9, 31, v8
	v_dual_ashrrev_i32 v11, 31, v10 :: v_dual_ashrrev_i32 v13, 31, v12
	;; [unrolled: 1-line block ×10, first 2 shown]
	v_dual_ashrrev_i32 v49, 31, v48 :: v_dual_mov_b32 v39, v38
	s_wait_xcnt 0x0
	v_add_nc_u32_e32 v1, 0xc0, v38
	s_cmp_eq_u32 s4, 0x79
	s_cbranch_scc1 .LBB22_13
; %bb.10:
	scratch_load_b64 v[50:51], off, off offset:168
	v_cmp_eq_u32_e64 s1, 22, v0
	s_movk_i32 s0, 0x50
	s_movk_i32 s10, 0x60
	;; [unrolled: 1-line block ×6, first 2 shown]
	s_wait_loadcnt 0x0
	ds_store_b64 v1, v[50:51]
	s_wait_storecnt_dscnt 0x0
	s_barrier_signal -1
	s_barrier_wait -1
	s_wait_xcnt 0x0
	s_and_saveexec_b32 s2, s1
	s_cbranch_execz .LBB22_17
; %bb.11:
	s_and_b32 vcc_lo, exec_lo, s3
	s_cbranch_vccz .LBB22_14
; %bb.12:
	scratch_load_b64 v[50:51], v39, off
	ds_load_b64 v[52:53], v1
	s_wait_loadcnt_dscnt 0x0
	v_pk_mul_f32 v[54:55], v[52:53], v[50:51] op_sel:[1,1] op_sel_hi:[0,1]
	v_pk_mul_f32 v[56:57], v[52:53], v[50:51] op_sel_hi:[1,0]
	s_delay_alu instid0(VALU_DEP_2) | instskip(NEXT) | instid1(VALU_DEP_2)
	v_pk_fma_f32 v[50:51], v[52:53], v[50:51], v[54:55] op_sel_hi:[1,0,1]
	v_sub_f32_e32 v50, v56, v54
	s_cbranch_execz .LBB22_15
	s_branch .LBB22_16
.LBB22_13:
	s_mov_b32 s1, 0
                                        ; implicit-def: $vgpr54
                                        ; implicit-def: $sgpr5
	s_cbranch_execnz .LBB22_226
	s_branch .LBB22_441
.LBB22_14:
                                        ; implicit-def: $vgpr51
.LBB22_15:
	ds_load_b64 v[50:51], v1
.LBB22_16:
	s_wait_dscnt 0x0
	v_dual_mov_b32 v52, 0 :: v_dual_mov_b32 v54, v51
	v_mov_b32_e32 v55, v50
	ds_load_b64 v[52:53], v52 offset:168
	s_wait_dscnt 0x0
	v_pk_mul_f32 v[54:55], v[54:55], v[52:53] op_sel:[0,1]
	s_delay_alu instid0(VALU_DEP_1) | instskip(SKIP_1) | instid1(VALU_DEP_2)
	v_pk_fma_f32 v[56:57], v[50:51], v[52:53], v[54:55] op_sel_hi:[1,0,1]
	v_pk_fma_f32 v[50:51], v[50:51], v[52:53], v[54:55] neg_lo:[0,0,1] neg_hi:[0,0,1]
	v_mov_b32_e32 v51, v57
	scratch_store_b64 off, v[50:51], off offset:168
.LBB22_17:
	s_wait_xcnt 0x0
	s_or_b32 exec_lo, exec_lo, s2
	scratch_load_b64 v[50:51], off, off offset:160
	s_mov_b32 s9, s0
	v_cmp_lt_u32_e64 s0, 20, v0
	s_mov_b32 s4, 16
	s_mov_b32 s5, 32
	s_mov_b32 s2, 48
	s_mov_b32 s8, 64
	s_wait_loadcnt 0x0
	ds_store_b64 v1, v[50:51]
	s_wait_storecnt_dscnt 0x0
	s_barrier_signal -1
	s_barrier_wait -1
	s_wait_xcnt 0x0
	s_and_saveexec_b32 s15, s0
	s_cbranch_execz .LBB22_25
; %bb.18:
	s_and_not1_b32 vcc_lo, exec_lo, s3
	s_cbranch_vccnz .LBB22_20
; %bb.19:
	scratch_load_b64 v[50:51], v39, off
	ds_load_b64 v[52:53], v1
	s_wait_loadcnt_dscnt 0x0
	v_pk_mul_f32 v[54:55], v[52:53], v[50:51] op_sel:[1,1] op_sel_hi:[0,1]
	s_delay_alu instid0(VALU_DEP_1) | instskip(SKIP_1) | instid1(VALU_DEP_2)
	v_pk_fma_f32 v[56:57], v[52:53], v[50:51], v[54:55] op_sel_hi:[1,0,1]
	v_pk_fma_f32 v[50:51], v[52:53], v[50:51], v[54:55] neg_lo:[0,0,1] neg_hi:[0,0,1]
	v_mov_b32_e32 v51, v57
	s_cbranch_execz .LBB22_21
	s_branch .LBB22_22
.LBB22_20:
                                        ; implicit-def: $vgpr50_vgpr51
.LBB22_21:
	ds_load_b64 v[50:51], v1
.LBB22_22:
	s_and_saveexec_b32 s16, s1
	s_cbranch_execz .LBB22_24
; %bb.23:
	scratch_load_b64 v[52:53], off, off offset:168
	v_mov_b32_e32 v54, 0
	ds_load_b64 v[54:55], v54 offset:360
	s_wait_loadcnt_dscnt 0x0
	v_pk_mul_f32 v[56:57], v[54:55], v[52:53] op_sel:[1,1] op_sel_hi:[0,1]
	s_delay_alu instid0(VALU_DEP_1) | instskip(SKIP_1) | instid1(VALU_DEP_2)
	v_pk_fma_f32 v[58:59], v[54:55], v[52:53], v[56:57] op_sel_hi:[1,0,1]
	v_pk_fma_f32 v[52:53], v[54:55], v[52:53], v[56:57] neg_lo:[0,0,1] neg_hi:[0,0,1]
	v_mov_b32_e32 v53, v59
	s_delay_alu instid0(VALU_DEP_1)
	v_pk_add_f32 v[50:51], v[50:51], v[52:53]
.LBB22_24:
	s_or_b32 exec_lo, exec_lo, s16
	v_mov_b32_e32 v52, 0
	ds_load_b64 v[52:53], v52 offset:160
	s_wait_dscnt 0x0
	v_pk_mul_f32 v[54:55], v[50:51], v[52:53] op_sel:[1,1] op_sel_hi:[0,1]
	s_delay_alu instid0(VALU_DEP_1) | instskip(SKIP_1) | instid1(VALU_DEP_2)
	v_pk_fma_f32 v[56:57], v[50:51], v[52:53], v[54:55] op_sel_hi:[1,0,1]
	v_pk_fma_f32 v[50:51], v[50:51], v[52:53], v[54:55] neg_lo:[0,0,1] neg_hi:[0,0,1]
	v_mov_b32_e32 v51, v57
	scratch_store_b64 off, v[50:51], off offset:160
.LBB22_25:
	s_wait_xcnt 0x0
	s_or_b32 exec_lo, exec_lo, s15
	scratch_load_b64 v[50:51], off, off offset:152
	v_cmp_lt_u32_e64 s1, 19, v0
	s_wait_loadcnt 0x0
	ds_store_b64 v1, v[50:51]
	s_wait_storecnt_dscnt 0x0
	s_barrier_signal -1
	s_barrier_wait -1
	s_wait_xcnt 0x0
	s_and_saveexec_b32 s15, s1
	s_cbranch_execz .LBB22_35
; %bb.26:
	s_and_not1_b32 vcc_lo, exec_lo, s3
	s_cbranch_vccnz .LBB22_28
; %bb.27:
	scratch_load_b64 v[50:51], v39, off
	ds_load_b64 v[52:53], v1
	s_wait_loadcnt_dscnt 0x0
	v_pk_mul_f32 v[54:55], v[52:53], v[50:51] op_sel:[1,1] op_sel_hi:[0,1]
	s_delay_alu instid0(VALU_DEP_1) | instskip(SKIP_1) | instid1(VALU_DEP_2)
	v_pk_fma_f32 v[56:57], v[52:53], v[50:51], v[54:55] op_sel_hi:[1,0,1]
	v_pk_fma_f32 v[50:51], v[52:53], v[50:51], v[54:55] neg_lo:[0,0,1] neg_hi:[0,0,1]
	v_mov_b32_e32 v51, v57
	s_cbranch_execz .LBB22_29
	s_branch .LBB22_30
.LBB22_28:
                                        ; implicit-def: $vgpr50_vgpr51
.LBB22_29:
	ds_load_b64 v[50:51], v1
.LBB22_30:
	s_and_saveexec_b32 s16, s0
	s_cbranch_execz .LBB22_34
; %bb.31:
	v_subrev_nc_u32_e32 v52, 20, v0
	s_movk_i32 s17, 0x160
	s_mov_b32 s0, 0
.LBB22_32:                              ; =>This Inner Loop Header: Depth=1
	scratch_load_b64 v[54:55], off, s14
	v_dual_mov_b32 v53, s17 :: v_dual_add_nc_u32 v52, -1, v52
	s_add_co_i32 s17, s17, 8
	s_wait_xcnt 0x0
	s_add_co_i32 s14, s14, 8
	ds_load_b64 v[56:57], v53
	v_cmp_eq_u32_e32 vcc_lo, 0, v52
	s_or_b32 s0, vcc_lo, s0
	s_wait_loadcnt_dscnt 0x0
	v_pk_mul_f32 v[58:59], v[56:57], v[54:55] op_sel:[1,1] op_sel_hi:[0,1]
	s_delay_alu instid0(VALU_DEP_1) | instskip(SKIP_1) | instid1(VALU_DEP_2)
	v_pk_fma_f32 v[60:61], v[56:57], v[54:55], v[58:59] op_sel_hi:[1,0,1]
	v_pk_fma_f32 v[54:55], v[56:57], v[54:55], v[58:59] neg_lo:[0,0,1] neg_hi:[0,0,1]
	v_mov_b32_e32 v55, v61
	s_delay_alu instid0(VALU_DEP_1)
	v_pk_add_f32 v[50:51], v[50:51], v[54:55]
	s_and_not1_b32 exec_lo, exec_lo, s0
	s_cbranch_execnz .LBB22_32
; %bb.33:
	s_or_b32 exec_lo, exec_lo, s0
.LBB22_34:
	s_delay_alu instid0(SALU_CYCLE_1) | instskip(SKIP_4) | instid1(VALU_DEP_1)
	s_or_b32 exec_lo, exec_lo, s16
	v_mov_b32_e32 v52, 0
	ds_load_b64 v[52:53], v52 offset:152
	s_wait_dscnt 0x0
	v_pk_mul_f32 v[54:55], v[50:51], v[52:53] op_sel:[1,1] op_sel_hi:[0,1]
	v_pk_fma_f32 v[56:57], v[50:51], v[52:53], v[54:55] op_sel_hi:[1,0,1]
	v_pk_fma_f32 v[50:51], v[50:51], v[52:53], v[54:55] neg_lo:[0,0,1] neg_hi:[0,0,1]
	s_delay_alu instid0(VALU_DEP_2)
	v_mov_b32_e32 v51, v57
	scratch_store_b64 off, v[50:51], off offset:152
.LBB22_35:
	s_wait_xcnt 0x0
	s_or_b32 exec_lo, exec_lo, s15
	scratch_load_b64 v[50:51], off, off offset:144
	v_cmp_lt_u32_e64 s0, 18, v0
	s_wait_loadcnt 0x0
	ds_store_b64 v1, v[50:51]
	s_wait_storecnt_dscnt 0x0
	s_barrier_signal -1
	s_barrier_wait -1
	s_wait_xcnt 0x0
	s_and_saveexec_b32 s14, s0
	s_cbranch_execz .LBB22_45
; %bb.36:
	s_and_not1_b32 vcc_lo, exec_lo, s3
	s_cbranch_vccnz .LBB22_38
; %bb.37:
	scratch_load_b64 v[50:51], v39, off
	ds_load_b64 v[52:53], v1
	s_wait_loadcnt_dscnt 0x0
	v_pk_mul_f32 v[54:55], v[52:53], v[50:51] op_sel:[1,1] op_sel_hi:[0,1]
	s_delay_alu instid0(VALU_DEP_1) | instskip(SKIP_1) | instid1(VALU_DEP_2)
	v_pk_fma_f32 v[56:57], v[52:53], v[50:51], v[54:55] op_sel_hi:[1,0,1]
	v_pk_fma_f32 v[50:51], v[52:53], v[50:51], v[54:55] neg_lo:[0,0,1] neg_hi:[0,0,1]
	v_mov_b32_e32 v51, v57
	s_cbranch_execz .LBB22_39
	s_branch .LBB22_40
.LBB22_38:
                                        ; implicit-def: $vgpr50_vgpr51
.LBB22_39:
	ds_load_b64 v[50:51], v1
.LBB22_40:
	s_and_saveexec_b32 s15, s1
	s_cbranch_execz .LBB22_44
; %bb.41:
	v_subrev_nc_u32_e32 v52, 19, v0
	s_movk_i32 s1, 0x98
	s_movk_i32 s17, 0x158
	s_mov_b32 s16, 0
.LBB22_42:                              ; =>This Inner Loop Header: Depth=1
	scratch_load_b64 v[54:55], off, s1
	v_dual_mov_b32 v53, s17 :: v_dual_add_nc_u32 v52, -1, v52
	s_add_co_i32 s17, s17, 8
	s_wait_xcnt 0x0
	s_add_co_i32 s1, s1, 8
	ds_load_b64 v[56:57], v53
	v_cmp_eq_u32_e32 vcc_lo, 0, v52
	s_or_b32 s16, vcc_lo, s16
	s_wait_loadcnt_dscnt 0x0
	v_pk_mul_f32 v[58:59], v[56:57], v[54:55] op_sel:[1,1] op_sel_hi:[0,1]
	s_delay_alu instid0(VALU_DEP_1) | instskip(SKIP_1) | instid1(VALU_DEP_2)
	v_pk_fma_f32 v[60:61], v[56:57], v[54:55], v[58:59] op_sel_hi:[1,0,1]
	v_pk_fma_f32 v[54:55], v[56:57], v[54:55], v[58:59] neg_lo:[0,0,1] neg_hi:[0,0,1]
	v_mov_b32_e32 v55, v61
	s_delay_alu instid0(VALU_DEP_1)
	v_pk_add_f32 v[50:51], v[50:51], v[54:55]
	s_and_not1_b32 exec_lo, exec_lo, s16
	s_cbranch_execnz .LBB22_42
; %bb.43:
	s_or_b32 exec_lo, exec_lo, s16
.LBB22_44:
	s_delay_alu instid0(SALU_CYCLE_1) | instskip(SKIP_4) | instid1(VALU_DEP_1)
	s_or_b32 exec_lo, exec_lo, s15
	v_mov_b32_e32 v52, 0
	ds_load_b64 v[52:53], v52 offset:144
	s_wait_dscnt 0x0
	v_pk_mul_f32 v[54:55], v[50:51], v[52:53] op_sel:[1,1] op_sel_hi:[0,1]
	v_pk_fma_f32 v[56:57], v[50:51], v[52:53], v[54:55] op_sel_hi:[1,0,1]
	v_pk_fma_f32 v[50:51], v[50:51], v[52:53], v[54:55] neg_lo:[0,0,1] neg_hi:[0,0,1]
	s_delay_alu instid0(VALU_DEP_2)
	v_mov_b32_e32 v51, v57
	scratch_store_b64 off, v[50:51], off offset:144
.LBB22_45:
	s_wait_xcnt 0x0
	s_or_b32 exec_lo, exec_lo, s14
	scratch_load_b64 v[50:51], off, off offset:136
	v_cmp_lt_u32_e64 s1, 17, v0
	s_wait_loadcnt 0x0
	ds_store_b64 v1, v[50:51]
	s_wait_storecnt_dscnt 0x0
	s_barrier_signal -1
	s_barrier_wait -1
	s_wait_xcnt 0x0
	s_and_saveexec_b32 s14, s1
	s_cbranch_execz .LBB22_55
; %bb.46:
	s_and_not1_b32 vcc_lo, exec_lo, s3
	s_cbranch_vccnz .LBB22_48
; %bb.47:
	scratch_load_b64 v[50:51], v39, off
	ds_load_b64 v[52:53], v1
	s_wait_loadcnt_dscnt 0x0
	v_pk_mul_f32 v[54:55], v[52:53], v[50:51] op_sel:[1,1] op_sel_hi:[0,1]
	s_delay_alu instid0(VALU_DEP_1) | instskip(SKIP_1) | instid1(VALU_DEP_2)
	v_pk_fma_f32 v[56:57], v[52:53], v[50:51], v[54:55] op_sel_hi:[1,0,1]
	v_pk_fma_f32 v[50:51], v[52:53], v[50:51], v[54:55] neg_lo:[0,0,1] neg_hi:[0,0,1]
	v_mov_b32_e32 v51, v57
	s_cbranch_execz .LBB22_49
	s_branch .LBB22_50
.LBB22_48:
                                        ; implicit-def: $vgpr50_vgpr51
.LBB22_49:
	ds_load_b64 v[50:51], v1
.LBB22_50:
	s_and_saveexec_b32 s15, s0
	s_cbranch_execz .LBB22_54
; %bb.51:
	v_subrev_nc_u32_e32 v52, 18, v0
	s_movk_i32 s16, 0x150
	s_mov_b32 s0, 0
.LBB22_52:                              ; =>This Inner Loop Header: Depth=1
	scratch_load_b64 v[54:55], off, s13
	v_dual_mov_b32 v53, s16 :: v_dual_add_nc_u32 v52, -1, v52
	s_add_co_i32 s16, s16, 8
	s_wait_xcnt 0x0
	s_add_co_i32 s13, s13, 8
	ds_load_b64 v[56:57], v53
	v_cmp_eq_u32_e32 vcc_lo, 0, v52
	s_or_b32 s0, vcc_lo, s0
	s_wait_loadcnt_dscnt 0x0
	v_pk_mul_f32 v[58:59], v[56:57], v[54:55] op_sel:[1,1] op_sel_hi:[0,1]
	s_delay_alu instid0(VALU_DEP_1) | instskip(SKIP_1) | instid1(VALU_DEP_2)
	v_pk_fma_f32 v[60:61], v[56:57], v[54:55], v[58:59] op_sel_hi:[1,0,1]
	v_pk_fma_f32 v[54:55], v[56:57], v[54:55], v[58:59] neg_lo:[0,0,1] neg_hi:[0,0,1]
	v_mov_b32_e32 v55, v61
	s_delay_alu instid0(VALU_DEP_1)
	v_pk_add_f32 v[50:51], v[50:51], v[54:55]
	s_and_not1_b32 exec_lo, exec_lo, s0
	s_cbranch_execnz .LBB22_52
; %bb.53:
	s_or_b32 exec_lo, exec_lo, s0
.LBB22_54:
	s_delay_alu instid0(SALU_CYCLE_1) | instskip(SKIP_4) | instid1(VALU_DEP_1)
	s_or_b32 exec_lo, exec_lo, s15
	v_mov_b32_e32 v52, 0
	ds_load_b64 v[52:53], v52 offset:136
	s_wait_dscnt 0x0
	v_pk_mul_f32 v[54:55], v[50:51], v[52:53] op_sel:[1,1] op_sel_hi:[0,1]
	v_pk_fma_f32 v[56:57], v[50:51], v[52:53], v[54:55] op_sel_hi:[1,0,1]
	v_pk_fma_f32 v[50:51], v[50:51], v[52:53], v[54:55] neg_lo:[0,0,1] neg_hi:[0,0,1]
	s_delay_alu instid0(VALU_DEP_2)
	v_mov_b32_e32 v51, v57
	scratch_store_b64 off, v[50:51], off offset:136
.LBB22_55:
	s_wait_xcnt 0x0
	s_or_b32 exec_lo, exec_lo, s14
	scratch_load_b64 v[50:51], off, off offset:128
	v_cmp_lt_u32_e64 s0, 16, v0
	s_wait_loadcnt 0x0
	ds_store_b64 v1, v[50:51]
	s_wait_storecnt_dscnt 0x0
	s_barrier_signal -1
	s_barrier_wait -1
	s_wait_xcnt 0x0
	s_and_saveexec_b32 s13, s0
	s_cbranch_execz .LBB22_65
; %bb.56:
	s_and_not1_b32 vcc_lo, exec_lo, s3
	s_cbranch_vccnz .LBB22_58
; %bb.57:
	scratch_load_b64 v[50:51], v39, off
	ds_load_b64 v[52:53], v1
	s_wait_loadcnt_dscnt 0x0
	v_pk_mul_f32 v[54:55], v[52:53], v[50:51] op_sel:[1,1] op_sel_hi:[0,1]
	s_delay_alu instid0(VALU_DEP_1) | instskip(SKIP_1) | instid1(VALU_DEP_2)
	v_pk_fma_f32 v[56:57], v[52:53], v[50:51], v[54:55] op_sel_hi:[1,0,1]
	v_pk_fma_f32 v[50:51], v[52:53], v[50:51], v[54:55] neg_lo:[0,0,1] neg_hi:[0,0,1]
	v_mov_b32_e32 v51, v57
	s_cbranch_execz .LBB22_59
	s_branch .LBB22_60
.LBB22_58:
                                        ; implicit-def: $vgpr50_vgpr51
.LBB22_59:
	ds_load_b64 v[50:51], v1
.LBB22_60:
	s_and_saveexec_b32 s14, s1
	s_cbranch_execz .LBB22_64
; %bb.61:
	v_subrev_nc_u32_e32 v52, 17, v0
	s_movk_i32 s1, 0x88
	s_movk_i32 s16, 0x148
	s_mov_b32 s15, 0
.LBB22_62:                              ; =>This Inner Loop Header: Depth=1
	scratch_load_b64 v[54:55], off, s1
	v_dual_mov_b32 v53, s16 :: v_dual_add_nc_u32 v52, -1, v52
	s_add_co_i32 s16, s16, 8
	s_wait_xcnt 0x0
	s_add_co_i32 s1, s1, 8
	ds_load_b64 v[56:57], v53
	v_cmp_eq_u32_e32 vcc_lo, 0, v52
	s_or_b32 s15, vcc_lo, s15
	s_wait_loadcnt_dscnt 0x0
	v_pk_mul_f32 v[58:59], v[56:57], v[54:55] op_sel:[1,1] op_sel_hi:[0,1]
	s_delay_alu instid0(VALU_DEP_1) | instskip(SKIP_1) | instid1(VALU_DEP_2)
	v_pk_fma_f32 v[60:61], v[56:57], v[54:55], v[58:59] op_sel_hi:[1,0,1]
	v_pk_fma_f32 v[54:55], v[56:57], v[54:55], v[58:59] neg_lo:[0,0,1] neg_hi:[0,0,1]
	v_mov_b32_e32 v55, v61
	s_delay_alu instid0(VALU_DEP_1)
	v_pk_add_f32 v[50:51], v[50:51], v[54:55]
	s_and_not1_b32 exec_lo, exec_lo, s15
	s_cbranch_execnz .LBB22_62
; %bb.63:
	s_or_b32 exec_lo, exec_lo, s15
.LBB22_64:
	s_delay_alu instid0(SALU_CYCLE_1) | instskip(SKIP_4) | instid1(VALU_DEP_1)
	s_or_b32 exec_lo, exec_lo, s14
	v_mov_b32_e32 v52, 0
	ds_load_b64 v[52:53], v52 offset:128
	s_wait_dscnt 0x0
	v_pk_mul_f32 v[54:55], v[50:51], v[52:53] op_sel:[1,1] op_sel_hi:[0,1]
	v_pk_fma_f32 v[56:57], v[50:51], v[52:53], v[54:55] op_sel_hi:[1,0,1]
	v_pk_fma_f32 v[50:51], v[50:51], v[52:53], v[54:55] neg_lo:[0,0,1] neg_hi:[0,0,1]
	s_delay_alu instid0(VALU_DEP_2)
	v_mov_b32_e32 v51, v57
	scratch_store_b64 off, v[50:51], off offset:128
.LBB22_65:
	s_wait_xcnt 0x0
	s_or_b32 exec_lo, exec_lo, s13
	scratch_load_b64 v[50:51], off, off offset:120
	v_cmp_lt_u32_e64 s1, 15, v0
	s_wait_loadcnt 0x0
	ds_store_b64 v1, v[50:51]
	s_wait_storecnt_dscnt 0x0
	s_barrier_signal -1
	s_barrier_wait -1
	s_wait_xcnt 0x0
	s_and_saveexec_b32 s13, s1
	s_cbranch_execz .LBB22_75
; %bb.66:
	s_and_not1_b32 vcc_lo, exec_lo, s3
	s_cbranch_vccnz .LBB22_68
; %bb.67:
	scratch_load_b64 v[50:51], v39, off
	ds_load_b64 v[52:53], v1
	s_wait_loadcnt_dscnt 0x0
	v_pk_mul_f32 v[54:55], v[52:53], v[50:51] op_sel:[1,1] op_sel_hi:[0,1]
	s_delay_alu instid0(VALU_DEP_1) | instskip(SKIP_1) | instid1(VALU_DEP_2)
	v_pk_fma_f32 v[56:57], v[52:53], v[50:51], v[54:55] op_sel_hi:[1,0,1]
	v_pk_fma_f32 v[50:51], v[52:53], v[50:51], v[54:55] neg_lo:[0,0,1] neg_hi:[0,0,1]
	v_mov_b32_e32 v51, v57
	s_cbranch_execz .LBB22_69
	s_branch .LBB22_70
.LBB22_68:
                                        ; implicit-def: $vgpr50_vgpr51
.LBB22_69:
	ds_load_b64 v[50:51], v1
.LBB22_70:
	s_and_saveexec_b32 s14, s0
	s_cbranch_execz .LBB22_74
; %bb.71:
	v_add_nc_u32_e32 v52, -16, v0
	s_movk_i32 s15, 0x140
	s_mov_b32 s0, 0
.LBB22_72:                              ; =>This Inner Loop Header: Depth=1
	scratch_load_b64 v[54:55], off, s12
	v_dual_mov_b32 v53, s15 :: v_dual_add_nc_u32 v52, -1, v52
	s_add_co_i32 s15, s15, 8
	s_wait_xcnt 0x0
	s_add_co_i32 s12, s12, 8
	ds_load_b64 v[56:57], v53
	v_cmp_eq_u32_e32 vcc_lo, 0, v52
	s_or_b32 s0, vcc_lo, s0
	s_wait_loadcnt_dscnt 0x0
	v_pk_mul_f32 v[58:59], v[56:57], v[54:55] op_sel:[1,1] op_sel_hi:[0,1]
	s_delay_alu instid0(VALU_DEP_1) | instskip(SKIP_1) | instid1(VALU_DEP_2)
	v_pk_fma_f32 v[60:61], v[56:57], v[54:55], v[58:59] op_sel_hi:[1,0,1]
	v_pk_fma_f32 v[54:55], v[56:57], v[54:55], v[58:59] neg_lo:[0,0,1] neg_hi:[0,0,1]
	v_mov_b32_e32 v55, v61
	s_delay_alu instid0(VALU_DEP_1)
	v_pk_add_f32 v[50:51], v[50:51], v[54:55]
	s_and_not1_b32 exec_lo, exec_lo, s0
	s_cbranch_execnz .LBB22_72
; %bb.73:
	s_or_b32 exec_lo, exec_lo, s0
.LBB22_74:
	s_delay_alu instid0(SALU_CYCLE_1) | instskip(SKIP_4) | instid1(VALU_DEP_1)
	s_or_b32 exec_lo, exec_lo, s14
	v_mov_b32_e32 v52, 0
	ds_load_b64 v[52:53], v52 offset:120
	s_wait_dscnt 0x0
	v_pk_mul_f32 v[54:55], v[50:51], v[52:53] op_sel:[1,1] op_sel_hi:[0,1]
	v_pk_fma_f32 v[56:57], v[50:51], v[52:53], v[54:55] op_sel_hi:[1,0,1]
	v_pk_fma_f32 v[50:51], v[50:51], v[52:53], v[54:55] neg_lo:[0,0,1] neg_hi:[0,0,1]
	s_delay_alu instid0(VALU_DEP_2)
	v_mov_b32_e32 v51, v57
	scratch_store_b64 off, v[50:51], off offset:120
.LBB22_75:
	s_wait_xcnt 0x0
	s_or_b32 exec_lo, exec_lo, s13
	scratch_load_b64 v[50:51], off, off offset:112
	v_cmp_lt_u32_e64 s0, 14, v0
	s_wait_loadcnt 0x0
	ds_store_b64 v1, v[50:51]
	s_wait_storecnt_dscnt 0x0
	s_barrier_signal -1
	s_barrier_wait -1
	s_wait_xcnt 0x0
	s_and_saveexec_b32 s12, s0
	s_cbranch_execz .LBB22_85
; %bb.76:
	s_and_not1_b32 vcc_lo, exec_lo, s3
	s_cbranch_vccnz .LBB22_78
; %bb.77:
	scratch_load_b64 v[50:51], v39, off
	ds_load_b64 v[52:53], v1
	s_wait_loadcnt_dscnt 0x0
	v_pk_mul_f32 v[54:55], v[52:53], v[50:51] op_sel:[1,1] op_sel_hi:[0,1]
	s_delay_alu instid0(VALU_DEP_1) | instskip(SKIP_1) | instid1(VALU_DEP_2)
	v_pk_fma_f32 v[56:57], v[52:53], v[50:51], v[54:55] op_sel_hi:[1,0,1]
	v_pk_fma_f32 v[50:51], v[52:53], v[50:51], v[54:55] neg_lo:[0,0,1] neg_hi:[0,0,1]
	v_mov_b32_e32 v51, v57
	s_cbranch_execz .LBB22_79
	s_branch .LBB22_80
.LBB22_78:
                                        ; implicit-def: $vgpr50_vgpr51
.LBB22_79:
	ds_load_b64 v[50:51], v1
.LBB22_80:
	s_and_saveexec_b32 s13, s1
	s_cbranch_execz .LBB22_84
; %bb.81:
	v_add_nc_u32_e32 v52, -15, v0
	s_movk_i32 s1, 0x78
	s_movk_i32 s15, 0x138
	s_mov_b32 s14, 0
.LBB22_82:                              ; =>This Inner Loop Header: Depth=1
	scratch_load_b64 v[54:55], off, s1
	v_dual_mov_b32 v53, s15 :: v_dual_add_nc_u32 v52, -1, v52
	s_add_co_i32 s15, s15, 8
	s_wait_xcnt 0x0
	s_add_co_i32 s1, s1, 8
	ds_load_b64 v[56:57], v53
	v_cmp_eq_u32_e32 vcc_lo, 0, v52
	s_or_b32 s14, vcc_lo, s14
	s_wait_loadcnt_dscnt 0x0
	v_pk_mul_f32 v[58:59], v[56:57], v[54:55] op_sel:[1,1] op_sel_hi:[0,1]
	s_delay_alu instid0(VALU_DEP_1) | instskip(SKIP_1) | instid1(VALU_DEP_2)
	v_pk_fma_f32 v[60:61], v[56:57], v[54:55], v[58:59] op_sel_hi:[1,0,1]
	v_pk_fma_f32 v[54:55], v[56:57], v[54:55], v[58:59] neg_lo:[0,0,1] neg_hi:[0,0,1]
	v_mov_b32_e32 v55, v61
	s_delay_alu instid0(VALU_DEP_1)
	v_pk_add_f32 v[50:51], v[50:51], v[54:55]
	s_and_not1_b32 exec_lo, exec_lo, s14
	s_cbranch_execnz .LBB22_82
; %bb.83:
	s_or_b32 exec_lo, exec_lo, s14
.LBB22_84:
	s_delay_alu instid0(SALU_CYCLE_1) | instskip(SKIP_4) | instid1(VALU_DEP_1)
	s_or_b32 exec_lo, exec_lo, s13
	v_mov_b32_e32 v52, 0
	ds_load_b64 v[52:53], v52 offset:112
	s_wait_dscnt 0x0
	v_pk_mul_f32 v[54:55], v[50:51], v[52:53] op_sel:[1,1] op_sel_hi:[0,1]
	v_pk_fma_f32 v[56:57], v[50:51], v[52:53], v[54:55] op_sel_hi:[1,0,1]
	v_pk_fma_f32 v[50:51], v[50:51], v[52:53], v[54:55] neg_lo:[0,0,1] neg_hi:[0,0,1]
	s_delay_alu instid0(VALU_DEP_2)
	v_mov_b32_e32 v51, v57
	scratch_store_b64 off, v[50:51], off offset:112
.LBB22_85:
	s_wait_xcnt 0x0
	s_or_b32 exec_lo, exec_lo, s12
	scratch_load_b64 v[50:51], off, off offset:104
	v_cmp_lt_u32_e64 s1, 13, v0
	s_wait_loadcnt 0x0
	ds_store_b64 v1, v[50:51]
	s_wait_storecnt_dscnt 0x0
	s_barrier_signal -1
	s_barrier_wait -1
	s_wait_xcnt 0x0
	s_and_saveexec_b32 s12, s1
	s_cbranch_execz .LBB22_95
; %bb.86:
	s_and_not1_b32 vcc_lo, exec_lo, s3
	s_cbranch_vccnz .LBB22_88
; %bb.87:
	scratch_load_b64 v[50:51], v39, off
	ds_load_b64 v[52:53], v1
	s_wait_loadcnt_dscnt 0x0
	v_pk_mul_f32 v[54:55], v[52:53], v[50:51] op_sel:[1,1] op_sel_hi:[0,1]
	s_delay_alu instid0(VALU_DEP_1) | instskip(SKIP_1) | instid1(VALU_DEP_2)
	v_pk_fma_f32 v[56:57], v[52:53], v[50:51], v[54:55] op_sel_hi:[1,0,1]
	v_pk_fma_f32 v[50:51], v[52:53], v[50:51], v[54:55] neg_lo:[0,0,1] neg_hi:[0,0,1]
	v_mov_b32_e32 v51, v57
	s_cbranch_execz .LBB22_89
	s_branch .LBB22_90
.LBB22_88:
                                        ; implicit-def: $vgpr50_vgpr51
.LBB22_89:
	ds_load_b64 v[50:51], v1
.LBB22_90:
	s_and_saveexec_b32 s13, s0
	s_cbranch_execz .LBB22_94
; %bb.91:
	v_add_nc_u32_e32 v52, -14, v0
	s_movk_i32 s14, 0x130
	s_mov_b32 s0, 0
.LBB22_92:                              ; =>This Inner Loop Header: Depth=1
	scratch_load_b64 v[54:55], off, s11
	v_dual_mov_b32 v53, s14 :: v_dual_add_nc_u32 v52, -1, v52
	s_add_co_i32 s14, s14, 8
	s_wait_xcnt 0x0
	s_add_co_i32 s11, s11, 8
	ds_load_b64 v[56:57], v53
	v_cmp_eq_u32_e32 vcc_lo, 0, v52
	s_or_b32 s0, vcc_lo, s0
	s_wait_loadcnt_dscnt 0x0
	v_pk_mul_f32 v[58:59], v[56:57], v[54:55] op_sel:[1,1] op_sel_hi:[0,1]
	s_delay_alu instid0(VALU_DEP_1) | instskip(SKIP_1) | instid1(VALU_DEP_2)
	v_pk_fma_f32 v[60:61], v[56:57], v[54:55], v[58:59] op_sel_hi:[1,0,1]
	v_pk_fma_f32 v[54:55], v[56:57], v[54:55], v[58:59] neg_lo:[0,0,1] neg_hi:[0,0,1]
	v_mov_b32_e32 v55, v61
	s_delay_alu instid0(VALU_DEP_1)
	v_pk_add_f32 v[50:51], v[50:51], v[54:55]
	s_and_not1_b32 exec_lo, exec_lo, s0
	s_cbranch_execnz .LBB22_92
; %bb.93:
	s_or_b32 exec_lo, exec_lo, s0
.LBB22_94:
	s_delay_alu instid0(SALU_CYCLE_1) | instskip(SKIP_4) | instid1(VALU_DEP_1)
	s_or_b32 exec_lo, exec_lo, s13
	v_mov_b32_e32 v52, 0
	ds_load_b64 v[52:53], v52 offset:104
	s_wait_dscnt 0x0
	v_pk_mul_f32 v[54:55], v[50:51], v[52:53] op_sel:[1,1] op_sel_hi:[0,1]
	v_pk_fma_f32 v[56:57], v[50:51], v[52:53], v[54:55] op_sel_hi:[1,0,1]
	v_pk_fma_f32 v[50:51], v[50:51], v[52:53], v[54:55] neg_lo:[0,0,1] neg_hi:[0,0,1]
	s_delay_alu instid0(VALU_DEP_2)
	v_mov_b32_e32 v51, v57
	scratch_store_b64 off, v[50:51], off offset:104
.LBB22_95:
	s_wait_xcnt 0x0
	s_or_b32 exec_lo, exec_lo, s12
	scratch_load_b64 v[50:51], off, off offset:96
	v_cmp_lt_u32_e64 s0, 12, v0
	s_wait_loadcnt 0x0
	ds_store_b64 v1, v[50:51]
	s_wait_storecnt_dscnt 0x0
	s_barrier_signal -1
	s_barrier_wait -1
	s_wait_xcnt 0x0
	s_and_saveexec_b32 s11, s0
	s_cbranch_execz .LBB22_105
; %bb.96:
	s_and_not1_b32 vcc_lo, exec_lo, s3
	s_cbranch_vccnz .LBB22_98
; %bb.97:
	scratch_load_b64 v[50:51], v39, off
	ds_load_b64 v[52:53], v1
	s_wait_loadcnt_dscnt 0x0
	v_pk_mul_f32 v[54:55], v[52:53], v[50:51] op_sel:[1,1] op_sel_hi:[0,1]
	s_delay_alu instid0(VALU_DEP_1) | instskip(SKIP_1) | instid1(VALU_DEP_2)
	v_pk_fma_f32 v[56:57], v[52:53], v[50:51], v[54:55] op_sel_hi:[1,0,1]
	v_pk_fma_f32 v[50:51], v[52:53], v[50:51], v[54:55] neg_lo:[0,0,1] neg_hi:[0,0,1]
	v_mov_b32_e32 v51, v57
	s_cbranch_execz .LBB22_99
	s_branch .LBB22_100
.LBB22_98:
                                        ; implicit-def: $vgpr50_vgpr51
.LBB22_99:
	ds_load_b64 v[50:51], v1
.LBB22_100:
	s_and_saveexec_b32 s12, s1
	s_cbranch_execz .LBB22_104
; %bb.101:
	v_add_nc_u32_e32 v52, -13, v0
	s_movk_i32 s1, 0x68
	s_movk_i32 s14, 0x128
	s_mov_b32 s13, 0
.LBB22_102:                             ; =>This Inner Loop Header: Depth=1
	scratch_load_b64 v[54:55], off, s1
	v_dual_mov_b32 v53, s14 :: v_dual_add_nc_u32 v52, -1, v52
	s_add_co_i32 s14, s14, 8
	s_wait_xcnt 0x0
	s_add_co_i32 s1, s1, 8
	ds_load_b64 v[56:57], v53
	v_cmp_eq_u32_e32 vcc_lo, 0, v52
	s_or_b32 s13, vcc_lo, s13
	s_wait_loadcnt_dscnt 0x0
	v_pk_mul_f32 v[58:59], v[56:57], v[54:55] op_sel:[1,1] op_sel_hi:[0,1]
	s_delay_alu instid0(VALU_DEP_1) | instskip(SKIP_1) | instid1(VALU_DEP_2)
	v_pk_fma_f32 v[60:61], v[56:57], v[54:55], v[58:59] op_sel_hi:[1,0,1]
	v_pk_fma_f32 v[54:55], v[56:57], v[54:55], v[58:59] neg_lo:[0,0,1] neg_hi:[0,0,1]
	v_mov_b32_e32 v55, v61
	s_delay_alu instid0(VALU_DEP_1)
	v_pk_add_f32 v[50:51], v[50:51], v[54:55]
	s_and_not1_b32 exec_lo, exec_lo, s13
	s_cbranch_execnz .LBB22_102
; %bb.103:
	s_or_b32 exec_lo, exec_lo, s13
.LBB22_104:
	s_delay_alu instid0(SALU_CYCLE_1) | instskip(SKIP_4) | instid1(VALU_DEP_1)
	s_or_b32 exec_lo, exec_lo, s12
	v_mov_b32_e32 v52, 0
	ds_load_b64 v[52:53], v52 offset:96
	s_wait_dscnt 0x0
	v_pk_mul_f32 v[54:55], v[50:51], v[52:53] op_sel:[1,1] op_sel_hi:[0,1]
	v_pk_fma_f32 v[56:57], v[50:51], v[52:53], v[54:55] op_sel_hi:[1,0,1]
	v_pk_fma_f32 v[50:51], v[50:51], v[52:53], v[54:55] neg_lo:[0,0,1] neg_hi:[0,0,1]
	s_delay_alu instid0(VALU_DEP_2)
	v_mov_b32_e32 v51, v57
	scratch_store_b64 off, v[50:51], off offset:96
.LBB22_105:
	s_wait_xcnt 0x0
	s_or_b32 exec_lo, exec_lo, s11
	scratch_load_b64 v[50:51], off, off offset:88
	v_cmp_lt_u32_e64 s1, 11, v0
	s_wait_loadcnt 0x0
	ds_store_b64 v1, v[50:51]
	s_wait_storecnt_dscnt 0x0
	s_barrier_signal -1
	s_barrier_wait -1
	s_wait_xcnt 0x0
	s_and_saveexec_b32 s11, s1
	s_cbranch_execz .LBB22_115
; %bb.106:
	s_and_not1_b32 vcc_lo, exec_lo, s3
	s_cbranch_vccnz .LBB22_108
; %bb.107:
	scratch_load_b64 v[50:51], v39, off
	ds_load_b64 v[52:53], v1
	s_wait_loadcnt_dscnt 0x0
	v_pk_mul_f32 v[54:55], v[52:53], v[50:51] op_sel:[1,1] op_sel_hi:[0,1]
	s_delay_alu instid0(VALU_DEP_1) | instskip(SKIP_1) | instid1(VALU_DEP_2)
	v_pk_fma_f32 v[56:57], v[52:53], v[50:51], v[54:55] op_sel_hi:[1,0,1]
	v_pk_fma_f32 v[50:51], v[52:53], v[50:51], v[54:55] neg_lo:[0,0,1] neg_hi:[0,0,1]
	v_mov_b32_e32 v51, v57
	s_cbranch_execz .LBB22_109
	s_branch .LBB22_110
.LBB22_108:
                                        ; implicit-def: $vgpr50_vgpr51
.LBB22_109:
	ds_load_b64 v[50:51], v1
.LBB22_110:
	s_and_saveexec_b32 s12, s0
	s_cbranch_execz .LBB22_114
; %bb.111:
	v_add_nc_u32_e32 v52, -12, v0
	s_movk_i32 s13, 0x120
	s_mov_b32 s0, 0
.LBB22_112:                             ; =>This Inner Loop Header: Depth=1
	scratch_load_b64 v[54:55], off, s10
	v_dual_mov_b32 v53, s13 :: v_dual_add_nc_u32 v52, -1, v52
	s_add_co_i32 s13, s13, 8
	s_wait_xcnt 0x0
	s_add_co_i32 s10, s10, 8
	ds_load_b64 v[56:57], v53
	v_cmp_eq_u32_e32 vcc_lo, 0, v52
	s_or_b32 s0, vcc_lo, s0
	s_wait_loadcnt_dscnt 0x0
	v_pk_mul_f32 v[58:59], v[56:57], v[54:55] op_sel:[1,1] op_sel_hi:[0,1]
	s_delay_alu instid0(VALU_DEP_1) | instskip(SKIP_1) | instid1(VALU_DEP_2)
	v_pk_fma_f32 v[60:61], v[56:57], v[54:55], v[58:59] op_sel_hi:[1,0,1]
	v_pk_fma_f32 v[54:55], v[56:57], v[54:55], v[58:59] neg_lo:[0,0,1] neg_hi:[0,0,1]
	v_mov_b32_e32 v55, v61
	s_delay_alu instid0(VALU_DEP_1)
	v_pk_add_f32 v[50:51], v[50:51], v[54:55]
	s_and_not1_b32 exec_lo, exec_lo, s0
	s_cbranch_execnz .LBB22_112
; %bb.113:
	s_or_b32 exec_lo, exec_lo, s0
.LBB22_114:
	s_delay_alu instid0(SALU_CYCLE_1) | instskip(SKIP_4) | instid1(VALU_DEP_1)
	s_or_b32 exec_lo, exec_lo, s12
	v_mov_b32_e32 v52, 0
	ds_load_b64 v[52:53], v52 offset:88
	s_wait_dscnt 0x0
	v_pk_mul_f32 v[54:55], v[50:51], v[52:53] op_sel:[1,1] op_sel_hi:[0,1]
	v_pk_fma_f32 v[56:57], v[50:51], v[52:53], v[54:55] op_sel_hi:[1,0,1]
	v_pk_fma_f32 v[50:51], v[50:51], v[52:53], v[54:55] neg_lo:[0,0,1] neg_hi:[0,0,1]
	s_delay_alu instid0(VALU_DEP_2)
	v_mov_b32_e32 v51, v57
	scratch_store_b64 off, v[50:51], off offset:88
.LBB22_115:
	s_wait_xcnt 0x0
	s_or_b32 exec_lo, exec_lo, s11
	scratch_load_b64 v[50:51], off, off offset:80
	v_cmp_lt_u32_e64 s0, 10, v0
	s_wait_loadcnt 0x0
	ds_store_b64 v1, v[50:51]
	s_wait_storecnt_dscnt 0x0
	s_barrier_signal -1
	s_barrier_wait -1
	s_wait_xcnt 0x0
	s_and_saveexec_b32 s10, s0
	s_cbranch_execz .LBB22_125
; %bb.116:
	s_and_not1_b32 vcc_lo, exec_lo, s3
	s_cbranch_vccnz .LBB22_118
; %bb.117:
	scratch_load_b64 v[50:51], v39, off
	ds_load_b64 v[52:53], v1
	s_wait_loadcnt_dscnt 0x0
	v_pk_mul_f32 v[54:55], v[52:53], v[50:51] op_sel:[1,1] op_sel_hi:[0,1]
	s_delay_alu instid0(VALU_DEP_1) | instskip(SKIP_1) | instid1(VALU_DEP_2)
	v_pk_fma_f32 v[56:57], v[52:53], v[50:51], v[54:55] op_sel_hi:[1,0,1]
	v_pk_fma_f32 v[50:51], v[52:53], v[50:51], v[54:55] neg_lo:[0,0,1] neg_hi:[0,0,1]
	v_mov_b32_e32 v51, v57
	s_cbranch_execz .LBB22_119
	s_branch .LBB22_120
.LBB22_118:
                                        ; implicit-def: $vgpr50_vgpr51
.LBB22_119:
	ds_load_b64 v[50:51], v1
.LBB22_120:
	s_and_saveexec_b32 s11, s1
	s_cbranch_execz .LBB22_124
; %bb.121:
	v_add_nc_u32_e32 v52, -11, v0
	s_movk_i32 s1, 0x58
	s_movk_i32 s13, 0x118
	s_mov_b32 s12, 0
.LBB22_122:                             ; =>This Inner Loop Header: Depth=1
	scratch_load_b64 v[54:55], off, s1
	v_dual_mov_b32 v53, s13 :: v_dual_add_nc_u32 v52, -1, v52
	s_add_co_i32 s13, s13, 8
	s_wait_xcnt 0x0
	s_add_co_i32 s1, s1, 8
	ds_load_b64 v[56:57], v53
	v_cmp_eq_u32_e32 vcc_lo, 0, v52
	s_or_b32 s12, vcc_lo, s12
	s_wait_loadcnt_dscnt 0x0
	v_pk_mul_f32 v[58:59], v[56:57], v[54:55] op_sel:[1,1] op_sel_hi:[0,1]
	s_delay_alu instid0(VALU_DEP_1) | instskip(SKIP_1) | instid1(VALU_DEP_2)
	v_pk_fma_f32 v[60:61], v[56:57], v[54:55], v[58:59] op_sel_hi:[1,0,1]
	v_pk_fma_f32 v[54:55], v[56:57], v[54:55], v[58:59] neg_lo:[0,0,1] neg_hi:[0,0,1]
	v_mov_b32_e32 v55, v61
	s_delay_alu instid0(VALU_DEP_1)
	v_pk_add_f32 v[50:51], v[50:51], v[54:55]
	s_and_not1_b32 exec_lo, exec_lo, s12
	s_cbranch_execnz .LBB22_122
; %bb.123:
	s_or_b32 exec_lo, exec_lo, s12
.LBB22_124:
	s_delay_alu instid0(SALU_CYCLE_1) | instskip(SKIP_4) | instid1(VALU_DEP_1)
	s_or_b32 exec_lo, exec_lo, s11
	v_mov_b32_e32 v52, 0
	ds_load_b64 v[52:53], v52 offset:80
	s_wait_dscnt 0x0
	v_pk_mul_f32 v[54:55], v[50:51], v[52:53] op_sel:[1,1] op_sel_hi:[0,1]
	v_pk_fma_f32 v[56:57], v[50:51], v[52:53], v[54:55] op_sel_hi:[1,0,1]
	v_pk_fma_f32 v[50:51], v[50:51], v[52:53], v[54:55] neg_lo:[0,0,1] neg_hi:[0,0,1]
	s_delay_alu instid0(VALU_DEP_2)
	v_mov_b32_e32 v51, v57
	scratch_store_b64 off, v[50:51], off offset:80
.LBB22_125:
	s_wait_xcnt 0x0
	s_or_b32 exec_lo, exec_lo, s10
	scratch_load_b64 v[50:51], off, off offset:72
	v_cmp_lt_u32_e64 s1, 9, v0
	s_wait_loadcnt 0x0
	ds_store_b64 v1, v[50:51]
	s_wait_storecnt_dscnt 0x0
	s_barrier_signal -1
	s_barrier_wait -1
	s_wait_xcnt 0x0
	s_and_saveexec_b32 s10, s1
	s_cbranch_execz .LBB22_135
; %bb.126:
	s_and_not1_b32 vcc_lo, exec_lo, s3
	s_cbranch_vccnz .LBB22_128
; %bb.127:
	scratch_load_b64 v[50:51], v39, off
	ds_load_b64 v[52:53], v1
	s_wait_loadcnt_dscnt 0x0
	v_pk_mul_f32 v[54:55], v[52:53], v[50:51] op_sel:[1,1] op_sel_hi:[0,1]
	s_delay_alu instid0(VALU_DEP_1) | instskip(SKIP_1) | instid1(VALU_DEP_2)
	v_pk_fma_f32 v[56:57], v[52:53], v[50:51], v[54:55] op_sel_hi:[1,0,1]
	v_pk_fma_f32 v[50:51], v[52:53], v[50:51], v[54:55] neg_lo:[0,0,1] neg_hi:[0,0,1]
	v_mov_b32_e32 v51, v57
	s_cbranch_execz .LBB22_129
	s_branch .LBB22_130
.LBB22_128:
                                        ; implicit-def: $vgpr50_vgpr51
.LBB22_129:
	ds_load_b64 v[50:51], v1
.LBB22_130:
	s_and_saveexec_b32 s11, s0
	s_cbranch_execz .LBB22_134
; %bb.131:
	v_add_nc_u32_e32 v52, -10, v0
	s_movk_i32 s12, 0x110
	s_mov_b32 s0, 0
.LBB22_132:                             ; =>This Inner Loop Header: Depth=1
	scratch_load_b64 v[54:55], off, s9
	v_dual_mov_b32 v53, s12 :: v_dual_add_nc_u32 v52, -1, v52
	s_add_co_i32 s12, s12, 8
	s_wait_xcnt 0x0
	s_add_co_i32 s9, s9, 8
	ds_load_b64 v[56:57], v53
	v_cmp_eq_u32_e32 vcc_lo, 0, v52
	s_or_b32 s0, vcc_lo, s0
	s_wait_loadcnt_dscnt 0x0
	v_pk_mul_f32 v[58:59], v[56:57], v[54:55] op_sel:[1,1] op_sel_hi:[0,1]
	s_delay_alu instid0(VALU_DEP_1) | instskip(SKIP_1) | instid1(VALU_DEP_2)
	v_pk_fma_f32 v[60:61], v[56:57], v[54:55], v[58:59] op_sel_hi:[1,0,1]
	v_pk_fma_f32 v[54:55], v[56:57], v[54:55], v[58:59] neg_lo:[0,0,1] neg_hi:[0,0,1]
	v_mov_b32_e32 v55, v61
	s_delay_alu instid0(VALU_DEP_1)
	v_pk_add_f32 v[50:51], v[50:51], v[54:55]
	s_and_not1_b32 exec_lo, exec_lo, s0
	s_cbranch_execnz .LBB22_132
; %bb.133:
	s_or_b32 exec_lo, exec_lo, s0
.LBB22_134:
	s_delay_alu instid0(SALU_CYCLE_1) | instskip(SKIP_4) | instid1(VALU_DEP_1)
	s_or_b32 exec_lo, exec_lo, s11
	v_mov_b32_e32 v52, 0
	ds_load_b64 v[52:53], v52 offset:72
	s_wait_dscnt 0x0
	v_pk_mul_f32 v[54:55], v[50:51], v[52:53] op_sel:[1,1] op_sel_hi:[0,1]
	v_pk_fma_f32 v[56:57], v[50:51], v[52:53], v[54:55] op_sel_hi:[1,0,1]
	v_pk_fma_f32 v[50:51], v[50:51], v[52:53], v[54:55] neg_lo:[0,0,1] neg_hi:[0,0,1]
	s_delay_alu instid0(VALU_DEP_2)
	v_mov_b32_e32 v51, v57
	scratch_store_b64 off, v[50:51], off offset:72
.LBB22_135:
	s_wait_xcnt 0x0
	s_or_b32 exec_lo, exec_lo, s10
	scratch_load_b64 v[50:51], off, off offset:64
	v_cmp_lt_u32_e64 s0, 8, v0
	s_wait_loadcnt 0x0
	ds_store_b64 v1, v[50:51]
	s_wait_storecnt_dscnt 0x0
	s_barrier_signal -1
	s_barrier_wait -1
	s_wait_xcnt 0x0
	s_and_saveexec_b32 s9, s0
	s_cbranch_execz .LBB22_145
; %bb.136:
	s_and_not1_b32 vcc_lo, exec_lo, s3
	s_cbranch_vccnz .LBB22_138
; %bb.137:
	scratch_load_b64 v[50:51], v39, off
	ds_load_b64 v[52:53], v1
	s_wait_loadcnt_dscnt 0x0
	v_pk_mul_f32 v[54:55], v[52:53], v[50:51] op_sel:[1,1] op_sel_hi:[0,1]
	s_delay_alu instid0(VALU_DEP_1) | instskip(SKIP_1) | instid1(VALU_DEP_2)
	v_pk_fma_f32 v[56:57], v[52:53], v[50:51], v[54:55] op_sel_hi:[1,0,1]
	v_pk_fma_f32 v[50:51], v[52:53], v[50:51], v[54:55] neg_lo:[0,0,1] neg_hi:[0,0,1]
	v_mov_b32_e32 v51, v57
	s_cbranch_execz .LBB22_139
	s_branch .LBB22_140
.LBB22_138:
                                        ; implicit-def: $vgpr50_vgpr51
.LBB22_139:
	ds_load_b64 v[50:51], v1
.LBB22_140:
	s_and_saveexec_b32 s10, s1
	s_cbranch_execz .LBB22_144
; %bb.141:
	v_add_nc_u32_e32 v52, -9, v0
	s_movk_i32 s1, 0x48
	s_movk_i32 s12, 0x108
	s_mov_b32 s11, 0
.LBB22_142:                             ; =>This Inner Loop Header: Depth=1
	scratch_load_b64 v[54:55], off, s1
	v_dual_mov_b32 v53, s12 :: v_dual_add_nc_u32 v52, -1, v52
	s_add_co_i32 s12, s12, 8
	s_wait_xcnt 0x0
	s_add_co_i32 s1, s1, 8
	ds_load_b64 v[56:57], v53
	v_cmp_eq_u32_e32 vcc_lo, 0, v52
	s_or_b32 s11, vcc_lo, s11
	s_wait_loadcnt_dscnt 0x0
	v_pk_mul_f32 v[58:59], v[56:57], v[54:55] op_sel:[1,1] op_sel_hi:[0,1]
	s_delay_alu instid0(VALU_DEP_1) | instskip(SKIP_1) | instid1(VALU_DEP_2)
	v_pk_fma_f32 v[60:61], v[56:57], v[54:55], v[58:59] op_sel_hi:[1,0,1]
	v_pk_fma_f32 v[54:55], v[56:57], v[54:55], v[58:59] neg_lo:[0,0,1] neg_hi:[0,0,1]
	v_mov_b32_e32 v55, v61
	s_delay_alu instid0(VALU_DEP_1)
	v_pk_add_f32 v[50:51], v[50:51], v[54:55]
	s_and_not1_b32 exec_lo, exec_lo, s11
	s_cbranch_execnz .LBB22_142
; %bb.143:
	s_or_b32 exec_lo, exec_lo, s11
.LBB22_144:
	s_delay_alu instid0(SALU_CYCLE_1) | instskip(SKIP_4) | instid1(VALU_DEP_1)
	s_or_b32 exec_lo, exec_lo, s10
	v_mov_b32_e32 v52, 0
	ds_load_b64 v[52:53], v52 offset:64
	s_wait_dscnt 0x0
	v_pk_mul_f32 v[54:55], v[50:51], v[52:53] op_sel:[1,1] op_sel_hi:[0,1]
	v_pk_fma_f32 v[56:57], v[50:51], v[52:53], v[54:55] op_sel_hi:[1,0,1]
	v_pk_fma_f32 v[50:51], v[50:51], v[52:53], v[54:55] neg_lo:[0,0,1] neg_hi:[0,0,1]
	s_delay_alu instid0(VALU_DEP_2)
	v_mov_b32_e32 v51, v57
	scratch_store_b64 off, v[50:51], off offset:64
.LBB22_145:
	s_wait_xcnt 0x0
	s_or_b32 exec_lo, exec_lo, s9
	scratch_load_b64 v[50:51], off, off offset:56
	v_cmp_lt_u32_e64 s1, 7, v0
	s_wait_loadcnt 0x0
	ds_store_b64 v1, v[50:51]
	s_wait_storecnt_dscnt 0x0
	s_barrier_signal -1
	s_barrier_wait -1
	s_wait_xcnt 0x0
	s_and_saveexec_b32 s9, s1
	s_cbranch_execz .LBB22_155
; %bb.146:
	s_and_not1_b32 vcc_lo, exec_lo, s3
	s_cbranch_vccnz .LBB22_148
; %bb.147:
	scratch_load_b64 v[50:51], v39, off
	ds_load_b64 v[52:53], v1
	s_wait_loadcnt_dscnt 0x0
	v_pk_mul_f32 v[54:55], v[52:53], v[50:51] op_sel:[1,1] op_sel_hi:[0,1]
	s_delay_alu instid0(VALU_DEP_1) | instskip(SKIP_1) | instid1(VALU_DEP_2)
	v_pk_fma_f32 v[56:57], v[52:53], v[50:51], v[54:55] op_sel_hi:[1,0,1]
	v_pk_fma_f32 v[50:51], v[52:53], v[50:51], v[54:55] neg_lo:[0,0,1] neg_hi:[0,0,1]
	v_mov_b32_e32 v51, v57
	s_cbranch_execz .LBB22_149
	s_branch .LBB22_150
.LBB22_148:
                                        ; implicit-def: $vgpr50_vgpr51
.LBB22_149:
	ds_load_b64 v[50:51], v1
.LBB22_150:
	s_and_saveexec_b32 s10, s0
	s_cbranch_execz .LBB22_154
; %bb.151:
	v_add_nc_u32_e32 v52, -8, v0
	s_movk_i32 s11, 0x100
	s_mov_b32 s0, 0
.LBB22_152:                             ; =>This Inner Loop Header: Depth=1
	scratch_load_b64 v[54:55], off, s8
	v_dual_mov_b32 v53, s11 :: v_dual_add_nc_u32 v52, -1, v52
	s_add_co_i32 s11, s11, 8
	s_wait_xcnt 0x0
	s_add_co_i32 s8, s8, 8
	ds_load_b64 v[56:57], v53
	v_cmp_eq_u32_e32 vcc_lo, 0, v52
	s_or_b32 s0, vcc_lo, s0
	s_wait_loadcnt_dscnt 0x0
	v_pk_mul_f32 v[58:59], v[56:57], v[54:55] op_sel:[1,1] op_sel_hi:[0,1]
	s_delay_alu instid0(VALU_DEP_1) | instskip(SKIP_1) | instid1(VALU_DEP_2)
	v_pk_fma_f32 v[60:61], v[56:57], v[54:55], v[58:59] op_sel_hi:[1,0,1]
	v_pk_fma_f32 v[54:55], v[56:57], v[54:55], v[58:59] neg_lo:[0,0,1] neg_hi:[0,0,1]
	v_mov_b32_e32 v55, v61
	s_delay_alu instid0(VALU_DEP_1)
	v_pk_add_f32 v[50:51], v[50:51], v[54:55]
	s_and_not1_b32 exec_lo, exec_lo, s0
	s_cbranch_execnz .LBB22_152
; %bb.153:
	s_or_b32 exec_lo, exec_lo, s0
.LBB22_154:
	s_delay_alu instid0(SALU_CYCLE_1) | instskip(SKIP_4) | instid1(VALU_DEP_1)
	s_or_b32 exec_lo, exec_lo, s10
	v_mov_b32_e32 v52, 0
	ds_load_b64 v[52:53], v52 offset:56
	s_wait_dscnt 0x0
	v_pk_mul_f32 v[54:55], v[50:51], v[52:53] op_sel:[1,1] op_sel_hi:[0,1]
	v_pk_fma_f32 v[56:57], v[50:51], v[52:53], v[54:55] op_sel_hi:[1,0,1]
	v_pk_fma_f32 v[50:51], v[50:51], v[52:53], v[54:55] neg_lo:[0,0,1] neg_hi:[0,0,1]
	s_delay_alu instid0(VALU_DEP_2)
	v_mov_b32_e32 v51, v57
	scratch_store_b64 off, v[50:51], off offset:56
.LBB22_155:
	s_wait_xcnt 0x0
	s_or_b32 exec_lo, exec_lo, s9
	scratch_load_b64 v[50:51], off, off offset:48
	v_cmp_lt_u32_e64 s0, 6, v0
	s_wait_loadcnt 0x0
	ds_store_b64 v1, v[50:51]
	s_wait_storecnt_dscnt 0x0
	s_barrier_signal -1
	s_barrier_wait -1
	s_wait_xcnt 0x0
	s_and_saveexec_b32 s8, s0
	s_cbranch_execz .LBB22_165
; %bb.156:
	s_and_not1_b32 vcc_lo, exec_lo, s3
	s_cbranch_vccnz .LBB22_158
; %bb.157:
	scratch_load_b64 v[50:51], v39, off
	ds_load_b64 v[52:53], v1
	s_wait_loadcnt_dscnt 0x0
	v_pk_mul_f32 v[54:55], v[52:53], v[50:51] op_sel:[1,1] op_sel_hi:[0,1]
	s_delay_alu instid0(VALU_DEP_1) | instskip(SKIP_1) | instid1(VALU_DEP_2)
	v_pk_fma_f32 v[56:57], v[52:53], v[50:51], v[54:55] op_sel_hi:[1,0,1]
	v_pk_fma_f32 v[50:51], v[52:53], v[50:51], v[54:55] neg_lo:[0,0,1] neg_hi:[0,0,1]
	v_mov_b32_e32 v51, v57
	s_cbranch_execz .LBB22_159
	s_branch .LBB22_160
.LBB22_158:
                                        ; implicit-def: $vgpr50_vgpr51
.LBB22_159:
	ds_load_b64 v[50:51], v1
.LBB22_160:
	s_and_saveexec_b32 s9, s1
	s_cbranch_execz .LBB22_164
; %bb.161:
	v_add_nc_u32_e32 v52, -7, v0
	s_mov_b32 s1, 56
	s_movk_i32 s11, 0xf8
	s_mov_b32 s10, 0
.LBB22_162:                             ; =>This Inner Loop Header: Depth=1
	scratch_load_b64 v[54:55], off, s1
	v_dual_mov_b32 v53, s11 :: v_dual_add_nc_u32 v52, -1, v52
	s_add_co_i32 s11, s11, 8
	s_wait_xcnt 0x0
	s_add_co_i32 s1, s1, 8
	ds_load_b64 v[56:57], v53
	v_cmp_eq_u32_e32 vcc_lo, 0, v52
	s_or_b32 s10, vcc_lo, s10
	s_wait_loadcnt_dscnt 0x0
	v_pk_mul_f32 v[58:59], v[56:57], v[54:55] op_sel:[1,1] op_sel_hi:[0,1]
	s_delay_alu instid0(VALU_DEP_1) | instskip(SKIP_1) | instid1(VALU_DEP_2)
	v_pk_fma_f32 v[60:61], v[56:57], v[54:55], v[58:59] op_sel_hi:[1,0,1]
	v_pk_fma_f32 v[54:55], v[56:57], v[54:55], v[58:59] neg_lo:[0,0,1] neg_hi:[0,0,1]
	v_mov_b32_e32 v55, v61
	s_delay_alu instid0(VALU_DEP_1)
	v_pk_add_f32 v[50:51], v[50:51], v[54:55]
	s_and_not1_b32 exec_lo, exec_lo, s10
	s_cbranch_execnz .LBB22_162
; %bb.163:
	s_or_b32 exec_lo, exec_lo, s10
.LBB22_164:
	s_delay_alu instid0(SALU_CYCLE_1) | instskip(SKIP_4) | instid1(VALU_DEP_1)
	s_or_b32 exec_lo, exec_lo, s9
	v_mov_b32_e32 v52, 0
	ds_load_b64 v[52:53], v52 offset:48
	s_wait_dscnt 0x0
	v_pk_mul_f32 v[54:55], v[50:51], v[52:53] op_sel:[1,1] op_sel_hi:[0,1]
	v_pk_fma_f32 v[56:57], v[50:51], v[52:53], v[54:55] op_sel_hi:[1,0,1]
	v_pk_fma_f32 v[50:51], v[50:51], v[52:53], v[54:55] neg_lo:[0,0,1] neg_hi:[0,0,1]
	s_delay_alu instid0(VALU_DEP_2)
	v_mov_b32_e32 v51, v57
	scratch_store_b64 off, v[50:51], off offset:48
.LBB22_165:
	s_wait_xcnt 0x0
	s_or_b32 exec_lo, exec_lo, s8
	scratch_load_b64 v[50:51], off, off offset:40
	v_cmp_lt_u32_e64 s1, 5, v0
	s_wait_loadcnt 0x0
	ds_store_b64 v1, v[50:51]
	s_wait_storecnt_dscnt 0x0
	s_barrier_signal -1
	s_barrier_wait -1
	s_wait_xcnt 0x0
	s_and_saveexec_b32 s8, s1
	s_cbranch_execz .LBB22_175
; %bb.166:
	s_and_not1_b32 vcc_lo, exec_lo, s3
	s_cbranch_vccnz .LBB22_168
; %bb.167:
	scratch_load_b64 v[50:51], v39, off
	ds_load_b64 v[52:53], v1
	s_wait_loadcnt_dscnt 0x0
	v_pk_mul_f32 v[54:55], v[52:53], v[50:51] op_sel:[1,1] op_sel_hi:[0,1]
	s_delay_alu instid0(VALU_DEP_1) | instskip(SKIP_1) | instid1(VALU_DEP_2)
	v_pk_fma_f32 v[56:57], v[52:53], v[50:51], v[54:55] op_sel_hi:[1,0,1]
	v_pk_fma_f32 v[50:51], v[52:53], v[50:51], v[54:55] neg_lo:[0,0,1] neg_hi:[0,0,1]
	v_mov_b32_e32 v51, v57
	s_cbranch_execz .LBB22_169
	s_branch .LBB22_170
.LBB22_168:
                                        ; implicit-def: $vgpr50_vgpr51
.LBB22_169:
	ds_load_b64 v[50:51], v1
.LBB22_170:
	s_and_saveexec_b32 s9, s0
	s_cbranch_execz .LBB22_174
; %bb.171:
	v_add_nc_u32_e32 v52, -6, v0
	s_movk_i32 s10, 0xf0
	s_mov_b32 s0, 0
.LBB22_172:                             ; =>This Inner Loop Header: Depth=1
	scratch_load_b64 v[54:55], off, s2
	v_dual_mov_b32 v53, s10 :: v_dual_add_nc_u32 v52, -1, v52
	s_add_co_i32 s10, s10, 8
	s_wait_xcnt 0x0
	s_add_co_i32 s2, s2, 8
	ds_load_b64 v[56:57], v53
	v_cmp_eq_u32_e32 vcc_lo, 0, v52
	s_or_b32 s0, vcc_lo, s0
	s_wait_loadcnt_dscnt 0x0
	v_pk_mul_f32 v[58:59], v[56:57], v[54:55] op_sel:[1,1] op_sel_hi:[0,1]
	s_delay_alu instid0(VALU_DEP_1) | instskip(SKIP_1) | instid1(VALU_DEP_2)
	v_pk_fma_f32 v[60:61], v[56:57], v[54:55], v[58:59] op_sel_hi:[1,0,1]
	v_pk_fma_f32 v[54:55], v[56:57], v[54:55], v[58:59] neg_lo:[0,0,1] neg_hi:[0,0,1]
	v_mov_b32_e32 v55, v61
	s_delay_alu instid0(VALU_DEP_1)
	v_pk_add_f32 v[50:51], v[50:51], v[54:55]
	s_and_not1_b32 exec_lo, exec_lo, s0
	s_cbranch_execnz .LBB22_172
; %bb.173:
	s_or_b32 exec_lo, exec_lo, s0
.LBB22_174:
	s_delay_alu instid0(SALU_CYCLE_1) | instskip(SKIP_4) | instid1(VALU_DEP_1)
	s_or_b32 exec_lo, exec_lo, s9
	v_mov_b32_e32 v52, 0
	ds_load_b64 v[52:53], v52 offset:40
	s_wait_dscnt 0x0
	v_pk_mul_f32 v[54:55], v[50:51], v[52:53] op_sel:[1,1] op_sel_hi:[0,1]
	v_pk_fma_f32 v[56:57], v[50:51], v[52:53], v[54:55] op_sel_hi:[1,0,1]
	v_pk_fma_f32 v[50:51], v[50:51], v[52:53], v[54:55] neg_lo:[0,0,1] neg_hi:[0,0,1]
	s_delay_alu instid0(VALU_DEP_2)
	v_mov_b32_e32 v51, v57
	scratch_store_b64 off, v[50:51], off offset:40
.LBB22_175:
	s_wait_xcnt 0x0
	s_or_b32 exec_lo, exec_lo, s8
	scratch_load_b64 v[50:51], off, off offset:32
	v_cmp_lt_u32_e64 s0, 4, v0
	s_wait_loadcnt 0x0
	ds_store_b64 v1, v[50:51]
	s_wait_storecnt_dscnt 0x0
	s_barrier_signal -1
	s_barrier_wait -1
	s_wait_xcnt 0x0
	s_and_saveexec_b32 s2, s0
	s_cbranch_execz .LBB22_185
; %bb.176:
	s_and_not1_b32 vcc_lo, exec_lo, s3
	s_cbranch_vccnz .LBB22_178
; %bb.177:
	scratch_load_b64 v[50:51], v39, off
	ds_load_b64 v[52:53], v1
	s_wait_loadcnt_dscnt 0x0
	v_pk_mul_f32 v[54:55], v[52:53], v[50:51] op_sel:[1,1] op_sel_hi:[0,1]
	s_delay_alu instid0(VALU_DEP_1) | instskip(SKIP_1) | instid1(VALU_DEP_2)
	v_pk_fma_f32 v[56:57], v[52:53], v[50:51], v[54:55] op_sel_hi:[1,0,1]
	v_pk_fma_f32 v[50:51], v[52:53], v[50:51], v[54:55] neg_lo:[0,0,1] neg_hi:[0,0,1]
	v_mov_b32_e32 v51, v57
	s_cbranch_execz .LBB22_179
	s_branch .LBB22_180
.LBB22_178:
                                        ; implicit-def: $vgpr50_vgpr51
.LBB22_179:
	ds_load_b64 v[50:51], v1
.LBB22_180:
	s_and_saveexec_b32 s8, s1
	s_cbranch_execz .LBB22_184
; %bb.181:
	v_add_nc_u32_e32 v52, -5, v0
	s_mov_b32 s1, 40
	s_movk_i32 s10, 0xe8
	s_mov_b32 s9, 0
.LBB22_182:                             ; =>This Inner Loop Header: Depth=1
	scratch_load_b64 v[54:55], off, s1
	v_dual_mov_b32 v53, s10 :: v_dual_add_nc_u32 v52, -1, v52
	s_add_co_i32 s10, s10, 8
	s_wait_xcnt 0x0
	s_add_co_i32 s1, s1, 8
	ds_load_b64 v[56:57], v53
	v_cmp_eq_u32_e32 vcc_lo, 0, v52
	s_or_b32 s9, vcc_lo, s9
	s_wait_loadcnt_dscnt 0x0
	v_pk_mul_f32 v[58:59], v[56:57], v[54:55] op_sel:[1,1] op_sel_hi:[0,1]
	s_delay_alu instid0(VALU_DEP_1) | instskip(SKIP_1) | instid1(VALU_DEP_2)
	v_pk_fma_f32 v[60:61], v[56:57], v[54:55], v[58:59] op_sel_hi:[1,0,1]
	v_pk_fma_f32 v[54:55], v[56:57], v[54:55], v[58:59] neg_lo:[0,0,1] neg_hi:[0,0,1]
	v_mov_b32_e32 v55, v61
	s_delay_alu instid0(VALU_DEP_1)
	v_pk_add_f32 v[50:51], v[50:51], v[54:55]
	s_and_not1_b32 exec_lo, exec_lo, s9
	s_cbranch_execnz .LBB22_182
; %bb.183:
	s_or_b32 exec_lo, exec_lo, s9
.LBB22_184:
	s_delay_alu instid0(SALU_CYCLE_1) | instskip(SKIP_4) | instid1(VALU_DEP_1)
	s_or_b32 exec_lo, exec_lo, s8
	v_mov_b32_e32 v52, 0
	ds_load_b64 v[52:53], v52 offset:32
	s_wait_dscnt 0x0
	v_pk_mul_f32 v[54:55], v[50:51], v[52:53] op_sel:[1,1] op_sel_hi:[0,1]
	v_pk_fma_f32 v[56:57], v[50:51], v[52:53], v[54:55] op_sel_hi:[1,0,1]
	v_pk_fma_f32 v[50:51], v[50:51], v[52:53], v[54:55] neg_lo:[0,0,1] neg_hi:[0,0,1]
	s_delay_alu instid0(VALU_DEP_2)
	v_mov_b32_e32 v51, v57
	scratch_store_b64 off, v[50:51], off offset:32
.LBB22_185:
	s_wait_xcnt 0x0
	s_or_b32 exec_lo, exec_lo, s2
	scratch_load_b64 v[50:51], off, off offset:24
	v_cmp_lt_u32_e64 s2, 3, v0
	s_wait_loadcnt 0x0
	ds_store_b64 v1, v[50:51]
	s_wait_storecnt_dscnt 0x0
	s_barrier_signal -1
	s_barrier_wait -1
	s_wait_xcnt 0x0
	s_and_saveexec_b32 s1, s2
	s_cbranch_execz .LBB22_195
; %bb.186:
	s_and_not1_b32 vcc_lo, exec_lo, s3
	s_cbranch_vccnz .LBB22_188
; %bb.187:
	scratch_load_b64 v[50:51], v39, off
	ds_load_b64 v[52:53], v1
	s_wait_loadcnt_dscnt 0x0
	v_pk_mul_f32 v[54:55], v[52:53], v[50:51] op_sel:[1,1] op_sel_hi:[0,1]
	s_delay_alu instid0(VALU_DEP_1) | instskip(SKIP_1) | instid1(VALU_DEP_2)
	v_pk_fma_f32 v[56:57], v[52:53], v[50:51], v[54:55] op_sel_hi:[1,0,1]
	v_pk_fma_f32 v[50:51], v[52:53], v[50:51], v[54:55] neg_lo:[0,0,1] neg_hi:[0,0,1]
	v_mov_b32_e32 v51, v57
	s_cbranch_execz .LBB22_189
	s_branch .LBB22_190
.LBB22_188:
                                        ; implicit-def: $vgpr50_vgpr51
.LBB22_189:
	ds_load_b64 v[50:51], v1
.LBB22_190:
	s_and_saveexec_b32 s8, s0
	s_cbranch_execz .LBB22_194
; %bb.191:
	v_add_nc_u32_e32 v52, -4, v0
	s_movk_i32 s9, 0xe0
	s_mov_b32 s0, 0
.LBB22_192:                             ; =>This Inner Loop Header: Depth=1
	scratch_load_b64 v[54:55], off, s5
	v_dual_mov_b32 v53, s9 :: v_dual_add_nc_u32 v52, -1, v52
	s_add_co_i32 s9, s9, 8
	s_wait_xcnt 0x0
	s_add_co_i32 s5, s5, 8
	ds_load_b64 v[56:57], v53
	v_cmp_eq_u32_e32 vcc_lo, 0, v52
	s_or_b32 s0, vcc_lo, s0
	s_wait_loadcnt_dscnt 0x0
	v_pk_mul_f32 v[58:59], v[56:57], v[54:55] op_sel:[1,1] op_sel_hi:[0,1]
	s_delay_alu instid0(VALU_DEP_1) | instskip(SKIP_1) | instid1(VALU_DEP_2)
	v_pk_fma_f32 v[60:61], v[56:57], v[54:55], v[58:59] op_sel_hi:[1,0,1]
	v_pk_fma_f32 v[54:55], v[56:57], v[54:55], v[58:59] neg_lo:[0,0,1] neg_hi:[0,0,1]
	v_mov_b32_e32 v55, v61
	s_delay_alu instid0(VALU_DEP_1)
	v_pk_add_f32 v[50:51], v[50:51], v[54:55]
	s_and_not1_b32 exec_lo, exec_lo, s0
	s_cbranch_execnz .LBB22_192
; %bb.193:
	s_or_b32 exec_lo, exec_lo, s0
.LBB22_194:
	s_delay_alu instid0(SALU_CYCLE_1) | instskip(SKIP_4) | instid1(VALU_DEP_1)
	s_or_b32 exec_lo, exec_lo, s8
	v_mov_b32_e32 v52, 0
	ds_load_b64 v[52:53], v52 offset:24
	s_wait_dscnt 0x0
	v_pk_mul_f32 v[54:55], v[50:51], v[52:53] op_sel:[1,1] op_sel_hi:[0,1]
	v_pk_fma_f32 v[56:57], v[50:51], v[52:53], v[54:55] op_sel_hi:[1,0,1]
	v_pk_fma_f32 v[50:51], v[50:51], v[52:53], v[54:55] neg_lo:[0,0,1] neg_hi:[0,0,1]
	s_delay_alu instid0(VALU_DEP_2)
	v_mov_b32_e32 v51, v57
	scratch_store_b64 off, v[50:51], off offset:24
.LBB22_195:
	s_wait_xcnt 0x0
	s_or_b32 exec_lo, exec_lo, s1
	scratch_load_b64 v[50:51], off, off offset:16
	v_cmp_lt_u32_e64 s1, 2, v0
	s_wait_loadcnt 0x0
	ds_store_b64 v1, v[50:51]
	s_wait_storecnt_dscnt 0x0
	s_barrier_signal -1
	s_barrier_wait -1
	s_wait_xcnt 0x0
	s_and_saveexec_b32 s0, s1
	s_cbranch_execz .LBB22_205
; %bb.196:
	s_and_not1_b32 vcc_lo, exec_lo, s3
	s_cbranch_vccnz .LBB22_198
; %bb.197:
	scratch_load_b64 v[50:51], v39, off
	ds_load_b64 v[52:53], v1
	s_wait_loadcnt_dscnt 0x0
	v_pk_mul_f32 v[54:55], v[52:53], v[50:51] op_sel:[1,1] op_sel_hi:[0,1]
	s_delay_alu instid0(VALU_DEP_1) | instskip(SKIP_1) | instid1(VALU_DEP_2)
	v_pk_fma_f32 v[56:57], v[52:53], v[50:51], v[54:55] op_sel_hi:[1,0,1]
	v_pk_fma_f32 v[50:51], v[52:53], v[50:51], v[54:55] neg_lo:[0,0,1] neg_hi:[0,0,1]
	v_mov_b32_e32 v51, v57
	s_cbranch_execz .LBB22_199
	s_branch .LBB22_200
.LBB22_198:
                                        ; implicit-def: $vgpr50_vgpr51
.LBB22_199:
	ds_load_b64 v[50:51], v1
.LBB22_200:
	s_and_saveexec_b32 s5, s2
	s_cbranch_execz .LBB22_204
; %bb.201:
	v_add_nc_u32_e32 v52, -3, v0
	s_mov_b32 s2, 24
	s_movk_i32 s9, 0xd8
	s_mov_b32 s8, 0
.LBB22_202:                             ; =>This Inner Loop Header: Depth=1
	scratch_load_b64 v[54:55], off, s2
	v_dual_mov_b32 v53, s9 :: v_dual_add_nc_u32 v52, -1, v52
	s_add_co_i32 s9, s9, 8
	s_wait_xcnt 0x0
	s_add_co_i32 s2, s2, 8
	ds_load_b64 v[56:57], v53
	v_cmp_eq_u32_e32 vcc_lo, 0, v52
	s_or_b32 s8, vcc_lo, s8
	s_wait_loadcnt_dscnt 0x0
	v_pk_mul_f32 v[58:59], v[56:57], v[54:55] op_sel:[1,1] op_sel_hi:[0,1]
	s_delay_alu instid0(VALU_DEP_1) | instskip(SKIP_1) | instid1(VALU_DEP_2)
	v_pk_fma_f32 v[60:61], v[56:57], v[54:55], v[58:59] op_sel_hi:[1,0,1]
	v_pk_fma_f32 v[54:55], v[56:57], v[54:55], v[58:59] neg_lo:[0,0,1] neg_hi:[0,0,1]
	v_mov_b32_e32 v55, v61
	s_delay_alu instid0(VALU_DEP_1)
	v_pk_add_f32 v[50:51], v[50:51], v[54:55]
	s_and_not1_b32 exec_lo, exec_lo, s8
	s_cbranch_execnz .LBB22_202
; %bb.203:
	s_or_b32 exec_lo, exec_lo, s8
.LBB22_204:
	s_delay_alu instid0(SALU_CYCLE_1) | instskip(SKIP_4) | instid1(VALU_DEP_1)
	s_or_b32 exec_lo, exec_lo, s5
	v_mov_b32_e32 v52, 0
	ds_load_b64 v[52:53], v52 offset:16
	s_wait_dscnt 0x0
	v_pk_mul_f32 v[54:55], v[50:51], v[52:53] op_sel:[1,1] op_sel_hi:[0,1]
	v_pk_fma_f32 v[56:57], v[50:51], v[52:53], v[54:55] op_sel_hi:[1,0,1]
	v_pk_fma_f32 v[50:51], v[50:51], v[52:53], v[54:55] neg_lo:[0,0,1] neg_hi:[0,0,1]
	s_delay_alu instid0(VALU_DEP_2)
	v_mov_b32_e32 v51, v57
	scratch_store_b64 off, v[50:51], off offset:16
.LBB22_205:
	s_wait_xcnt 0x0
	s_or_b32 exec_lo, exec_lo, s0
	scratch_load_b64 v[50:51], off, off offset:8
	v_cmp_lt_u32_e64 s0, 1, v0
	s_wait_loadcnt 0x0
	ds_store_b64 v1, v[50:51]
	s_wait_storecnt_dscnt 0x0
	s_barrier_signal -1
	s_barrier_wait -1
	s_wait_xcnt 0x0
	s_and_saveexec_b32 s2, s0
	s_cbranch_execz .LBB22_215
; %bb.206:
	s_and_not1_b32 vcc_lo, exec_lo, s3
	s_cbranch_vccnz .LBB22_208
; %bb.207:
	scratch_load_b64 v[50:51], v39, off
	ds_load_b64 v[52:53], v1
	s_wait_loadcnt_dscnt 0x0
	v_pk_mul_f32 v[54:55], v[52:53], v[50:51] op_sel:[1,1] op_sel_hi:[0,1]
	s_delay_alu instid0(VALU_DEP_1) | instskip(SKIP_1) | instid1(VALU_DEP_2)
	v_pk_fma_f32 v[56:57], v[52:53], v[50:51], v[54:55] op_sel_hi:[1,0,1]
	v_pk_fma_f32 v[50:51], v[52:53], v[50:51], v[54:55] neg_lo:[0,0,1] neg_hi:[0,0,1]
	v_mov_b32_e32 v51, v57
	s_cbranch_execz .LBB22_209
	s_branch .LBB22_210
.LBB22_208:
                                        ; implicit-def: $vgpr50_vgpr51
.LBB22_209:
	ds_load_b64 v[50:51], v1
.LBB22_210:
	s_and_saveexec_b32 s5, s1
	s_cbranch_execz .LBB22_214
; %bb.211:
	v_add_nc_u32_e32 v52, -2, v0
	s_movk_i32 s8, 0xd0
	s_mov_b32 s1, 0
.LBB22_212:                             ; =>This Inner Loop Header: Depth=1
	scratch_load_b64 v[54:55], off, s4
	v_dual_mov_b32 v53, s8 :: v_dual_add_nc_u32 v52, -1, v52
	s_add_co_i32 s8, s8, 8
	s_wait_xcnt 0x0
	s_add_co_i32 s4, s4, 8
	ds_load_b64 v[56:57], v53
	v_cmp_eq_u32_e32 vcc_lo, 0, v52
	s_or_b32 s1, vcc_lo, s1
	s_wait_loadcnt_dscnt 0x0
	v_pk_mul_f32 v[58:59], v[56:57], v[54:55] op_sel:[1,1] op_sel_hi:[0,1]
	s_delay_alu instid0(VALU_DEP_1) | instskip(SKIP_1) | instid1(VALU_DEP_2)
	v_pk_fma_f32 v[60:61], v[56:57], v[54:55], v[58:59] op_sel_hi:[1,0,1]
	v_pk_fma_f32 v[54:55], v[56:57], v[54:55], v[58:59] neg_lo:[0,0,1] neg_hi:[0,0,1]
	v_mov_b32_e32 v55, v61
	s_delay_alu instid0(VALU_DEP_1)
	v_pk_add_f32 v[50:51], v[50:51], v[54:55]
	s_and_not1_b32 exec_lo, exec_lo, s1
	s_cbranch_execnz .LBB22_212
; %bb.213:
	s_or_b32 exec_lo, exec_lo, s1
.LBB22_214:
	s_delay_alu instid0(SALU_CYCLE_1) | instskip(SKIP_4) | instid1(VALU_DEP_1)
	s_or_b32 exec_lo, exec_lo, s5
	v_mov_b32_e32 v52, 0
	ds_load_b64 v[52:53], v52 offset:8
	s_wait_dscnt 0x0
	v_pk_mul_f32 v[54:55], v[50:51], v[52:53] op_sel:[1,1] op_sel_hi:[0,1]
	v_pk_fma_f32 v[56:57], v[50:51], v[52:53], v[54:55] op_sel_hi:[1,0,1]
	v_pk_fma_f32 v[50:51], v[50:51], v[52:53], v[54:55] neg_lo:[0,0,1] neg_hi:[0,0,1]
	s_delay_alu instid0(VALU_DEP_2)
	v_mov_b32_e32 v51, v57
	scratch_store_b64 off, v[50:51], off offset:8
.LBB22_215:
	s_wait_xcnt 0x0
	s_or_b32 exec_lo, exec_lo, s2
	scratch_load_b64 v[50:51], off, off
	s_mov_b32 s2, 0
	s_mov_b32 s1, 0
	s_mov_b32 s4, exec_lo
                                        ; implicit-def: $vgpr54
                                        ; implicit-def: $sgpr5
	s_wait_loadcnt 0x0
	ds_store_b64 v1, v[50:51]
	s_wait_storecnt_dscnt 0x0
	s_barrier_signal -1
	s_barrier_wait -1
	s_wait_xcnt 0x0
	v_cmpx_ne_u32_e32 0, v0
	s_cbranch_execz .LBB22_225
; %bb.216:
	s_and_not1_b32 vcc_lo, exec_lo, s3
	s_cbranch_vccnz .LBB22_218
; %bb.217:
	scratch_load_b64 v[52:53], v39, off
	ds_load_b64 v[54:55], v1
	s_wait_loadcnt_dscnt 0x0
	v_dual_mul_f32 v50, v55, v53 :: v_dual_mul_f32 v51, v54, v53
	s_delay_alu instid0(VALU_DEP_1)
	v_dual_fma_f32 v50, v54, v52, -v50 :: v_dual_fmac_f32 v51, v55, v52
	s_and_not1_b32 vcc_lo, exec_lo, s1
	s_cbranch_vccz .LBB22_219
	s_branch .LBB22_220
.LBB22_218:
                                        ; implicit-def: $vgpr50
.LBB22_219:
	ds_load_b64 v[50:51], v1
.LBB22_220:
	s_and_saveexec_b32 s1, s0
	s_cbranch_execz .LBB22_224
; %bb.221:
	v_add_nc_u32_e32 v52, -1, v0
	s_or_b32 s0, 0, 8
	s_movk_i32 s8, 0xc8
	s_mov_b32 s5, 0
.LBB22_222:                             ; =>This Inner Loop Header: Depth=1
	scratch_load_b64 v[54:55], off, s0
	v_mov_b32_e32 v53, s8
	s_add_co_i32 s8, s8, 8
	s_wait_xcnt 0x0
	s_add_co_i32 s0, s0, 8
	v_add_nc_u32_e32 v52, -1, v52
	ds_load_b64 v[56:57], v53
	v_cmp_eq_u32_e32 vcc_lo, 0, v52
	s_or_b32 s5, vcc_lo, s5
	s_wait_loadcnt_dscnt 0x0
	v_dual_mul_f32 v53, v57, v55 :: v_dual_mul_f32 v55, v56, v55
	s_delay_alu instid0(VALU_DEP_1) | instskip(NEXT) | instid1(VALU_DEP_1)
	v_dual_fma_f32 v53, v56, v54, -v53 :: v_dual_fmac_f32 v55, v57, v54
	v_dual_add_f32 v50, v50, v53 :: v_dual_add_f32 v51, v51, v55
	s_and_not1_b32 exec_lo, exec_lo, s5
	s_cbranch_execnz .LBB22_222
; %bb.223:
	s_or_b32 exec_lo, exec_lo, s5
.LBB22_224:
	s_delay_alu instid0(SALU_CYCLE_1)
	s_or_b32 exec_lo, exec_lo, s1
	v_mov_b32_e32 v52, 0
	s_mov_b32 s1, exec_lo
	s_or_b32 s5, 0, 4
	ds_load_b64 v[52:53], v52
	s_wait_dscnt 0x0
	v_dual_mul_f32 v55, v51, v53 :: v_dual_mul_f32 v54, v50, v53
	s_delay_alu instid0(VALU_DEP_1)
	v_dual_fma_f32 v50, v50, v52, -v55 :: v_dual_fmac_f32 v54, v51, v52
	scratch_store_b32 off, v50, off
.LBB22_225:
	s_wait_xcnt 0x0
	s_or_b32 exec_lo, exec_lo, s4
	s_delay_alu instid0(SALU_CYCLE_1)
	s_and_b32 vcc_lo, exec_lo, s2
	s_cbranch_vccz .LBB22_441
.LBB22_226:
	scratch_load_b64 v[50:51], off, off offset:8
	v_cmp_eq_u32_e64 s0, 0, v0
	s_wait_loadcnt 0x0
	ds_store_b64 v1, v[50:51]
	s_wait_storecnt_dscnt 0x0
	s_barrier_signal -1
	s_barrier_wait -1
	s_wait_xcnt 0x0
	s_and_saveexec_b32 s2, s0
	s_cbranch_execz .LBB22_232
; %bb.227:
	s_and_b32 vcc_lo, exec_lo, s3
	s_cbranch_vccz .LBB22_229
; %bb.228:
	scratch_load_b64 v[50:51], v39, off
	ds_load_b64 v[52:53], v1
	s_wait_loadcnt_dscnt 0x0
	v_pk_mul_f32 v[54:55], v[52:53], v[50:51] op_sel:[1,1] op_sel_hi:[0,1]
	v_pk_mul_f32 v[56:57], v[52:53], v[50:51] op_sel_hi:[1,0]
	s_delay_alu instid0(VALU_DEP_2) | instskip(NEXT) | instid1(VALU_DEP_2)
	v_pk_fma_f32 v[50:51], v[52:53], v[50:51], v[54:55] op_sel_hi:[1,0,1]
	v_sub_f32_e32 v50, v56, v54
	s_cbranch_execz .LBB22_230
	s_branch .LBB22_231
.LBB22_229:
                                        ; implicit-def: $vgpr51
.LBB22_230:
	ds_load_b64 v[50:51], v1
.LBB22_231:
	s_wait_dscnt 0x0
	v_dual_mov_b32 v52, 0 :: v_dual_mov_b32 v54, v51
	v_mov_b32_e32 v55, v50
	ds_load_b64 v[52:53], v52 offset:8
	s_wait_dscnt 0x0
	v_pk_mul_f32 v[54:55], v[54:55], v[52:53] op_sel:[0,1]
	s_delay_alu instid0(VALU_DEP_1) | instskip(SKIP_1) | instid1(VALU_DEP_2)
	v_pk_fma_f32 v[56:57], v[50:51], v[52:53], v[54:55] op_sel_hi:[1,0,1]
	v_pk_fma_f32 v[50:51], v[50:51], v[52:53], v[54:55] neg_lo:[0,0,1] neg_hi:[0,0,1]
	v_mov_b32_e32 v51, v57
	scratch_store_b64 off, v[50:51], off offset:8
.LBB22_232:
	s_wait_xcnt 0x0
	s_or_b32 exec_lo, exec_lo, s2
	scratch_load_b64 v[50:51], off, off offset:16
	v_cndmask_b32_e64 v52, 0, 1, s3
	s_mov_b32 s2, exec_lo
	s_wait_loadcnt 0x0
	ds_store_b64 v1, v[50:51]
	s_wait_storecnt_dscnt 0x0
	s_barrier_signal -1
	s_barrier_wait -1
	s_wait_xcnt 0x0
	v_cmpx_gt_u32_e32 2, v0
	s_cbranch_execz .LBB22_240
; %bb.233:
	s_and_not1_b32 vcc_lo, exec_lo, s3
	s_cbranch_vccnz .LBB22_235
; %bb.234:
	scratch_load_b64 v[50:51], v39, off
	ds_load_b64 v[54:55], v1
	s_wait_loadcnt_dscnt 0x0
	v_pk_mul_f32 v[56:57], v[54:55], v[50:51] op_sel:[1,1] op_sel_hi:[0,1]
	s_delay_alu instid0(VALU_DEP_1) | instskip(SKIP_1) | instid1(VALU_DEP_2)
	v_pk_fma_f32 v[58:59], v[54:55], v[50:51], v[56:57] op_sel_hi:[1,0,1]
	v_pk_fma_f32 v[50:51], v[54:55], v[50:51], v[56:57] neg_lo:[0,0,1] neg_hi:[0,0,1]
	v_mov_b32_e32 v51, v59
	s_cbranch_execz .LBB22_236
	s_branch .LBB22_237
.LBB22_235:
                                        ; implicit-def: $vgpr50_vgpr51
.LBB22_236:
	ds_load_b64 v[50:51], v1
.LBB22_237:
	s_and_saveexec_b32 s3, s0
	s_cbranch_execz .LBB22_239
; %bb.238:
	scratch_load_b64 v[54:55], off, off offset:8
	v_mov_b32_e32 v53, 0
	ds_load_b64 v[56:57], v53 offset:200
	s_wait_loadcnt_dscnt 0x0
	v_pk_mul_f32 v[58:59], v[56:57], v[54:55] op_sel:[1,1] op_sel_hi:[0,1]
	s_delay_alu instid0(VALU_DEP_1) | instskip(SKIP_1) | instid1(VALU_DEP_2)
	v_pk_fma_f32 v[60:61], v[56:57], v[54:55], v[58:59] op_sel_hi:[1,0,1]
	v_pk_fma_f32 v[54:55], v[56:57], v[54:55], v[58:59] neg_lo:[0,0,1] neg_hi:[0,0,1]
	v_mov_b32_e32 v55, v61
	s_delay_alu instid0(VALU_DEP_1)
	v_pk_add_f32 v[50:51], v[50:51], v[54:55]
.LBB22_239:
	s_or_b32 exec_lo, exec_lo, s3
	v_mov_b32_e32 v53, 0
	ds_load_b64 v[54:55], v53 offset:16
	s_wait_dscnt 0x0
	v_pk_mul_f32 v[56:57], v[50:51], v[54:55] op_sel:[1,1] op_sel_hi:[0,1]
	s_delay_alu instid0(VALU_DEP_1) | instskip(SKIP_1) | instid1(VALU_DEP_2)
	v_pk_fma_f32 v[58:59], v[50:51], v[54:55], v[56:57] op_sel_hi:[1,0,1]
	v_pk_fma_f32 v[50:51], v[50:51], v[54:55], v[56:57] neg_lo:[0,0,1] neg_hi:[0,0,1]
	v_mov_b32_e32 v51, v59
	scratch_store_b64 off, v[50:51], off offset:16
.LBB22_240:
	s_wait_xcnt 0x0
	s_or_b32 exec_lo, exec_lo, s2
	scratch_load_b64 v[50:51], off, off offset:24
	s_mov_b32 s2, exec_lo
	s_wait_loadcnt 0x0
	ds_store_b64 v1, v[50:51]
	s_wait_storecnt_dscnt 0x0
	s_barrier_signal -1
	s_barrier_wait -1
	s_wait_xcnt 0x0
	v_cmpx_gt_u32_e32 3, v0
	s_cbranch_execz .LBB22_250
; %bb.241:
	v_cmp_ne_u32_e32 vcc_lo, 1, v52
	s_cbranch_vccnz .LBB22_243
; %bb.242:
	scratch_load_b64 v[50:51], v39, off
	ds_load_b64 v[54:55], v1
	s_wait_loadcnt_dscnt 0x0
	v_pk_mul_f32 v[56:57], v[54:55], v[50:51] op_sel:[1,1] op_sel_hi:[0,1]
	s_delay_alu instid0(VALU_DEP_1) | instskip(SKIP_1) | instid1(VALU_DEP_2)
	v_pk_fma_f32 v[58:59], v[54:55], v[50:51], v[56:57] op_sel_hi:[1,0,1]
	v_pk_fma_f32 v[50:51], v[54:55], v[50:51], v[56:57] neg_lo:[0,0,1] neg_hi:[0,0,1]
	v_mov_b32_e32 v51, v59
	s_cbranch_execz .LBB22_244
	s_branch .LBB22_245
.LBB22_243:
                                        ; implicit-def: $vgpr50_vgpr51
.LBB22_244:
	ds_load_b64 v[50:51], v1
.LBB22_245:
	s_mov_b32 s3, exec_lo
	v_cmpx_ne_u32_e32 2, v0
	s_cbranch_execz .LBB22_249
; %bb.246:
	scratch_load_b64 v[54:55], v39, off offset:8
	ds_load_b64 v[56:57], v1 offset:8
	s_wait_loadcnt_dscnt 0x0
	v_pk_mul_f32 v[58:59], v[56:57], v[54:55] op_sel:[1,1] op_sel_hi:[0,1]
	s_delay_alu instid0(VALU_DEP_1) | instskip(SKIP_1) | instid1(VALU_DEP_2)
	v_pk_fma_f32 v[60:61], v[56:57], v[54:55], v[58:59] op_sel_hi:[1,0,1]
	v_pk_fma_f32 v[54:55], v[56:57], v[54:55], v[58:59] neg_lo:[0,0,1] neg_hi:[0,0,1]
	v_mov_b32_e32 v55, v61
	s_delay_alu instid0(VALU_DEP_1)
	v_pk_add_f32 v[50:51], v[50:51], v[54:55]
	s_and_saveexec_b32 s4, s0
	s_cbranch_execz .LBB22_248
; %bb.247:
	scratch_load_b64 v[54:55], off, off offset:16
	v_mov_b32_e32 v53, 0
	ds_load_b64 v[56:57], v53 offset:208
	s_wait_loadcnt_dscnt 0x0
	v_pk_mul_f32 v[58:59], v[56:57], v[54:55] op_sel:[1,1] op_sel_hi:[0,1]
	s_delay_alu instid0(VALU_DEP_1) | instskip(SKIP_1) | instid1(VALU_DEP_2)
	v_pk_fma_f32 v[60:61], v[56:57], v[54:55], v[58:59] op_sel_hi:[1,0,1]
	v_pk_fma_f32 v[54:55], v[56:57], v[54:55], v[58:59] neg_lo:[0,0,1] neg_hi:[0,0,1]
	v_mov_b32_e32 v55, v61
	s_delay_alu instid0(VALU_DEP_1)
	v_pk_add_f32 v[50:51], v[50:51], v[54:55]
.LBB22_248:
	s_or_b32 exec_lo, exec_lo, s4
.LBB22_249:
	s_delay_alu instid0(SALU_CYCLE_1) | instskip(SKIP_4) | instid1(VALU_DEP_1)
	s_or_b32 exec_lo, exec_lo, s3
	v_mov_b32_e32 v53, 0
	ds_load_b64 v[54:55], v53 offset:24
	s_wait_dscnt 0x0
	v_pk_mul_f32 v[56:57], v[50:51], v[54:55] op_sel:[1,1] op_sel_hi:[0,1]
	v_pk_fma_f32 v[58:59], v[50:51], v[54:55], v[56:57] op_sel_hi:[1,0,1]
	v_pk_fma_f32 v[50:51], v[50:51], v[54:55], v[56:57] neg_lo:[0,0,1] neg_hi:[0,0,1]
	s_delay_alu instid0(VALU_DEP_2)
	v_mov_b32_e32 v51, v59
	scratch_store_b64 off, v[50:51], off offset:24
.LBB22_250:
	s_wait_xcnt 0x0
	s_or_b32 exec_lo, exec_lo, s2
	scratch_load_b64 v[50:51], off, off offset:32
	s_mov_b32 s0, exec_lo
	s_wait_loadcnt 0x0
	ds_store_b64 v1, v[50:51]
	s_wait_storecnt_dscnt 0x0
	s_barrier_signal -1
	s_barrier_wait -1
	s_wait_xcnt 0x0
	v_cmpx_gt_u32_e32 4, v0
	s_cbranch_execz .LBB22_260
; %bb.251:
	v_cmp_ne_u32_e32 vcc_lo, 1, v52
	s_cbranch_vccnz .LBB22_253
; %bb.252:
	scratch_load_b64 v[50:51], v39, off
	ds_load_b64 v[54:55], v1
	s_wait_loadcnt_dscnt 0x0
	v_pk_mul_f32 v[56:57], v[54:55], v[50:51] op_sel:[1,1] op_sel_hi:[0,1]
	s_delay_alu instid0(VALU_DEP_1) | instskip(SKIP_1) | instid1(VALU_DEP_2)
	v_pk_fma_f32 v[58:59], v[54:55], v[50:51], v[56:57] op_sel_hi:[1,0,1]
	v_pk_fma_f32 v[50:51], v[54:55], v[50:51], v[56:57] neg_lo:[0,0,1] neg_hi:[0,0,1]
	v_mov_b32_e32 v51, v59
	s_cbranch_execz .LBB22_254
	s_branch .LBB22_255
.LBB22_253:
                                        ; implicit-def: $vgpr50_vgpr51
.LBB22_254:
	ds_load_b64 v[50:51], v1
.LBB22_255:
	s_mov_b32 s2, exec_lo
	v_cmpx_ne_u32_e32 3, v0
	s_cbranch_execz .LBB22_259
; %bb.256:
	v_add_nc_u32_e32 v53, 0xc8, v38
	v_add3_u32 v54, 0, v38, 8
	v_mov_b32_e32 v55, v0
	s_mov_b32 s3, 0
.LBB22_257:                             ; =>This Inner Loop Header: Depth=1
	scratch_load_b64 v[56:57], v54, off
	ds_load_b64 v[58:59], v53
	s_wait_xcnt 0x0
	v_dual_add_nc_u32 v53, 8, v53 :: v_dual_add_nc_u32 v54, 8, v54
	s_wait_loadcnt_dscnt 0x0
	v_pk_mul_f32 v[60:61], v[58:59], v[56:57] op_sel:[1,1] op_sel_hi:[0,1]
	s_delay_alu instid0(VALU_DEP_1) | instskip(SKIP_2) | instid1(VALU_DEP_3)
	v_pk_fma_f32 v[62:63], v[58:59], v[56:57], v[60:61] op_sel_hi:[1,0,1]
	v_add_nc_u32_e32 v55, 1, v55
	v_pk_fma_f32 v[56:57], v[58:59], v[56:57], v[60:61] neg_lo:[0,0,1] neg_hi:[0,0,1]
	v_mov_b32_e32 v57, v63
	s_delay_alu instid0(VALU_DEP_3) | instskip(NEXT) | instid1(VALU_DEP_2)
	v_cmp_lt_u32_e32 vcc_lo, 2, v55
	v_pk_add_f32 v[50:51], v[50:51], v[56:57]
	s_or_b32 s3, vcc_lo, s3
	s_delay_alu instid0(SALU_CYCLE_1)
	s_and_not1_b32 exec_lo, exec_lo, s3
	s_cbranch_execnz .LBB22_257
; %bb.258:
	s_or_b32 exec_lo, exec_lo, s3
.LBB22_259:
	s_delay_alu instid0(SALU_CYCLE_1) | instskip(SKIP_4) | instid1(VALU_DEP_1)
	s_or_b32 exec_lo, exec_lo, s2
	v_mov_b32_e32 v53, 0
	ds_load_b64 v[54:55], v53 offset:32
	s_wait_dscnt 0x0
	v_pk_mul_f32 v[56:57], v[50:51], v[54:55] op_sel:[1,1] op_sel_hi:[0,1]
	v_pk_fma_f32 v[58:59], v[50:51], v[54:55], v[56:57] op_sel_hi:[1,0,1]
	v_pk_fma_f32 v[50:51], v[50:51], v[54:55], v[56:57] neg_lo:[0,0,1] neg_hi:[0,0,1]
	s_delay_alu instid0(VALU_DEP_2)
	v_mov_b32_e32 v51, v59
	scratch_store_b64 off, v[50:51], off offset:32
.LBB22_260:
	s_wait_xcnt 0x0
	s_or_b32 exec_lo, exec_lo, s0
	scratch_load_b64 v[50:51], off, off offset:40
	s_mov_b32 s0, exec_lo
	s_wait_loadcnt 0x0
	ds_store_b64 v1, v[50:51]
	s_wait_storecnt_dscnt 0x0
	s_barrier_signal -1
	s_barrier_wait -1
	s_wait_xcnt 0x0
	v_cmpx_gt_u32_e32 5, v0
	s_cbranch_execz .LBB22_270
; %bb.261:
	v_cmp_ne_u32_e32 vcc_lo, 1, v52
	s_cbranch_vccnz .LBB22_263
; %bb.262:
	scratch_load_b64 v[50:51], v39, off
	ds_load_b64 v[54:55], v1
	s_wait_loadcnt_dscnt 0x0
	v_pk_mul_f32 v[56:57], v[54:55], v[50:51] op_sel:[1,1] op_sel_hi:[0,1]
	s_delay_alu instid0(VALU_DEP_1) | instskip(SKIP_1) | instid1(VALU_DEP_2)
	v_pk_fma_f32 v[58:59], v[54:55], v[50:51], v[56:57] op_sel_hi:[1,0,1]
	v_pk_fma_f32 v[50:51], v[54:55], v[50:51], v[56:57] neg_lo:[0,0,1] neg_hi:[0,0,1]
	v_mov_b32_e32 v51, v59
	s_cbranch_execz .LBB22_264
	s_branch .LBB22_265
.LBB22_263:
                                        ; implicit-def: $vgpr50_vgpr51
.LBB22_264:
	ds_load_b64 v[50:51], v1
.LBB22_265:
	s_mov_b32 s2, exec_lo
	v_cmpx_ne_u32_e32 4, v0
	s_cbranch_execz .LBB22_269
; %bb.266:
	v_add_nc_u32_e32 v53, 0xc8, v38
	v_add3_u32 v54, 0, v38, 8
	v_mov_b32_e32 v55, v0
	s_mov_b32 s3, 0
.LBB22_267:                             ; =>This Inner Loop Header: Depth=1
	scratch_load_b64 v[56:57], v54, off
	ds_load_b64 v[58:59], v53
	s_wait_xcnt 0x0
	v_dual_add_nc_u32 v53, 8, v53 :: v_dual_add_nc_u32 v54, 8, v54
	s_wait_loadcnt_dscnt 0x0
	v_pk_mul_f32 v[60:61], v[58:59], v[56:57] op_sel:[1,1] op_sel_hi:[0,1]
	s_delay_alu instid0(VALU_DEP_1) | instskip(SKIP_2) | instid1(VALU_DEP_3)
	v_pk_fma_f32 v[62:63], v[58:59], v[56:57], v[60:61] op_sel_hi:[1,0,1]
	v_add_nc_u32_e32 v55, 1, v55
	v_pk_fma_f32 v[56:57], v[58:59], v[56:57], v[60:61] neg_lo:[0,0,1] neg_hi:[0,0,1]
	v_mov_b32_e32 v57, v63
	s_delay_alu instid0(VALU_DEP_3) | instskip(NEXT) | instid1(VALU_DEP_2)
	v_cmp_lt_u32_e32 vcc_lo, 3, v55
	v_pk_add_f32 v[50:51], v[50:51], v[56:57]
	s_or_b32 s3, vcc_lo, s3
	s_delay_alu instid0(SALU_CYCLE_1)
	s_and_not1_b32 exec_lo, exec_lo, s3
	s_cbranch_execnz .LBB22_267
; %bb.268:
	s_or_b32 exec_lo, exec_lo, s3
.LBB22_269:
	s_delay_alu instid0(SALU_CYCLE_1) | instskip(SKIP_4) | instid1(VALU_DEP_1)
	s_or_b32 exec_lo, exec_lo, s2
	v_mov_b32_e32 v53, 0
	ds_load_b64 v[54:55], v53 offset:40
	s_wait_dscnt 0x0
	v_pk_mul_f32 v[56:57], v[50:51], v[54:55] op_sel:[1,1] op_sel_hi:[0,1]
	v_pk_fma_f32 v[58:59], v[50:51], v[54:55], v[56:57] op_sel_hi:[1,0,1]
	v_pk_fma_f32 v[50:51], v[50:51], v[54:55], v[56:57] neg_lo:[0,0,1] neg_hi:[0,0,1]
	s_delay_alu instid0(VALU_DEP_2)
	v_mov_b32_e32 v51, v59
	scratch_store_b64 off, v[50:51], off offset:40
.LBB22_270:
	s_wait_xcnt 0x0
	s_or_b32 exec_lo, exec_lo, s0
	scratch_load_b64 v[50:51], off, off offset:48
	s_mov_b32 s0, exec_lo
	s_wait_loadcnt 0x0
	ds_store_b64 v1, v[50:51]
	s_wait_storecnt_dscnt 0x0
	s_barrier_signal -1
	s_barrier_wait -1
	s_wait_xcnt 0x0
	v_cmpx_gt_u32_e32 6, v0
	s_cbranch_execz .LBB22_280
; %bb.271:
	v_cmp_ne_u32_e32 vcc_lo, 1, v52
	s_cbranch_vccnz .LBB22_273
; %bb.272:
	scratch_load_b64 v[50:51], v39, off
	ds_load_b64 v[54:55], v1
	s_wait_loadcnt_dscnt 0x0
	v_pk_mul_f32 v[56:57], v[54:55], v[50:51] op_sel:[1,1] op_sel_hi:[0,1]
	s_delay_alu instid0(VALU_DEP_1) | instskip(SKIP_1) | instid1(VALU_DEP_2)
	v_pk_fma_f32 v[58:59], v[54:55], v[50:51], v[56:57] op_sel_hi:[1,0,1]
	v_pk_fma_f32 v[50:51], v[54:55], v[50:51], v[56:57] neg_lo:[0,0,1] neg_hi:[0,0,1]
	v_mov_b32_e32 v51, v59
	s_cbranch_execz .LBB22_274
	s_branch .LBB22_275
.LBB22_273:
                                        ; implicit-def: $vgpr50_vgpr51
.LBB22_274:
	ds_load_b64 v[50:51], v1
.LBB22_275:
	s_mov_b32 s2, exec_lo
	v_cmpx_ne_u32_e32 5, v0
	s_cbranch_execz .LBB22_279
; %bb.276:
	v_add_nc_u32_e32 v53, 0xc8, v38
	v_add3_u32 v54, 0, v38, 8
	v_mov_b32_e32 v55, v0
	s_mov_b32 s3, 0
.LBB22_277:                             ; =>This Inner Loop Header: Depth=1
	scratch_load_b64 v[56:57], v54, off
	ds_load_b64 v[58:59], v53
	s_wait_xcnt 0x0
	v_dual_add_nc_u32 v53, 8, v53 :: v_dual_add_nc_u32 v54, 8, v54
	s_wait_loadcnt_dscnt 0x0
	v_pk_mul_f32 v[60:61], v[58:59], v[56:57] op_sel:[1,1] op_sel_hi:[0,1]
	s_delay_alu instid0(VALU_DEP_1) | instskip(SKIP_2) | instid1(VALU_DEP_3)
	v_pk_fma_f32 v[62:63], v[58:59], v[56:57], v[60:61] op_sel_hi:[1,0,1]
	v_add_nc_u32_e32 v55, 1, v55
	v_pk_fma_f32 v[56:57], v[58:59], v[56:57], v[60:61] neg_lo:[0,0,1] neg_hi:[0,0,1]
	v_mov_b32_e32 v57, v63
	s_delay_alu instid0(VALU_DEP_3) | instskip(NEXT) | instid1(VALU_DEP_2)
	v_cmp_lt_u32_e32 vcc_lo, 4, v55
	v_pk_add_f32 v[50:51], v[50:51], v[56:57]
	s_or_b32 s3, vcc_lo, s3
	s_delay_alu instid0(SALU_CYCLE_1)
	s_and_not1_b32 exec_lo, exec_lo, s3
	s_cbranch_execnz .LBB22_277
; %bb.278:
	s_or_b32 exec_lo, exec_lo, s3
.LBB22_279:
	s_delay_alu instid0(SALU_CYCLE_1) | instskip(SKIP_4) | instid1(VALU_DEP_1)
	s_or_b32 exec_lo, exec_lo, s2
	v_mov_b32_e32 v53, 0
	ds_load_b64 v[54:55], v53 offset:48
	s_wait_dscnt 0x0
	v_pk_mul_f32 v[56:57], v[50:51], v[54:55] op_sel:[1,1] op_sel_hi:[0,1]
	v_pk_fma_f32 v[58:59], v[50:51], v[54:55], v[56:57] op_sel_hi:[1,0,1]
	v_pk_fma_f32 v[50:51], v[50:51], v[54:55], v[56:57] neg_lo:[0,0,1] neg_hi:[0,0,1]
	s_delay_alu instid0(VALU_DEP_2)
	v_mov_b32_e32 v51, v59
	scratch_store_b64 off, v[50:51], off offset:48
.LBB22_280:
	s_wait_xcnt 0x0
	s_or_b32 exec_lo, exec_lo, s0
	scratch_load_b64 v[50:51], off, off offset:56
	s_mov_b32 s0, exec_lo
	s_wait_loadcnt 0x0
	ds_store_b64 v1, v[50:51]
	s_wait_storecnt_dscnt 0x0
	s_barrier_signal -1
	s_barrier_wait -1
	s_wait_xcnt 0x0
	v_cmpx_gt_u32_e32 7, v0
	s_cbranch_execz .LBB22_290
; %bb.281:
	v_cmp_ne_u32_e32 vcc_lo, 1, v52
	s_cbranch_vccnz .LBB22_283
; %bb.282:
	scratch_load_b64 v[50:51], v39, off
	ds_load_b64 v[54:55], v1
	s_wait_loadcnt_dscnt 0x0
	v_pk_mul_f32 v[56:57], v[54:55], v[50:51] op_sel:[1,1] op_sel_hi:[0,1]
	s_delay_alu instid0(VALU_DEP_1) | instskip(SKIP_1) | instid1(VALU_DEP_2)
	v_pk_fma_f32 v[58:59], v[54:55], v[50:51], v[56:57] op_sel_hi:[1,0,1]
	v_pk_fma_f32 v[50:51], v[54:55], v[50:51], v[56:57] neg_lo:[0,0,1] neg_hi:[0,0,1]
	v_mov_b32_e32 v51, v59
	s_cbranch_execz .LBB22_284
	s_branch .LBB22_285
.LBB22_283:
                                        ; implicit-def: $vgpr50_vgpr51
.LBB22_284:
	ds_load_b64 v[50:51], v1
.LBB22_285:
	s_mov_b32 s2, exec_lo
	v_cmpx_ne_u32_e32 6, v0
	s_cbranch_execz .LBB22_289
; %bb.286:
	v_add_nc_u32_e32 v53, 0xc8, v38
	v_add3_u32 v54, 0, v38, 8
	v_mov_b32_e32 v55, v0
	s_mov_b32 s3, 0
.LBB22_287:                             ; =>This Inner Loop Header: Depth=1
	scratch_load_b64 v[56:57], v54, off
	ds_load_b64 v[58:59], v53
	s_wait_xcnt 0x0
	v_dual_add_nc_u32 v53, 8, v53 :: v_dual_add_nc_u32 v54, 8, v54
	s_wait_loadcnt_dscnt 0x0
	v_pk_mul_f32 v[60:61], v[58:59], v[56:57] op_sel:[1,1] op_sel_hi:[0,1]
	s_delay_alu instid0(VALU_DEP_1) | instskip(SKIP_2) | instid1(VALU_DEP_3)
	v_pk_fma_f32 v[62:63], v[58:59], v[56:57], v[60:61] op_sel_hi:[1,0,1]
	v_add_nc_u32_e32 v55, 1, v55
	v_pk_fma_f32 v[56:57], v[58:59], v[56:57], v[60:61] neg_lo:[0,0,1] neg_hi:[0,0,1]
	v_mov_b32_e32 v57, v63
	s_delay_alu instid0(VALU_DEP_3) | instskip(NEXT) | instid1(VALU_DEP_2)
	v_cmp_lt_u32_e32 vcc_lo, 5, v55
	v_pk_add_f32 v[50:51], v[50:51], v[56:57]
	s_or_b32 s3, vcc_lo, s3
	s_delay_alu instid0(SALU_CYCLE_1)
	s_and_not1_b32 exec_lo, exec_lo, s3
	s_cbranch_execnz .LBB22_287
; %bb.288:
	s_or_b32 exec_lo, exec_lo, s3
.LBB22_289:
	s_delay_alu instid0(SALU_CYCLE_1) | instskip(SKIP_4) | instid1(VALU_DEP_1)
	s_or_b32 exec_lo, exec_lo, s2
	v_mov_b32_e32 v53, 0
	ds_load_b64 v[54:55], v53 offset:56
	s_wait_dscnt 0x0
	v_pk_mul_f32 v[56:57], v[50:51], v[54:55] op_sel:[1,1] op_sel_hi:[0,1]
	v_pk_fma_f32 v[58:59], v[50:51], v[54:55], v[56:57] op_sel_hi:[1,0,1]
	v_pk_fma_f32 v[50:51], v[50:51], v[54:55], v[56:57] neg_lo:[0,0,1] neg_hi:[0,0,1]
	s_delay_alu instid0(VALU_DEP_2)
	v_mov_b32_e32 v51, v59
	scratch_store_b64 off, v[50:51], off offset:56
.LBB22_290:
	s_wait_xcnt 0x0
	s_or_b32 exec_lo, exec_lo, s0
	scratch_load_b64 v[50:51], off, off offset:64
	s_mov_b32 s0, exec_lo
	s_wait_loadcnt 0x0
	ds_store_b64 v1, v[50:51]
	s_wait_storecnt_dscnt 0x0
	s_barrier_signal -1
	s_barrier_wait -1
	s_wait_xcnt 0x0
	v_cmpx_gt_u32_e32 8, v0
	s_cbranch_execz .LBB22_300
; %bb.291:
	v_cmp_ne_u32_e32 vcc_lo, 1, v52
	s_cbranch_vccnz .LBB22_293
; %bb.292:
	scratch_load_b64 v[50:51], v39, off
	ds_load_b64 v[54:55], v1
	s_wait_loadcnt_dscnt 0x0
	v_pk_mul_f32 v[56:57], v[54:55], v[50:51] op_sel:[1,1] op_sel_hi:[0,1]
	s_delay_alu instid0(VALU_DEP_1) | instskip(SKIP_1) | instid1(VALU_DEP_2)
	v_pk_fma_f32 v[58:59], v[54:55], v[50:51], v[56:57] op_sel_hi:[1,0,1]
	v_pk_fma_f32 v[50:51], v[54:55], v[50:51], v[56:57] neg_lo:[0,0,1] neg_hi:[0,0,1]
	v_mov_b32_e32 v51, v59
	s_cbranch_execz .LBB22_294
	s_branch .LBB22_295
.LBB22_293:
                                        ; implicit-def: $vgpr50_vgpr51
.LBB22_294:
	ds_load_b64 v[50:51], v1
.LBB22_295:
	s_mov_b32 s2, exec_lo
	v_cmpx_ne_u32_e32 7, v0
	s_cbranch_execz .LBB22_299
; %bb.296:
	v_add_nc_u32_e32 v53, 0xc8, v38
	v_add3_u32 v54, 0, v38, 8
	v_mov_b32_e32 v55, v0
	s_mov_b32 s3, 0
.LBB22_297:                             ; =>This Inner Loop Header: Depth=1
	scratch_load_b64 v[56:57], v54, off
	ds_load_b64 v[58:59], v53
	s_wait_xcnt 0x0
	v_dual_add_nc_u32 v53, 8, v53 :: v_dual_add_nc_u32 v54, 8, v54
	s_wait_loadcnt_dscnt 0x0
	v_pk_mul_f32 v[60:61], v[58:59], v[56:57] op_sel:[1,1] op_sel_hi:[0,1]
	s_delay_alu instid0(VALU_DEP_1) | instskip(SKIP_2) | instid1(VALU_DEP_3)
	v_pk_fma_f32 v[62:63], v[58:59], v[56:57], v[60:61] op_sel_hi:[1,0,1]
	v_add_nc_u32_e32 v55, 1, v55
	v_pk_fma_f32 v[56:57], v[58:59], v[56:57], v[60:61] neg_lo:[0,0,1] neg_hi:[0,0,1]
	v_mov_b32_e32 v57, v63
	s_delay_alu instid0(VALU_DEP_3) | instskip(NEXT) | instid1(VALU_DEP_2)
	v_cmp_lt_u32_e32 vcc_lo, 6, v55
	v_pk_add_f32 v[50:51], v[50:51], v[56:57]
	s_or_b32 s3, vcc_lo, s3
	s_delay_alu instid0(SALU_CYCLE_1)
	s_and_not1_b32 exec_lo, exec_lo, s3
	s_cbranch_execnz .LBB22_297
; %bb.298:
	s_or_b32 exec_lo, exec_lo, s3
.LBB22_299:
	s_delay_alu instid0(SALU_CYCLE_1) | instskip(SKIP_4) | instid1(VALU_DEP_1)
	s_or_b32 exec_lo, exec_lo, s2
	v_mov_b32_e32 v53, 0
	ds_load_b64 v[54:55], v53 offset:64
	s_wait_dscnt 0x0
	v_pk_mul_f32 v[56:57], v[50:51], v[54:55] op_sel:[1,1] op_sel_hi:[0,1]
	v_pk_fma_f32 v[58:59], v[50:51], v[54:55], v[56:57] op_sel_hi:[1,0,1]
	v_pk_fma_f32 v[50:51], v[50:51], v[54:55], v[56:57] neg_lo:[0,0,1] neg_hi:[0,0,1]
	s_delay_alu instid0(VALU_DEP_2)
	v_mov_b32_e32 v51, v59
	scratch_store_b64 off, v[50:51], off offset:64
.LBB22_300:
	s_wait_xcnt 0x0
	s_or_b32 exec_lo, exec_lo, s0
	scratch_load_b64 v[50:51], off, off offset:72
	s_mov_b32 s0, exec_lo
	s_wait_loadcnt 0x0
	ds_store_b64 v1, v[50:51]
	s_wait_storecnt_dscnt 0x0
	s_barrier_signal -1
	s_barrier_wait -1
	s_wait_xcnt 0x0
	v_cmpx_gt_u32_e32 9, v0
	s_cbranch_execz .LBB22_310
; %bb.301:
	v_cmp_ne_u32_e32 vcc_lo, 1, v52
	s_cbranch_vccnz .LBB22_303
; %bb.302:
	scratch_load_b64 v[50:51], v39, off
	ds_load_b64 v[54:55], v1
	s_wait_loadcnt_dscnt 0x0
	v_pk_mul_f32 v[56:57], v[54:55], v[50:51] op_sel:[1,1] op_sel_hi:[0,1]
	s_delay_alu instid0(VALU_DEP_1) | instskip(SKIP_1) | instid1(VALU_DEP_2)
	v_pk_fma_f32 v[58:59], v[54:55], v[50:51], v[56:57] op_sel_hi:[1,0,1]
	v_pk_fma_f32 v[50:51], v[54:55], v[50:51], v[56:57] neg_lo:[0,0,1] neg_hi:[0,0,1]
	v_mov_b32_e32 v51, v59
	s_cbranch_execz .LBB22_304
	s_branch .LBB22_305
.LBB22_303:
                                        ; implicit-def: $vgpr50_vgpr51
.LBB22_304:
	ds_load_b64 v[50:51], v1
.LBB22_305:
	s_mov_b32 s2, exec_lo
	v_cmpx_ne_u32_e32 8, v0
	s_cbranch_execz .LBB22_309
; %bb.306:
	v_add_nc_u32_e32 v53, 0xc8, v38
	v_add3_u32 v54, 0, v38, 8
	v_mov_b32_e32 v55, v0
	s_mov_b32 s3, 0
.LBB22_307:                             ; =>This Inner Loop Header: Depth=1
	scratch_load_b64 v[56:57], v54, off
	ds_load_b64 v[58:59], v53
	s_wait_xcnt 0x0
	v_dual_add_nc_u32 v53, 8, v53 :: v_dual_add_nc_u32 v54, 8, v54
	s_wait_loadcnt_dscnt 0x0
	v_pk_mul_f32 v[60:61], v[58:59], v[56:57] op_sel:[1,1] op_sel_hi:[0,1]
	s_delay_alu instid0(VALU_DEP_1) | instskip(SKIP_2) | instid1(VALU_DEP_3)
	v_pk_fma_f32 v[62:63], v[58:59], v[56:57], v[60:61] op_sel_hi:[1,0,1]
	v_add_nc_u32_e32 v55, 1, v55
	v_pk_fma_f32 v[56:57], v[58:59], v[56:57], v[60:61] neg_lo:[0,0,1] neg_hi:[0,0,1]
	v_mov_b32_e32 v57, v63
	s_delay_alu instid0(VALU_DEP_3) | instskip(NEXT) | instid1(VALU_DEP_2)
	v_cmp_lt_u32_e32 vcc_lo, 7, v55
	v_pk_add_f32 v[50:51], v[50:51], v[56:57]
	s_or_b32 s3, vcc_lo, s3
	s_delay_alu instid0(SALU_CYCLE_1)
	s_and_not1_b32 exec_lo, exec_lo, s3
	s_cbranch_execnz .LBB22_307
; %bb.308:
	s_or_b32 exec_lo, exec_lo, s3
.LBB22_309:
	s_delay_alu instid0(SALU_CYCLE_1) | instskip(SKIP_4) | instid1(VALU_DEP_1)
	s_or_b32 exec_lo, exec_lo, s2
	v_mov_b32_e32 v53, 0
	ds_load_b64 v[54:55], v53 offset:72
	s_wait_dscnt 0x0
	v_pk_mul_f32 v[56:57], v[50:51], v[54:55] op_sel:[1,1] op_sel_hi:[0,1]
	v_pk_fma_f32 v[58:59], v[50:51], v[54:55], v[56:57] op_sel_hi:[1,0,1]
	v_pk_fma_f32 v[50:51], v[50:51], v[54:55], v[56:57] neg_lo:[0,0,1] neg_hi:[0,0,1]
	s_delay_alu instid0(VALU_DEP_2)
	v_mov_b32_e32 v51, v59
	scratch_store_b64 off, v[50:51], off offset:72
.LBB22_310:
	s_wait_xcnt 0x0
	s_or_b32 exec_lo, exec_lo, s0
	scratch_load_b64 v[50:51], off, off offset:80
	s_mov_b32 s0, exec_lo
	s_wait_loadcnt 0x0
	ds_store_b64 v1, v[50:51]
	s_wait_storecnt_dscnt 0x0
	s_barrier_signal -1
	s_barrier_wait -1
	s_wait_xcnt 0x0
	v_cmpx_gt_u32_e32 10, v0
	s_cbranch_execz .LBB22_320
; %bb.311:
	v_cmp_ne_u32_e32 vcc_lo, 1, v52
	s_cbranch_vccnz .LBB22_313
; %bb.312:
	scratch_load_b64 v[50:51], v39, off
	ds_load_b64 v[54:55], v1
	s_wait_loadcnt_dscnt 0x0
	v_pk_mul_f32 v[56:57], v[54:55], v[50:51] op_sel:[1,1] op_sel_hi:[0,1]
	s_delay_alu instid0(VALU_DEP_1) | instskip(SKIP_1) | instid1(VALU_DEP_2)
	v_pk_fma_f32 v[58:59], v[54:55], v[50:51], v[56:57] op_sel_hi:[1,0,1]
	v_pk_fma_f32 v[50:51], v[54:55], v[50:51], v[56:57] neg_lo:[0,0,1] neg_hi:[0,0,1]
	v_mov_b32_e32 v51, v59
	s_cbranch_execz .LBB22_314
	s_branch .LBB22_315
.LBB22_313:
                                        ; implicit-def: $vgpr50_vgpr51
.LBB22_314:
	ds_load_b64 v[50:51], v1
.LBB22_315:
	s_mov_b32 s2, exec_lo
	v_cmpx_ne_u32_e32 9, v0
	s_cbranch_execz .LBB22_319
; %bb.316:
	v_add_nc_u32_e32 v53, 0xc8, v38
	v_add3_u32 v54, 0, v38, 8
	v_mov_b32_e32 v55, v0
	s_mov_b32 s3, 0
.LBB22_317:                             ; =>This Inner Loop Header: Depth=1
	scratch_load_b64 v[56:57], v54, off
	ds_load_b64 v[58:59], v53
	s_wait_xcnt 0x0
	v_dual_add_nc_u32 v53, 8, v53 :: v_dual_add_nc_u32 v54, 8, v54
	s_wait_loadcnt_dscnt 0x0
	v_pk_mul_f32 v[60:61], v[58:59], v[56:57] op_sel:[1,1] op_sel_hi:[0,1]
	s_delay_alu instid0(VALU_DEP_1) | instskip(SKIP_2) | instid1(VALU_DEP_3)
	v_pk_fma_f32 v[62:63], v[58:59], v[56:57], v[60:61] op_sel_hi:[1,0,1]
	v_add_nc_u32_e32 v55, 1, v55
	v_pk_fma_f32 v[56:57], v[58:59], v[56:57], v[60:61] neg_lo:[0,0,1] neg_hi:[0,0,1]
	v_mov_b32_e32 v57, v63
	s_delay_alu instid0(VALU_DEP_3) | instskip(NEXT) | instid1(VALU_DEP_2)
	v_cmp_lt_u32_e32 vcc_lo, 8, v55
	v_pk_add_f32 v[50:51], v[50:51], v[56:57]
	s_or_b32 s3, vcc_lo, s3
	s_delay_alu instid0(SALU_CYCLE_1)
	s_and_not1_b32 exec_lo, exec_lo, s3
	s_cbranch_execnz .LBB22_317
; %bb.318:
	s_or_b32 exec_lo, exec_lo, s3
.LBB22_319:
	s_delay_alu instid0(SALU_CYCLE_1) | instskip(SKIP_4) | instid1(VALU_DEP_1)
	s_or_b32 exec_lo, exec_lo, s2
	v_mov_b32_e32 v53, 0
	ds_load_b64 v[54:55], v53 offset:80
	s_wait_dscnt 0x0
	v_pk_mul_f32 v[56:57], v[50:51], v[54:55] op_sel:[1,1] op_sel_hi:[0,1]
	v_pk_fma_f32 v[58:59], v[50:51], v[54:55], v[56:57] op_sel_hi:[1,0,1]
	v_pk_fma_f32 v[50:51], v[50:51], v[54:55], v[56:57] neg_lo:[0,0,1] neg_hi:[0,0,1]
	s_delay_alu instid0(VALU_DEP_2)
	v_mov_b32_e32 v51, v59
	scratch_store_b64 off, v[50:51], off offset:80
.LBB22_320:
	s_wait_xcnt 0x0
	s_or_b32 exec_lo, exec_lo, s0
	scratch_load_b64 v[50:51], off, off offset:88
	s_mov_b32 s0, exec_lo
	s_wait_loadcnt 0x0
	ds_store_b64 v1, v[50:51]
	s_wait_storecnt_dscnt 0x0
	s_barrier_signal -1
	s_barrier_wait -1
	s_wait_xcnt 0x0
	v_cmpx_gt_u32_e32 11, v0
	s_cbranch_execz .LBB22_330
; %bb.321:
	v_cmp_ne_u32_e32 vcc_lo, 1, v52
	s_cbranch_vccnz .LBB22_323
; %bb.322:
	scratch_load_b64 v[50:51], v39, off
	ds_load_b64 v[54:55], v1
	s_wait_loadcnt_dscnt 0x0
	v_pk_mul_f32 v[56:57], v[54:55], v[50:51] op_sel:[1,1] op_sel_hi:[0,1]
	s_delay_alu instid0(VALU_DEP_1) | instskip(SKIP_1) | instid1(VALU_DEP_2)
	v_pk_fma_f32 v[58:59], v[54:55], v[50:51], v[56:57] op_sel_hi:[1,0,1]
	v_pk_fma_f32 v[50:51], v[54:55], v[50:51], v[56:57] neg_lo:[0,0,1] neg_hi:[0,0,1]
	v_mov_b32_e32 v51, v59
	s_cbranch_execz .LBB22_324
	s_branch .LBB22_325
.LBB22_323:
                                        ; implicit-def: $vgpr50_vgpr51
.LBB22_324:
	ds_load_b64 v[50:51], v1
.LBB22_325:
	s_mov_b32 s2, exec_lo
	v_cmpx_ne_u32_e32 10, v0
	s_cbranch_execz .LBB22_329
; %bb.326:
	v_add_nc_u32_e32 v53, 0xc8, v38
	v_add3_u32 v54, 0, v38, 8
	v_mov_b32_e32 v55, v0
	s_mov_b32 s3, 0
.LBB22_327:                             ; =>This Inner Loop Header: Depth=1
	scratch_load_b64 v[56:57], v54, off
	ds_load_b64 v[58:59], v53
	s_wait_xcnt 0x0
	v_dual_add_nc_u32 v53, 8, v53 :: v_dual_add_nc_u32 v54, 8, v54
	s_wait_loadcnt_dscnt 0x0
	v_pk_mul_f32 v[60:61], v[58:59], v[56:57] op_sel:[1,1] op_sel_hi:[0,1]
	s_delay_alu instid0(VALU_DEP_1) | instskip(SKIP_2) | instid1(VALU_DEP_3)
	v_pk_fma_f32 v[62:63], v[58:59], v[56:57], v[60:61] op_sel_hi:[1,0,1]
	v_add_nc_u32_e32 v55, 1, v55
	v_pk_fma_f32 v[56:57], v[58:59], v[56:57], v[60:61] neg_lo:[0,0,1] neg_hi:[0,0,1]
	v_mov_b32_e32 v57, v63
	s_delay_alu instid0(VALU_DEP_3) | instskip(NEXT) | instid1(VALU_DEP_2)
	v_cmp_lt_u32_e32 vcc_lo, 9, v55
	v_pk_add_f32 v[50:51], v[50:51], v[56:57]
	s_or_b32 s3, vcc_lo, s3
	s_delay_alu instid0(SALU_CYCLE_1)
	s_and_not1_b32 exec_lo, exec_lo, s3
	s_cbranch_execnz .LBB22_327
; %bb.328:
	s_or_b32 exec_lo, exec_lo, s3
.LBB22_329:
	s_delay_alu instid0(SALU_CYCLE_1) | instskip(SKIP_4) | instid1(VALU_DEP_1)
	s_or_b32 exec_lo, exec_lo, s2
	v_mov_b32_e32 v53, 0
	ds_load_b64 v[54:55], v53 offset:88
	s_wait_dscnt 0x0
	v_pk_mul_f32 v[56:57], v[50:51], v[54:55] op_sel:[1,1] op_sel_hi:[0,1]
	v_pk_fma_f32 v[58:59], v[50:51], v[54:55], v[56:57] op_sel_hi:[1,0,1]
	v_pk_fma_f32 v[50:51], v[50:51], v[54:55], v[56:57] neg_lo:[0,0,1] neg_hi:[0,0,1]
	s_delay_alu instid0(VALU_DEP_2)
	v_mov_b32_e32 v51, v59
	scratch_store_b64 off, v[50:51], off offset:88
.LBB22_330:
	s_wait_xcnt 0x0
	s_or_b32 exec_lo, exec_lo, s0
	scratch_load_b64 v[50:51], off, off offset:96
	s_mov_b32 s0, exec_lo
	s_wait_loadcnt 0x0
	ds_store_b64 v1, v[50:51]
	s_wait_storecnt_dscnt 0x0
	s_barrier_signal -1
	s_barrier_wait -1
	s_wait_xcnt 0x0
	v_cmpx_gt_u32_e32 12, v0
	s_cbranch_execz .LBB22_340
; %bb.331:
	v_cmp_ne_u32_e32 vcc_lo, 1, v52
	s_cbranch_vccnz .LBB22_333
; %bb.332:
	scratch_load_b64 v[50:51], v39, off
	ds_load_b64 v[54:55], v1
	s_wait_loadcnt_dscnt 0x0
	v_pk_mul_f32 v[56:57], v[54:55], v[50:51] op_sel:[1,1] op_sel_hi:[0,1]
	s_delay_alu instid0(VALU_DEP_1) | instskip(SKIP_1) | instid1(VALU_DEP_2)
	v_pk_fma_f32 v[58:59], v[54:55], v[50:51], v[56:57] op_sel_hi:[1,0,1]
	v_pk_fma_f32 v[50:51], v[54:55], v[50:51], v[56:57] neg_lo:[0,0,1] neg_hi:[0,0,1]
	v_mov_b32_e32 v51, v59
	s_cbranch_execz .LBB22_334
	s_branch .LBB22_335
.LBB22_333:
                                        ; implicit-def: $vgpr50_vgpr51
.LBB22_334:
	ds_load_b64 v[50:51], v1
.LBB22_335:
	s_mov_b32 s2, exec_lo
	v_cmpx_ne_u32_e32 11, v0
	s_cbranch_execz .LBB22_339
; %bb.336:
	v_add_nc_u32_e32 v53, 0xc8, v38
	v_add3_u32 v54, 0, v38, 8
	v_mov_b32_e32 v55, v0
	s_mov_b32 s3, 0
.LBB22_337:                             ; =>This Inner Loop Header: Depth=1
	scratch_load_b64 v[56:57], v54, off
	ds_load_b64 v[58:59], v53
	s_wait_xcnt 0x0
	v_dual_add_nc_u32 v53, 8, v53 :: v_dual_add_nc_u32 v54, 8, v54
	s_wait_loadcnt_dscnt 0x0
	v_pk_mul_f32 v[60:61], v[58:59], v[56:57] op_sel:[1,1] op_sel_hi:[0,1]
	s_delay_alu instid0(VALU_DEP_1) | instskip(SKIP_2) | instid1(VALU_DEP_3)
	v_pk_fma_f32 v[62:63], v[58:59], v[56:57], v[60:61] op_sel_hi:[1,0,1]
	v_add_nc_u32_e32 v55, 1, v55
	v_pk_fma_f32 v[56:57], v[58:59], v[56:57], v[60:61] neg_lo:[0,0,1] neg_hi:[0,0,1]
	v_mov_b32_e32 v57, v63
	s_delay_alu instid0(VALU_DEP_3) | instskip(NEXT) | instid1(VALU_DEP_2)
	v_cmp_lt_u32_e32 vcc_lo, 10, v55
	v_pk_add_f32 v[50:51], v[50:51], v[56:57]
	s_or_b32 s3, vcc_lo, s3
	s_delay_alu instid0(SALU_CYCLE_1)
	s_and_not1_b32 exec_lo, exec_lo, s3
	s_cbranch_execnz .LBB22_337
; %bb.338:
	s_or_b32 exec_lo, exec_lo, s3
.LBB22_339:
	s_delay_alu instid0(SALU_CYCLE_1) | instskip(SKIP_4) | instid1(VALU_DEP_1)
	s_or_b32 exec_lo, exec_lo, s2
	v_mov_b32_e32 v53, 0
	ds_load_b64 v[54:55], v53 offset:96
	s_wait_dscnt 0x0
	v_pk_mul_f32 v[56:57], v[50:51], v[54:55] op_sel:[1,1] op_sel_hi:[0,1]
	v_pk_fma_f32 v[58:59], v[50:51], v[54:55], v[56:57] op_sel_hi:[1,0,1]
	v_pk_fma_f32 v[50:51], v[50:51], v[54:55], v[56:57] neg_lo:[0,0,1] neg_hi:[0,0,1]
	s_delay_alu instid0(VALU_DEP_2)
	v_mov_b32_e32 v51, v59
	scratch_store_b64 off, v[50:51], off offset:96
.LBB22_340:
	s_wait_xcnt 0x0
	s_or_b32 exec_lo, exec_lo, s0
	scratch_load_b64 v[50:51], off, off offset:104
	s_mov_b32 s0, exec_lo
	s_wait_loadcnt 0x0
	ds_store_b64 v1, v[50:51]
	s_wait_storecnt_dscnt 0x0
	s_barrier_signal -1
	s_barrier_wait -1
	s_wait_xcnt 0x0
	v_cmpx_gt_u32_e32 13, v0
	s_cbranch_execz .LBB22_350
; %bb.341:
	v_cmp_ne_u32_e32 vcc_lo, 1, v52
	s_cbranch_vccnz .LBB22_343
; %bb.342:
	scratch_load_b64 v[50:51], v39, off
	ds_load_b64 v[54:55], v1
	s_wait_loadcnt_dscnt 0x0
	v_pk_mul_f32 v[56:57], v[54:55], v[50:51] op_sel:[1,1] op_sel_hi:[0,1]
	s_delay_alu instid0(VALU_DEP_1) | instskip(SKIP_1) | instid1(VALU_DEP_2)
	v_pk_fma_f32 v[58:59], v[54:55], v[50:51], v[56:57] op_sel_hi:[1,0,1]
	v_pk_fma_f32 v[50:51], v[54:55], v[50:51], v[56:57] neg_lo:[0,0,1] neg_hi:[0,0,1]
	v_mov_b32_e32 v51, v59
	s_cbranch_execz .LBB22_344
	s_branch .LBB22_345
.LBB22_343:
                                        ; implicit-def: $vgpr50_vgpr51
.LBB22_344:
	ds_load_b64 v[50:51], v1
.LBB22_345:
	s_mov_b32 s2, exec_lo
	v_cmpx_ne_u32_e32 12, v0
	s_cbranch_execz .LBB22_349
; %bb.346:
	v_add_nc_u32_e32 v53, 0xc8, v38
	v_add3_u32 v54, 0, v38, 8
	v_mov_b32_e32 v55, v0
	s_mov_b32 s3, 0
.LBB22_347:                             ; =>This Inner Loop Header: Depth=1
	scratch_load_b64 v[56:57], v54, off
	ds_load_b64 v[58:59], v53
	s_wait_xcnt 0x0
	v_dual_add_nc_u32 v53, 8, v53 :: v_dual_add_nc_u32 v54, 8, v54
	s_wait_loadcnt_dscnt 0x0
	v_pk_mul_f32 v[60:61], v[58:59], v[56:57] op_sel:[1,1] op_sel_hi:[0,1]
	s_delay_alu instid0(VALU_DEP_1) | instskip(SKIP_2) | instid1(VALU_DEP_3)
	v_pk_fma_f32 v[62:63], v[58:59], v[56:57], v[60:61] op_sel_hi:[1,0,1]
	v_add_nc_u32_e32 v55, 1, v55
	v_pk_fma_f32 v[56:57], v[58:59], v[56:57], v[60:61] neg_lo:[0,0,1] neg_hi:[0,0,1]
	v_mov_b32_e32 v57, v63
	s_delay_alu instid0(VALU_DEP_3) | instskip(NEXT) | instid1(VALU_DEP_2)
	v_cmp_lt_u32_e32 vcc_lo, 11, v55
	v_pk_add_f32 v[50:51], v[50:51], v[56:57]
	s_or_b32 s3, vcc_lo, s3
	s_delay_alu instid0(SALU_CYCLE_1)
	s_and_not1_b32 exec_lo, exec_lo, s3
	s_cbranch_execnz .LBB22_347
; %bb.348:
	s_or_b32 exec_lo, exec_lo, s3
.LBB22_349:
	s_delay_alu instid0(SALU_CYCLE_1) | instskip(SKIP_4) | instid1(VALU_DEP_1)
	s_or_b32 exec_lo, exec_lo, s2
	v_mov_b32_e32 v53, 0
	ds_load_b64 v[54:55], v53 offset:104
	s_wait_dscnt 0x0
	v_pk_mul_f32 v[56:57], v[50:51], v[54:55] op_sel:[1,1] op_sel_hi:[0,1]
	v_pk_fma_f32 v[58:59], v[50:51], v[54:55], v[56:57] op_sel_hi:[1,0,1]
	v_pk_fma_f32 v[50:51], v[50:51], v[54:55], v[56:57] neg_lo:[0,0,1] neg_hi:[0,0,1]
	s_delay_alu instid0(VALU_DEP_2)
	v_mov_b32_e32 v51, v59
	scratch_store_b64 off, v[50:51], off offset:104
.LBB22_350:
	s_wait_xcnt 0x0
	s_or_b32 exec_lo, exec_lo, s0
	scratch_load_b64 v[50:51], off, off offset:112
	s_mov_b32 s0, exec_lo
	s_wait_loadcnt 0x0
	ds_store_b64 v1, v[50:51]
	s_wait_storecnt_dscnt 0x0
	s_barrier_signal -1
	s_barrier_wait -1
	s_wait_xcnt 0x0
	v_cmpx_gt_u32_e32 14, v0
	s_cbranch_execz .LBB22_360
; %bb.351:
	v_cmp_ne_u32_e32 vcc_lo, 1, v52
	s_cbranch_vccnz .LBB22_353
; %bb.352:
	scratch_load_b64 v[50:51], v39, off
	ds_load_b64 v[54:55], v1
	s_wait_loadcnt_dscnt 0x0
	v_pk_mul_f32 v[56:57], v[54:55], v[50:51] op_sel:[1,1] op_sel_hi:[0,1]
	s_delay_alu instid0(VALU_DEP_1) | instskip(SKIP_1) | instid1(VALU_DEP_2)
	v_pk_fma_f32 v[58:59], v[54:55], v[50:51], v[56:57] op_sel_hi:[1,0,1]
	v_pk_fma_f32 v[50:51], v[54:55], v[50:51], v[56:57] neg_lo:[0,0,1] neg_hi:[0,0,1]
	v_mov_b32_e32 v51, v59
	s_cbranch_execz .LBB22_354
	s_branch .LBB22_355
.LBB22_353:
                                        ; implicit-def: $vgpr50_vgpr51
.LBB22_354:
	ds_load_b64 v[50:51], v1
.LBB22_355:
	s_mov_b32 s2, exec_lo
	v_cmpx_ne_u32_e32 13, v0
	s_cbranch_execz .LBB22_359
; %bb.356:
	v_add_nc_u32_e32 v53, 0xc8, v38
	v_add3_u32 v54, 0, v38, 8
	v_mov_b32_e32 v55, v0
	s_mov_b32 s3, 0
.LBB22_357:                             ; =>This Inner Loop Header: Depth=1
	scratch_load_b64 v[56:57], v54, off
	ds_load_b64 v[58:59], v53
	s_wait_xcnt 0x0
	v_dual_add_nc_u32 v53, 8, v53 :: v_dual_add_nc_u32 v54, 8, v54
	s_wait_loadcnt_dscnt 0x0
	v_pk_mul_f32 v[60:61], v[58:59], v[56:57] op_sel:[1,1] op_sel_hi:[0,1]
	s_delay_alu instid0(VALU_DEP_1) | instskip(SKIP_2) | instid1(VALU_DEP_3)
	v_pk_fma_f32 v[62:63], v[58:59], v[56:57], v[60:61] op_sel_hi:[1,0,1]
	v_add_nc_u32_e32 v55, 1, v55
	v_pk_fma_f32 v[56:57], v[58:59], v[56:57], v[60:61] neg_lo:[0,0,1] neg_hi:[0,0,1]
	v_mov_b32_e32 v57, v63
	s_delay_alu instid0(VALU_DEP_3) | instskip(NEXT) | instid1(VALU_DEP_2)
	v_cmp_lt_u32_e32 vcc_lo, 12, v55
	v_pk_add_f32 v[50:51], v[50:51], v[56:57]
	s_or_b32 s3, vcc_lo, s3
	s_delay_alu instid0(SALU_CYCLE_1)
	s_and_not1_b32 exec_lo, exec_lo, s3
	s_cbranch_execnz .LBB22_357
; %bb.358:
	s_or_b32 exec_lo, exec_lo, s3
.LBB22_359:
	s_delay_alu instid0(SALU_CYCLE_1) | instskip(SKIP_4) | instid1(VALU_DEP_1)
	s_or_b32 exec_lo, exec_lo, s2
	v_mov_b32_e32 v53, 0
	ds_load_b64 v[54:55], v53 offset:112
	s_wait_dscnt 0x0
	v_pk_mul_f32 v[56:57], v[50:51], v[54:55] op_sel:[1,1] op_sel_hi:[0,1]
	v_pk_fma_f32 v[58:59], v[50:51], v[54:55], v[56:57] op_sel_hi:[1,0,1]
	v_pk_fma_f32 v[50:51], v[50:51], v[54:55], v[56:57] neg_lo:[0,0,1] neg_hi:[0,0,1]
	s_delay_alu instid0(VALU_DEP_2)
	v_mov_b32_e32 v51, v59
	scratch_store_b64 off, v[50:51], off offset:112
.LBB22_360:
	s_wait_xcnt 0x0
	s_or_b32 exec_lo, exec_lo, s0
	scratch_load_b64 v[50:51], off, off offset:120
	s_mov_b32 s0, exec_lo
	s_wait_loadcnt 0x0
	ds_store_b64 v1, v[50:51]
	s_wait_storecnt_dscnt 0x0
	s_barrier_signal -1
	s_barrier_wait -1
	s_wait_xcnt 0x0
	v_cmpx_gt_u32_e32 15, v0
	s_cbranch_execz .LBB22_370
; %bb.361:
	v_cmp_ne_u32_e32 vcc_lo, 1, v52
	s_cbranch_vccnz .LBB22_363
; %bb.362:
	scratch_load_b64 v[50:51], v39, off
	ds_load_b64 v[54:55], v1
	s_wait_loadcnt_dscnt 0x0
	v_pk_mul_f32 v[56:57], v[54:55], v[50:51] op_sel:[1,1] op_sel_hi:[0,1]
	s_delay_alu instid0(VALU_DEP_1) | instskip(SKIP_1) | instid1(VALU_DEP_2)
	v_pk_fma_f32 v[58:59], v[54:55], v[50:51], v[56:57] op_sel_hi:[1,0,1]
	v_pk_fma_f32 v[50:51], v[54:55], v[50:51], v[56:57] neg_lo:[0,0,1] neg_hi:[0,0,1]
	v_mov_b32_e32 v51, v59
	s_cbranch_execz .LBB22_364
	s_branch .LBB22_365
.LBB22_363:
                                        ; implicit-def: $vgpr50_vgpr51
.LBB22_364:
	ds_load_b64 v[50:51], v1
.LBB22_365:
	s_mov_b32 s2, exec_lo
	v_cmpx_ne_u32_e32 14, v0
	s_cbranch_execz .LBB22_369
; %bb.366:
	v_add_nc_u32_e32 v53, 0xc8, v38
	v_add3_u32 v54, 0, v38, 8
	v_mov_b32_e32 v55, v0
	s_mov_b32 s3, 0
.LBB22_367:                             ; =>This Inner Loop Header: Depth=1
	scratch_load_b64 v[56:57], v54, off
	ds_load_b64 v[58:59], v53
	s_wait_xcnt 0x0
	v_dual_add_nc_u32 v53, 8, v53 :: v_dual_add_nc_u32 v54, 8, v54
	s_wait_loadcnt_dscnt 0x0
	v_pk_mul_f32 v[60:61], v[58:59], v[56:57] op_sel:[1,1] op_sel_hi:[0,1]
	s_delay_alu instid0(VALU_DEP_1) | instskip(SKIP_2) | instid1(VALU_DEP_3)
	v_pk_fma_f32 v[62:63], v[58:59], v[56:57], v[60:61] op_sel_hi:[1,0,1]
	v_add_nc_u32_e32 v55, 1, v55
	v_pk_fma_f32 v[56:57], v[58:59], v[56:57], v[60:61] neg_lo:[0,0,1] neg_hi:[0,0,1]
	v_mov_b32_e32 v57, v63
	s_delay_alu instid0(VALU_DEP_3) | instskip(NEXT) | instid1(VALU_DEP_2)
	v_cmp_lt_u32_e32 vcc_lo, 13, v55
	v_pk_add_f32 v[50:51], v[50:51], v[56:57]
	s_or_b32 s3, vcc_lo, s3
	s_delay_alu instid0(SALU_CYCLE_1)
	s_and_not1_b32 exec_lo, exec_lo, s3
	s_cbranch_execnz .LBB22_367
; %bb.368:
	s_or_b32 exec_lo, exec_lo, s3
.LBB22_369:
	s_delay_alu instid0(SALU_CYCLE_1) | instskip(SKIP_4) | instid1(VALU_DEP_1)
	s_or_b32 exec_lo, exec_lo, s2
	v_mov_b32_e32 v53, 0
	ds_load_b64 v[54:55], v53 offset:120
	s_wait_dscnt 0x0
	v_pk_mul_f32 v[56:57], v[50:51], v[54:55] op_sel:[1,1] op_sel_hi:[0,1]
	v_pk_fma_f32 v[58:59], v[50:51], v[54:55], v[56:57] op_sel_hi:[1,0,1]
	v_pk_fma_f32 v[50:51], v[50:51], v[54:55], v[56:57] neg_lo:[0,0,1] neg_hi:[0,0,1]
	s_delay_alu instid0(VALU_DEP_2)
	v_mov_b32_e32 v51, v59
	scratch_store_b64 off, v[50:51], off offset:120
.LBB22_370:
	s_wait_xcnt 0x0
	s_or_b32 exec_lo, exec_lo, s0
	scratch_load_b64 v[50:51], off, off offset:128
	s_mov_b32 s0, exec_lo
	s_wait_loadcnt 0x0
	ds_store_b64 v1, v[50:51]
	s_wait_storecnt_dscnt 0x0
	s_barrier_signal -1
	s_barrier_wait -1
	s_wait_xcnt 0x0
	v_cmpx_gt_u32_e32 16, v0
	s_cbranch_execz .LBB22_380
; %bb.371:
	v_cmp_ne_u32_e32 vcc_lo, 1, v52
	s_cbranch_vccnz .LBB22_373
; %bb.372:
	scratch_load_b64 v[50:51], v39, off
	ds_load_b64 v[54:55], v1
	s_wait_loadcnt_dscnt 0x0
	v_pk_mul_f32 v[56:57], v[54:55], v[50:51] op_sel:[1,1] op_sel_hi:[0,1]
	s_delay_alu instid0(VALU_DEP_1) | instskip(SKIP_1) | instid1(VALU_DEP_2)
	v_pk_fma_f32 v[58:59], v[54:55], v[50:51], v[56:57] op_sel_hi:[1,0,1]
	v_pk_fma_f32 v[50:51], v[54:55], v[50:51], v[56:57] neg_lo:[0,0,1] neg_hi:[0,0,1]
	v_mov_b32_e32 v51, v59
	s_cbranch_execz .LBB22_374
	s_branch .LBB22_375
.LBB22_373:
                                        ; implicit-def: $vgpr50_vgpr51
.LBB22_374:
	ds_load_b64 v[50:51], v1
.LBB22_375:
	s_mov_b32 s2, exec_lo
	v_cmpx_ne_u32_e32 15, v0
	s_cbranch_execz .LBB22_379
; %bb.376:
	v_add_nc_u32_e32 v53, 0xc8, v38
	v_add3_u32 v54, 0, v38, 8
	v_mov_b32_e32 v55, v0
	s_mov_b32 s3, 0
.LBB22_377:                             ; =>This Inner Loop Header: Depth=1
	scratch_load_b64 v[56:57], v54, off
	ds_load_b64 v[58:59], v53
	s_wait_xcnt 0x0
	v_dual_add_nc_u32 v53, 8, v53 :: v_dual_add_nc_u32 v54, 8, v54
	s_wait_loadcnt_dscnt 0x0
	v_pk_mul_f32 v[60:61], v[58:59], v[56:57] op_sel:[1,1] op_sel_hi:[0,1]
	s_delay_alu instid0(VALU_DEP_1) | instskip(SKIP_2) | instid1(VALU_DEP_3)
	v_pk_fma_f32 v[62:63], v[58:59], v[56:57], v[60:61] op_sel_hi:[1,0,1]
	v_add_nc_u32_e32 v55, 1, v55
	v_pk_fma_f32 v[56:57], v[58:59], v[56:57], v[60:61] neg_lo:[0,0,1] neg_hi:[0,0,1]
	v_mov_b32_e32 v57, v63
	s_delay_alu instid0(VALU_DEP_3) | instskip(NEXT) | instid1(VALU_DEP_2)
	v_cmp_lt_u32_e32 vcc_lo, 14, v55
	v_pk_add_f32 v[50:51], v[50:51], v[56:57]
	s_or_b32 s3, vcc_lo, s3
	s_delay_alu instid0(SALU_CYCLE_1)
	s_and_not1_b32 exec_lo, exec_lo, s3
	s_cbranch_execnz .LBB22_377
; %bb.378:
	s_or_b32 exec_lo, exec_lo, s3
.LBB22_379:
	s_delay_alu instid0(SALU_CYCLE_1) | instskip(SKIP_4) | instid1(VALU_DEP_1)
	s_or_b32 exec_lo, exec_lo, s2
	v_mov_b32_e32 v53, 0
	ds_load_b64 v[54:55], v53 offset:128
	s_wait_dscnt 0x0
	v_pk_mul_f32 v[56:57], v[50:51], v[54:55] op_sel:[1,1] op_sel_hi:[0,1]
	v_pk_fma_f32 v[58:59], v[50:51], v[54:55], v[56:57] op_sel_hi:[1,0,1]
	v_pk_fma_f32 v[50:51], v[50:51], v[54:55], v[56:57] neg_lo:[0,0,1] neg_hi:[0,0,1]
	s_delay_alu instid0(VALU_DEP_2)
	v_mov_b32_e32 v51, v59
	scratch_store_b64 off, v[50:51], off offset:128
.LBB22_380:
	s_wait_xcnt 0x0
	s_or_b32 exec_lo, exec_lo, s0
	scratch_load_b64 v[50:51], off, off offset:136
	s_mov_b32 s0, exec_lo
	s_wait_loadcnt 0x0
	ds_store_b64 v1, v[50:51]
	s_wait_storecnt_dscnt 0x0
	s_barrier_signal -1
	s_barrier_wait -1
	s_wait_xcnt 0x0
	v_cmpx_gt_u32_e32 17, v0
	s_cbranch_execz .LBB22_390
; %bb.381:
	v_cmp_ne_u32_e32 vcc_lo, 1, v52
	s_cbranch_vccnz .LBB22_383
; %bb.382:
	scratch_load_b64 v[50:51], v39, off
	ds_load_b64 v[54:55], v1
	s_wait_loadcnt_dscnt 0x0
	v_pk_mul_f32 v[56:57], v[54:55], v[50:51] op_sel:[1,1] op_sel_hi:[0,1]
	s_delay_alu instid0(VALU_DEP_1) | instskip(SKIP_1) | instid1(VALU_DEP_2)
	v_pk_fma_f32 v[58:59], v[54:55], v[50:51], v[56:57] op_sel_hi:[1,0,1]
	v_pk_fma_f32 v[50:51], v[54:55], v[50:51], v[56:57] neg_lo:[0,0,1] neg_hi:[0,0,1]
	v_mov_b32_e32 v51, v59
	s_cbranch_execz .LBB22_384
	s_branch .LBB22_385
.LBB22_383:
                                        ; implicit-def: $vgpr50_vgpr51
.LBB22_384:
	ds_load_b64 v[50:51], v1
.LBB22_385:
	s_mov_b32 s2, exec_lo
	v_cmpx_ne_u32_e32 16, v0
	s_cbranch_execz .LBB22_389
; %bb.386:
	v_add_nc_u32_e32 v53, 0xc8, v38
	v_add3_u32 v54, 0, v38, 8
	v_mov_b32_e32 v55, v0
	s_mov_b32 s3, 0
.LBB22_387:                             ; =>This Inner Loop Header: Depth=1
	scratch_load_b64 v[56:57], v54, off
	ds_load_b64 v[58:59], v53
	s_wait_xcnt 0x0
	v_dual_add_nc_u32 v53, 8, v53 :: v_dual_add_nc_u32 v54, 8, v54
	s_wait_loadcnt_dscnt 0x0
	v_pk_mul_f32 v[60:61], v[58:59], v[56:57] op_sel:[1,1] op_sel_hi:[0,1]
	s_delay_alu instid0(VALU_DEP_1) | instskip(SKIP_2) | instid1(VALU_DEP_3)
	v_pk_fma_f32 v[62:63], v[58:59], v[56:57], v[60:61] op_sel_hi:[1,0,1]
	v_add_nc_u32_e32 v55, 1, v55
	v_pk_fma_f32 v[56:57], v[58:59], v[56:57], v[60:61] neg_lo:[0,0,1] neg_hi:[0,0,1]
	v_mov_b32_e32 v57, v63
	s_delay_alu instid0(VALU_DEP_3) | instskip(NEXT) | instid1(VALU_DEP_2)
	v_cmp_lt_u32_e32 vcc_lo, 15, v55
	v_pk_add_f32 v[50:51], v[50:51], v[56:57]
	s_or_b32 s3, vcc_lo, s3
	s_delay_alu instid0(SALU_CYCLE_1)
	s_and_not1_b32 exec_lo, exec_lo, s3
	s_cbranch_execnz .LBB22_387
; %bb.388:
	s_or_b32 exec_lo, exec_lo, s3
.LBB22_389:
	s_delay_alu instid0(SALU_CYCLE_1) | instskip(SKIP_4) | instid1(VALU_DEP_1)
	s_or_b32 exec_lo, exec_lo, s2
	v_mov_b32_e32 v53, 0
	ds_load_b64 v[54:55], v53 offset:136
	s_wait_dscnt 0x0
	v_pk_mul_f32 v[56:57], v[50:51], v[54:55] op_sel:[1,1] op_sel_hi:[0,1]
	v_pk_fma_f32 v[58:59], v[50:51], v[54:55], v[56:57] op_sel_hi:[1,0,1]
	v_pk_fma_f32 v[50:51], v[50:51], v[54:55], v[56:57] neg_lo:[0,0,1] neg_hi:[0,0,1]
	s_delay_alu instid0(VALU_DEP_2)
	v_mov_b32_e32 v51, v59
	scratch_store_b64 off, v[50:51], off offset:136
.LBB22_390:
	s_wait_xcnt 0x0
	s_or_b32 exec_lo, exec_lo, s0
	scratch_load_b64 v[50:51], off, off offset:144
	s_mov_b32 s0, exec_lo
	s_wait_loadcnt 0x0
	ds_store_b64 v1, v[50:51]
	s_wait_storecnt_dscnt 0x0
	s_barrier_signal -1
	s_barrier_wait -1
	s_wait_xcnt 0x0
	v_cmpx_gt_u32_e32 18, v0
	s_cbranch_execz .LBB22_400
; %bb.391:
	v_cmp_ne_u32_e32 vcc_lo, 1, v52
	s_cbranch_vccnz .LBB22_393
; %bb.392:
	scratch_load_b64 v[50:51], v39, off
	ds_load_b64 v[54:55], v1
	s_wait_loadcnt_dscnt 0x0
	v_pk_mul_f32 v[56:57], v[54:55], v[50:51] op_sel:[1,1] op_sel_hi:[0,1]
	s_delay_alu instid0(VALU_DEP_1) | instskip(SKIP_1) | instid1(VALU_DEP_2)
	v_pk_fma_f32 v[58:59], v[54:55], v[50:51], v[56:57] op_sel_hi:[1,0,1]
	v_pk_fma_f32 v[50:51], v[54:55], v[50:51], v[56:57] neg_lo:[0,0,1] neg_hi:[0,0,1]
	v_mov_b32_e32 v51, v59
	s_cbranch_execz .LBB22_394
	s_branch .LBB22_395
.LBB22_393:
                                        ; implicit-def: $vgpr50_vgpr51
.LBB22_394:
	ds_load_b64 v[50:51], v1
.LBB22_395:
	s_mov_b32 s2, exec_lo
	v_cmpx_ne_u32_e32 17, v0
	s_cbranch_execz .LBB22_399
; %bb.396:
	v_add_nc_u32_e32 v53, 0xc8, v38
	v_add3_u32 v54, 0, v38, 8
	v_mov_b32_e32 v55, v0
	s_mov_b32 s3, 0
.LBB22_397:                             ; =>This Inner Loop Header: Depth=1
	scratch_load_b64 v[56:57], v54, off
	ds_load_b64 v[58:59], v53
	s_wait_xcnt 0x0
	v_dual_add_nc_u32 v53, 8, v53 :: v_dual_add_nc_u32 v54, 8, v54
	s_wait_loadcnt_dscnt 0x0
	v_pk_mul_f32 v[60:61], v[58:59], v[56:57] op_sel:[1,1] op_sel_hi:[0,1]
	s_delay_alu instid0(VALU_DEP_1) | instskip(SKIP_2) | instid1(VALU_DEP_3)
	v_pk_fma_f32 v[62:63], v[58:59], v[56:57], v[60:61] op_sel_hi:[1,0,1]
	v_add_nc_u32_e32 v55, 1, v55
	v_pk_fma_f32 v[56:57], v[58:59], v[56:57], v[60:61] neg_lo:[0,0,1] neg_hi:[0,0,1]
	v_mov_b32_e32 v57, v63
	s_delay_alu instid0(VALU_DEP_3) | instskip(NEXT) | instid1(VALU_DEP_2)
	v_cmp_lt_u32_e32 vcc_lo, 16, v55
	v_pk_add_f32 v[50:51], v[50:51], v[56:57]
	s_or_b32 s3, vcc_lo, s3
	s_delay_alu instid0(SALU_CYCLE_1)
	s_and_not1_b32 exec_lo, exec_lo, s3
	s_cbranch_execnz .LBB22_397
; %bb.398:
	s_or_b32 exec_lo, exec_lo, s3
.LBB22_399:
	s_delay_alu instid0(SALU_CYCLE_1) | instskip(SKIP_4) | instid1(VALU_DEP_1)
	s_or_b32 exec_lo, exec_lo, s2
	v_mov_b32_e32 v53, 0
	ds_load_b64 v[54:55], v53 offset:144
	s_wait_dscnt 0x0
	v_pk_mul_f32 v[56:57], v[50:51], v[54:55] op_sel:[1,1] op_sel_hi:[0,1]
	v_pk_fma_f32 v[58:59], v[50:51], v[54:55], v[56:57] op_sel_hi:[1,0,1]
	v_pk_fma_f32 v[50:51], v[50:51], v[54:55], v[56:57] neg_lo:[0,0,1] neg_hi:[0,0,1]
	s_delay_alu instid0(VALU_DEP_2)
	v_mov_b32_e32 v51, v59
	scratch_store_b64 off, v[50:51], off offset:144
.LBB22_400:
	s_wait_xcnt 0x0
	s_or_b32 exec_lo, exec_lo, s0
	scratch_load_b64 v[50:51], off, off offset:152
	s_mov_b32 s0, exec_lo
	s_wait_loadcnt 0x0
	ds_store_b64 v1, v[50:51]
	s_wait_storecnt_dscnt 0x0
	s_barrier_signal -1
	s_barrier_wait -1
	s_wait_xcnt 0x0
	v_cmpx_gt_u32_e32 19, v0
	s_cbranch_execz .LBB22_410
; %bb.401:
	v_cmp_ne_u32_e32 vcc_lo, 1, v52
	s_cbranch_vccnz .LBB22_403
; %bb.402:
	scratch_load_b64 v[50:51], v39, off
	ds_load_b64 v[54:55], v1
	s_wait_loadcnt_dscnt 0x0
	v_pk_mul_f32 v[56:57], v[54:55], v[50:51] op_sel:[1,1] op_sel_hi:[0,1]
	s_delay_alu instid0(VALU_DEP_1) | instskip(SKIP_1) | instid1(VALU_DEP_2)
	v_pk_fma_f32 v[58:59], v[54:55], v[50:51], v[56:57] op_sel_hi:[1,0,1]
	v_pk_fma_f32 v[50:51], v[54:55], v[50:51], v[56:57] neg_lo:[0,0,1] neg_hi:[0,0,1]
	v_mov_b32_e32 v51, v59
	s_cbranch_execz .LBB22_404
	s_branch .LBB22_405
.LBB22_403:
                                        ; implicit-def: $vgpr50_vgpr51
.LBB22_404:
	ds_load_b64 v[50:51], v1
.LBB22_405:
	s_mov_b32 s2, exec_lo
	v_cmpx_ne_u32_e32 18, v0
	s_cbranch_execz .LBB22_409
; %bb.406:
	v_add_nc_u32_e32 v53, 0xc8, v38
	v_add3_u32 v54, 0, v38, 8
	v_mov_b32_e32 v55, v0
	s_mov_b32 s3, 0
.LBB22_407:                             ; =>This Inner Loop Header: Depth=1
	scratch_load_b64 v[56:57], v54, off
	ds_load_b64 v[58:59], v53
	s_wait_xcnt 0x0
	v_dual_add_nc_u32 v53, 8, v53 :: v_dual_add_nc_u32 v54, 8, v54
	s_wait_loadcnt_dscnt 0x0
	v_pk_mul_f32 v[60:61], v[58:59], v[56:57] op_sel:[1,1] op_sel_hi:[0,1]
	s_delay_alu instid0(VALU_DEP_1) | instskip(SKIP_2) | instid1(VALU_DEP_3)
	v_pk_fma_f32 v[62:63], v[58:59], v[56:57], v[60:61] op_sel_hi:[1,0,1]
	v_add_nc_u32_e32 v55, 1, v55
	v_pk_fma_f32 v[56:57], v[58:59], v[56:57], v[60:61] neg_lo:[0,0,1] neg_hi:[0,0,1]
	v_mov_b32_e32 v57, v63
	s_delay_alu instid0(VALU_DEP_3) | instskip(NEXT) | instid1(VALU_DEP_2)
	v_cmp_lt_u32_e32 vcc_lo, 17, v55
	v_pk_add_f32 v[50:51], v[50:51], v[56:57]
	s_or_b32 s3, vcc_lo, s3
	s_delay_alu instid0(SALU_CYCLE_1)
	s_and_not1_b32 exec_lo, exec_lo, s3
	s_cbranch_execnz .LBB22_407
; %bb.408:
	s_or_b32 exec_lo, exec_lo, s3
.LBB22_409:
	s_delay_alu instid0(SALU_CYCLE_1) | instskip(SKIP_4) | instid1(VALU_DEP_1)
	s_or_b32 exec_lo, exec_lo, s2
	v_mov_b32_e32 v53, 0
	ds_load_b64 v[54:55], v53 offset:152
	s_wait_dscnt 0x0
	v_pk_mul_f32 v[56:57], v[50:51], v[54:55] op_sel:[1,1] op_sel_hi:[0,1]
	v_pk_fma_f32 v[58:59], v[50:51], v[54:55], v[56:57] op_sel_hi:[1,0,1]
	v_pk_fma_f32 v[50:51], v[50:51], v[54:55], v[56:57] neg_lo:[0,0,1] neg_hi:[0,0,1]
	s_delay_alu instid0(VALU_DEP_2)
	v_mov_b32_e32 v51, v59
	scratch_store_b64 off, v[50:51], off offset:152
.LBB22_410:
	s_wait_xcnt 0x0
	s_or_b32 exec_lo, exec_lo, s0
	scratch_load_b64 v[50:51], off, off offset:160
	s_mov_b32 s0, exec_lo
	s_wait_loadcnt 0x0
	ds_store_b64 v1, v[50:51]
	s_wait_storecnt_dscnt 0x0
	s_barrier_signal -1
	s_barrier_wait -1
	s_wait_xcnt 0x0
	v_cmpx_gt_u32_e32 20, v0
	s_cbranch_execz .LBB22_420
; %bb.411:
	v_cmp_ne_u32_e32 vcc_lo, 1, v52
	s_cbranch_vccnz .LBB22_413
; %bb.412:
	scratch_load_b64 v[50:51], v39, off
	ds_load_b64 v[54:55], v1
	s_wait_loadcnt_dscnt 0x0
	v_pk_mul_f32 v[56:57], v[54:55], v[50:51] op_sel:[1,1] op_sel_hi:[0,1]
	s_delay_alu instid0(VALU_DEP_1) | instskip(SKIP_1) | instid1(VALU_DEP_2)
	v_pk_fma_f32 v[58:59], v[54:55], v[50:51], v[56:57] op_sel_hi:[1,0,1]
	v_pk_fma_f32 v[50:51], v[54:55], v[50:51], v[56:57] neg_lo:[0,0,1] neg_hi:[0,0,1]
	v_mov_b32_e32 v51, v59
	s_cbranch_execz .LBB22_414
	s_branch .LBB22_415
.LBB22_413:
                                        ; implicit-def: $vgpr50_vgpr51
.LBB22_414:
	ds_load_b64 v[50:51], v1
.LBB22_415:
	s_mov_b32 s2, exec_lo
	v_cmpx_ne_u32_e32 19, v0
	s_cbranch_execz .LBB22_419
; %bb.416:
	v_add_nc_u32_e32 v53, 0xc8, v38
	v_add3_u32 v54, 0, v38, 8
	v_mov_b32_e32 v55, v0
	s_mov_b32 s3, 0
.LBB22_417:                             ; =>This Inner Loop Header: Depth=1
	scratch_load_b64 v[56:57], v54, off
	ds_load_b64 v[58:59], v53
	s_wait_xcnt 0x0
	v_dual_add_nc_u32 v53, 8, v53 :: v_dual_add_nc_u32 v54, 8, v54
	s_wait_loadcnt_dscnt 0x0
	v_pk_mul_f32 v[60:61], v[58:59], v[56:57] op_sel:[1,1] op_sel_hi:[0,1]
	s_delay_alu instid0(VALU_DEP_1) | instskip(SKIP_2) | instid1(VALU_DEP_3)
	v_pk_fma_f32 v[62:63], v[58:59], v[56:57], v[60:61] op_sel_hi:[1,0,1]
	v_add_nc_u32_e32 v55, 1, v55
	v_pk_fma_f32 v[56:57], v[58:59], v[56:57], v[60:61] neg_lo:[0,0,1] neg_hi:[0,0,1]
	v_mov_b32_e32 v57, v63
	s_delay_alu instid0(VALU_DEP_3) | instskip(NEXT) | instid1(VALU_DEP_2)
	v_cmp_lt_u32_e32 vcc_lo, 18, v55
	v_pk_add_f32 v[50:51], v[50:51], v[56:57]
	s_or_b32 s3, vcc_lo, s3
	s_delay_alu instid0(SALU_CYCLE_1)
	s_and_not1_b32 exec_lo, exec_lo, s3
	s_cbranch_execnz .LBB22_417
; %bb.418:
	s_or_b32 exec_lo, exec_lo, s3
.LBB22_419:
	s_delay_alu instid0(SALU_CYCLE_1) | instskip(SKIP_4) | instid1(VALU_DEP_1)
	s_or_b32 exec_lo, exec_lo, s2
	v_mov_b32_e32 v53, 0
	ds_load_b64 v[54:55], v53 offset:160
	s_wait_dscnt 0x0
	v_pk_mul_f32 v[56:57], v[50:51], v[54:55] op_sel:[1,1] op_sel_hi:[0,1]
	v_pk_fma_f32 v[58:59], v[50:51], v[54:55], v[56:57] op_sel_hi:[1,0,1]
	v_pk_fma_f32 v[50:51], v[50:51], v[54:55], v[56:57] neg_lo:[0,0,1] neg_hi:[0,0,1]
	s_delay_alu instid0(VALU_DEP_2)
	v_mov_b32_e32 v51, v59
	scratch_store_b64 off, v[50:51], off offset:160
.LBB22_420:
	s_wait_xcnt 0x0
	s_or_b32 exec_lo, exec_lo, s0
	scratch_load_b64 v[50:51], off, off offset:168
	v_cmp_gt_u32_e64 s0, 21, v0
	s_wait_loadcnt 0x0
	ds_store_b64 v1, v[50:51]
	s_wait_storecnt_dscnt 0x0
	s_barrier_signal -1
	s_barrier_wait -1
	s_wait_xcnt 0x0
	s_and_saveexec_b32 s2, s0
	s_cbranch_execz .LBB22_430
; %bb.421:
	v_cmp_ne_u32_e32 vcc_lo, 1, v52
	s_cbranch_vccnz .LBB22_423
; %bb.422:
	scratch_load_b64 v[50:51], v39, off
	ds_load_b64 v[54:55], v1
	s_wait_loadcnt_dscnt 0x0
	v_pk_mul_f32 v[56:57], v[54:55], v[50:51] op_sel:[1,1] op_sel_hi:[0,1]
	s_delay_alu instid0(VALU_DEP_1) | instskip(SKIP_1) | instid1(VALU_DEP_2)
	v_pk_fma_f32 v[58:59], v[54:55], v[50:51], v[56:57] op_sel_hi:[1,0,1]
	v_pk_fma_f32 v[50:51], v[54:55], v[50:51], v[56:57] neg_lo:[0,0,1] neg_hi:[0,0,1]
	v_mov_b32_e32 v51, v59
	s_cbranch_execz .LBB22_424
	s_branch .LBB22_425
.LBB22_423:
                                        ; implicit-def: $vgpr50_vgpr51
.LBB22_424:
	ds_load_b64 v[50:51], v1
.LBB22_425:
	s_mov_b32 s3, exec_lo
	v_cmpx_ne_u32_e32 20, v0
	s_cbranch_execz .LBB22_429
; %bb.426:
	v_add_nc_u32_e32 v53, 0xc8, v38
	v_add3_u32 v54, 0, v38, 8
	v_mov_b32_e32 v55, v0
	s_mov_b32 s4, 0
.LBB22_427:                             ; =>This Inner Loop Header: Depth=1
	scratch_load_b64 v[56:57], v54, off
	ds_load_b64 v[58:59], v53
	s_wait_xcnt 0x0
	v_dual_add_nc_u32 v53, 8, v53 :: v_dual_add_nc_u32 v54, 8, v54
	s_wait_loadcnt_dscnt 0x0
	v_pk_mul_f32 v[60:61], v[58:59], v[56:57] op_sel:[1,1] op_sel_hi:[0,1]
	s_delay_alu instid0(VALU_DEP_1) | instskip(SKIP_2) | instid1(VALU_DEP_3)
	v_pk_fma_f32 v[62:63], v[58:59], v[56:57], v[60:61] op_sel_hi:[1,0,1]
	v_add_nc_u32_e32 v55, 1, v55
	v_pk_fma_f32 v[56:57], v[58:59], v[56:57], v[60:61] neg_lo:[0,0,1] neg_hi:[0,0,1]
	v_mov_b32_e32 v57, v63
	s_delay_alu instid0(VALU_DEP_3) | instskip(NEXT) | instid1(VALU_DEP_2)
	v_cmp_lt_u32_e32 vcc_lo, 19, v55
	v_pk_add_f32 v[50:51], v[50:51], v[56:57]
	s_or_b32 s4, vcc_lo, s4
	s_delay_alu instid0(SALU_CYCLE_1)
	s_and_not1_b32 exec_lo, exec_lo, s4
	s_cbranch_execnz .LBB22_427
; %bb.428:
	s_or_b32 exec_lo, exec_lo, s4
.LBB22_429:
	s_delay_alu instid0(SALU_CYCLE_1) | instskip(SKIP_4) | instid1(VALU_DEP_1)
	s_or_b32 exec_lo, exec_lo, s3
	v_mov_b32_e32 v53, 0
	ds_load_b64 v[54:55], v53 offset:168
	s_wait_dscnt 0x0
	v_pk_mul_f32 v[56:57], v[50:51], v[54:55] op_sel:[1,1] op_sel_hi:[0,1]
	v_pk_fma_f32 v[58:59], v[50:51], v[54:55], v[56:57] op_sel_hi:[1,0,1]
	v_pk_fma_f32 v[50:51], v[50:51], v[54:55], v[56:57] neg_lo:[0,0,1] neg_hi:[0,0,1]
	s_delay_alu instid0(VALU_DEP_2)
	v_mov_b32_e32 v51, v59
	scratch_store_b64 off, v[50:51], off offset:168
.LBB22_430:
	s_wait_xcnt 0x0
	s_or_b32 exec_lo, exec_lo, s2
	scratch_load_b64 v[50:51], off, off offset:176
	s_mov_b32 s2, exec_lo
                                        ; implicit-def: $vgpr54
                                        ; implicit-def: $sgpr5
	s_wait_loadcnt 0x0
	ds_store_b64 v1, v[50:51]
	s_wait_storecnt_dscnt 0x0
	s_barrier_signal -1
	s_barrier_wait -1
	s_wait_xcnt 0x0
	v_cmpx_ne_u32_e32 22, v0
	s_cbranch_execz .LBB22_440
; %bb.431:
	v_cmp_ne_u32_e32 vcc_lo, 1, v52
	s_cbranch_vccnz .LBB22_433
; %bb.432:
	scratch_load_b64 v[52:53], v39, off
	ds_load_b64 v[54:55], v1
	s_wait_loadcnt_dscnt 0x0
	v_dual_mul_f32 v39, v55, v53 :: v_dual_mul_f32 v51, v54, v53
	s_delay_alu instid0(VALU_DEP_1) | instskip(NEXT) | instid1(VALU_DEP_2)
	v_fma_f32 v50, v54, v52, -v39
	v_fmac_f32_e32 v51, v55, v52
	s_cbranch_execz .LBB22_434
	s_branch .LBB22_435
.LBB22_433:
                                        ; implicit-def: $vgpr51
.LBB22_434:
	ds_load_b64 v[50:51], v1
.LBB22_435:
	s_and_saveexec_b32 s3, s0
	s_cbranch_execz .LBB22_439
; %bb.436:
	v_add_nc_u32_e32 v1, 0xc8, v38
	v_add3_u32 v38, 0, v38, 8
	s_mov_b32 s0, 0
.LBB22_437:                             ; =>This Inner Loop Header: Depth=1
	scratch_load_b64 v[52:53], v38, off
	ds_load_b64 v[54:55], v1
	v_dual_add_nc_u32 v0, 1, v0 :: v_dual_add_nc_u32 v1, 8, v1
	s_delay_alu instid0(VALU_DEP_1) | instskip(SKIP_3) | instid1(VALU_DEP_1)
	v_cmp_lt_u32_e32 vcc_lo, 20, v0
	s_or_b32 s0, vcc_lo, s0
	s_wait_loadcnt_dscnt 0x0
	v_dual_mul_f32 v39, v55, v53 :: v_dual_mul_f32 v53, v54, v53
	v_dual_fma_f32 v39, v54, v52, -v39 :: v_dual_fmac_f32 v53, v55, v52
	s_delay_alu instid0(VALU_DEP_1) | instskip(NEXT) | instid1(VALU_DEP_2)
	v_dual_add_nc_u32 v38, 8, v38 :: v_dual_add_f32 v50, v50, v39
	v_add_f32_e32 v51, v51, v53
	s_and_not1_b32 exec_lo, exec_lo, s0
	s_cbranch_execnz .LBB22_437
; %bb.438:
	s_or_b32 exec_lo, exec_lo, s0
.LBB22_439:
	s_delay_alu instid0(SALU_CYCLE_1)
	s_or_b32 exec_lo, exec_lo, s3
	v_mov_b32_e32 v0, 0
	s_movk_i32 s5, 0xb4
	s_or_b32 s1, s1, exec_lo
	ds_load_b64 v[0:1], v0 offset:176
	s_wait_dscnt 0x0
	v_dual_mul_f32 v38, v51, v1 :: v_dual_mul_f32 v54, v50, v1
	s_delay_alu instid0(VALU_DEP_1) | instskip(NEXT) | instid1(VALU_DEP_2)
	v_fma_f32 v1, v50, v0, -v38
	v_fmac_f32_e32 v54, v51, v0
	scratch_store_b32 off, v1, off offset:176
.LBB22_440:
	s_wait_xcnt 0x0
	s_or_b32 exec_lo, exec_lo, s2
.LBB22_441:
	v_lshl_add_u64 v[52:53], v[6:7], 3, s[6:7]
	v_lshl_add_u64 v[50:51], v[8:9], 3, s[6:7]
	;; [unrolled: 1-line block ×21, first 2 shown]
	s_and_saveexec_b32 s0, s1
	s_cbranch_execz .LBB22_443
; %bb.442:
	scratch_store_b32 off, v54, s5
.LBB22_443:
	s_wait_xcnt 0x0
	s_or_b32 exec_lo, exec_lo, s0
	s_clause 0x7
	scratch_load_b128 v[42:45], off, off
	scratch_load_b128 v[46:49], off, off offset:16
	scratch_load_b128 v[54:57], off, off offset:32
	;; [unrolled: 1-line block ×7, first 2 shown]
	s_wait_loadcnt 0x7
	s_clause 0x1
	global_store_b64 v[2:3], v[42:43], off
	global_store_b64 v[4:5], v[44:45], off
	s_wait_loadcnt 0x6
	s_clause 0x1
	global_store_b64 v[52:53], v[46:47], off
	global_store_b64 v[50:51], v[48:49], off
	s_clause 0x3
	scratch_load_b128 v[2:5], off, off offset:128
	scratch_load_b128 v[42:45], off, off offset:144
	;; [unrolled: 1-line block ×3, first 2 shown]
	scratch_load_b64 v[50:51], off, off offset:176
	s_wait_loadcnt 0x9
	s_clause 0x1
	global_store_b64 v[0:1], v[54:55], off
	global_store_b64 v[6:7], v[56:57], off
	s_wait_loadcnt 0x8
	s_clause 0x1
	global_store_b64 v[8:9], v[58:59], off
	global_store_b64 v[10:11], v[60:61], off
	;; [unrolled: 4-line block ×9, first 2 shown]
	s_wait_loadcnt 0x0
	global_store_b64 v[40:41], v[50:51], off
.LBB22_444:
	s_sendmsg sendmsg(MSG_DEALLOC_VGPRS)
	s_endpgm
	.section	.rodata,"a",@progbits
	.p2align	6, 0x0
	.amdhsa_kernel _ZN9rocsolver6v33100L18trti2_kernel_smallILi23E19rocblas_complex_numIfEPS3_EEv13rocblas_fill_17rocblas_diagonal_T1_iil
		.amdhsa_group_segment_fixed_size 376
		.amdhsa_private_segment_fixed_size 192
		.amdhsa_kernarg_size 32
		.amdhsa_user_sgpr_count 2
		.amdhsa_user_sgpr_dispatch_ptr 0
		.amdhsa_user_sgpr_queue_ptr 0
		.amdhsa_user_sgpr_kernarg_segment_ptr 1
		.amdhsa_user_sgpr_dispatch_id 0
		.amdhsa_user_sgpr_kernarg_preload_length 0
		.amdhsa_user_sgpr_kernarg_preload_offset 0
		.amdhsa_user_sgpr_private_segment_size 0
		.amdhsa_wavefront_size32 1
		.amdhsa_uses_dynamic_stack 0
		.amdhsa_enable_private_segment 1
		.amdhsa_system_sgpr_workgroup_id_x 1
		.amdhsa_system_sgpr_workgroup_id_y 0
		.amdhsa_system_sgpr_workgroup_id_z 0
		.amdhsa_system_sgpr_workgroup_info 0
		.amdhsa_system_vgpr_workitem_id 0
		.amdhsa_next_free_vgpr 80
		.amdhsa_next_free_sgpr 18
		.amdhsa_named_barrier_count 0
		.amdhsa_reserve_vcc 1
		.amdhsa_float_round_mode_32 0
		.amdhsa_float_round_mode_16_64 0
		.amdhsa_float_denorm_mode_32 3
		.amdhsa_float_denorm_mode_16_64 3
		.amdhsa_fp16_overflow 0
		.amdhsa_memory_ordered 1
		.amdhsa_forward_progress 1
		.amdhsa_inst_pref_size 135
		.amdhsa_round_robin_scheduling 0
		.amdhsa_exception_fp_ieee_invalid_op 0
		.amdhsa_exception_fp_denorm_src 0
		.amdhsa_exception_fp_ieee_div_zero 0
		.amdhsa_exception_fp_ieee_overflow 0
		.amdhsa_exception_fp_ieee_underflow 0
		.amdhsa_exception_fp_ieee_inexact 0
		.amdhsa_exception_int_div_zero 0
	.end_amdhsa_kernel
	.section	.text._ZN9rocsolver6v33100L18trti2_kernel_smallILi23E19rocblas_complex_numIfEPS3_EEv13rocblas_fill_17rocblas_diagonal_T1_iil,"axG",@progbits,_ZN9rocsolver6v33100L18trti2_kernel_smallILi23E19rocblas_complex_numIfEPS3_EEv13rocblas_fill_17rocblas_diagonal_T1_iil,comdat
.Lfunc_end22:
	.size	_ZN9rocsolver6v33100L18trti2_kernel_smallILi23E19rocblas_complex_numIfEPS3_EEv13rocblas_fill_17rocblas_diagonal_T1_iil, .Lfunc_end22-_ZN9rocsolver6v33100L18trti2_kernel_smallILi23E19rocblas_complex_numIfEPS3_EEv13rocblas_fill_17rocblas_diagonal_T1_iil
                                        ; -- End function
	.set _ZN9rocsolver6v33100L18trti2_kernel_smallILi23E19rocblas_complex_numIfEPS3_EEv13rocblas_fill_17rocblas_diagonal_T1_iil.num_vgpr, 80
	.set _ZN9rocsolver6v33100L18trti2_kernel_smallILi23E19rocblas_complex_numIfEPS3_EEv13rocblas_fill_17rocblas_diagonal_T1_iil.num_agpr, 0
	.set _ZN9rocsolver6v33100L18trti2_kernel_smallILi23E19rocblas_complex_numIfEPS3_EEv13rocblas_fill_17rocblas_diagonal_T1_iil.numbered_sgpr, 18
	.set _ZN9rocsolver6v33100L18trti2_kernel_smallILi23E19rocblas_complex_numIfEPS3_EEv13rocblas_fill_17rocblas_diagonal_T1_iil.num_named_barrier, 0
	.set _ZN9rocsolver6v33100L18trti2_kernel_smallILi23E19rocblas_complex_numIfEPS3_EEv13rocblas_fill_17rocblas_diagonal_T1_iil.private_seg_size, 192
	.set _ZN9rocsolver6v33100L18trti2_kernel_smallILi23E19rocblas_complex_numIfEPS3_EEv13rocblas_fill_17rocblas_diagonal_T1_iil.uses_vcc, 1
	.set _ZN9rocsolver6v33100L18trti2_kernel_smallILi23E19rocblas_complex_numIfEPS3_EEv13rocblas_fill_17rocblas_diagonal_T1_iil.uses_flat_scratch, 1
	.set _ZN9rocsolver6v33100L18trti2_kernel_smallILi23E19rocblas_complex_numIfEPS3_EEv13rocblas_fill_17rocblas_diagonal_T1_iil.has_dyn_sized_stack, 0
	.set _ZN9rocsolver6v33100L18trti2_kernel_smallILi23E19rocblas_complex_numIfEPS3_EEv13rocblas_fill_17rocblas_diagonal_T1_iil.has_recursion, 0
	.set _ZN9rocsolver6v33100L18trti2_kernel_smallILi23E19rocblas_complex_numIfEPS3_EEv13rocblas_fill_17rocblas_diagonal_T1_iil.has_indirect_call, 0
	.section	.AMDGPU.csdata,"",@progbits
; Kernel info:
; codeLenInByte = 17256
; TotalNumSgprs: 20
; NumVgprs: 80
; ScratchSize: 192
; MemoryBound: 0
; FloatMode: 240
; IeeeMode: 1
; LDSByteSize: 376 bytes/workgroup (compile time only)
; SGPRBlocks: 0
; VGPRBlocks: 4
; NumSGPRsForWavesPerEU: 20
; NumVGPRsForWavesPerEU: 80
; NamedBarCnt: 0
; Occupancy: 12
; WaveLimiterHint : 0
; COMPUTE_PGM_RSRC2:SCRATCH_EN: 1
; COMPUTE_PGM_RSRC2:USER_SGPR: 2
; COMPUTE_PGM_RSRC2:TRAP_HANDLER: 0
; COMPUTE_PGM_RSRC2:TGID_X_EN: 1
; COMPUTE_PGM_RSRC2:TGID_Y_EN: 0
; COMPUTE_PGM_RSRC2:TGID_Z_EN: 0
; COMPUTE_PGM_RSRC2:TIDIG_COMP_CNT: 0
	.section	.text._ZN9rocsolver6v33100L18trti2_kernel_smallILi24E19rocblas_complex_numIfEPS3_EEv13rocblas_fill_17rocblas_diagonal_T1_iil,"axG",@progbits,_ZN9rocsolver6v33100L18trti2_kernel_smallILi24E19rocblas_complex_numIfEPS3_EEv13rocblas_fill_17rocblas_diagonal_T1_iil,comdat
	.globl	_ZN9rocsolver6v33100L18trti2_kernel_smallILi24E19rocblas_complex_numIfEPS3_EEv13rocblas_fill_17rocblas_diagonal_T1_iil ; -- Begin function _ZN9rocsolver6v33100L18trti2_kernel_smallILi24E19rocblas_complex_numIfEPS3_EEv13rocblas_fill_17rocblas_diagonal_T1_iil
	.p2align	8
	.type	_ZN9rocsolver6v33100L18trti2_kernel_smallILi24E19rocblas_complex_numIfEPS3_EEv13rocblas_fill_17rocblas_diagonal_T1_iil,@function
_ZN9rocsolver6v33100L18trti2_kernel_smallILi24E19rocblas_complex_numIfEPS3_EEv13rocblas_fill_17rocblas_diagonal_T1_iil: ; @_ZN9rocsolver6v33100L18trti2_kernel_smallILi24E19rocblas_complex_numIfEPS3_EEv13rocblas_fill_17rocblas_diagonal_T1_iil
; %bb.0:
	s_mov_b32 s2, exec_lo
	v_cmpx_gt_u32_e32 24, v0
	s_cbranch_execz .LBB23_464
; %bb.1:
	s_load_b256 s[4:11], s[0:1], 0x0
	s_wait_xcnt 0x0
	s_bfe_u32 s0, ttmp6, 0x4000c
	s_and_b32 s1, ttmp6, 15
	s_add_co_i32 s0, s0, 1
	s_getreg_b32 s2, hwreg(HW_REG_IB_STS2, 6, 4)
	s_mul_i32 s0, ttmp9, s0
	v_lshlrev_b32_e32 v42, 3, v0
	s_add_co_i32 s0, s1, s0
	v_mov_b32_e32 v43, 0
	s_wait_kmcnt 0x0
	v_add3_u32 v6, s9, s9, v0
	s_ashr_i32 s1, s8, 31
	s_cmp_eq_u32 s2, 0
	s_cselect_b32 s2, ttmp9, s0
	s_delay_alu instid0(VALU_DEP_1)
	v_add_nc_u32_e32 v8, s9, v6
	s_ashr_i32 s3, s2, 31
	s_mov_b32 s0, s8
	s_mul_u64 s[2:3], s[10:11], s[2:3]
	s_lshl_b64 s[0:1], s[0:1], 3
	v_add_nc_u32_e32 v10, s9, v8
	s_lshl_b64 s[2:3], s[2:3], 3
	s_delay_alu instid0(SALU_CYCLE_1) | instskip(NEXT) | instid1(SALU_CYCLE_1)
	s_add_nc_u64 s[2:3], s[6:7], s[2:3]
	s_add_nc_u64 s[6:7], s[2:3], s[0:1]
	s_delay_alu instid0(VALU_DEP_1)
	v_add_nc_u32_e32 v12, s9, v10
	v_add_nc_u64_e32 v[2:3], s[6:7], v[42:43]
	s_mov_b32 s0, s9
	s_ashr_i32 s1, s9, 31
	s_cmp_lg_u32 s5, 0x84
	v_add_nc_u32_e32 v14, s9, v12
	s_cselect_b32 s3, -1, 0
	s_delay_alu instid0(VALU_DEP_2) | instskip(SKIP_1) | instid1(VALU_DEP_2)
	v_lshl_add_u64 v[4:5], s[0:1], 3, v[2:3]
	s_mov_b32 s0, -1
	v_add_nc_u32_e32 v16, s9, v14
	s_clause 0x3
	global_load_b64 v[48:49], v0, s[6:7] scale_offset
	global_load_b64 v[50:51], v[4:5], off
	global_load_b64 v[52:53], v6, s[6:7] scale_offset
	global_load_b64 v[54:55], v8, s[6:7] scale_offset
	s_and_b32 vcc_lo, exec_lo, s3
	v_add_nc_u32_e32 v18, s9, v16
	s_delay_alu instid0(VALU_DEP_1) | instskip(NEXT) | instid1(VALU_DEP_1)
	v_add_nc_u32_e32 v20, s9, v18
	v_add_nc_u32_e32 v22, s9, v20
	s_clause 0x3
	global_load_b64 v[56:57], v10, s[6:7] scale_offset
	global_load_b64 v[58:59], v12, s[6:7] scale_offset
	;; [unrolled: 1-line block ×4, first 2 shown]
	v_add_nc_u32_e32 v24, s9, v22
	s_delay_alu instid0(VALU_DEP_1) | instskip(NEXT) | instid1(VALU_DEP_1)
	v_add_nc_u32_e32 v26, s9, v24
	v_add_nc_u32_e32 v28, s9, v26
	s_delay_alu instid0(VALU_DEP_1)
	v_add_nc_u32_e32 v30, s9, v28
	s_clause 0x3
	global_load_b64 v[64:65], v18, s[6:7] scale_offset
	global_load_b64 v[66:67], v20, s[6:7] scale_offset
	;; [unrolled: 1-line block ×4, first 2 shown]
	v_add_nc_u32_e32 v32, s9, v30
	s_delay_alu instid0(VALU_DEP_1) | instskip(NEXT) | instid1(VALU_DEP_1)
	v_add_nc_u32_e32 v34, s9, v32
	v_add_nc_u32_e32 v36, s9, v34
	s_delay_alu instid0(VALU_DEP_1) | instskip(NEXT) | instid1(VALU_DEP_1)
	v_add_nc_u32_e32 v38, s9, v36
	;; [unrolled: 3-line block ×3, first 2 shown]
	v_add_nc_u32_e32 v46, s9, v44
	s_wait_loadcnt 0xa
	scratch_store_b128 off, v[48:51], off
	s_wait_xcnt 0x0
	v_add_nc_u32_e32 v48, s9, v46
	s_clause 0x3
	global_load_b64 v[72:73], v26, s[6:7] scale_offset
	global_load_b64 v[74:75], v28, s[6:7] scale_offset
	;; [unrolled: 1-line block ×4, first 2 shown]
	s_wait_loadcnt 0xc
	scratch_store_b128 off, v[52:55], off offset:16
	s_wait_loadcnt 0xa
	scratch_store_b128 off, v[56:59], off offset:32
	;; [unrolled: 2-line block ×3, first 2 shown]
	v_add_nc_u32_e32 v50, s9, v48
	s_clause 0x3
	global_load_b64 v[52:53], v34, s[6:7] scale_offset
	global_load_b64 v[54:55], v36, s[6:7] scale_offset
	;; [unrolled: 1-line block ×4, first 2 shown]
	s_wait_loadcnt 0xa
	scratch_store_b128 off, v[64:67], off offset:64
	s_wait_loadcnt 0x8
	scratch_store_b128 off, v[68:71], off offset:80
	s_clause 0x3
	global_load_b64 v[60:61], v44, s[6:7] scale_offset
	global_load_b64 v[62:63], v46, s[6:7] scale_offset
	;; [unrolled: 1-line block ×4, first 2 shown]
	s_wait_loadcnt 0xa
	scratch_store_b128 off, v[72:75], off offset:96
	s_wait_loadcnt 0x8
	scratch_store_b128 off, v[76:79], off offset:112
	;; [unrolled: 2-line block ×6, first 2 shown]
	s_cbranch_vccz .LBB23_7
; %bb.2:
	scratch_load_b64 v[52:53], v0, off scale_offset
                                        ; implicit-def: $vgpr57
                                        ; implicit-def: $vgpr54
	s_wait_loadcnt 0x0
	v_cmp_ngt_f32_e64 s0, |v52|, |v53|
	s_wait_xcnt 0x0
	s_and_saveexec_b32 s1, s0
	s_delay_alu instid0(SALU_CYCLE_1)
	s_xor_b32 s0, exec_lo, s1
	s_cbranch_execz .LBB23_4
; %bb.3:
	v_div_scale_f32 v1, null, v53, v53, v52
	v_div_scale_f32 v11, vcc_lo, v52, v53, v52
	s_delay_alu instid0(VALU_DEP_2) | instskip(SKIP_1) | instid1(TRANS32_DEP_1)
	v_rcp_f32_e32 v7, v1
	v_nop
	v_fma_f32 v9, -v1, v7, 1.0
	s_delay_alu instid0(VALU_DEP_1) | instskip(NEXT) | instid1(VALU_DEP_1)
	v_fmac_f32_e32 v7, v9, v7
	v_mul_f32_e32 v9, v11, v7
	s_delay_alu instid0(VALU_DEP_1) | instskip(NEXT) | instid1(VALU_DEP_1)
	v_fma_f32 v13, -v1, v9, v11
	v_fmac_f32_e32 v9, v13, v7
	s_delay_alu instid0(VALU_DEP_1) | instskip(NEXT) | instid1(VALU_DEP_1)
	v_fma_f32 v1, -v1, v9, v11
	v_div_fmas_f32 v1, v1, v7, v9
	s_delay_alu instid0(VALU_DEP_1) | instskip(NEXT) | instid1(VALU_DEP_1)
	v_div_fixup_f32 v1, v1, v53, v52
	v_fmac_f32_e32 v53, v52, v1
	s_delay_alu instid0(VALU_DEP_1) | instskip(NEXT) | instid1(VALU_DEP_1)
	v_div_scale_f32 v7, null, v53, v53, -1.0
	v_rcp_f32_e32 v9, v7
	v_nop
	s_delay_alu instid0(TRANS32_DEP_1) | instskip(NEXT) | instid1(VALU_DEP_1)
	v_fma_f32 v11, -v7, v9, 1.0
	v_fmac_f32_e32 v9, v11, v9
	v_div_scale_f32 v11, vcc_lo, -1.0, v53, -1.0
	s_delay_alu instid0(VALU_DEP_1) | instskip(NEXT) | instid1(VALU_DEP_1)
	v_mul_f32_e32 v13, v11, v9
	v_fma_f32 v15, -v7, v13, v11
	s_delay_alu instid0(VALU_DEP_1) | instskip(NEXT) | instid1(VALU_DEP_1)
	v_fmac_f32_e32 v13, v15, v9
	v_fma_f32 v7, -v7, v13, v11
	s_delay_alu instid0(VALU_DEP_1) | instskip(NEXT) | instid1(VALU_DEP_1)
	v_div_fmas_f32 v7, v7, v9, v13
	v_div_fixup_f32 v57, v7, v53, -1.0
                                        ; implicit-def: $vgpr52_vgpr53
	s_delay_alu instid0(VALU_DEP_1) | instskip(NEXT) | instid1(VALU_DEP_1)
	v_mul_f32_e32 v54, v1, v57
	v_xor_b32_e32 v56, 0x80000000, v54
.LBB23_4:
	s_or_saveexec_b32 s0, s0
	v_lshl_add_u32 v1, v0, 3, 0
	s_xor_b32 exec_lo, exec_lo, s0
	s_cbranch_execz .LBB23_6
; %bb.5:
	v_div_scale_f32 v7, null, v52, v52, v53
	v_div_scale_f32 v13, vcc_lo, v53, v52, v53
	s_delay_alu instid0(VALU_DEP_2) | instskip(SKIP_1) | instid1(TRANS32_DEP_1)
	v_rcp_f32_e32 v9, v7
	v_nop
	v_fma_f32 v11, -v7, v9, 1.0
	s_delay_alu instid0(VALU_DEP_1) | instskip(NEXT) | instid1(VALU_DEP_1)
	v_fmac_f32_e32 v9, v11, v9
	v_mul_f32_e32 v11, v13, v9
	s_delay_alu instid0(VALU_DEP_1) | instskip(NEXT) | instid1(VALU_DEP_1)
	v_fma_f32 v15, -v7, v11, v13
	v_fmac_f32_e32 v11, v15, v9
	s_delay_alu instid0(VALU_DEP_1) | instskip(NEXT) | instid1(VALU_DEP_1)
	v_fma_f32 v7, -v7, v11, v13
	v_div_fmas_f32 v7, v7, v9, v11
	s_delay_alu instid0(VALU_DEP_1) | instskip(NEXT) | instid1(VALU_DEP_1)
	v_div_fixup_f32 v7, v7, v52, v53
	v_fmac_f32_e32 v52, v53, v7
	s_delay_alu instid0(VALU_DEP_1) | instskip(SKIP_1) | instid1(VALU_DEP_2)
	v_div_scale_f32 v9, null, v52, v52, 1.0
	v_div_scale_f32 v15, vcc_lo, 1.0, v52, 1.0
	v_rcp_f32_e32 v11, v9
	v_nop
	s_delay_alu instid0(TRANS32_DEP_1) | instskip(NEXT) | instid1(VALU_DEP_1)
	v_fma_f32 v13, -v9, v11, 1.0
	v_fmac_f32_e32 v11, v13, v11
	s_delay_alu instid0(VALU_DEP_1) | instskip(NEXT) | instid1(VALU_DEP_1)
	v_mul_f32_e32 v13, v15, v11
	v_fma_f32 v17, -v9, v13, v15
	s_delay_alu instid0(VALU_DEP_1) | instskip(NEXT) | instid1(VALU_DEP_1)
	v_fmac_f32_e32 v13, v17, v11
	v_fma_f32 v9, -v9, v13, v15
	s_delay_alu instid0(VALU_DEP_1) | instskip(NEXT) | instid1(VALU_DEP_1)
	v_div_fmas_f32 v9, v9, v11, v13
	v_div_fixup_f32 v56, v9, v52, 1.0
	s_delay_alu instid0(VALU_DEP_1)
	v_xor_b32_e32 v54, 0x80000000, v56
	v_mul_f32_e64 v57, v7, -v56
.LBB23_6:
	s_or_b32 exec_lo, exec_lo, s0
	s_delay_alu instid0(VALU_DEP_1)
	v_xor_b32_e32 v55, 0x80000000, v57
	s_mov_b32 s0, 0
	scratch_store_b64 v1, v[56:57], off
	ds_store_b64 v42, v[54:55]
.LBB23_7:
	s_and_b32 vcc_lo, exec_lo, s0
	s_cbranch_vccz .LBB23_9
; %bb.8:
	s_mov_b64 s[0:1], 0xbf800000
	s_wait_xcnt 0x3
	v_mov_b64_e32 v[52:53], s[0:1]
	ds_store_b64 v42, v[52:53]
.LBB23_9:
	v_dual_ashrrev_i32 v7, 31, v6 :: v_dual_ashrrev_i32 v9, 31, v8
	v_dual_ashrrev_i32 v11, 31, v10 :: v_dual_ashrrev_i32 v13, 31, v12
	;; [unrolled: 1-line block ×11, first 2 shown]
	s_wait_xcnt 0x0
	v_add_nc_u32_e32 v1, 0xc0, v42
	v_mov_b32_e32 v43, v42
	s_cmp_eq_u32 s4, 0x79
	s_cbranch_scc1 .LBB23_13
; %bb.10:
	scratch_load_b64 v[52:53], off, off offset:176
	v_cmp_eq_u32_e64 s0, 23, v0
	s_movk_i32 s1, 0x50
	s_movk_i32 s10, 0x60
	;; [unrolled: 1-line block ×6, first 2 shown]
	s_wait_loadcnt 0x0
	ds_store_b64 v1, v[52:53]
	s_wait_storecnt_dscnt 0x0
	s_barrier_signal -1
	s_barrier_wait -1
	s_wait_xcnt 0x0
	s_and_saveexec_b32 s2, s0
	s_cbranch_execz .LBB23_17
; %bb.11:
	s_and_b32 vcc_lo, exec_lo, s3
	s_cbranch_vccz .LBB23_14
; %bb.12:
	scratch_load_b64 v[52:53], v43, off
	ds_load_b64 v[54:55], v1
	s_wait_loadcnt_dscnt 0x0
	v_pk_mul_f32 v[56:57], v[54:55], v[52:53] op_sel:[1,1] op_sel_hi:[0,1]
	v_pk_mul_f32 v[58:59], v[54:55], v[52:53] op_sel_hi:[1,0]
	s_delay_alu instid0(VALU_DEP_2) | instskip(NEXT) | instid1(VALU_DEP_2)
	v_pk_fma_f32 v[52:53], v[54:55], v[52:53], v[56:57] op_sel_hi:[1,0,1]
	v_sub_f32_e32 v52, v58, v56
	s_cbranch_execz .LBB23_15
	s_branch .LBB23_16
.LBB23_13:
	s_mov_b32 s1, 0
                                        ; implicit-def: $vgpr58
                                        ; implicit-def: $sgpr4
	s_cbranch_execnz .LBB23_236
	s_branch .LBB23_461
.LBB23_14:
                                        ; implicit-def: $vgpr53
.LBB23_15:
	ds_load_b64 v[52:53], v1
.LBB23_16:
	s_wait_dscnt 0x0
	v_dual_mov_b32 v54, 0 :: v_dual_mov_b32 v56, v53
	v_mov_b32_e32 v57, v52
	ds_load_b64 v[54:55], v54 offset:176
	s_wait_dscnt 0x0
	v_pk_mul_f32 v[56:57], v[56:57], v[54:55] op_sel:[0,1]
	s_delay_alu instid0(VALU_DEP_1) | instskip(SKIP_1) | instid1(VALU_DEP_2)
	v_pk_fma_f32 v[58:59], v[52:53], v[54:55], v[56:57] op_sel_hi:[1,0,1]
	v_pk_fma_f32 v[52:53], v[52:53], v[54:55], v[56:57] neg_lo:[0,0,1] neg_hi:[0,0,1]
	v_mov_b32_e32 v53, v59
	scratch_store_b64 off, v[52:53], off offset:176
.LBB23_17:
	s_wait_xcnt 0x0
	s_or_b32 exec_lo, exec_lo, s2
	scratch_load_b64 v[52:53], off, off offset:168
	s_mov_b32 s9, s1
	v_cmp_lt_u32_e64 s1, 21, v0
	s_mov_b32 s4, 16
	s_mov_b32 s5, 32
	;; [unrolled: 1-line block ×4, first 2 shown]
	s_wait_loadcnt 0x0
	ds_store_b64 v1, v[52:53]
	s_wait_storecnt_dscnt 0x0
	s_barrier_signal -1
	s_barrier_wait -1
	s_wait_xcnt 0x0
	s_and_saveexec_b32 s15, s1
	s_cbranch_execz .LBB23_25
; %bb.18:
	s_and_not1_b32 vcc_lo, exec_lo, s3
	s_cbranch_vccnz .LBB23_20
; %bb.19:
	scratch_load_b64 v[52:53], v43, off
	ds_load_b64 v[54:55], v1
	s_wait_loadcnt_dscnt 0x0
	v_pk_mul_f32 v[56:57], v[54:55], v[52:53] op_sel:[1,1] op_sel_hi:[0,1]
	s_delay_alu instid0(VALU_DEP_1) | instskip(SKIP_1) | instid1(VALU_DEP_2)
	v_pk_fma_f32 v[58:59], v[54:55], v[52:53], v[56:57] op_sel_hi:[1,0,1]
	v_pk_fma_f32 v[52:53], v[54:55], v[52:53], v[56:57] neg_lo:[0,0,1] neg_hi:[0,0,1]
	v_mov_b32_e32 v53, v59
	s_cbranch_execz .LBB23_21
	s_branch .LBB23_22
.LBB23_20:
                                        ; implicit-def: $vgpr52_vgpr53
.LBB23_21:
	ds_load_b64 v[52:53], v1
.LBB23_22:
	s_and_saveexec_b32 s16, s0
	s_cbranch_execz .LBB23_24
; %bb.23:
	scratch_load_b64 v[54:55], off, off offset:176
	v_mov_b32_e32 v56, 0
	ds_load_b64 v[56:57], v56 offset:368
	s_wait_loadcnt_dscnt 0x0
	v_pk_mul_f32 v[58:59], v[56:57], v[54:55] op_sel:[1,1] op_sel_hi:[0,1]
	s_delay_alu instid0(VALU_DEP_1) | instskip(SKIP_1) | instid1(VALU_DEP_2)
	v_pk_fma_f32 v[60:61], v[56:57], v[54:55], v[58:59] op_sel_hi:[1,0,1]
	v_pk_fma_f32 v[54:55], v[56:57], v[54:55], v[58:59] neg_lo:[0,0,1] neg_hi:[0,0,1]
	v_mov_b32_e32 v55, v61
	s_delay_alu instid0(VALU_DEP_1)
	v_pk_add_f32 v[52:53], v[52:53], v[54:55]
.LBB23_24:
	s_or_b32 exec_lo, exec_lo, s16
	v_mov_b32_e32 v54, 0
	ds_load_b64 v[54:55], v54 offset:168
	s_wait_dscnt 0x0
	v_pk_mul_f32 v[56:57], v[52:53], v[54:55] op_sel:[1,1] op_sel_hi:[0,1]
	s_delay_alu instid0(VALU_DEP_1) | instskip(SKIP_1) | instid1(VALU_DEP_2)
	v_pk_fma_f32 v[58:59], v[52:53], v[54:55], v[56:57] op_sel_hi:[1,0,1]
	v_pk_fma_f32 v[52:53], v[52:53], v[54:55], v[56:57] neg_lo:[0,0,1] neg_hi:[0,0,1]
	v_mov_b32_e32 v53, v59
	scratch_store_b64 off, v[52:53], off offset:168
.LBB23_25:
	s_wait_xcnt 0x0
	s_or_b32 exec_lo, exec_lo, s15
	scratch_load_b64 v[52:53], off, off offset:160
	v_cmp_lt_u32_e64 s0, 20, v0
	s_wait_loadcnt 0x0
	ds_store_b64 v1, v[52:53]
	s_wait_storecnt_dscnt 0x0
	s_barrier_signal -1
	s_barrier_wait -1
	s_wait_xcnt 0x0
	s_and_saveexec_b32 s15, s0
	s_cbranch_execz .LBB23_35
; %bb.26:
	s_and_not1_b32 vcc_lo, exec_lo, s3
	s_cbranch_vccnz .LBB23_28
; %bb.27:
	scratch_load_b64 v[52:53], v43, off
	ds_load_b64 v[54:55], v1
	s_wait_loadcnt_dscnt 0x0
	v_pk_mul_f32 v[56:57], v[54:55], v[52:53] op_sel:[1,1] op_sel_hi:[0,1]
	s_delay_alu instid0(VALU_DEP_1) | instskip(SKIP_1) | instid1(VALU_DEP_2)
	v_pk_fma_f32 v[58:59], v[54:55], v[52:53], v[56:57] op_sel_hi:[1,0,1]
	v_pk_fma_f32 v[52:53], v[54:55], v[52:53], v[56:57] neg_lo:[0,0,1] neg_hi:[0,0,1]
	v_mov_b32_e32 v53, v59
	s_cbranch_execz .LBB23_29
	s_branch .LBB23_30
.LBB23_28:
                                        ; implicit-def: $vgpr52_vgpr53
.LBB23_29:
	ds_load_b64 v[52:53], v1
.LBB23_30:
	s_and_saveexec_b32 s16, s1
	s_cbranch_execz .LBB23_34
; %bb.31:
	v_subrev_nc_u32_e32 v54, 21, v0
	s_movk_i32 s1, 0xa8
	s_movk_i32 s18, 0x168
	s_mov_b32 s17, 0
.LBB23_32:                              ; =>This Inner Loop Header: Depth=1
	scratch_load_b64 v[56:57], off, s1
	v_dual_mov_b32 v55, s18 :: v_dual_add_nc_u32 v54, -1, v54
	s_add_co_i32 s18, s18, 8
	s_wait_xcnt 0x0
	s_add_co_i32 s1, s1, 8
	ds_load_b64 v[58:59], v55
	v_cmp_eq_u32_e32 vcc_lo, 0, v54
	s_or_b32 s17, vcc_lo, s17
	s_wait_loadcnt_dscnt 0x0
	v_pk_mul_f32 v[60:61], v[58:59], v[56:57] op_sel:[1,1] op_sel_hi:[0,1]
	s_delay_alu instid0(VALU_DEP_1) | instskip(SKIP_1) | instid1(VALU_DEP_2)
	v_pk_fma_f32 v[62:63], v[58:59], v[56:57], v[60:61] op_sel_hi:[1,0,1]
	v_pk_fma_f32 v[56:57], v[58:59], v[56:57], v[60:61] neg_lo:[0,0,1] neg_hi:[0,0,1]
	v_mov_b32_e32 v57, v63
	s_delay_alu instid0(VALU_DEP_1)
	v_pk_add_f32 v[52:53], v[52:53], v[56:57]
	s_and_not1_b32 exec_lo, exec_lo, s17
	s_cbranch_execnz .LBB23_32
; %bb.33:
	s_or_b32 exec_lo, exec_lo, s17
.LBB23_34:
	s_delay_alu instid0(SALU_CYCLE_1) | instskip(SKIP_4) | instid1(VALU_DEP_1)
	s_or_b32 exec_lo, exec_lo, s16
	v_mov_b32_e32 v54, 0
	ds_load_b64 v[54:55], v54 offset:160
	s_wait_dscnt 0x0
	v_pk_mul_f32 v[56:57], v[52:53], v[54:55] op_sel:[1,1] op_sel_hi:[0,1]
	v_pk_fma_f32 v[58:59], v[52:53], v[54:55], v[56:57] op_sel_hi:[1,0,1]
	v_pk_fma_f32 v[52:53], v[52:53], v[54:55], v[56:57] neg_lo:[0,0,1] neg_hi:[0,0,1]
	s_delay_alu instid0(VALU_DEP_2)
	v_mov_b32_e32 v53, v59
	scratch_store_b64 off, v[52:53], off offset:160
.LBB23_35:
	s_wait_xcnt 0x0
	s_or_b32 exec_lo, exec_lo, s15
	scratch_load_b64 v[52:53], off, off offset:152
	v_cmp_lt_u32_e64 s1, 19, v0
	s_wait_loadcnt 0x0
	ds_store_b64 v1, v[52:53]
	s_wait_storecnt_dscnt 0x0
	s_barrier_signal -1
	s_barrier_wait -1
	s_wait_xcnt 0x0
	s_and_saveexec_b32 s15, s1
	s_cbranch_execz .LBB23_45
; %bb.36:
	s_and_not1_b32 vcc_lo, exec_lo, s3
	s_cbranch_vccnz .LBB23_38
; %bb.37:
	scratch_load_b64 v[52:53], v43, off
	ds_load_b64 v[54:55], v1
	s_wait_loadcnt_dscnt 0x0
	v_pk_mul_f32 v[56:57], v[54:55], v[52:53] op_sel:[1,1] op_sel_hi:[0,1]
	s_delay_alu instid0(VALU_DEP_1) | instskip(SKIP_1) | instid1(VALU_DEP_2)
	v_pk_fma_f32 v[58:59], v[54:55], v[52:53], v[56:57] op_sel_hi:[1,0,1]
	v_pk_fma_f32 v[52:53], v[54:55], v[52:53], v[56:57] neg_lo:[0,0,1] neg_hi:[0,0,1]
	v_mov_b32_e32 v53, v59
	s_cbranch_execz .LBB23_39
	s_branch .LBB23_40
.LBB23_38:
                                        ; implicit-def: $vgpr52_vgpr53
.LBB23_39:
	ds_load_b64 v[52:53], v1
.LBB23_40:
	s_and_saveexec_b32 s16, s0
	s_cbranch_execz .LBB23_44
; %bb.41:
	v_subrev_nc_u32_e32 v54, 20, v0
	s_movk_i32 s17, 0x160
	s_mov_b32 s0, 0
.LBB23_42:                              ; =>This Inner Loop Header: Depth=1
	scratch_load_b64 v[56:57], off, s14
	v_dual_mov_b32 v55, s17 :: v_dual_add_nc_u32 v54, -1, v54
	s_add_co_i32 s17, s17, 8
	s_wait_xcnt 0x0
	s_add_co_i32 s14, s14, 8
	ds_load_b64 v[58:59], v55
	v_cmp_eq_u32_e32 vcc_lo, 0, v54
	s_or_b32 s0, vcc_lo, s0
	s_wait_loadcnt_dscnt 0x0
	v_pk_mul_f32 v[60:61], v[58:59], v[56:57] op_sel:[1,1] op_sel_hi:[0,1]
	s_delay_alu instid0(VALU_DEP_1) | instskip(SKIP_1) | instid1(VALU_DEP_2)
	v_pk_fma_f32 v[62:63], v[58:59], v[56:57], v[60:61] op_sel_hi:[1,0,1]
	v_pk_fma_f32 v[56:57], v[58:59], v[56:57], v[60:61] neg_lo:[0,0,1] neg_hi:[0,0,1]
	v_mov_b32_e32 v57, v63
	s_delay_alu instid0(VALU_DEP_1)
	v_pk_add_f32 v[52:53], v[52:53], v[56:57]
	s_and_not1_b32 exec_lo, exec_lo, s0
	s_cbranch_execnz .LBB23_42
; %bb.43:
	s_or_b32 exec_lo, exec_lo, s0
.LBB23_44:
	s_delay_alu instid0(SALU_CYCLE_1) | instskip(SKIP_4) | instid1(VALU_DEP_1)
	s_or_b32 exec_lo, exec_lo, s16
	v_mov_b32_e32 v54, 0
	ds_load_b64 v[54:55], v54 offset:152
	s_wait_dscnt 0x0
	v_pk_mul_f32 v[56:57], v[52:53], v[54:55] op_sel:[1,1] op_sel_hi:[0,1]
	v_pk_fma_f32 v[58:59], v[52:53], v[54:55], v[56:57] op_sel_hi:[1,0,1]
	v_pk_fma_f32 v[52:53], v[52:53], v[54:55], v[56:57] neg_lo:[0,0,1] neg_hi:[0,0,1]
	s_delay_alu instid0(VALU_DEP_2)
	v_mov_b32_e32 v53, v59
	scratch_store_b64 off, v[52:53], off offset:152
.LBB23_45:
	s_wait_xcnt 0x0
	s_or_b32 exec_lo, exec_lo, s15
	scratch_load_b64 v[52:53], off, off offset:144
	v_cmp_lt_u32_e64 s0, 18, v0
	s_wait_loadcnt 0x0
	ds_store_b64 v1, v[52:53]
	s_wait_storecnt_dscnt 0x0
	s_barrier_signal -1
	s_barrier_wait -1
	s_wait_xcnt 0x0
	s_and_saveexec_b32 s14, s0
	s_cbranch_execz .LBB23_55
; %bb.46:
	s_and_not1_b32 vcc_lo, exec_lo, s3
	s_cbranch_vccnz .LBB23_48
; %bb.47:
	scratch_load_b64 v[52:53], v43, off
	ds_load_b64 v[54:55], v1
	s_wait_loadcnt_dscnt 0x0
	v_pk_mul_f32 v[56:57], v[54:55], v[52:53] op_sel:[1,1] op_sel_hi:[0,1]
	s_delay_alu instid0(VALU_DEP_1) | instskip(SKIP_1) | instid1(VALU_DEP_2)
	v_pk_fma_f32 v[58:59], v[54:55], v[52:53], v[56:57] op_sel_hi:[1,0,1]
	v_pk_fma_f32 v[52:53], v[54:55], v[52:53], v[56:57] neg_lo:[0,0,1] neg_hi:[0,0,1]
	v_mov_b32_e32 v53, v59
	s_cbranch_execz .LBB23_49
	s_branch .LBB23_50
.LBB23_48:
                                        ; implicit-def: $vgpr52_vgpr53
.LBB23_49:
	ds_load_b64 v[52:53], v1
.LBB23_50:
	s_and_saveexec_b32 s15, s1
	s_cbranch_execz .LBB23_54
; %bb.51:
	v_subrev_nc_u32_e32 v54, 19, v0
	s_movk_i32 s1, 0x98
	s_movk_i32 s17, 0x158
	s_mov_b32 s16, 0
.LBB23_52:                              ; =>This Inner Loop Header: Depth=1
	scratch_load_b64 v[56:57], off, s1
	v_dual_mov_b32 v55, s17 :: v_dual_add_nc_u32 v54, -1, v54
	s_add_co_i32 s17, s17, 8
	s_wait_xcnt 0x0
	s_add_co_i32 s1, s1, 8
	ds_load_b64 v[58:59], v55
	v_cmp_eq_u32_e32 vcc_lo, 0, v54
	s_or_b32 s16, vcc_lo, s16
	s_wait_loadcnt_dscnt 0x0
	v_pk_mul_f32 v[60:61], v[58:59], v[56:57] op_sel:[1,1] op_sel_hi:[0,1]
	s_delay_alu instid0(VALU_DEP_1) | instskip(SKIP_1) | instid1(VALU_DEP_2)
	v_pk_fma_f32 v[62:63], v[58:59], v[56:57], v[60:61] op_sel_hi:[1,0,1]
	v_pk_fma_f32 v[56:57], v[58:59], v[56:57], v[60:61] neg_lo:[0,0,1] neg_hi:[0,0,1]
	v_mov_b32_e32 v57, v63
	s_delay_alu instid0(VALU_DEP_1)
	v_pk_add_f32 v[52:53], v[52:53], v[56:57]
	s_and_not1_b32 exec_lo, exec_lo, s16
	s_cbranch_execnz .LBB23_52
; %bb.53:
	s_or_b32 exec_lo, exec_lo, s16
.LBB23_54:
	s_delay_alu instid0(SALU_CYCLE_1) | instskip(SKIP_4) | instid1(VALU_DEP_1)
	s_or_b32 exec_lo, exec_lo, s15
	v_mov_b32_e32 v54, 0
	ds_load_b64 v[54:55], v54 offset:144
	s_wait_dscnt 0x0
	v_pk_mul_f32 v[56:57], v[52:53], v[54:55] op_sel:[1,1] op_sel_hi:[0,1]
	v_pk_fma_f32 v[58:59], v[52:53], v[54:55], v[56:57] op_sel_hi:[1,0,1]
	v_pk_fma_f32 v[52:53], v[52:53], v[54:55], v[56:57] neg_lo:[0,0,1] neg_hi:[0,0,1]
	s_delay_alu instid0(VALU_DEP_2)
	v_mov_b32_e32 v53, v59
	scratch_store_b64 off, v[52:53], off offset:144
.LBB23_55:
	s_wait_xcnt 0x0
	s_or_b32 exec_lo, exec_lo, s14
	scratch_load_b64 v[52:53], off, off offset:136
	v_cmp_lt_u32_e64 s1, 17, v0
	s_wait_loadcnt 0x0
	ds_store_b64 v1, v[52:53]
	s_wait_storecnt_dscnt 0x0
	s_barrier_signal -1
	s_barrier_wait -1
	s_wait_xcnt 0x0
	s_and_saveexec_b32 s14, s1
	s_cbranch_execz .LBB23_65
; %bb.56:
	s_and_not1_b32 vcc_lo, exec_lo, s3
	s_cbranch_vccnz .LBB23_58
; %bb.57:
	scratch_load_b64 v[52:53], v43, off
	ds_load_b64 v[54:55], v1
	s_wait_loadcnt_dscnt 0x0
	v_pk_mul_f32 v[56:57], v[54:55], v[52:53] op_sel:[1,1] op_sel_hi:[0,1]
	s_delay_alu instid0(VALU_DEP_1) | instskip(SKIP_1) | instid1(VALU_DEP_2)
	v_pk_fma_f32 v[58:59], v[54:55], v[52:53], v[56:57] op_sel_hi:[1,0,1]
	v_pk_fma_f32 v[52:53], v[54:55], v[52:53], v[56:57] neg_lo:[0,0,1] neg_hi:[0,0,1]
	v_mov_b32_e32 v53, v59
	s_cbranch_execz .LBB23_59
	s_branch .LBB23_60
.LBB23_58:
                                        ; implicit-def: $vgpr52_vgpr53
.LBB23_59:
	ds_load_b64 v[52:53], v1
.LBB23_60:
	s_and_saveexec_b32 s15, s0
	s_cbranch_execz .LBB23_64
; %bb.61:
	v_subrev_nc_u32_e32 v54, 18, v0
	s_movk_i32 s16, 0x150
	s_mov_b32 s0, 0
.LBB23_62:                              ; =>This Inner Loop Header: Depth=1
	scratch_load_b64 v[56:57], off, s13
	v_dual_mov_b32 v55, s16 :: v_dual_add_nc_u32 v54, -1, v54
	s_add_co_i32 s16, s16, 8
	s_wait_xcnt 0x0
	s_add_co_i32 s13, s13, 8
	ds_load_b64 v[58:59], v55
	v_cmp_eq_u32_e32 vcc_lo, 0, v54
	s_or_b32 s0, vcc_lo, s0
	s_wait_loadcnt_dscnt 0x0
	v_pk_mul_f32 v[60:61], v[58:59], v[56:57] op_sel:[1,1] op_sel_hi:[0,1]
	s_delay_alu instid0(VALU_DEP_1) | instskip(SKIP_1) | instid1(VALU_DEP_2)
	v_pk_fma_f32 v[62:63], v[58:59], v[56:57], v[60:61] op_sel_hi:[1,0,1]
	v_pk_fma_f32 v[56:57], v[58:59], v[56:57], v[60:61] neg_lo:[0,0,1] neg_hi:[0,0,1]
	v_mov_b32_e32 v57, v63
	s_delay_alu instid0(VALU_DEP_1)
	v_pk_add_f32 v[52:53], v[52:53], v[56:57]
	s_and_not1_b32 exec_lo, exec_lo, s0
	s_cbranch_execnz .LBB23_62
; %bb.63:
	s_or_b32 exec_lo, exec_lo, s0
.LBB23_64:
	s_delay_alu instid0(SALU_CYCLE_1) | instskip(SKIP_4) | instid1(VALU_DEP_1)
	s_or_b32 exec_lo, exec_lo, s15
	v_mov_b32_e32 v54, 0
	ds_load_b64 v[54:55], v54 offset:136
	s_wait_dscnt 0x0
	v_pk_mul_f32 v[56:57], v[52:53], v[54:55] op_sel:[1,1] op_sel_hi:[0,1]
	v_pk_fma_f32 v[58:59], v[52:53], v[54:55], v[56:57] op_sel_hi:[1,0,1]
	v_pk_fma_f32 v[52:53], v[52:53], v[54:55], v[56:57] neg_lo:[0,0,1] neg_hi:[0,0,1]
	s_delay_alu instid0(VALU_DEP_2)
	v_mov_b32_e32 v53, v59
	scratch_store_b64 off, v[52:53], off offset:136
.LBB23_65:
	s_wait_xcnt 0x0
	s_or_b32 exec_lo, exec_lo, s14
	scratch_load_b64 v[52:53], off, off offset:128
	v_cmp_lt_u32_e64 s0, 16, v0
	s_wait_loadcnt 0x0
	ds_store_b64 v1, v[52:53]
	s_wait_storecnt_dscnt 0x0
	s_barrier_signal -1
	s_barrier_wait -1
	s_wait_xcnt 0x0
	s_and_saveexec_b32 s13, s0
	s_cbranch_execz .LBB23_75
; %bb.66:
	s_and_not1_b32 vcc_lo, exec_lo, s3
	s_cbranch_vccnz .LBB23_68
; %bb.67:
	scratch_load_b64 v[52:53], v43, off
	ds_load_b64 v[54:55], v1
	s_wait_loadcnt_dscnt 0x0
	v_pk_mul_f32 v[56:57], v[54:55], v[52:53] op_sel:[1,1] op_sel_hi:[0,1]
	s_delay_alu instid0(VALU_DEP_1) | instskip(SKIP_1) | instid1(VALU_DEP_2)
	v_pk_fma_f32 v[58:59], v[54:55], v[52:53], v[56:57] op_sel_hi:[1,0,1]
	v_pk_fma_f32 v[52:53], v[54:55], v[52:53], v[56:57] neg_lo:[0,0,1] neg_hi:[0,0,1]
	v_mov_b32_e32 v53, v59
	s_cbranch_execz .LBB23_69
	s_branch .LBB23_70
.LBB23_68:
                                        ; implicit-def: $vgpr52_vgpr53
.LBB23_69:
	ds_load_b64 v[52:53], v1
.LBB23_70:
	s_and_saveexec_b32 s14, s1
	s_cbranch_execz .LBB23_74
; %bb.71:
	v_subrev_nc_u32_e32 v54, 17, v0
	s_movk_i32 s1, 0x88
	s_movk_i32 s16, 0x148
	s_mov_b32 s15, 0
.LBB23_72:                              ; =>This Inner Loop Header: Depth=1
	scratch_load_b64 v[56:57], off, s1
	v_dual_mov_b32 v55, s16 :: v_dual_add_nc_u32 v54, -1, v54
	s_add_co_i32 s16, s16, 8
	s_wait_xcnt 0x0
	s_add_co_i32 s1, s1, 8
	ds_load_b64 v[58:59], v55
	v_cmp_eq_u32_e32 vcc_lo, 0, v54
	s_or_b32 s15, vcc_lo, s15
	s_wait_loadcnt_dscnt 0x0
	v_pk_mul_f32 v[60:61], v[58:59], v[56:57] op_sel:[1,1] op_sel_hi:[0,1]
	s_delay_alu instid0(VALU_DEP_1) | instskip(SKIP_1) | instid1(VALU_DEP_2)
	v_pk_fma_f32 v[62:63], v[58:59], v[56:57], v[60:61] op_sel_hi:[1,0,1]
	v_pk_fma_f32 v[56:57], v[58:59], v[56:57], v[60:61] neg_lo:[0,0,1] neg_hi:[0,0,1]
	v_mov_b32_e32 v57, v63
	s_delay_alu instid0(VALU_DEP_1)
	v_pk_add_f32 v[52:53], v[52:53], v[56:57]
	s_and_not1_b32 exec_lo, exec_lo, s15
	s_cbranch_execnz .LBB23_72
; %bb.73:
	s_or_b32 exec_lo, exec_lo, s15
.LBB23_74:
	s_delay_alu instid0(SALU_CYCLE_1) | instskip(SKIP_4) | instid1(VALU_DEP_1)
	s_or_b32 exec_lo, exec_lo, s14
	v_mov_b32_e32 v54, 0
	ds_load_b64 v[54:55], v54 offset:128
	s_wait_dscnt 0x0
	v_pk_mul_f32 v[56:57], v[52:53], v[54:55] op_sel:[1,1] op_sel_hi:[0,1]
	v_pk_fma_f32 v[58:59], v[52:53], v[54:55], v[56:57] op_sel_hi:[1,0,1]
	v_pk_fma_f32 v[52:53], v[52:53], v[54:55], v[56:57] neg_lo:[0,0,1] neg_hi:[0,0,1]
	s_delay_alu instid0(VALU_DEP_2)
	v_mov_b32_e32 v53, v59
	scratch_store_b64 off, v[52:53], off offset:128
.LBB23_75:
	s_wait_xcnt 0x0
	s_or_b32 exec_lo, exec_lo, s13
	scratch_load_b64 v[52:53], off, off offset:120
	v_cmp_lt_u32_e64 s1, 15, v0
	s_wait_loadcnt 0x0
	ds_store_b64 v1, v[52:53]
	s_wait_storecnt_dscnt 0x0
	s_barrier_signal -1
	s_barrier_wait -1
	s_wait_xcnt 0x0
	s_and_saveexec_b32 s13, s1
	s_cbranch_execz .LBB23_85
; %bb.76:
	s_and_not1_b32 vcc_lo, exec_lo, s3
	s_cbranch_vccnz .LBB23_78
; %bb.77:
	scratch_load_b64 v[52:53], v43, off
	ds_load_b64 v[54:55], v1
	s_wait_loadcnt_dscnt 0x0
	v_pk_mul_f32 v[56:57], v[54:55], v[52:53] op_sel:[1,1] op_sel_hi:[0,1]
	s_delay_alu instid0(VALU_DEP_1) | instskip(SKIP_1) | instid1(VALU_DEP_2)
	v_pk_fma_f32 v[58:59], v[54:55], v[52:53], v[56:57] op_sel_hi:[1,0,1]
	v_pk_fma_f32 v[52:53], v[54:55], v[52:53], v[56:57] neg_lo:[0,0,1] neg_hi:[0,0,1]
	v_mov_b32_e32 v53, v59
	s_cbranch_execz .LBB23_79
	s_branch .LBB23_80
.LBB23_78:
                                        ; implicit-def: $vgpr52_vgpr53
.LBB23_79:
	ds_load_b64 v[52:53], v1
.LBB23_80:
	s_and_saveexec_b32 s14, s0
	s_cbranch_execz .LBB23_84
; %bb.81:
	v_add_nc_u32_e32 v54, -16, v0
	s_movk_i32 s15, 0x140
	s_mov_b32 s0, 0
.LBB23_82:                              ; =>This Inner Loop Header: Depth=1
	scratch_load_b64 v[56:57], off, s12
	v_dual_mov_b32 v55, s15 :: v_dual_add_nc_u32 v54, -1, v54
	s_add_co_i32 s15, s15, 8
	s_wait_xcnt 0x0
	s_add_co_i32 s12, s12, 8
	ds_load_b64 v[58:59], v55
	v_cmp_eq_u32_e32 vcc_lo, 0, v54
	s_or_b32 s0, vcc_lo, s0
	s_wait_loadcnt_dscnt 0x0
	v_pk_mul_f32 v[60:61], v[58:59], v[56:57] op_sel:[1,1] op_sel_hi:[0,1]
	s_delay_alu instid0(VALU_DEP_1) | instskip(SKIP_1) | instid1(VALU_DEP_2)
	v_pk_fma_f32 v[62:63], v[58:59], v[56:57], v[60:61] op_sel_hi:[1,0,1]
	v_pk_fma_f32 v[56:57], v[58:59], v[56:57], v[60:61] neg_lo:[0,0,1] neg_hi:[0,0,1]
	v_mov_b32_e32 v57, v63
	s_delay_alu instid0(VALU_DEP_1)
	v_pk_add_f32 v[52:53], v[52:53], v[56:57]
	s_and_not1_b32 exec_lo, exec_lo, s0
	s_cbranch_execnz .LBB23_82
; %bb.83:
	s_or_b32 exec_lo, exec_lo, s0
.LBB23_84:
	s_delay_alu instid0(SALU_CYCLE_1) | instskip(SKIP_4) | instid1(VALU_DEP_1)
	s_or_b32 exec_lo, exec_lo, s14
	v_mov_b32_e32 v54, 0
	ds_load_b64 v[54:55], v54 offset:120
	s_wait_dscnt 0x0
	v_pk_mul_f32 v[56:57], v[52:53], v[54:55] op_sel:[1,1] op_sel_hi:[0,1]
	v_pk_fma_f32 v[58:59], v[52:53], v[54:55], v[56:57] op_sel_hi:[1,0,1]
	v_pk_fma_f32 v[52:53], v[52:53], v[54:55], v[56:57] neg_lo:[0,0,1] neg_hi:[0,0,1]
	s_delay_alu instid0(VALU_DEP_2)
	v_mov_b32_e32 v53, v59
	scratch_store_b64 off, v[52:53], off offset:120
.LBB23_85:
	s_wait_xcnt 0x0
	s_or_b32 exec_lo, exec_lo, s13
	scratch_load_b64 v[52:53], off, off offset:112
	v_cmp_lt_u32_e64 s0, 14, v0
	s_wait_loadcnt 0x0
	ds_store_b64 v1, v[52:53]
	s_wait_storecnt_dscnt 0x0
	s_barrier_signal -1
	s_barrier_wait -1
	s_wait_xcnt 0x0
	s_and_saveexec_b32 s12, s0
	s_cbranch_execz .LBB23_95
; %bb.86:
	s_and_not1_b32 vcc_lo, exec_lo, s3
	s_cbranch_vccnz .LBB23_88
; %bb.87:
	scratch_load_b64 v[52:53], v43, off
	ds_load_b64 v[54:55], v1
	s_wait_loadcnt_dscnt 0x0
	v_pk_mul_f32 v[56:57], v[54:55], v[52:53] op_sel:[1,1] op_sel_hi:[0,1]
	s_delay_alu instid0(VALU_DEP_1) | instskip(SKIP_1) | instid1(VALU_DEP_2)
	v_pk_fma_f32 v[58:59], v[54:55], v[52:53], v[56:57] op_sel_hi:[1,0,1]
	v_pk_fma_f32 v[52:53], v[54:55], v[52:53], v[56:57] neg_lo:[0,0,1] neg_hi:[0,0,1]
	v_mov_b32_e32 v53, v59
	s_cbranch_execz .LBB23_89
	s_branch .LBB23_90
.LBB23_88:
                                        ; implicit-def: $vgpr52_vgpr53
.LBB23_89:
	ds_load_b64 v[52:53], v1
.LBB23_90:
	s_and_saveexec_b32 s13, s1
	s_cbranch_execz .LBB23_94
; %bb.91:
	v_add_nc_u32_e32 v54, -15, v0
	s_movk_i32 s1, 0x78
	s_movk_i32 s15, 0x138
	s_mov_b32 s14, 0
.LBB23_92:                              ; =>This Inner Loop Header: Depth=1
	scratch_load_b64 v[56:57], off, s1
	v_dual_mov_b32 v55, s15 :: v_dual_add_nc_u32 v54, -1, v54
	s_add_co_i32 s15, s15, 8
	s_wait_xcnt 0x0
	s_add_co_i32 s1, s1, 8
	ds_load_b64 v[58:59], v55
	v_cmp_eq_u32_e32 vcc_lo, 0, v54
	s_or_b32 s14, vcc_lo, s14
	s_wait_loadcnt_dscnt 0x0
	v_pk_mul_f32 v[60:61], v[58:59], v[56:57] op_sel:[1,1] op_sel_hi:[0,1]
	s_delay_alu instid0(VALU_DEP_1) | instskip(SKIP_1) | instid1(VALU_DEP_2)
	v_pk_fma_f32 v[62:63], v[58:59], v[56:57], v[60:61] op_sel_hi:[1,0,1]
	v_pk_fma_f32 v[56:57], v[58:59], v[56:57], v[60:61] neg_lo:[0,0,1] neg_hi:[0,0,1]
	v_mov_b32_e32 v57, v63
	s_delay_alu instid0(VALU_DEP_1)
	v_pk_add_f32 v[52:53], v[52:53], v[56:57]
	s_and_not1_b32 exec_lo, exec_lo, s14
	s_cbranch_execnz .LBB23_92
; %bb.93:
	s_or_b32 exec_lo, exec_lo, s14
.LBB23_94:
	s_delay_alu instid0(SALU_CYCLE_1) | instskip(SKIP_4) | instid1(VALU_DEP_1)
	s_or_b32 exec_lo, exec_lo, s13
	v_mov_b32_e32 v54, 0
	ds_load_b64 v[54:55], v54 offset:112
	s_wait_dscnt 0x0
	v_pk_mul_f32 v[56:57], v[52:53], v[54:55] op_sel:[1,1] op_sel_hi:[0,1]
	v_pk_fma_f32 v[58:59], v[52:53], v[54:55], v[56:57] op_sel_hi:[1,0,1]
	v_pk_fma_f32 v[52:53], v[52:53], v[54:55], v[56:57] neg_lo:[0,0,1] neg_hi:[0,0,1]
	s_delay_alu instid0(VALU_DEP_2)
	v_mov_b32_e32 v53, v59
	scratch_store_b64 off, v[52:53], off offset:112
.LBB23_95:
	s_wait_xcnt 0x0
	s_or_b32 exec_lo, exec_lo, s12
	scratch_load_b64 v[52:53], off, off offset:104
	v_cmp_lt_u32_e64 s1, 13, v0
	s_wait_loadcnt 0x0
	ds_store_b64 v1, v[52:53]
	s_wait_storecnt_dscnt 0x0
	s_barrier_signal -1
	s_barrier_wait -1
	s_wait_xcnt 0x0
	s_and_saveexec_b32 s12, s1
	s_cbranch_execz .LBB23_105
; %bb.96:
	s_and_not1_b32 vcc_lo, exec_lo, s3
	s_cbranch_vccnz .LBB23_98
; %bb.97:
	scratch_load_b64 v[52:53], v43, off
	ds_load_b64 v[54:55], v1
	s_wait_loadcnt_dscnt 0x0
	v_pk_mul_f32 v[56:57], v[54:55], v[52:53] op_sel:[1,1] op_sel_hi:[0,1]
	s_delay_alu instid0(VALU_DEP_1) | instskip(SKIP_1) | instid1(VALU_DEP_2)
	v_pk_fma_f32 v[58:59], v[54:55], v[52:53], v[56:57] op_sel_hi:[1,0,1]
	v_pk_fma_f32 v[52:53], v[54:55], v[52:53], v[56:57] neg_lo:[0,0,1] neg_hi:[0,0,1]
	v_mov_b32_e32 v53, v59
	s_cbranch_execz .LBB23_99
	s_branch .LBB23_100
.LBB23_98:
                                        ; implicit-def: $vgpr52_vgpr53
.LBB23_99:
	ds_load_b64 v[52:53], v1
.LBB23_100:
	s_and_saveexec_b32 s13, s0
	s_cbranch_execz .LBB23_104
; %bb.101:
	v_add_nc_u32_e32 v54, -14, v0
	s_movk_i32 s14, 0x130
	s_mov_b32 s0, 0
.LBB23_102:                             ; =>This Inner Loop Header: Depth=1
	scratch_load_b64 v[56:57], off, s11
	v_dual_mov_b32 v55, s14 :: v_dual_add_nc_u32 v54, -1, v54
	s_add_co_i32 s14, s14, 8
	s_wait_xcnt 0x0
	s_add_co_i32 s11, s11, 8
	ds_load_b64 v[58:59], v55
	v_cmp_eq_u32_e32 vcc_lo, 0, v54
	s_or_b32 s0, vcc_lo, s0
	s_wait_loadcnt_dscnt 0x0
	v_pk_mul_f32 v[60:61], v[58:59], v[56:57] op_sel:[1,1] op_sel_hi:[0,1]
	s_delay_alu instid0(VALU_DEP_1) | instskip(SKIP_1) | instid1(VALU_DEP_2)
	v_pk_fma_f32 v[62:63], v[58:59], v[56:57], v[60:61] op_sel_hi:[1,0,1]
	v_pk_fma_f32 v[56:57], v[58:59], v[56:57], v[60:61] neg_lo:[0,0,1] neg_hi:[0,0,1]
	v_mov_b32_e32 v57, v63
	s_delay_alu instid0(VALU_DEP_1)
	v_pk_add_f32 v[52:53], v[52:53], v[56:57]
	s_and_not1_b32 exec_lo, exec_lo, s0
	s_cbranch_execnz .LBB23_102
; %bb.103:
	s_or_b32 exec_lo, exec_lo, s0
.LBB23_104:
	s_delay_alu instid0(SALU_CYCLE_1) | instskip(SKIP_4) | instid1(VALU_DEP_1)
	s_or_b32 exec_lo, exec_lo, s13
	v_mov_b32_e32 v54, 0
	ds_load_b64 v[54:55], v54 offset:104
	s_wait_dscnt 0x0
	v_pk_mul_f32 v[56:57], v[52:53], v[54:55] op_sel:[1,1] op_sel_hi:[0,1]
	v_pk_fma_f32 v[58:59], v[52:53], v[54:55], v[56:57] op_sel_hi:[1,0,1]
	v_pk_fma_f32 v[52:53], v[52:53], v[54:55], v[56:57] neg_lo:[0,0,1] neg_hi:[0,0,1]
	s_delay_alu instid0(VALU_DEP_2)
	v_mov_b32_e32 v53, v59
	scratch_store_b64 off, v[52:53], off offset:104
.LBB23_105:
	s_wait_xcnt 0x0
	s_or_b32 exec_lo, exec_lo, s12
	scratch_load_b64 v[52:53], off, off offset:96
	v_cmp_lt_u32_e64 s0, 12, v0
	s_wait_loadcnt 0x0
	ds_store_b64 v1, v[52:53]
	s_wait_storecnt_dscnt 0x0
	s_barrier_signal -1
	s_barrier_wait -1
	s_wait_xcnt 0x0
	s_and_saveexec_b32 s11, s0
	s_cbranch_execz .LBB23_115
; %bb.106:
	s_and_not1_b32 vcc_lo, exec_lo, s3
	s_cbranch_vccnz .LBB23_108
; %bb.107:
	scratch_load_b64 v[52:53], v43, off
	ds_load_b64 v[54:55], v1
	s_wait_loadcnt_dscnt 0x0
	v_pk_mul_f32 v[56:57], v[54:55], v[52:53] op_sel:[1,1] op_sel_hi:[0,1]
	s_delay_alu instid0(VALU_DEP_1) | instskip(SKIP_1) | instid1(VALU_DEP_2)
	v_pk_fma_f32 v[58:59], v[54:55], v[52:53], v[56:57] op_sel_hi:[1,0,1]
	v_pk_fma_f32 v[52:53], v[54:55], v[52:53], v[56:57] neg_lo:[0,0,1] neg_hi:[0,0,1]
	v_mov_b32_e32 v53, v59
	s_cbranch_execz .LBB23_109
	s_branch .LBB23_110
.LBB23_108:
                                        ; implicit-def: $vgpr52_vgpr53
.LBB23_109:
	ds_load_b64 v[52:53], v1
.LBB23_110:
	s_and_saveexec_b32 s12, s1
	s_cbranch_execz .LBB23_114
; %bb.111:
	v_add_nc_u32_e32 v54, -13, v0
	s_movk_i32 s1, 0x68
	s_movk_i32 s14, 0x128
	s_mov_b32 s13, 0
.LBB23_112:                             ; =>This Inner Loop Header: Depth=1
	scratch_load_b64 v[56:57], off, s1
	v_dual_mov_b32 v55, s14 :: v_dual_add_nc_u32 v54, -1, v54
	s_add_co_i32 s14, s14, 8
	s_wait_xcnt 0x0
	s_add_co_i32 s1, s1, 8
	ds_load_b64 v[58:59], v55
	v_cmp_eq_u32_e32 vcc_lo, 0, v54
	s_or_b32 s13, vcc_lo, s13
	s_wait_loadcnt_dscnt 0x0
	v_pk_mul_f32 v[60:61], v[58:59], v[56:57] op_sel:[1,1] op_sel_hi:[0,1]
	s_delay_alu instid0(VALU_DEP_1) | instskip(SKIP_1) | instid1(VALU_DEP_2)
	v_pk_fma_f32 v[62:63], v[58:59], v[56:57], v[60:61] op_sel_hi:[1,0,1]
	v_pk_fma_f32 v[56:57], v[58:59], v[56:57], v[60:61] neg_lo:[0,0,1] neg_hi:[0,0,1]
	v_mov_b32_e32 v57, v63
	s_delay_alu instid0(VALU_DEP_1)
	v_pk_add_f32 v[52:53], v[52:53], v[56:57]
	s_and_not1_b32 exec_lo, exec_lo, s13
	s_cbranch_execnz .LBB23_112
; %bb.113:
	s_or_b32 exec_lo, exec_lo, s13
.LBB23_114:
	s_delay_alu instid0(SALU_CYCLE_1) | instskip(SKIP_4) | instid1(VALU_DEP_1)
	s_or_b32 exec_lo, exec_lo, s12
	v_mov_b32_e32 v54, 0
	ds_load_b64 v[54:55], v54 offset:96
	s_wait_dscnt 0x0
	v_pk_mul_f32 v[56:57], v[52:53], v[54:55] op_sel:[1,1] op_sel_hi:[0,1]
	v_pk_fma_f32 v[58:59], v[52:53], v[54:55], v[56:57] op_sel_hi:[1,0,1]
	v_pk_fma_f32 v[52:53], v[52:53], v[54:55], v[56:57] neg_lo:[0,0,1] neg_hi:[0,0,1]
	s_delay_alu instid0(VALU_DEP_2)
	v_mov_b32_e32 v53, v59
	scratch_store_b64 off, v[52:53], off offset:96
.LBB23_115:
	s_wait_xcnt 0x0
	s_or_b32 exec_lo, exec_lo, s11
	scratch_load_b64 v[52:53], off, off offset:88
	v_cmp_lt_u32_e64 s1, 11, v0
	s_wait_loadcnt 0x0
	ds_store_b64 v1, v[52:53]
	s_wait_storecnt_dscnt 0x0
	s_barrier_signal -1
	s_barrier_wait -1
	s_wait_xcnt 0x0
	s_and_saveexec_b32 s11, s1
	s_cbranch_execz .LBB23_125
; %bb.116:
	s_and_not1_b32 vcc_lo, exec_lo, s3
	s_cbranch_vccnz .LBB23_118
; %bb.117:
	scratch_load_b64 v[52:53], v43, off
	ds_load_b64 v[54:55], v1
	s_wait_loadcnt_dscnt 0x0
	v_pk_mul_f32 v[56:57], v[54:55], v[52:53] op_sel:[1,1] op_sel_hi:[0,1]
	s_delay_alu instid0(VALU_DEP_1) | instskip(SKIP_1) | instid1(VALU_DEP_2)
	v_pk_fma_f32 v[58:59], v[54:55], v[52:53], v[56:57] op_sel_hi:[1,0,1]
	v_pk_fma_f32 v[52:53], v[54:55], v[52:53], v[56:57] neg_lo:[0,0,1] neg_hi:[0,0,1]
	v_mov_b32_e32 v53, v59
	s_cbranch_execz .LBB23_119
	s_branch .LBB23_120
.LBB23_118:
                                        ; implicit-def: $vgpr52_vgpr53
.LBB23_119:
	ds_load_b64 v[52:53], v1
.LBB23_120:
	s_and_saveexec_b32 s12, s0
	s_cbranch_execz .LBB23_124
; %bb.121:
	v_add_nc_u32_e32 v54, -12, v0
	s_movk_i32 s13, 0x120
	s_mov_b32 s0, 0
.LBB23_122:                             ; =>This Inner Loop Header: Depth=1
	scratch_load_b64 v[56:57], off, s10
	v_dual_mov_b32 v55, s13 :: v_dual_add_nc_u32 v54, -1, v54
	s_add_co_i32 s13, s13, 8
	s_wait_xcnt 0x0
	s_add_co_i32 s10, s10, 8
	ds_load_b64 v[58:59], v55
	v_cmp_eq_u32_e32 vcc_lo, 0, v54
	s_or_b32 s0, vcc_lo, s0
	s_wait_loadcnt_dscnt 0x0
	v_pk_mul_f32 v[60:61], v[58:59], v[56:57] op_sel:[1,1] op_sel_hi:[0,1]
	s_delay_alu instid0(VALU_DEP_1) | instskip(SKIP_1) | instid1(VALU_DEP_2)
	v_pk_fma_f32 v[62:63], v[58:59], v[56:57], v[60:61] op_sel_hi:[1,0,1]
	v_pk_fma_f32 v[56:57], v[58:59], v[56:57], v[60:61] neg_lo:[0,0,1] neg_hi:[0,0,1]
	v_mov_b32_e32 v57, v63
	s_delay_alu instid0(VALU_DEP_1)
	v_pk_add_f32 v[52:53], v[52:53], v[56:57]
	s_and_not1_b32 exec_lo, exec_lo, s0
	s_cbranch_execnz .LBB23_122
; %bb.123:
	s_or_b32 exec_lo, exec_lo, s0
.LBB23_124:
	s_delay_alu instid0(SALU_CYCLE_1) | instskip(SKIP_4) | instid1(VALU_DEP_1)
	s_or_b32 exec_lo, exec_lo, s12
	v_mov_b32_e32 v54, 0
	ds_load_b64 v[54:55], v54 offset:88
	s_wait_dscnt 0x0
	v_pk_mul_f32 v[56:57], v[52:53], v[54:55] op_sel:[1,1] op_sel_hi:[0,1]
	v_pk_fma_f32 v[58:59], v[52:53], v[54:55], v[56:57] op_sel_hi:[1,0,1]
	v_pk_fma_f32 v[52:53], v[52:53], v[54:55], v[56:57] neg_lo:[0,0,1] neg_hi:[0,0,1]
	s_delay_alu instid0(VALU_DEP_2)
	v_mov_b32_e32 v53, v59
	scratch_store_b64 off, v[52:53], off offset:88
.LBB23_125:
	s_wait_xcnt 0x0
	s_or_b32 exec_lo, exec_lo, s11
	scratch_load_b64 v[52:53], off, off offset:80
	v_cmp_lt_u32_e64 s0, 10, v0
	s_wait_loadcnt 0x0
	ds_store_b64 v1, v[52:53]
	s_wait_storecnt_dscnt 0x0
	s_barrier_signal -1
	s_barrier_wait -1
	s_wait_xcnt 0x0
	s_and_saveexec_b32 s10, s0
	s_cbranch_execz .LBB23_135
; %bb.126:
	s_and_not1_b32 vcc_lo, exec_lo, s3
	s_cbranch_vccnz .LBB23_128
; %bb.127:
	scratch_load_b64 v[52:53], v43, off
	ds_load_b64 v[54:55], v1
	s_wait_loadcnt_dscnt 0x0
	v_pk_mul_f32 v[56:57], v[54:55], v[52:53] op_sel:[1,1] op_sel_hi:[0,1]
	s_delay_alu instid0(VALU_DEP_1) | instskip(SKIP_1) | instid1(VALU_DEP_2)
	v_pk_fma_f32 v[58:59], v[54:55], v[52:53], v[56:57] op_sel_hi:[1,0,1]
	v_pk_fma_f32 v[52:53], v[54:55], v[52:53], v[56:57] neg_lo:[0,0,1] neg_hi:[0,0,1]
	v_mov_b32_e32 v53, v59
	s_cbranch_execz .LBB23_129
	s_branch .LBB23_130
.LBB23_128:
                                        ; implicit-def: $vgpr52_vgpr53
.LBB23_129:
	ds_load_b64 v[52:53], v1
.LBB23_130:
	s_and_saveexec_b32 s11, s1
	s_cbranch_execz .LBB23_134
; %bb.131:
	v_add_nc_u32_e32 v54, -11, v0
	s_movk_i32 s1, 0x58
	s_movk_i32 s13, 0x118
	s_mov_b32 s12, 0
.LBB23_132:                             ; =>This Inner Loop Header: Depth=1
	scratch_load_b64 v[56:57], off, s1
	v_dual_mov_b32 v55, s13 :: v_dual_add_nc_u32 v54, -1, v54
	s_add_co_i32 s13, s13, 8
	s_wait_xcnt 0x0
	s_add_co_i32 s1, s1, 8
	ds_load_b64 v[58:59], v55
	v_cmp_eq_u32_e32 vcc_lo, 0, v54
	s_or_b32 s12, vcc_lo, s12
	s_wait_loadcnt_dscnt 0x0
	v_pk_mul_f32 v[60:61], v[58:59], v[56:57] op_sel:[1,1] op_sel_hi:[0,1]
	s_delay_alu instid0(VALU_DEP_1) | instskip(SKIP_1) | instid1(VALU_DEP_2)
	v_pk_fma_f32 v[62:63], v[58:59], v[56:57], v[60:61] op_sel_hi:[1,0,1]
	v_pk_fma_f32 v[56:57], v[58:59], v[56:57], v[60:61] neg_lo:[0,0,1] neg_hi:[0,0,1]
	v_mov_b32_e32 v57, v63
	s_delay_alu instid0(VALU_DEP_1)
	v_pk_add_f32 v[52:53], v[52:53], v[56:57]
	s_and_not1_b32 exec_lo, exec_lo, s12
	s_cbranch_execnz .LBB23_132
; %bb.133:
	s_or_b32 exec_lo, exec_lo, s12
.LBB23_134:
	s_delay_alu instid0(SALU_CYCLE_1) | instskip(SKIP_4) | instid1(VALU_DEP_1)
	s_or_b32 exec_lo, exec_lo, s11
	v_mov_b32_e32 v54, 0
	ds_load_b64 v[54:55], v54 offset:80
	s_wait_dscnt 0x0
	v_pk_mul_f32 v[56:57], v[52:53], v[54:55] op_sel:[1,1] op_sel_hi:[0,1]
	v_pk_fma_f32 v[58:59], v[52:53], v[54:55], v[56:57] op_sel_hi:[1,0,1]
	v_pk_fma_f32 v[52:53], v[52:53], v[54:55], v[56:57] neg_lo:[0,0,1] neg_hi:[0,0,1]
	s_delay_alu instid0(VALU_DEP_2)
	v_mov_b32_e32 v53, v59
	scratch_store_b64 off, v[52:53], off offset:80
.LBB23_135:
	s_wait_xcnt 0x0
	s_or_b32 exec_lo, exec_lo, s10
	scratch_load_b64 v[52:53], off, off offset:72
	v_cmp_lt_u32_e64 s1, 9, v0
	s_wait_loadcnt 0x0
	ds_store_b64 v1, v[52:53]
	s_wait_storecnt_dscnt 0x0
	s_barrier_signal -1
	s_barrier_wait -1
	s_wait_xcnt 0x0
	s_and_saveexec_b32 s10, s1
	s_cbranch_execz .LBB23_145
; %bb.136:
	s_and_not1_b32 vcc_lo, exec_lo, s3
	s_cbranch_vccnz .LBB23_138
; %bb.137:
	scratch_load_b64 v[52:53], v43, off
	ds_load_b64 v[54:55], v1
	s_wait_loadcnt_dscnt 0x0
	v_pk_mul_f32 v[56:57], v[54:55], v[52:53] op_sel:[1,1] op_sel_hi:[0,1]
	s_delay_alu instid0(VALU_DEP_1) | instskip(SKIP_1) | instid1(VALU_DEP_2)
	v_pk_fma_f32 v[58:59], v[54:55], v[52:53], v[56:57] op_sel_hi:[1,0,1]
	v_pk_fma_f32 v[52:53], v[54:55], v[52:53], v[56:57] neg_lo:[0,0,1] neg_hi:[0,0,1]
	v_mov_b32_e32 v53, v59
	s_cbranch_execz .LBB23_139
	s_branch .LBB23_140
.LBB23_138:
                                        ; implicit-def: $vgpr52_vgpr53
.LBB23_139:
	ds_load_b64 v[52:53], v1
.LBB23_140:
	s_and_saveexec_b32 s11, s0
	s_cbranch_execz .LBB23_144
; %bb.141:
	v_add_nc_u32_e32 v54, -10, v0
	s_movk_i32 s12, 0x110
	s_mov_b32 s0, 0
.LBB23_142:                             ; =>This Inner Loop Header: Depth=1
	scratch_load_b64 v[56:57], off, s9
	v_dual_mov_b32 v55, s12 :: v_dual_add_nc_u32 v54, -1, v54
	s_add_co_i32 s12, s12, 8
	s_wait_xcnt 0x0
	s_add_co_i32 s9, s9, 8
	ds_load_b64 v[58:59], v55
	v_cmp_eq_u32_e32 vcc_lo, 0, v54
	s_or_b32 s0, vcc_lo, s0
	s_wait_loadcnt_dscnt 0x0
	v_pk_mul_f32 v[60:61], v[58:59], v[56:57] op_sel:[1,1] op_sel_hi:[0,1]
	s_delay_alu instid0(VALU_DEP_1) | instskip(SKIP_1) | instid1(VALU_DEP_2)
	v_pk_fma_f32 v[62:63], v[58:59], v[56:57], v[60:61] op_sel_hi:[1,0,1]
	v_pk_fma_f32 v[56:57], v[58:59], v[56:57], v[60:61] neg_lo:[0,0,1] neg_hi:[0,0,1]
	v_mov_b32_e32 v57, v63
	s_delay_alu instid0(VALU_DEP_1)
	v_pk_add_f32 v[52:53], v[52:53], v[56:57]
	s_and_not1_b32 exec_lo, exec_lo, s0
	s_cbranch_execnz .LBB23_142
; %bb.143:
	s_or_b32 exec_lo, exec_lo, s0
.LBB23_144:
	s_delay_alu instid0(SALU_CYCLE_1) | instskip(SKIP_4) | instid1(VALU_DEP_1)
	s_or_b32 exec_lo, exec_lo, s11
	v_mov_b32_e32 v54, 0
	ds_load_b64 v[54:55], v54 offset:72
	s_wait_dscnt 0x0
	v_pk_mul_f32 v[56:57], v[52:53], v[54:55] op_sel:[1,1] op_sel_hi:[0,1]
	v_pk_fma_f32 v[58:59], v[52:53], v[54:55], v[56:57] op_sel_hi:[1,0,1]
	v_pk_fma_f32 v[52:53], v[52:53], v[54:55], v[56:57] neg_lo:[0,0,1] neg_hi:[0,0,1]
	s_delay_alu instid0(VALU_DEP_2)
	v_mov_b32_e32 v53, v59
	scratch_store_b64 off, v[52:53], off offset:72
.LBB23_145:
	s_wait_xcnt 0x0
	s_or_b32 exec_lo, exec_lo, s10
	scratch_load_b64 v[52:53], off, off offset:64
	v_cmp_lt_u32_e64 s0, 8, v0
	s_wait_loadcnt 0x0
	ds_store_b64 v1, v[52:53]
	s_wait_storecnt_dscnt 0x0
	s_barrier_signal -1
	s_barrier_wait -1
	s_wait_xcnt 0x0
	s_and_saveexec_b32 s9, s0
	s_cbranch_execz .LBB23_155
; %bb.146:
	s_and_not1_b32 vcc_lo, exec_lo, s3
	s_cbranch_vccnz .LBB23_148
; %bb.147:
	scratch_load_b64 v[52:53], v43, off
	ds_load_b64 v[54:55], v1
	s_wait_loadcnt_dscnt 0x0
	v_pk_mul_f32 v[56:57], v[54:55], v[52:53] op_sel:[1,1] op_sel_hi:[0,1]
	s_delay_alu instid0(VALU_DEP_1) | instskip(SKIP_1) | instid1(VALU_DEP_2)
	v_pk_fma_f32 v[58:59], v[54:55], v[52:53], v[56:57] op_sel_hi:[1,0,1]
	v_pk_fma_f32 v[52:53], v[54:55], v[52:53], v[56:57] neg_lo:[0,0,1] neg_hi:[0,0,1]
	v_mov_b32_e32 v53, v59
	s_cbranch_execz .LBB23_149
	s_branch .LBB23_150
.LBB23_148:
                                        ; implicit-def: $vgpr52_vgpr53
.LBB23_149:
	ds_load_b64 v[52:53], v1
.LBB23_150:
	s_and_saveexec_b32 s10, s1
	s_cbranch_execz .LBB23_154
; %bb.151:
	v_add_nc_u32_e32 v54, -9, v0
	s_movk_i32 s1, 0x48
	s_movk_i32 s12, 0x108
	s_mov_b32 s11, 0
.LBB23_152:                             ; =>This Inner Loop Header: Depth=1
	scratch_load_b64 v[56:57], off, s1
	v_dual_mov_b32 v55, s12 :: v_dual_add_nc_u32 v54, -1, v54
	s_add_co_i32 s12, s12, 8
	s_wait_xcnt 0x0
	s_add_co_i32 s1, s1, 8
	ds_load_b64 v[58:59], v55
	v_cmp_eq_u32_e32 vcc_lo, 0, v54
	s_or_b32 s11, vcc_lo, s11
	s_wait_loadcnt_dscnt 0x0
	v_pk_mul_f32 v[60:61], v[58:59], v[56:57] op_sel:[1,1] op_sel_hi:[0,1]
	s_delay_alu instid0(VALU_DEP_1) | instskip(SKIP_1) | instid1(VALU_DEP_2)
	v_pk_fma_f32 v[62:63], v[58:59], v[56:57], v[60:61] op_sel_hi:[1,0,1]
	v_pk_fma_f32 v[56:57], v[58:59], v[56:57], v[60:61] neg_lo:[0,0,1] neg_hi:[0,0,1]
	v_mov_b32_e32 v57, v63
	s_delay_alu instid0(VALU_DEP_1)
	v_pk_add_f32 v[52:53], v[52:53], v[56:57]
	s_and_not1_b32 exec_lo, exec_lo, s11
	s_cbranch_execnz .LBB23_152
; %bb.153:
	s_or_b32 exec_lo, exec_lo, s11
.LBB23_154:
	s_delay_alu instid0(SALU_CYCLE_1) | instskip(SKIP_4) | instid1(VALU_DEP_1)
	s_or_b32 exec_lo, exec_lo, s10
	v_mov_b32_e32 v54, 0
	ds_load_b64 v[54:55], v54 offset:64
	s_wait_dscnt 0x0
	v_pk_mul_f32 v[56:57], v[52:53], v[54:55] op_sel:[1,1] op_sel_hi:[0,1]
	v_pk_fma_f32 v[58:59], v[52:53], v[54:55], v[56:57] op_sel_hi:[1,0,1]
	v_pk_fma_f32 v[52:53], v[52:53], v[54:55], v[56:57] neg_lo:[0,0,1] neg_hi:[0,0,1]
	s_delay_alu instid0(VALU_DEP_2)
	v_mov_b32_e32 v53, v59
	scratch_store_b64 off, v[52:53], off offset:64
.LBB23_155:
	s_wait_xcnt 0x0
	s_or_b32 exec_lo, exec_lo, s9
	scratch_load_b64 v[52:53], off, off offset:56
	v_cmp_lt_u32_e64 s1, 7, v0
	s_wait_loadcnt 0x0
	ds_store_b64 v1, v[52:53]
	s_wait_storecnt_dscnt 0x0
	s_barrier_signal -1
	s_barrier_wait -1
	s_wait_xcnt 0x0
	s_and_saveexec_b32 s9, s1
	s_cbranch_execz .LBB23_165
; %bb.156:
	s_and_not1_b32 vcc_lo, exec_lo, s3
	s_cbranch_vccnz .LBB23_158
; %bb.157:
	scratch_load_b64 v[52:53], v43, off
	ds_load_b64 v[54:55], v1
	s_wait_loadcnt_dscnt 0x0
	v_pk_mul_f32 v[56:57], v[54:55], v[52:53] op_sel:[1,1] op_sel_hi:[0,1]
	s_delay_alu instid0(VALU_DEP_1) | instskip(SKIP_1) | instid1(VALU_DEP_2)
	v_pk_fma_f32 v[58:59], v[54:55], v[52:53], v[56:57] op_sel_hi:[1,0,1]
	v_pk_fma_f32 v[52:53], v[54:55], v[52:53], v[56:57] neg_lo:[0,0,1] neg_hi:[0,0,1]
	v_mov_b32_e32 v53, v59
	s_cbranch_execz .LBB23_159
	s_branch .LBB23_160
.LBB23_158:
                                        ; implicit-def: $vgpr52_vgpr53
.LBB23_159:
	ds_load_b64 v[52:53], v1
.LBB23_160:
	s_and_saveexec_b32 s10, s0
	s_cbranch_execz .LBB23_164
; %bb.161:
	v_add_nc_u32_e32 v54, -8, v0
	s_movk_i32 s11, 0x100
	s_mov_b32 s0, 0
.LBB23_162:                             ; =>This Inner Loop Header: Depth=1
	scratch_load_b64 v[56:57], off, s8
	v_dual_mov_b32 v55, s11 :: v_dual_add_nc_u32 v54, -1, v54
	s_add_co_i32 s11, s11, 8
	s_wait_xcnt 0x0
	s_add_co_i32 s8, s8, 8
	ds_load_b64 v[58:59], v55
	v_cmp_eq_u32_e32 vcc_lo, 0, v54
	s_or_b32 s0, vcc_lo, s0
	s_wait_loadcnt_dscnt 0x0
	v_pk_mul_f32 v[60:61], v[58:59], v[56:57] op_sel:[1,1] op_sel_hi:[0,1]
	s_delay_alu instid0(VALU_DEP_1) | instskip(SKIP_1) | instid1(VALU_DEP_2)
	v_pk_fma_f32 v[62:63], v[58:59], v[56:57], v[60:61] op_sel_hi:[1,0,1]
	v_pk_fma_f32 v[56:57], v[58:59], v[56:57], v[60:61] neg_lo:[0,0,1] neg_hi:[0,0,1]
	v_mov_b32_e32 v57, v63
	s_delay_alu instid0(VALU_DEP_1)
	v_pk_add_f32 v[52:53], v[52:53], v[56:57]
	s_and_not1_b32 exec_lo, exec_lo, s0
	s_cbranch_execnz .LBB23_162
; %bb.163:
	s_or_b32 exec_lo, exec_lo, s0
.LBB23_164:
	s_delay_alu instid0(SALU_CYCLE_1) | instskip(SKIP_4) | instid1(VALU_DEP_1)
	s_or_b32 exec_lo, exec_lo, s10
	v_mov_b32_e32 v54, 0
	ds_load_b64 v[54:55], v54 offset:56
	s_wait_dscnt 0x0
	v_pk_mul_f32 v[56:57], v[52:53], v[54:55] op_sel:[1,1] op_sel_hi:[0,1]
	v_pk_fma_f32 v[58:59], v[52:53], v[54:55], v[56:57] op_sel_hi:[1,0,1]
	v_pk_fma_f32 v[52:53], v[52:53], v[54:55], v[56:57] neg_lo:[0,0,1] neg_hi:[0,0,1]
	s_delay_alu instid0(VALU_DEP_2)
	v_mov_b32_e32 v53, v59
	scratch_store_b64 off, v[52:53], off offset:56
.LBB23_165:
	s_wait_xcnt 0x0
	s_or_b32 exec_lo, exec_lo, s9
	scratch_load_b64 v[52:53], off, off offset:48
	v_cmp_lt_u32_e64 s0, 6, v0
	s_wait_loadcnt 0x0
	ds_store_b64 v1, v[52:53]
	s_wait_storecnt_dscnt 0x0
	s_barrier_signal -1
	s_barrier_wait -1
	s_wait_xcnt 0x0
	s_and_saveexec_b32 s8, s0
	s_cbranch_execz .LBB23_175
; %bb.166:
	s_and_not1_b32 vcc_lo, exec_lo, s3
	s_cbranch_vccnz .LBB23_168
; %bb.167:
	scratch_load_b64 v[52:53], v43, off
	ds_load_b64 v[54:55], v1
	s_wait_loadcnt_dscnt 0x0
	v_pk_mul_f32 v[56:57], v[54:55], v[52:53] op_sel:[1,1] op_sel_hi:[0,1]
	s_delay_alu instid0(VALU_DEP_1) | instskip(SKIP_1) | instid1(VALU_DEP_2)
	v_pk_fma_f32 v[58:59], v[54:55], v[52:53], v[56:57] op_sel_hi:[1,0,1]
	v_pk_fma_f32 v[52:53], v[54:55], v[52:53], v[56:57] neg_lo:[0,0,1] neg_hi:[0,0,1]
	v_mov_b32_e32 v53, v59
	s_cbranch_execz .LBB23_169
	s_branch .LBB23_170
.LBB23_168:
                                        ; implicit-def: $vgpr52_vgpr53
.LBB23_169:
	ds_load_b64 v[52:53], v1
.LBB23_170:
	s_and_saveexec_b32 s9, s1
	s_cbranch_execz .LBB23_174
; %bb.171:
	v_add_nc_u32_e32 v54, -7, v0
	s_mov_b32 s1, 56
	s_movk_i32 s11, 0xf8
	s_mov_b32 s10, 0
.LBB23_172:                             ; =>This Inner Loop Header: Depth=1
	scratch_load_b64 v[56:57], off, s1
	v_dual_mov_b32 v55, s11 :: v_dual_add_nc_u32 v54, -1, v54
	s_add_co_i32 s11, s11, 8
	s_wait_xcnt 0x0
	s_add_co_i32 s1, s1, 8
	ds_load_b64 v[58:59], v55
	v_cmp_eq_u32_e32 vcc_lo, 0, v54
	s_or_b32 s10, vcc_lo, s10
	s_wait_loadcnt_dscnt 0x0
	v_pk_mul_f32 v[60:61], v[58:59], v[56:57] op_sel:[1,1] op_sel_hi:[0,1]
	s_delay_alu instid0(VALU_DEP_1) | instskip(SKIP_1) | instid1(VALU_DEP_2)
	v_pk_fma_f32 v[62:63], v[58:59], v[56:57], v[60:61] op_sel_hi:[1,0,1]
	v_pk_fma_f32 v[56:57], v[58:59], v[56:57], v[60:61] neg_lo:[0,0,1] neg_hi:[0,0,1]
	v_mov_b32_e32 v57, v63
	s_delay_alu instid0(VALU_DEP_1)
	v_pk_add_f32 v[52:53], v[52:53], v[56:57]
	s_and_not1_b32 exec_lo, exec_lo, s10
	s_cbranch_execnz .LBB23_172
; %bb.173:
	s_or_b32 exec_lo, exec_lo, s10
.LBB23_174:
	s_delay_alu instid0(SALU_CYCLE_1) | instskip(SKIP_4) | instid1(VALU_DEP_1)
	s_or_b32 exec_lo, exec_lo, s9
	v_mov_b32_e32 v54, 0
	ds_load_b64 v[54:55], v54 offset:48
	s_wait_dscnt 0x0
	v_pk_mul_f32 v[56:57], v[52:53], v[54:55] op_sel:[1,1] op_sel_hi:[0,1]
	v_pk_fma_f32 v[58:59], v[52:53], v[54:55], v[56:57] op_sel_hi:[1,0,1]
	v_pk_fma_f32 v[52:53], v[52:53], v[54:55], v[56:57] neg_lo:[0,0,1] neg_hi:[0,0,1]
	s_delay_alu instid0(VALU_DEP_2)
	v_mov_b32_e32 v53, v59
	scratch_store_b64 off, v[52:53], off offset:48
.LBB23_175:
	s_wait_xcnt 0x0
	s_or_b32 exec_lo, exec_lo, s8
	scratch_load_b64 v[52:53], off, off offset:40
	v_cmp_lt_u32_e64 s1, 5, v0
	s_wait_loadcnt 0x0
	ds_store_b64 v1, v[52:53]
	s_wait_storecnt_dscnt 0x0
	s_barrier_signal -1
	s_barrier_wait -1
	s_wait_xcnt 0x0
	s_and_saveexec_b32 s8, s1
	s_cbranch_execz .LBB23_185
; %bb.176:
	s_and_not1_b32 vcc_lo, exec_lo, s3
	s_cbranch_vccnz .LBB23_178
; %bb.177:
	scratch_load_b64 v[52:53], v43, off
	ds_load_b64 v[54:55], v1
	s_wait_loadcnt_dscnt 0x0
	v_pk_mul_f32 v[56:57], v[54:55], v[52:53] op_sel:[1,1] op_sel_hi:[0,1]
	s_delay_alu instid0(VALU_DEP_1) | instskip(SKIP_1) | instid1(VALU_DEP_2)
	v_pk_fma_f32 v[58:59], v[54:55], v[52:53], v[56:57] op_sel_hi:[1,0,1]
	v_pk_fma_f32 v[52:53], v[54:55], v[52:53], v[56:57] neg_lo:[0,0,1] neg_hi:[0,0,1]
	v_mov_b32_e32 v53, v59
	s_cbranch_execz .LBB23_179
	s_branch .LBB23_180
.LBB23_178:
                                        ; implicit-def: $vgpr52_vgpr53
.LBB23_179:
	ds_load_b64 v[52:53], v1
.LBB23_180:
	s_and_saveexec_b32 s9, s0
	s_cbranch_execz .LBB23_184
; %bb.181:
	v_add_nc_u32_e32 v54, -6, v0
	s_movk_i32 s10, 0xf0
	s_mov_b32 s0, 0
.LBB23_182:                             ; =>This Inner Loop Header: Depth=1
	scratch_load_b64 v[56:57], off, s2
	v_dual_mov_b32 v55, s10 :: v_dual_add_nc_u32 v54, -1, v54
	s_add_co_i32 s10, s10, 8
	s_wait_xcnt 0x0
	s_add_co_i32 s2, s2, 8
	ds_load_b64 v[58:59], v55
	v_cmp_eq_u32_e32 vcc_lo, 0, v54
	s_or_b32 s0, vcc_lo, s0
	s_wait_loadcnt_dscnt 0x0
	v_pk_mul_f32 v[60:61], v[58:59], v[56:57] op_sel:[1,1] op_sel_hi:[0,1]
	s_delay_alu instid0(VALU_DEP_1) | instskip(SKIP_1) | instid1(VALU_DEP_2)
	v_pk_fma_f32 v[62:63], v[58:59], v[56:57], v[60:61] op_sel_hi:[1,0,1]
	v_pk_fma_f32 v[56:57], v[58:59], v[56:57], v[60:61] neg_lo:[0,0,1] neg_hi:[0,0,1]
	v_mov_b32_e32 v57, v63
	s_delay_alu instid0(VALU_DEP_1)
	v_pk_add_f32 v[52:53], v[52:53], v[56:57]
	s_and_not1_b32 exec_lo, exec_lo, s0
	s_cbranch_execnz .LBB23_182
; %bb.183:
	s_or_b32 exec_lo, exec_lo, s0
.LBB23_184:
	s_delay_alu instid0(SALU_CYCLE_1) | instskip(SKIP_4) | instid1(VALU_DEP_1)
	s_or_b32 exec_lo, exec_lo, s9
	v_mov_b32_e32 v54, 0
	ds_load_b64 v[54:55], v54 offset:40
	s_wait_dscnt 0x0
	v_pk_mul_f32 v[56:57], v[52:53], v[54:55] op_sel:[1,1] op_sel_hi:[0,1]
	v_pk_fma_f32 v[58:59], v[52:53], v[54:55], v[56:57] op_sel_hi:[1,0,1]
	v_pk_fma_f32 v[52:53], v[52:53], v[54:55], v[56:57] neg_lo:[0,0,1] neg_hi:[0,0,1]
	s_delay_alu instid0(VALU_DEP_2)
	v_mov_b32_e32 v53, v59
	scratch_store_b64 off, v[52:53], off offset:40
.LBB23_185:
	s_wait_xcnt 0x0
	s_or_b32 exec_lo, exec_lo, s8
	scratch_load_b64 v[52:53], off, off offset:32
	v_cmp_lt_u32_e64 s0, 4, v0
	s_wait_loadcnt 0x0
	ds_store_b64 v1, v[52:53]
	s_wait_storecnt_dscnt 0x0
	s_barrier_signal -1
	s_barrier_wait -1
	s_wait_xcnt 0x0
	s_and_saveexec_b32 s2, s0
	s_cbranch_execz .LBB23_195
; %bb.186:
	s_and_not1_b32 vcc_lo, exec_lo, s3
	s_cbranch_vccnz .LBB23_188
; %bb.187:
	scratch_load_b64 v[52:53], v43, off
	ds_load_b64 v[54:55], v1
	s_wait_loadcnt_dscnt 0x0
	v_pk_mul_f32 v[56:57], v[54:55], v[52:53] op_sel:[1,1] op_sel_hi:[0,1]
	s_delay_alu instid0(VALU_DEP_1) | instskip(SKIP_1) | instid1(VALU_DEP_2)
	v_pk_fma_f32 v[58:59], v[54:55], v[52:53], v[56:57] op_sel_hi:[1,0,1]
	v_pk_fma_f32 v[52:53], v[54:55], v[52:53], v[56:57] neg_lo:[0,0,1] neg_hi:[0,0,1]
	v_mov_b32_e32 v53, v59
	s_cbranch_execz .LBB23_189
	s_branch .LBB23_190
.LBB23_188:
                                        ; implicit-def: $vgpr52_vgpr53
.LBB23_189:
	ds_load_b64 v[52:53], v1
.LBB23_190:
	s_and_saveexec_b32 s8, s1
	s_cbranch_execz .LBB23_194
; %bb.191:
	v_add_nc_u32_e32 v54, -5, v0
	s_mov_b32 s1, 40
	s_movk_i32 s10, 0xe8
	s_mov_b32 s9, 0
.LBB23_192:                             ; =>This Inner Loop Header: Depth=1
	scratch_load_b64 v[56:57], off, s1
	v_dual_mov_b32 v55, s10 :: v_dual_add_nc_u32 v54, -1, v54
	s_add_co_i32 s10, s10, 8
	s_wait_xcnt 0x0
	s_add_co_i32 s1, s1, 8
	ds_load_b64 v[58:59], v55
	v_cmp_eq_u32_e32 vcc_lo, 0, v54
	s_or_b32 s9, vcc_lo, s9
	s_wait_loadcnt_dscnt 0x0
	v_pk_mul_f32 v[60:61], v[58:59], v[56:57] op_sel:[1,1] op_sel_hi:[0,1]
	s_delay_alu instid0(VALU_DEP_1) | instskip(SKIP_1) | instid1(VALU_DEP_2)
	v_pk_fma_f32 v[62:63], v[58:59], v[56:57], v[60:61] op_sel_hi:[1,0,1]
	v_pk_fma_f32 v[56:57], v[58:59], v[56:57], v[60:61] neg_lo:[0,0,1] neg_hi:[0,0,1]
	v_mov_b32_e32 v57, v63
	s_delay_alu instid0(VALU_DEP_1)
	v_pk_add_f32 v[52:53], v[52:53], v[56:57]
	s_and_not1_b32 exec_lo, exec_lo, s9
	s_cbranch_execnz .LBB23_192
; %bb.193:
	s_or_b32 exec_lo, exec_lo, s9
.LBB23_194:
	s_delay_alu instid0(SALU_CYCLE_1) | instskip(SKIP_4) | instid1(VALU_DEP_1)
	s_or_b32 exec_lo, exec_lo, s8
	v_mov_b32_e32 v54, 0
	ds_load_b64 v[54:55], v54 offset:32
	s_wait_dscnt 0x0
	v_pk_mul_f32 v[56:57], v[52:53], v[54:55] op_sel:[1,1] op_sel_hi:[0,1]
	v_pk_fma_f32 v[58:59], v[52:53], v[54:55], v[56:57] op_sel_hi:[1,0,1]
	v_pk_fma_f32 v[52:53], v[52:53], v[54:55], v[56:57] neg_lo:[0,0,1] neg_hi:[0,0,1]
	s_delay_alu instid0(VALU_DEP_2)
	v_mov_b32_e32 v53, v59
	scratch_store_b64 off, v[52:53], off offset:32
.LBB23_195:
	s_wait_xcnt 0x0
	s_or_b32 exec_lo, exec_lo, s2
	scratch_load_b64 v[52:53], off, off offset:24
	v_cmp_lt_u32_e64 s2, 3, v0
	s_wait_loadcnt 0x0
	ds_store_b64 v1, v[52:53]
	s_wait_storecnt_dscnt 0x0
	s_barrier_signal -1
	s_barrier_wait -1
	s_wait_xcnt 0x0
	s_and_saveexec_b32 s1, s2
	s_cbranch_execz .LBB23_205
; %bb.196:
	s_and_not1_b32 vcc_lo, exec_lo, s3
	s_cbranch_vccnz .LBB23_198
; %bb.197:
	scratch_load_b64 v[52:53], v43, off
	ds_load_b64 v[54:55], v1
	s_wait_loadcnt_dscnt 0x0
	v_pk_mul_f32 v[56:57], v[54:55], v[52:53] op_sel:[1,1] op_sel_hi:[0,1]
	s_delay_alu instid0(VALU_DEP_1) | instskip(SKIP_1) | instid1(VALU_DEP_2)
	v_pk_fma_f32 v[58:59], v[54:55], v[52:53], v[56:57] op_sel_hi:[1,0,1]
	v_pk_fma_f32 v[52:53], v[54:55], v[52:53], v[56:57] neg_lo:[0,0,1] neg_hi:[0,0,1]
	v_mov_b32_e32 v53, v59
	s_cbranch_execz .LBB23_199
	s_branch .LBB23_200
.LBB23_198:
                                        ; implicit-def: $vgpr52_vgpr53
.LBB23_199:
	ds_load_b64 v[52:53], v1
.LBB23_200:
	s_and_saveexec_b32 s8, s0
	s_cbranch_execz .LBB23_204
; %bb.201:
	v_add_nc_u32_e32 v54, -4, v0
	s_movk_i32 s9, 0xe0
	s_mov_b32 s0, 0
.LBB23_202:                             ; =>This Inner Loop Header: Depth=1
	scratch_load_b64 v[56:57], off, s5
	v_dual_mov_b32 v55, s9 :: v_dual_add_nc_u32 v54, -1, v54
	s_add_co_i32 s9, s9, 8
	s_wait_xcnt 0x0
	s_add_co_i32 s5, s5, 8
	ds_load_b64 v[58:59], v55
	v_cmp_eq_u32_e32 vcc_lo, 0, v54
	s_or_b32 s0, vcc_lo, s0
	s_wait_loadcnt_dscnt 0x0
	v_pk_mul_f32 v[60:61], v[58:59], v[56:57] op_sel:[1,1] op_sel_hi:[0,1]
	s_delay_alu instid0(VALU_DEP_1) | instskip(SKIP_1) | instid1(VALU_DEP_2)
	v_pk_fma_f32 v[62:63], v[58:59], v[56:57], v[60:61] op_sel_hi:[1,0,1]
	v_pk_fma_f32 v[56:57], v[58:59], v[56:57], v[60:61] neg_lo:[0,0,1] neg_hi:[0,0,1]
	v_mov_b32_e32 v57, v63
	s_delay_alu instid0(VALU_DEP_1)
	v_pk_add_f32 v[52:53], v[52:53], v[56:57]
	s_and_not1_b32 exec_lo, exec_lo, s0
	s_cbranch_execnz .LBB23_202
; %bb.203:
	s_or_b32 exec_lo, exec_lo, s0
.LBB23_204:
	s_delay_alu instid0(SALU_CYCLE_1) | instskip(SKIP_4) | instid1(VALU_DEP_1)
	s_or_b32 exec_lo, exec_lo, s8
	v_mov_b32_e32 v54, 0
	ds_load_b64 v[54:55], v54 offset:24
	s_wait_dscnt 0x0
	v_pk_mul_f32 v[56:57], v[52:53], v[54:55] op_sel:[1,1] op_sel_hi:[0,1]
	v_pk_fma_f32 v[58:59], v[52:53], v[54:55], v[56:57] op_sel_hi:[1,0,1]
	v_pk_fma_f32 v[52:53], v[52:53], v[54:55], v[56:57] neg_lo:[0,0,1] neg_hi:[0,0,1]
	s_delay_alu instid0(VALU_DEP_2)
	v_mov_b32_e32 v53, v59
	scratch_store_b64 off, v[52:53], off offset:24
.LBB23_205:
	s_wait_xcnt 0x0
	s_or_b32 exec_lo, exec_lo, s1
	scratch_load_b64 v[52:53], off, off offset:16
	v_cmp_lt_u32_e64 s1, 2, v0
	s_wait_loadcnt 0x0
	ds_store_b64 v1, v[52:53]
	s_wait_storecnt_dscnt 0x0
	s_barrier_signal -1
	s_barrier_wait -1
	s_wait_xcnt 0x0
	s_and_saveexec_b32 s0, s1
	s_cbranch_execz .LBB23_215
; %bb.206:
	s_and_not1_b32 vcc_lo, exec_lo, s3
	s_cbranch_vccnz .LBB23_208
; %bb.207:
	scratch_load_b64 v[52:53], v43, off
	ds_load_b64 v[54:55], v1
	s_wait_loadcnt_dscnt 0x0
	v_pk_mul_f32 v[56:57], v[54:55], v[52:53] op_sel:[1,1] op_sel_hi:[0,1]
	s_delay_alu instid0(VALU_DEP_1) | instskip(SKIP_1) | instid1(VALU_DEP_2)
	v_pk_fma_f32 v[58:59], v[54:55], v[52:53], v[56:57] op_sel_hi:[1,0,1]
	v_pk_fma_f32 v[52:53], v[54:55], v[52:53], v[56:57] neg_lo:[0,0,1] neg_hi:[0,0,1]
	v_mov_b32_e32 v53, v59
	s_cbranch_execz .LBB23_209
	s_branch .LBB23_210
.LBB23_208:
                                        ; implicit-def: $vgpr52_vgpr53
.LBB23_209:
	ds_load_b64 v[52:53], v1
.LBB23_210:
	s_and_saveexec_b32 s5, s2
	s_cbranch_execz .LBB23_214
; %bb.211:
	v_add_nc_u32_e32 v54, -3, v0
	s_mov_b32 s2, 24
	s_movk_i32 s9, 0xd8
	s_mov_b32 s8, 0
.LBB23_212:                             ; =>This Inner Loop Header: Depth=1
	scratch_load_b64 v[56:57], off, s2
	v_dual_mov_b32 v55, s9 :: v_dual_add_nc_u32 v54, -1, v54
	s_add_co_i32 s9, s9, 8
	s_wait_xcnt 0x0
	s_add_co_i32 s2, s2, 8
	ds_load_b64 v[58:59], v55
	v_cmp_eq_u32_e32 vcc_lo, 0, v54
	s_or_b32 s8, vcc_lo, s8
	s_wait_loadcnt_dscnt 0x0
	v_pk_mul_f32 v[60:61], v[58:59], v[56:57] op_sel:[1,1] op_sel_hi:[0,1]
	s_delay_alu instid0(VALU_DEP_1) | instskip(SKIP_1) | instid1(VALU_DEP_2)
	v_pk_fma_f32 v[62:63], v[58:59], v[56:57], v[60:61] op_sel_hi:[1,0,1]
	v_pk_fma_f32 v[56:57], v[58:59], v[56:57], v[60:61] neg_lo:[0,0,1] neg_hi:[0,0,1]
	v_mov_b32_e32 v57, v63
	s_delay_alu instid0(VALU_DEP_1)
	v_pk_add_f32 v[52:53], v[52:53], v[56:57]
	s_and_not1_b32 exec_lo, exec_lo, s8
	s_cbranch_execnz .LBB23_212
; %bb.213:
	s_or_b32 exec_lo, exec_lo, s8
.LBB23_214:
	s_delay_alu instid0(SALU_CYCLE_1) | instskip(SKIP_4) | instid1(VALU_DEP_1)
	s_or_b32 exec_lo, exec_lo, s5
	v_mov_b32_e32 v54, 0
	ds_load_b64 v[54:55], v54 offset:16
	s_wait_dscnt 0x0
	v_pk_mul_f32 v[56:57], v[52:53], v[54:55] op_sel:[1,1] op_sel_hi:[0,1]
	v_pk_fma_f32 v[58:59], v[52:53], v[54:55], v[56:57] op_sel_hi:[1,0,1]
	v_pk_fma_f32 v[52:53], v[52:53], v[54:55], v[56:57] neg_lo:[0,0,1] neg_hi:[0,0,1]
	s_delay_alu instid0(VALU_DEP_2)
	v_mov_b32_e32 v53, v59
	scratch_store_b64 off, v[52:53], off offset:16
.LBB23_215:
	s_wait_xcnt 0x0
	s_or_b32 exec_lo, exec_lo, s0
	scratch_load_b64 v[52:53], off, off offset:8
	v_cmp_lt_u32_e64 s0, 1, v0
	s_wait_loadcnt 0x0
	ds_store_b64 v1, v[52:53]
	s_wait_storecnt_dscnt 0x0
	s_barrier_signal -1
	s_barrier_wait -1
	s_wait_xcnt 0x0
	s_and_saveexec_b32 s2, s0
	s_cbranch_execz .LBB23_225
; %bb.216:
	s_and_not1_b32 vcc_lo, exec_lo, s3
	s_cbranch_vccnz .LBB23_218
; %bb.217:
	scratch_load_b64 v[52:53], v43, off
	ds_load_b64 v[54:55], v1
	s_wait_loadcnt_dscnt 0x0
	v_pk_mul_f32 v[56:57], v[54:55], v[52:53] op_sel:[1,1] op_sel_hi:[0,1]
	s_delay_alu instid0(VALU_DEP_1) | instskip(SKIP_1) | instid1(VALU_DEP_2)
	v_pk_fma_f32 v[58:59], v[54:55], v[52:53], v[56:57] op_sel_hi:[1,0,1]
	v_pk_fma_f32 v[52:53], v[54:55], v[52:53], v[56:57] neg_lo:[0,0,1] neg_hi:[0,0,1]
	v_mov_b32_e32 v53, v59
	s_cbranch_execz .LBB23_219
	s_branch .LBB23_220
.LBB23_218:
                                        ; implicit-def: $vgpr52_vgpr53
.LBB23_219:
	ds_load_b64 v[52:53], v1
.LBB23_220:
	s_and_saveexec_b32 s5, s1
	s_cbranch_execz .LBB23_224
; %bb.221:
	v_add_nc_u32_e32 v54, -2, v0
	s_movk_i32 s8, 0xd0
	s_mov_b32 s1, 0
.LBB23_222:                             ; =>This Inner Loop Header: Depth=1
	scratch_load_b64 v[56:57], off, s4
	v_dual_mov_b32 v55, s8 :: v_dual_add_nc_u32 v54, -1, v54
	s_add_co_i32 s8, s8, 8
	s_wait_xcnt 0x0
	s_add_co_i32 s4, s4, 8
	ds_load_b64 v[58:59], v55
	v_cmp_eq_u32_e32 vcc_lo, 0, v54
	s_or_b32 s1, vcc_lo, s1
	s_wait_loadcnt_dscnt 0x0
	v_pk_mul_f32 v[60:61], v[58:59], v[56:57] op_sel:[1,1] op_sel_hi:[0,1]
	s_delay_alu instid0(VALU_DEP_1) | instskip(SKIP_1) | instid1(VALU_DEP_2)
	v_pk_fma_f32 v[62:63], v[58:59], v[56:57], v[60:61] op_sel_hi:[1,0,1]
	v_pk_fma_f32 v[56:57], v[58:59], v[56:57], v[60:61] neg_lo:[0,0,1] neg_hi:[0,0,1]
	v_mov_b32_e32 v57, v63
	s_delay_alu instid0(VALU_DEP_1)
	v_pk_add_f32 v[52:53], v[52:53], v[56:57]
	s_and_not1_b32 exec_lo, exec_lo, s1
	s_cbranch_execnz .LBB23_222
; %bb.223:
	s_or_b32 exec_lo, exec_lo, s1
.LBB23_224:
	s_delay_alu instid0(SALU_CYCLE_1) | instskip(SKIP_4) | instid1(VALU_DEP_1)
	s_or_b32 exec_lo, exec_lo, s5
	v_mov_b32_e32 v54, 0
	ds_load_b64 v[54:55], v54 offset:8
	s_wait_dscnt 0x0
	v_pk_mul_f32 v[56:57], v[52:53], v[54:55] op_sel:[1,1] op_sel_hi:[0,1]
	v_pk_fma_f32 v[58:59], v[52:53], v[54:55], v[56:57] op_sel_hi:[1,0,1]
	v_pk_fma_f32 v[52:53], v[52:53], v[54:55], v[56:57] neg_lo:[0,0,1] neg_hi:[0,0,1]
	s_delay_alu instid0(VALU_DEP_2)
	v_mov_b32_e32 v53, v59
	scratch_store_b64 off, v[52:53], off offset:8
.LBB23_225:
	s_wait_xcnt 0x0
	s_or_b32 exec_lo, exec_lo, s2
	scratch_load_b64 v[52:53], off, off
	s_mov_b32 s2, 0
	s_mov_b32 s1, 0
	s_mov_b32 s5, exec_lo
                                        ; implicit-def: $vgpr58
                                        ; implicit-def: $sgpr4
	s_wait_loadcnt 0x0
	ds_store_b64 v1, v[52:53]
	s_wait_storecnt_dscnt 0x0
	s_barrier_signal -1
	s_barrier_wait -1
	s_wait_xcnt 0x0
	v_cmpx_ne_u32_e32 0, v0
	s_cbranch_execz .LBB23_235
; %bb.226:
	s_and_not1_b32 vcc_lo, exec_lo, s3
	s_cbranch_vccnz .LBB23_228
; %bb.227:
	scratch_load_b64 v[54:55], v43, off
	ds_load_b64 v[56:57], v1
	s_wait_loadcnt_dscnt 0x0
	v_dual_mul_f32 v52, v57, v55 :: v_dual_mul_f32 v53, v56, v55
	s_delay_alu instid0(VALU_DEP_1)
	v_dual_fma_f32 v52, v56, v54, -v52 :: v_dual_fmac_f32 v53, v57, v54
	s_and_not1_b32 vcc_lo, exec_lo, s1
	s_cbranch_vccz .LBB23_229
	s_branch .LBB23_230
.LBB23_228:
                                        ; implicit-def: $vgpr52
.LBB23_229:
	ds_load_b64 v[52:53], v1
.LBB23_230:
	s_and_saveexec_b32 s1, s0
	s_cbranch_execz .LBB23_234
; %bb.231:
	v_add_nc_u32_e32 v54, -1, v0
	s_or_b32 s0, 0, 8
	s_movk_i32 s8, 0xc8
	s_mov_b32 s4, 0
.LBB23_232:                             ; =>This Inner Loop Header: Depth=1
	scratch_load_b64 v[56:57], off, s0
	v_mov_b32_e32 v55, s8
	s_add_co_i32 s8, s8, 8
	s_wait_xcnt 0x0
	s_add_co_i32 s0, s0, 8
	v_add_nc_u32_e32 v54, -1, v54
	ds_load_b64 v[58:59], v55
	v_cmp_eq_u32_e32 vcc_lo, 0, v54
	s_or_b32 s4, vcc_lo, s4
	s_wait_loadcnt_dscnt 0x0
	v_dual_mul_f32 v55, v59, v57 :: v_dual_mul_f32 v57, v58, v57
	s_delay_alu instid0(VALU_DEP_1) | instskip(NEXT) | instid1(VALU_DEP_1)
	v_dual_fma_f32 v55, v58, v56, -v55 :: v_dual_fmac_f32 v57, v59, v56
	v_dual_add_f32 v52, v52, v55 :: v_dual_add_f32 v53, v53, v57
	s_and_not1_b32 exec_lo, exec_lo, s4
	s_cbranch_execnz .LBB23_232
; %bb.233:
	s_or_b32 exec_lo, exec_lo, s4
.LBB23_234:
	s_delay_alu instid0(SALU_CYCLE_1)
	s_or_b32 exec_lo, exec_lo, s1
	v_mov_b32_e32 v54, 0
	s_mov_b32 s1, exec_lo
	s_or_b32 s4, 0, 4
	ds_load_b64 v[54:55], v54
	s_wait_dscnt 0x0
	v_dual_mul_f32 v56, v53, v55 :: v_dual_mul_f32 v58, v52, v55
	s_delay_alu instid0(VALU_DEP_1)
	v_dual_fma_f32 v52, v52, v54, -v56 :: v_dual_fmac_f32 v58, v53, v54
	scratch_store_b32 off, v52, off
.LBB23_235:
	s_wait_xcnt 0x0
	s_or_b32 exec_lo, exec_lo, s5
	s_delay_alu instid0(SALU_CYCLE_1)
	s_and_b32 vcc_lo, exec_lo, s2
	s_cbranch_vccz .LBB23_461
.LBB23_236:
	scratch_load_b64 v[52:53], off, off offset:8
	v_cmp_eq_u32_e64 s0, 0, v0
	s_wait_loadcnt 0x0
	ds_store_b64 v1, v[52:53]
	s_wait_storecnt_dscnt 0x0
	s_barrier_signal -1
	s_barrier_wait -1
	s_wait_xcnt 0x0
	s_and_saveexec_b32 s2, s0
	s_cbranch_execz .LBB23_242
; %bb.237:
	s_and_b32 vcc_lo, exec_lo, s3
	s_cbranch_vccz .LBB23_239
; %bb.238:
	scratch_load_b64 v[52:53], v43, off
	ds_load_b64 v[54:55], v1
	s_wait_loadcnt_dscnt 0x0
	v_pk_mul_f32 v[56:57], v[54:55], v[52:53] op_sel:[1,1] op_sel_hi:[0,1]
	v_pk_mul_f32 v[58:59], v[54:55], v[52:53] op_sel_hi:[1,0]
	s_delay_alu instid0(VALU_DEP_2) | instskip(NEXT) | instid1(VALU_DEP_2)
	v_pk_fma_f32 v[52:53], v[54:55], v[52:53], v[56:57] op_sel_hi:[1,0,1]
	v_sub_f32_e32 v52, v58, v56
	s_cbranch_execz .LBB23_240
	s_branch .LBB23_241
.LBB23_239:
                                        ; implicit-def: $vgpr53
.LBB23_240:
	ds_load_b64 v[52:53], v1
.LBB23_241:
	s_wait_dscnt 0x0
	v_dual_mov_b32 v54, 0 :: v_dual_mov_b32 v56, v53
	v_mov_b32_e32 v57, v52
	ds_load_b64 v[54:55], v54 offset:8
	s_wait_dscnt 0x0
	v_pk_mul_f32 v[56:57], v[56:57], v[54:55] op_sel:[0,1]
	s_delay_alu instid0(VALU_DEP_1) | instskip(SKIP_1) | instid1(VALU_DEP_2)
	v_pk_fma_f32 v[58:59], v[52:53], v[54:55], v[56:57] op_sel_hi:[1,0,1]
	v_pk_fma_f32 v[52:53], v[52:53], v[54:55], v[56:57] neg_lo:[0,0,1] neg_hi:[0,0,1]
	v_mov_b32_e32 v53, v59
	scratch_store_b64 off, v[52:53], off offset:8
.LBB23_242:
	s_wait_xcnt 0x0
	s_or_b32 exec_lo, exec_lo, s2
	scratch_load_b64 v[52:53], off, off offset:16
	v_cndmask_b32_e64 v54, 0, 1, s3
	s_mov_b32 s2, exec_lo
	s_wait_loadcnt 0x0
	ds_store_b64 v1, v[52:53]
	s_wait_storecnt_dscnt 0x0
	s_barrier_signal -1
	s_barrier_wait -1
	s_wait_xcnt 0x0
	v_cmpx_gt_u32_e32 2, v0
	s_cbranch_execz .LBB23_250
; %bb.243:
	s_and_not1_b32 vcc_lo, exec_lo, s3
	s_cbranch_vccnz .LBB23_245
; %bb.244:
	scratch_load_b64 v[52:53], v43, off
	ds_load_b64 v[56:57], v1
	s_wait_loadcnt_dscnt 0x0
	v_pk_mul_f32 v[58:59], v[56:57], v[52:53] op_sel:[1,1] op_sel_hi:[0,1]
	s_delay_alu instid0(VALU_DEP_1) | instskip(SKIP_1) | instid1(VALU_DEP_2)
	v_pk_fma_f32 v[60:61], v[56:57], v[52:53], v[58:59] op_sel_hi:[1,0,1]
	v_pk_fma_f32 v[52:53], v[56:57], v[52:53], v[58:59] neg_lo:[0,0,1] neg_hi:[0,0,1]
	v_mov_b32_e32 v53, v61
	s_cbranch_execz .LBB23_246
	s_branch .LBB23_247
.LBB23_245:
                                        ; implicit-def: $vgpr52_vgpr53
.LBB23_246:
	ds_load_b64 v[52:53], v1
.LBB23_247:
	s_and_saveexec_b32 s3, s0
	s_cbranch_execz .LBB23_249
; %bb.248:
	scratch_load_b64 v[56:57], off, off offset:8
	v_mov_b32_e32 v55, 0
	ds_load_b64 v[58:59], v55 offset:200
	s_wait_loadcnt_dscnt 0x0
	v_pk_mul_f32 v[60:61], v[58:59], v[56:57] op_sel:[1,1] op_sel_hi:[0,1]
	s_delay_alu instid0(VALU_DEP_1) | instskip(SKIP_1) | instid1(VALU_DEP_2)
	v_pk_fma_f32 v[62:63], v[58:59], v[56:57], v[60:61] op_sel_hi:[1,0,1]
	v_pk_fma_f32 v[56:57], v[58:59], v[56:57], v[60:61] neg_lo:[0,0,1] neg_hi:[0,0,1]
	v_mov_b32_e32 v57, v63
	s_delay_alu instid0(VALU_DEP_1)
	v_pk_add_f32 v[52:53], v[52:53], v[56:57]
.LBB23_249:
	s_or_b32 exec_lo, exec_lo, s3
	v_mov_b32_e32 v55, 0
	ds_load_b64 v[56:57], v55 offset:16
	s_wait_dscnt 0x0
	v_pk_mul_f32 v[58:59], v[52:53], v[56:57] op_sel:[1,1] op_sel_hi:[0,1]
	s_delay_alu instid0(VALU_DEP_1) | instskip(SKIP_1) | instid1(VALU_DEP_2)
	v_pk_fma_f32 v[60:61], v[52:53], v[56:57], v[58:59] op_sel_hi:[1,0,1]
	v_pk_fma_f32 v[52:53], v[52:53], v[56:57], v[58:59] neg_lo:[0,0,1] neg_hi:[0,0,1]
	v_mov_b32_e32 v53, v61
	scratch_store_b64 off, v[52:53], off offset:16
.LBB23_250:
	s_wait_xcnt 0x0
	s_or_b32 exec_lo, exec_lo, s2
	scratch_load_b64 v[52:53], off, off offset:24
	s_mov_b32 s2, exec_lo
	s_wait_loadcnt 0x0
	ds_store_b64 v1, v[52:53]
	s_wait_storecnt_dscnt 0x0
	s_barrier_signal -1
	s_barrier_wait -1
	s_wait_xcnt 0x0
	v_cmpx_gt_u32_e32 3, v0
	s_cbranch_execz .LBB23_260
; %bb.251:
	v_cmp_ne_u32_e32 vcc_lo, 1, v54
	s_cbranch_vccnz .LBB23_253
; %bb.252:
	scratch_load_b64 v[52:53], v43, off
	ds_load_b64 v[56:57], v1
	s_wait_loadcnt_dscnt 0x0
	v_pk_mul_f32 v[58:59], v[56:57], v[52:53] op_sel:[1,1] op_sel_hi:[0,1]
	s_delay_alu instid0(VALU_DEP_1) | instskip(SKIP_1) | instid1(VALU_DEP_2)
	v_pk_fma_f32 v[60:61], v[56:57], v[52:53], v[58:59] op_sel_hi:[1,0,1]
	v_pk_fma_f32 v[52:53], v[56:57], v[52:53], v[58:59] neg_lo:[0,0,1] neg_hi:[0,0,1]
	v_mov_b32_e32 v53, v61
	s_cbranch_execz .LBB23_254
	s_branch .LBB23_255
.LBB23_253:
                                        ; implicit-def: $vgpr52_vgpr53
.LBB23_254:
	ds_load_b64 v[52:53], v1
.LBB23_255:
	s_mov_b32 s3, exec_lo
	v_cmpx_ne_u32_e32 2, v0
	s_cbranch_execz .LBB23_259
; %bb.256:
	scratch_load_b64 v[56:57], v43, off offset:8
	ds_load_b64 v[58:59], v1 offset:8
	s_wait_loadcnt_dscnt 0x0
	v_pk_mul_f32 v[60:61], v[58:59], v[56:57] op_sel:[1,1] op_sel_hi:[0,1]
	s_delay_alu instid0(VALU_DEP_1) | instskip(SKIP_1) | instid1(VALU_DEP_2)
	v_pk_fma_f32 v[62:63], v[58:59], v[56:57], v[60:61] op_sel_hi:[1,0,1]
	v_pk_fma_f32 v[56:57], v[58:59], v[56:57], v[60:61] neg_lo:[0,0,1] neg_hi:[0,0,1]
	v_mov_b32_e32 v57, v63
	s_delay_alu instid0(VALU_DEP_1)
	v_pk_add_f32 v[52:53], v[52:53], v[56:57]
	s_and_saveexec_b32 s4, s0
	s_cbranch_execz .LBB23_258
; %bb.257:
	scratch_load_b64 v[56:57], off, off offset:16
	v_mov_b32_e32 v55, 0
	ds_load_b64 v[58:59], v55 offset:208
	s_wait_loadcnt_dscnt 0x0
	v_pk_mul_f32 v[60:61], v[58:59], v[56:57] op_sel:[1,1] op_sel_hi:[0,1]
	s_delay_alu instid0(VALU_DEP_1) | instskip(SKIP_1) | instid1(VALU_DEP_2)
	v_pk_fma_f32 v[62:63], v[58:59], v[56:57], v[60:61] op_sel_hi:[1,0,1]
	v_pk_fma_f32 v[56:57], v[58:59], v[56:57], v[60:61] neg_lo:[0,0,1] neg_hi:[0,0,1]
	v_mov_b32_e32 v57, v63
	s_delay_alu instid0(VALU_DEP_1)
	v_pk_add_f32 v[52:53], v[52:53], v[56:57]
.LBB23_258:
	s_or_b32 exec_lo, exec_lo, s4
.LBB23_259:
	s_delay_alu instid0(SALU_CYCLE_1) | instskip(SKIP_4) | instid1(VALU_DEP_1)
	s_or_b32 exec_lo, exec_lo, s3
	v_mov_b32_e32 v55, 0
	ds_load_b64 v[56:57], v55 offset:24
	s_wait_dscnt 0x0
	v_pk_mul_f32 v[58:59], v[52:53], v[56:57] op_sel:[1,1] op_sel_hi:[0,1]
	v_pk_fma_f32 v[60:61], v[52:53], v[56:57], v[58:59] op_sel_hi:[1,0,1]
	v_pk_fma_f32 v[52:53], v[52:53], v[56:57], v[58:59] neg_lo:[0,0,1] neg_hi:[0,0,1]
	s_delay_alu instid0(VALU_DEP_2)
	v_mov_b32_e32 v53, v61
	scratch_store_b64 off, v[52:53], off offset:24
.LBB23_260:
	s_wait_xcnt 0x0
	s_or_b32 exec_lo, exec_lo, s2
	scratch_load_b64 v[52:53], off, off offset:32
	s_mov_b32 s0, exec_lo
	s_wait_loadcnt 0x0
	ds_store_b64 v1, v[52:53]
	s_wait_storecnt_dscnt 0x0
	s_barrier_signal -1
	s_barrier_wait -1
	s_wait_xcnt 0x0
	v_cmpx_gt_u32_e32 4, v0
	s_cbranch_execz .LBB23_270
; %bb.261:
	v_cmp_ne_u32_e32 vcc_lo, 1, v54
	s_cbranch_vccnz .LBB23_263
; %bb.262:
	scratch_load_b64 v[52:53], v43, off
	ds_load_b64 v[56:57], v1
	s_wait_loadcnt_dscnt 0x0
	v_pk_mul_f32 v[58:59], v[56:57], v[52:53] op_sel:[1,1] op_sel_hi:[0,1]
	s_delay_alu instid0(VALU_DEP_1) | instskip(SKIP_1) | instid1(VALU_DEP_2)
	v_pk_fma_f32 v[60:61], v[56:57], v[52:53], v[58:59] op_sel_hi:[1,0,1]
	v_pk_fma_f32 v[52:53], v[56:57], v[52:53], v[58:59] neg_lo:[0,0,1] neg_hi:[0,0,1]
	v_mov_b32_e32 v53, v61
	s_cbranch_execz .LBB23_264
	s_branch .LBB23_265
.LBB23_263:
                                        ; implicit-def: $vgpr52_vgpr53
.LBB23_264:
	ds_load_b64 v[52:53], v1
.LBB23_265:
	s_mov_b32 s2, exec_lo
	v_cmpx_ne_u32_e32 3, v0
	s_cbranch_execz .LBB23_269
; %bb.266:
	v_add_nc_u32_e32 v55, 0xc8, v42
	v_add3_u32 v56, 0, v42, 8
	v_mov_b32_e32 v57, v0
	s_mov_b32 s3, 0
.LBB23_267:                             ; =>This Inner Loop Header: Depth=1
	scratch_load_b64 v[58:59], v56, off
	ds_load_b64 v[60:61], v55
	s_wait_xcnt 0x0
	v_dual_add_nc_u32 v55, 8, v55 :: v_dual_add_nc_u32 v56, 8, v56
	s_wait_loadcnt_dscnt 0x0
	v_pk_mul_f32 v[62:63], v[60:61], v[58:59] op_sel:[1,1] op_sel_hi:[0,1]
	s_delay_alu instid0(VALU_DEP_1) | instskip(SKIP_2) | instid1(VALU_DEP_3)
	v_pk_fma_f32 v[64:65], v[60:61], v[58:59], v[62:63] op_sel_hi:[1,0,1]
	v_add_nc_u32_e32 v57, 1, v57
	v_pk_fma_f32 v[58:59], v[60:61], v[58:59], v[62:63] neg_lo:[0,0,1] neg_hi:[0,0,1]
	v_mov_b32_e32 v59, v65
	s_delay_alu instid0(VALU_DEP_3) | instskip(NEXT) | instid1(VALU_DEP_2)
	v_cmp_lt_u32_e32 vcc_lo, 2, v57
	v_pk_add_f32 v[52:53], v[52:53], v[58:59]
	s_or_b32 s3, vcc_lo, s3
	s_delay_alu instid0(SALU_CYCLE_1)
	s_and_not1_b32 exec_lo, exec_lo, s3
	s_cbranch_execnz .LBB23_267
; %bb.268:
	s_or_b32 exec_lo, exec_lo, s3
.LBB23_269:
	s_delay_alu instid0(SALU_CYCLE_1) | instskip(SKIP_4) | instid1(VALU_DEP_1)
	s_or_b32 exec_lo, exec_lo, s2
	v_mov_b32_e32 v55, 0
	ds_load_b64 v[56:57], v55 offset:32
	s_wait_dscnt 0x0
	v_pk_mul_f32 v[58:59], v[52:53], v[56:57] op_sel:[1,1] op_sel_hi:[0,1]
	v_pk_fma_f32 v[60:61], v[52:53], v[56:57], v[58:59] op_sel_hi:[1,0,1]
	v_pk_fma_f32 v[52:53], v[52:53], v[56:57], v[58:59] neg_lo:[0,0,1] neg_hi:[0,0,1]
	s_delay_alu instid0(VALU_DEP_2)
	v_mov_b32_e32 v53, v61
	scratch_store_b64 off, v[52:53], off offset:32
.LBB23_270:
	s_wait_xcnt 0x0
	s_or_b32 exec_lo, exec_lo, s0
	scratch_load_b64 v[52:53], off, off offset:40
	s_mov_b32 s0, exec_lo
	s_wait_loadcnt 0x0
	ds_store_b64 v1, v[52:53]
	s_wait_storecnt_dscnt 0x0
	s_barrier_signal -1
	s_barrier_wait -1
	s_wait_xcnt 0x0
	v_cmpx_gt_u32_e32 5, v0
	s_cbranch_execz .LBB23_280
; %bb.271:
	v_cmp_ne_u32_e32 vcc_lo, 1, v54
	s_cbranch_vccnz .LBB23_273
; %bb.272:
	scratch_load_b64 v[52:53], v43, off
	ds_load_b64 v[56:57], v1
	s_wait_loadcnt_dscnt 0x0
	v_pk_mul_f32 v[58:59], v[56:57], v[52:53] op_sel:[1,1] op_sel_hi:[0,1]
	s_delay_alu instid0(VALU_DEP_1) | instskip(SKIP_1) | instid1(VALU_DEP_2)
	v_pk_fma_f32 v[60:61], v[56:57], v[52:53], v[58:59] op_sel_hi:[1,0,1]
	v_pk_fma_f32 v[52:53], v[56:57], v[52:53], v[58:59] neg_lo:[0,0,1] neg_hi:[0,0,1]
	v_mov_b32_e32 v53, v61
	s_cbranch_execz .LBB23_274
	s_branch .LBB23_275
.LBB23_273:
                                        ; implicit-def: $vgpr52_vgpr53
.LBB23_274:
	ds_load_b64 v[52:53], v1
.LBB23_275:
	s_mov_b32 s2, exec_lo
	v_cmpx_ne_u32_e32 4, v0
	s_cbranch_execz .LBB23_279
; %bb.276:
	v_add_nc_u32_e32 v55, 0xc8, v42
	v_add3_u32 v56, 0, v42, 8
	v_mov_b32_e32 v57, v0
	s_mov_b32 s3, 0
.LBB23_277:                             ; =>This Inner Loop Header: Depth=1
	scratch_load_b64 v[58:59], v56, off
	ds_load_b64 v[60:61], v55
	s_wait_xcnt 0x0
	v_dual_add_nc_u32 v55, 8, v55 :: v_dual_add_nc_u32 v56, 8, v56
	s_wait_loadcnt_dscnt 0x0
	v_pk_mul_f32 v[62:63], v[60:61], v[58:59] op_sel:[1,1] op_sel_hi:[0,1]
	s_delay_alu instid0(VALU_DEP_1) | instskip(SKIP_2) | instid1(VALU_DEP_3)
	v_pk_fma_f32 v[64:65], v[60:61], v[58:59], v[62:63] op_sel_hi:[1,0,1]
	v_add_nc_u32_e32 v57, 1, v57
	v_pk_fma_f32 v[58:59], v[60:61], v[58:59], v[62:63] neg_lo:[0,0,1] neg_hi:[0,0,1]
	v_mov_b32_e32 v59, v65
	s_delay_alu instid0(VALU_DEP_3) | instskip(NEXT) | instid1(VALU_DEP_2)
	v_cmp_lt_u32_e32 vcc_lo, 3, v57
	v_pk_add_f32 v[52:53], v[52:53], v[58:59]
	s_or_b32 s3, vcc_lo, s3
	s_delay_alu instid0(SALU_CYCLE_1)
	s_and_not1_b32 exec_lo, exec_lo, s3
	s_cbranch_execnz .LBB23_277
; %bb.278:
	s_or_b32 exec_lo, exec_lo, s3
.LBB23_279:
	s_delay_alu instid0(SALU_CYCLE_1) | instskip(SKIP_4) | instid1(VALU_DEP_1)
	s_or_b32 exec_lo, exec_lo, s2
	v_mov_b32_e32 v55, 0
	ds_load_b64 v[56:57], v55 offset:40
	s_wait_dscnt 0x0
	v_pk_mul_f32 v[58:59], v[52:53], v[56:57] op_sel:[1,1] op_sel_hi:[0,1]
	v_pk_fma_f32 v[60:61], v[52:53], v[56:57], v[58:59] op_sel_hi:[1,0,1]
	v_pk_fma_f32 v[52:53], v[52:53], v[56:57], v[58:59] neg_lo:[0,0,1] neg_hi:[0,0,1]
	s_delay_alu instid0(VALU_DEP_2)
	v_mov_b32_e32 v53, v61
	scratch_store_b64 off, v[52:53], off offset:40
.LBB23_280:
	s_wait_xcnt 0x0
	s_or_b32 exec_lo, exec_lo, s0
	scratch_load_b64 v[52:53], off, off offset:48
	s_mov_b32 s0, exec_lo
	s_wait_loadcnt 0x0
	ds_store_b64 v1, v[52:53]
	s_wait_storecnt_dscnt 0x0
	s_barrier_signal -1
	s_barrier_wait -1
	s_wait_xcnt 0x0
	v_cmpx_gt_u32_e32 6, v0
	s_cbranch_execz .LBB23_290
; %bb.281:
	v_cmp_ne_u32_e32 vcc_lo, 1, v54
	s_cbranch_vccnz .LBB23_283
; %bb.282:
	scratch_load_b64 v[52:53], v43, off
	ds_load_b64 v[56:57], v1
	s_wait_loadcnt_dscnt 0x0
	v_pk_mul_f32 v[58:59], v[56:57], v[52:53] op_sel:[1,1] op_sel_hi:[0,1]
	s_delay_alu instid0(VALU_DEP_1) | instskip(SKIP_1) | instid1(VALU_DEP_2)
	v_pk_fma_f32 v[60:61], v[56:57], v[52:53], v[58:59] op_sel_hi:[1,0,1]
	v_pk_fma_f32 v[52:53], v[56:57], v[52:53], v[58:59] neg_lo:[0,0,1] neg_hi:[0,0,1]
	v_mov_b32_e32 v53, v61
	s_cbranch_execz .LBB23_284
	s_branch .LBB23_285
.LBB23_283:
                                        ; implicit-def: $vgpr52_vgpr53
.LBB23_284:
	ds_load_b64 v[52:53], v1
.LBB23_285:
	s_mov_b32 s2, exec_lo
	v_cmpx_ne_u32_e32 5, v0
	s_cbranch_execz .LBB23_289
; %bb.286:
	v_add_nc_u32_e32 v55, 0xc8, v42
	v_add3_u32 v56, 0, v42, 8
	v_mov_b32_e32 v57, v0
	s_mov_b32 s3, 0
.LBB23_287:                             ; =>This Inner Loop Header: Depth=1
	scratch_load_b64 v[58:59], v56, off
	ds_load_b64 v[60:61], v55
	s_wait_xcnt 0x0
	v_dual_add_nc_u32 v55, 8, v55 :: v_dual_add_nc_u32 v56, 8, v56
	s_wait_loadcnt_dscnt 0x0
	v_pk_mul_f32 v[62:63], v[60:61], v[58:59] op_sel:[1,1] op_sel_hi:[0,1]
	s_delay_alu instid0(VALU_DEP_1) | instskip(SKIP_2) | instid1(VALU_DEP_3)
	v_pk_fma_f32 v[64:65], v[60:61], v[58:59], v[62:63] op_sel_hi:[1,0,1]
	v_add_nc_u32_e32 v57, 1, v57
	v_pk_fma_f32 v[58:59], v[60:61], v[58:59], v[62:63] neg_lo:[0,0,1] neg_hi:[0,0,1]
	v_mov_b32_e32 v59, v65
	s_delay_alu instid0(VALU_DEP_3) | instskip(NEXT) | instid1(VALU_DEP_2)
	v_cmp_lt_u32_e32 vcc_lo, 4, v57
	v_pk_add_f32 v[52:53], v[52:53], v[58:59]
	s_or_b32 s3, vcc_lo, s3
	s_delay_alu instid0(SALU_CYCLE_1)
	s_and_not1_b32 exec_lo, exec_lo, s3
	s_cbranch_execnz .LBB23_287
; %bb.288:
	s_or_b32 exec_lo, exec_lo, s3
.LBB23_289:
	s_delay_alu instid0(SALU_CYCLE_1) | instskip(SKIP_4) | instid1(VALU_DEP_1)
	s_or_b32 exec_lo, exec_lo, s2
	v_mov_b32_e32 v55, 0
	ds_load_b64 v[56:57], v55 offset:48
	s_wait_dscnt 0x0
	v_pk_mul_f32 v[58:59], v[52:53], v[56:57] op_sel:[1,1] op_sel_hi:[0,1]
	v_pk_fma_f32 v[60:61], v[52:53], v[56:57], v[58:59] op_sel_hi:[1,0,1]
	v_pk_fma_f32 v[52:53], v[52:53], v[56:57], v[58:59] neg_lo:[0,0,1] neg_hi:[0,0,1]
	s_delay_alu instid0(VALU_DEP_2)
	v_mov_b32_e32 v53, v61
	scratch_store_b64 off, v[52:53], off offset:48
.LBB23_290:
	s_wait_xcnt 0x0
	s_or_b32 exec_lo, exec_lo, s0
	scratch_load_b64 v[52:53], off, off offset:56
	s_mov_b32 s0, exec_lo
	s_wait_loadcnt 0x0
	ds_store_b64 v1, v[52:53]
	s_wait_storecnt_dscnt 0x0
	s_barrier_signal -1
	s_barrier_wait -1
	s_wait_xcnt 0x0
	v_cmpx_gt_u32_e32 7, v0
	s_cbranch_execz .LBB23_300
; %bb.291:
	v_cmp_ne_u32_e32 vcc_lo, 1, v54
	s_cbranch_vccnz .LBB23_293
; %bb.292:
	scratch_load_b64 v[52:53], v43, off
	ds_load_b64 v[56:57], v1
	s_wait_loadcnt_dscnt 0x0
	v_pk_mul_f32 v[58:59], v[56:57], v[52:53] op_sel:[1,1] op_sel_hi:[0,1]
	s_delay_alu instid0(VALU_DEP_1) | instskip(SKIP_1) | instid1(VALU_DEP_2)
	v_pk_fma_f32 v[60:61], v[56:57], v[52:53], v[58:59] op_sel_hi:[1,0,1]
	v_pk_fma_f32 v[52:53], v[56:57], v[52:53], v[58:59] neg_lo:[0,0,1] neg_hi:[0,0,1]
	v_mov_b32_e32 v53, v61
	s_cbranch_execz .LBB23_294
	s_branch .LBB23_295
.LBB23_293:
                                        ; implicit-def: $vgpr52_vgpr53
.LBB23_294:
	ds_load_b64 v[52:53], v1
.LBB23_295:
	s_mov_b32 s2, exec_lo
	v_cmpx_ne_u32_e32 6, v0
	s_cbranch_execz .LBB23_299
; %bb.296:
	v_add_nc_u32_e32 v55, 0xc8, v42
	v_add3_u32 v56, 0, v42, 8
	v_mov_b32_e32 v57, v0
	s_mov_b32 s3, 0
.LBB23_297:                             ; =>This Inner Loop Header: Depth=1
	scratch_load_b64 v[58:59], v56, off
	ds_load_b64 v[60:61], v55
	s_wait_xcnt 0x0
	v_dual_add_nc_u32 v55, 8, v55 :: v_dual_add_nc_u32 v56, 8, v56
	s_wait_loadcnt_dscnt 0x0
	v_pk_mul_f32 v[62:63], v[60:61], v[58:59] op_sel:[1,1] op_sel_hi:[0,1]
	s_delay_alu instid0(VALU_DEP_1) | instskip(SKIP_2) | instid1(VALU_DEP_3)
	v_pk_fma_f32 v[64:65], v[60:61], v[58:59], v[62:63] op_sel_hi:[1,0,1]
	v_add_nc_u32_e32 v57, 1, v57
	v_pk_fma_f32 v[58:59], v[60:61], v[58:59], v[62:63] neg_lo:[0,0,1] neg_hi:[0,0,1]
	v_mov_b32_e32 v59, v65
	s_delay_alu instid0(VALU_DEP_3) | instskip(NEXT) | instid1(VALU_DEP_2)
	v_cmp_lt_u32_e32 vcc_lo, 5, v57
	v_pk_add_f32 v[52:53], v[52:53], v[58:59]
	s_or_b32 s3, vcc_lo, s3
	s_delay_alu instid0(SALU_CYCLE_1)
	s_and_not1_b32 exec_lo, exec_lo, s3
	s_cbranch_execnz .LBB23_297
; %bb.298:
	s_or_b32 exec_lo, exec_lo, s3
.LBB23_299:
	s_delay_alu instid0(SALU_CYCLE_1) | instskip(SKIP_4) | instid1(VALU_DEP_1)
	s_or_b32 exec_lo, exec_lo, s2
	v_mov_b32_e32 v55, 0
	ds_load_b64 v[56:57], v55 offset:56
	s_wait_dscnt 0x0
	v_pk_mul_f32 v[58:59], v[52:53], v[56:57] op_sel:[1,1] op_sel_hi:[0,1]
	v_pk_fma_f32 v[60:61], v[52:53], v[56:57], v[58:59] op_sel_hi:[1,0,1]
	v_pk_fma_f32 v[52:53], v[52:53], v[56:57], v[58:59] neg_lo:[0,0,1] neg_hi:[0,0,1]
	s_delay_alu instid0(VALU_DEP_2)
	v_mov_b32_e32 v53, v61
	scratch_store_b64 off, v[52:53], off offset:56
.LBB23_300:
	s_wait_xcnt 0x0
	s_or_b32 exec_lo, exec_lo, s0
	scratch_load_b64 v[52:53], off, off offset:64
	s_mov_b32 s0, exec_lo
	s_wait_loadcnt 0x0
	ds_store_b64 v1, v[52:53]
	s_wait_storecnt_dscnt 0x0
	s_barrier_signal -1
	s_barrier_wait -1
	s_wait_xcnt 0x0
	v_cmpx_gt_u32_e32 8, v0
	s_cbranch_execz .LBB23_310
; %bb.301:
	v_cmp_ne_u32_e32 vcc_lo, 1, v54
	s_cbranch_vccnz .LBB23_303
; %bb.302:
	scratch_load_b64 v[52:53], v43, off
	ds_load_b64 v[56:57], v1
	s_wait_loadcnt_dscnt 0x0
	v_pk_mul_f32 v[58:59], v[56:57], v[52:53] op_sel:[1,1] op_sel_hi:[0,1]
	s_delay_alu instid0(VALU_DEP_1) | instskip(SKIP_1) | instid1(VALU_DEP_2)
	v_pk_fma_f32 v[60:61], v[56:57], v[52:53], v[58:59] op_sel_hi:[1,0,1]
	v_pk_fma_f32 v[52:53], v[56:57], v[52:53], v[58:59] neg_lo:[0,0,1] neg_hi:[0,0,1]
	v_mov_b32_e32 v53, v61
	s_cbranch_execz .LBB23_304
	s_branch .LBB23_305
.LBB23_303:
                                        ; implicit-def: $vgpr52_vgpr53
.LBB23_304:
	ds_load_b64 v[52:53], v1
.LBB23_305:
	s_mov_b32 s2, exec_lo
	v_cmpx_ne_u32_e32 7, v0
	s_cbranch_execz .LBB23_309
; %bb.306:
	v_add_nc_u32_e32 v55, 0xc8, v42
	v_add3_u32 v56, 0, v42, 8
	v_mov_b32_e32 v57, v0
	s_mov_b32 s3, 0
.LBB23_307:                             ; =>This Inner Loop Header: Depth=1
	scratch_load_b64 v[58:59], v56, off
	ds_load_b64 v[60:61], v55
	s_wait_xcnt 0x0
	v_dual_add_nc_u32 v55, 8, v55 :: v_dual_add_nc_u32 v56, 8, v56
	s_wait_loadcnt_dscnt 0x0
	v_pk_mul_f32 v[62:63], v[60:61], v[58:59] op_sel:[1,1] op_sel_hi:[0,1]
	s_delay_alu instid0(VALU_DEP_1) | instskip(SKIP_2) | instid1(VALU_DEP_3)
	v_pk_fma_f32 v[64:65], v[60:61], v[58:59], v[62:63] op_sel_hi:[1,0,1]
	v_add_nc_u32_e32 v57, 1, v57
	v_pk_fma_f32 v[58:59], v[60:61], v[58:59], v[62:63] neg_lo:[0,0,1] neg_hi:[0,0,1]
	v_mov_b32_e32 v59, v65
	s_delay_alu instid0(VALU_DEP_3) | instskip(NEXT) | instid1(VALU_DEP_2)
	v_cmp_lt_u32_e32 vcc_lo, 6, v57
	v_pk_add_f32 v[52:53], v[52:53], v[58:59]
	s_or_b32 s3, vcc_lo, s3
	s_delay_alu instid0(SALU_CYCLE_1)
	s_and_not1_b32 exec_lo, exec_lo, s3
	s_cbranch_execnz .LBB23_307
; %bb.308:
	s_or_b32 exec_lo, exec_lo, s3
.LBB23_309:
	s_delay_alu instid0(SALU_CYCLE_1) | instskip(SKIP_4) | instid1(VALU_DEP_1)
	s_or_b32 exec_lo, exec_lo, s2
	v_mov_b32_e32 v55, 0
	ds_load_b64 v[56:57], v55 offset:64
	s_wait_dscnt 0x0
	v_pk_mul_f32 v[58:59], v[52:53], v[56:57] op_sel:[1,1] op_sel_hi:[0,1]
	v_pk_fma_f32 v[60:61], v[52:53], v[56:57], v[58:59] op_sel_hi:[1,0,1]
	v_pk_fma_f32 v[52:53], v[52:53], v[56:57], v[58:59] neg_lo:[0,0,1] neg_hi:[0,0,1]
	s_delay_alu instid0(VALU_DEP_2)
	v_mov_b32_e32 v53, v61
	scratch_store_b64 off, v[52:53], off offset:64
.LBB23_310:
	s_wait_xcnt 0x0
	s_or_b32 exec_lo, exec_lo, s0
	scratch_load_b64 v[52:53], off, off offset:72
	s_mov_b32 s0, exec_lo
	s_wait_loadcnt 0x0
	ds_store_b64 v1, v[52:53]
	s_wait_storecnt_dscnt 0x0
	s_barrier_signal -1
	s_barrier_wait -1
	s_wait_xcnt 0x0
	v_cmpx_gt_u32_e32 9, v0
	s_cbranch_execz .LBB23_320
; %bb.311:
	v_cmp_ne_u32_e32 vcc_lo, 1, v54
	s_cbranch_vccnz .LBB23_313
; %bb.312:
	scratch_load_b64 v[52:53], v43, off
	ds_load_b64 v[56:57], v1
	s_wait_loadcnt_dscnt 0x0
	v_pk_mul_f32 v[58:59], v[56:57], v[52:53] op_sel:[1,1] op_sel_hi:[0,1]
	s_delay_alu instid0(VALU_DEP_1) | instskip(SKIP_1) | instid1(VALU_DEP_2)
	v_pk_fma_f32 v[60:61], v[56:57], v[52:53], v[58:59] op_sel_hi:[1,0,1]
	v_pk_fma_f32 v[52:53], v[56:57], v[52:53], v[58:59] neg_lo:[0,0,1] neg_hi:[0,0,1]
	v_mov_b32_e32 v53, v61
	s_cbranch_execz .LBB23_314
	s_branch .LBB23_315
.LBB23_313:
                                        ; implicit-def: $vgpr52_vgpr53
.LBB23_314:
	ds_load_b64 v[52:53], v1
.LBB23_315:
	s_mov_b32 s2, exec_lo
	v_cmpx_ne_u32_e32 8, v0
	s_cbranch_execz .LBB23_319
; %bb.316:
	v_add_nc_u32_e32 v55, 0xc8, v42
	v_add3_u32 v56, 0, v42, 8
	v_mov_b32_e32 v57, v0
	s_mov_b32 s3, 0
.LBB23_317:                             ; =>This Inner Loop Header: Depth=1
	scratch_load_b64 v[58:59], v56, off
	ds_load_b64 v[60:61], v55
	s_wait_xcnt 0x0
	v_dual_add_nc_u32 v55, 8, v55 :: v_dual_add_nc_u32 v56, 8, v56
	s_wait_loadcnt_dscnt 0x0
	v_pk_mul_f32 v[62:63], v[60:61], v[58:59] op_sel:[1,1] op_sel_hi:[0,1]
	s_delay_alu instid0(VALU_DEP_1) | instskip(SKIP_2) | instid1(VALU_DEP_3)
	v_pk_fma_f32 v[64:65], v[60:61], v[58:59], v[62:63] op_sel_hi:[1,0,1]
	v_add_nc_u32_e32 v57, 1, v57
	v_pk_fma_f32 v[58:59], v[60:61], v[58:59], v[62:63] neg_lo:[0,0,1] neg_hi:[0,0,1]
	v_mov_b32_e32 v59, v65
	s_delay_alu instid0(VALU_DEP_3) | instskip(NEXT) | instid1(VALU_DEP_2)
	v_cmp_lt_u32_e32 vcc_lo, 7, v57
	v_pk_add_f32 v[52:53], v[52:53], v[58:59]
	s_or_b32 s3, vcc_lo, s3
	s_delay_alu instid0(SALU_CYCLE_1)
	s_and_not1_b32 exec_lo, exec_lo, s3
	s_cbranch_execnz .LBB23_317
; %bb.318:
	s_or_b32 exec_lo, exec_lo, s3
.LBB23_319:
	s_delay_alu instid0(SALU_CYCLE_1) | instskip(SKIP_4) | instid1(VALU_DEP_1)
	s_or_b32 exec_lo, exec_lo, s2
	v_mov_b32_e32 v55, 0
	ds_load_b64 v[56:57], v55 offset:72
	s_wait_dscnt 0x0
	v_pk_mul_f32 v[58:59], v[52:53], v[56:57] op_sel:[1,1] op_sel_hi:[0,1]
	v_pk_fma_f32 v[60:61], v[52:53], v[56:57], v[58:59] op_sel_hi:[1,0,1]
	v_pk_fma_f32 v[52:53], v[52:53], v[56:57], v[58:59] neg_lo:[0,0,1] neg_hi:[0,0,1]
	s_delay_alu instid0(VALU_DEP_2)
	v_mov_b32_e32 v53, v61
	scratch_store_b64 off, v[52:53], off offset:72
.LBB23_320:
	s_wait_xcnt 0x0
	s_or_b32 exec_lo, exec_lo, s0
	scratch_load_b64 v[52:53], off, off offset:80
	s_mov_b32 s0, exec_lo
	s_wait_loadcnt 0x0
	ds_store_b64 v1, v[52:53]
	s_wait_storecnt_dscnt 0x0
	s_barrier_signal -1
	s_barrier_wait -1
	s_wait_xcnt 0x0
	v_cmpx_gt_u32_e32 10, v0
	s_cbranch_execz .LBB23_330
; %bb.321:
	v_cmp_ne_u32_e32 vcc_lo, 1, v54
	s_cbranch_vccnz .LBB23_323
; %bb.322:
	scratch_load_b64 v[52:53], v43, off
	ds_load_b64 v[56:57], v1
	s_wait_loadcnt_dscnt 0x0
	v_pk_mul_f32 v[58:59], v[56:57], v[52:53] op_sel:[1,1] op_sel_hi:[0,1]
	s_delay_alu instid0(VALU_DEP_1) | instskip(SKIP_1) | instid1(VALU_DEP_2)
	v_pk_fma_f32 v[60:61], v[56:57], v[52:53], v[58:59] op_sel_hi:[1,0,1]
	v_pk_fma_f32 v[52:53], v[56:57], v[52:53], v[58:59] neg_lo:[0,0,1] neg_hi:[0,0,1]
	v_mov_b32_e32 v53, v61
	s_cbranch_execz .LBB23_324
	s_branch .LBB23_325
.LBB23_323:
                                        ; implicit-def: $vgpr52_vgpr53
.LBB23_324:
	ds_load_b64 v[52:53], v1
.LBB23_325:
	s_mov_b32 s2, exec_lo
	v_cmpx_ne_u32_e32 9, v0
	s_cbranch_execz .LBB23_329
; %bb.326:
	v_add_nc_u32_e32 v55, 0xc8, v42
	v_add3_u32 v56, 0, v42, 8
	v_mov_b32_e32 v57, v0
	s_mov_b32 s3, 0
.LBB23_327:                             ; =>This Inner Loop Header: Depth=1
	scratch_load_b64 v[58:59], v56, off
	ds_load_b64 v[60:61], v55
	s_wait_xcnt 0x0
	v_dual_add_nc_u32 v55, 8, v55 :: v_dual_add_nc_u32 v56, 8, v56
	s_wait_loadcnt_dscnt 0x0
	v_pk_mul_f32 v[62:63], v[60:61], v[58:59] op_sel:[1,1] op_sel_hi:[0,1]
	s_delay_alu instid0(VALU_DEP_1) | instskip(SKIP_2) | instid1(VALU_DEP_3)
	v_pk_fma_f32 v[64:65], v[60:61], v[58:59], v[62:63] op_sel_hi:[1,0,1]
	v_add_nc_u32_e32 v57, 1, v57
	v_pk_fma_f32 v[58:59], v[60:61], v[58:59], v[62:63] neg_lo:[0,0,1] neg_hi:[0,0,1]
	v_mov_b32_e32 v59, v65
	s_delay_alu instid0(VALU_DEP_3) | instskip(NEXT) | instid1(VALU_DEP_2)
	v_cmp_lt_u32_e32 vcc_lo, 8, v57
	v_pk_add_f32 v[52:53], v[52:53], v[58:59]
	s_or_b32 s3, vcc_lo, s3
	s_delay_alu instid0(SALU_CYCLE_1)
	s_and_not1_b32 exec_lo, exec_lo, s3
	s_cbranch_execnz .LBB23_327
; %bb.328:
	s_or_b32 exec_lo, exec_lo, s3
.LBB23_329:
	s_delay_alu instid0(SALU_CYCLE_1) | instskip(SKIP_4) | instid1(VALU_DEP_1)
	s_or_b32 exec_lo, exec_lo, s2
	v_mov_b32_e32 v55, 0
	ds_load_b64 v[56:57], v55 offset:80
	s_wait_dscnt 0x0
	v_pk_mul_f32 v[58:59], v[52:53], v[56:57] op_sel:[1,1] op_sel_hi:[0,1]
	v_pk_fma_f32 v[60:61], v[52:53], v[56:57], v[58:59] op_sel_hi:[1,0,1]
	v_pk_fma_f32 v[52:53], v[52:53], v[56:57], v[58:59] neg_lo:[0,0,1] neg_hi:[0,0,1]
	s_delay_alu instid0(VALU_DEP_2)
	v_mov_b32_e32 v53, v61
	scratch_store_b64 off, v[52:53], off offset:80
.LBB23_330:
	s_wait_xcnt 0x0
	s_or_b32 exec_lo, exec_lo, s0
	scratch_load_b64 v[52:53], off, off offset:88
	s_mov_b32 s0, exec_lo
	s_wait_loadcnt 0x0
	ds_store_b64 v1, v[52:53]
	s_wait_storecnt_dscnt 0x0
	s_barrier_signal -1
	s_barrier_wait -1
	s_wait_xcnt 0x0
	v_cmpx_gt_u32_e32 11, v0
	s_cbranch_execz .LBB23_340
; %bb.331:
	v_cmp_ne_u32_e32 vcc_lo, 1, v54
	s_cbranch_vccnz .LBB23_333
; %bb.332:
	scratch_load_b64 v[52:53], v43, off
	ds_load_b64 v[56:57], v1
	s_wait_loadcnt_dscnt 0x0
	v_pk_mul_f32 v[58:59], v[56:57], v[52:53] op_sel:[1,1] op_sel_hi:[0,1]
	s_delay_alu instid0(VALU_DEP_1) | instskip(SKIP_1) | instid1(VALU_DEP_2)
	v_pk_fma_f32 v[60:61], v[56:57], v[52:53], v[58:59] op_sel_hi:[1,0,1]
	v_pk_fma_f32 v[52:53], v[56:57], v[52:53], v[58:59] neg_lo:[0,0,1] neg_hi:[0,0,1]
	v_mov_b32_e32 v53, v61
	s_cbranch_execz .LBB23_334
	s_branch .LBB23_335
.LBB23_333:
                                        ; implicit-def: $vgpr52_vgpr53
.LBB23_334:
	ds_load_b64 v[52:53], v1
.LBB23_335:
	s_mov_b32 s2, exec_lo
	v_cmpx_ne_u32_e32 10, v0
	s_cbranch_execz .LBB23_339
; %bb.336:
	v_add_nc_u32_e32 v55, 0xc8, v42
	v_add3_u32 v56, 0, v42, 8
	v_mov_b32_e32 v57, v0
	s_mov_b32 s3, 0
.LBB23_337:                             ; =>This Inner Loop Header: Depth=1
	scratch_load_b64 v[58:59], v56, off
	ds_load_b64 v[60:61], v55
	s_wait_xcnt 0x0
	v_dual_add_nc_u32 v55, 8, v55 :: v_dual_add_nc_u32 v56, 8, v56
	s_wait_loadcnt_dscnt 0x0
	v_pk_mul_f32 v[62:63], v[60:61], v[58:59] op_sel:[1,1] op_sel_hi:[0,1]
	s_delay_alu instid0(VALU_DEP_1) | instskip(SKIP_2) | instid1(VALU_DEP_3)
	v_pk_fma_f32 v[64:65], v[60:61], v[58:59], v[62:63] op_sel_hi:[1,0,1]
	v_add_nc_u32_e32 v57, 1, v57
	v_pk_fma_f32 v[58:59], v[60:61], v[58:59], v[62:63] neg_lo:[0,0,1] neg_hi:[0,0,1]
	v_mov_b32_e32 v59, v65
	s_delay_alu instid0(VALU_DEP_3) | instskip(NEXT) | instid1(VALU_DEP_2)
	v_cmp_lt_u32_e32 vcc_lo, 9, v57
	v_pk_add_f32 v[52:53], v[52:53], v[58:59]
	s_or_b32 s3, vcc_lo, s3
	s_delay_alu instid0(SALU_CYCLE_1)
	s_and_not1_b32 exec_lo, exec_lo, s3
	s_cbranch_execnz .LBB23_337
; %bb.338:
	s_or_b32 exec_lo, exec_lo, s3
.LBB23_339:
	s_delay_alu instid0(SALU_CYCLE_1) | instskip(SKIP_4) | instid1(VALU_DEP_1)
	s_or_b32 exec_lo, exec_lo, s2
	v_mov_b32_e32 v55, 0
	ds_load_b64 v[56:57], v55 offset:88
	s_wait_dscnt 0x0
	v_pk_mul_f32 v[58:59], v[52:53], v[56:57] op_sel:[1,1] op_sel_hi:[0,1]
	v_pk_fma_f32 v[60:61], v[52:53], v[56:57], v[58:59] op_sel_hi:[1,0,1]
	v_pk_fma_f32 v[52:53], v[52:53], v[56:57], v[58:59] neg_lo:[0,0,1] neg_hi:[0,0,1]
	s_delay_alu instid0(VALU_DEP_2)
	v_mov_b32_e32 v53, v61
	scratch_store_b64 off, v[52:53], off offset:88
.LBB23_340:
	s_wait_xcnt 0x0
	s_or_b32 exec_lo, exec_lo, s0
	scratch_load_b64 v[52:53], off, off offset:96
	s_mov_b32 s0, exec_lo
	s_wait_loadcnt 0x0
	ds_store_b64 v1, v[52:53]
	s_wait_storecnt_dscnt 0x0
	s_barrier_signal -1
	s_barrier_wait -1
	s_wait_xcnt 0x0
	v_cmpx_gt_u32_e32 12, v0
	s_cbranch_execz .LBB23_350
; %bb.341:
	v_cmp_ne_u32_e32 vcc_lo, 1, v54
	s_cbranch_vccnz .LBB23_343
; %bb.342:
	scratch_load_b64 v[52:53], v43, off
	ds_load_b64 v[56:57], v1
	s_wait_loadcnt_dscnt 0x0
	v_pk_mul_f32 v[58:59], v[56:57], v[52:53] op_sel:[1,1] op_sel_hi:[0,1]
	s_delay_alu instid0(VALU_DEP_1) | instskip(SKIP_1) | instid1(VALU_DEP_2)
	v_pk_fma_f32 v[60:61], v[56:57], v[52:53], v[58:59] op_sel_hi:[1,0,1]
	v_pk_fma_f32 v[52:53], v[56:57], v[52:53], v[58:59] neg_lo:[0,0,1] neg_hi:[0,0,1]
	v_mov_b32_e32 v53, v61
	s_cbranch_execz .LBB23_344
	s_branch .LBB23_345
.LBB23_343:
                                        ; implicit-def: $vgpr52_vgpr53
.LBB23_344:
	ds_load_b64 v[52:53], v1
.LBB23_345:
	s_mov_b32 s2, exec_lo
	v_cmpx_ne_u32_e32 11, v0
	s_cbranch_execz .LBB23_349
; %bb.346:
	v_add_nc_u32_e32 v55, 0xc8, v42
	v_add3_u32 v56, 0, v42, 8
	v_mov_b32_e32 v57, v0
	s_mov_b32 s3, 0
.LBB23_347:                             ; =>This Inner Loop Header: Depth=1
	scratch_load_b64 v[58:59], v56, off
	ds_load_b64 v[60:61], v55
	s_wait_xcnt 0x0
	v_dual_add_nc_u32 v55, 8, v55 :: v_dual_add_nc_u32 v56, 8, v56
	s_wait_loadcnt_dscnt 0x0
	v_pk_mul_f32 v[62:63], v[60:61], v[58:59] op_sel:[1,1] op_sel_hi:[0,1]
	s_delay_alu instid0(VALU_DEP_1) | instskip(SKIP_2) | instid1(VALU_DEP_3)
	v_pk_fma_f32 v[64:65], v[60:61], v[58:59], v[62:63] op_sel_hi:[1,0,1]
	v_add_nc_u32_e32 v57, 1, v57
	v_pk_fma_f32 v[58:59], v[60:61], v[58:59], v[62:63] neg_lo:[0,0,1] neg_hi:[0,0,1]
	v_mov_b32_e32 v59, v65
	s_delay_alu instid0(VALU_DEP_3) | instskip(NEXT) | instid1(VALU_DEP_2)
	v_cmp_lt_u32_e32 vcc_lo, 10, v57
	v_pk_add_f32 v[52:53], v[52:53], v[58:59]
	s_or_b32 s3, vcc_lo, s3
	s_delay_alu instid0(SALU_CYCLE_1)
	s_and_not1_b32 exec_lo, exec_lo, s3
	s_cbranch_execnz .LBB23_347
; %bb.348:
	s_or_b32 exec_lo, exec_lo, s3
.LBB23_349:
	s_delay_alu instid0(SALU_CYCLE_1) | instskip(SKIP_4) | instid1(VALU_DEP_1)
	s_or_b32 exec_lo, exec_lo, s2
	v_mov_b32_e32 v55, 0
	ds_load_b64 v[56:57], v55 offset:96
	s_wait_dscnt 0x0
	v_pk_mul_f32 v[58:59], v[52:53], v[56:57] op_sel:[1,1] op_sel_hi:[0,1]
	v_pk_fma_f32 v[60:61], v[52:53], v[56:57], v[58:59] op_sel_hi:[1,0,1]
	v_pk_fma_f32 v[52:53], v[52:53], v[56:57], v[58:59] neg_lo:[0,0,1] neg_hi:[0,0,1]
	s_delay_alu instid0(VALU_DEP_2)
	v_mov_b32_e32 v53, v61
	scratch_store_b64 off, v[52:53], off offset:96
.LBB23_350:
	s_wait_xcnt 0x0
	s_or_b32 exec_lo, exec_lo, s0
	scratch_load_b64 v[52:53], off, off offset:104
	s_mov_b32 s0, exec_lo
	s_wait_loadcnt 0x0
	ds_store_b64 v1, v[52:53]
	s_wait_storecnt_dscnt 0x0
	s_barrier_signal -1
	s_barrier_wait -1
	s_wait_xcnt 0x0
	v_cmpx_gt_u32_e32 13, v0
	s_cbranch_execz .LBB23_360
; %bb.351:
	v_cmp_ne_u32_e32 vcc_lo, 1, v54
	s_cbranch_vccnz .LBB23_353
; %bb.352:
	scratch_load_b64 v[52:53], v43, off
	ds_load_b64 v[56:57], v1
	s_wait_loadcnt_dscnt 0x0
	v_pk_mul_f32 v[58:59], v[56:57], v[52:53] op_sel:[1,1] op_sel_hi:[0,1]
	s_delay_alu instid0(VALU_DEP_1) | instskip(SKIP_1) | instid1(VALU_DEP_2)
	v_pk_fma_f32 v[60:61], v[56:57], v[52:53], v[58:59] op_sel_hi:[1,0,1]
	v_pk_fma_f32 v[52:53], v[56:57], v[52:53], v[58:59] neg_lo:[0,0,1] neg_hi:[0,0,1]
	v_mov_b32_e32 v53, v61
	s_cbranch_execz .LBB23_354
	s_branch .LBB23_355
.LBB23_353:
                                        ; implicit-def: $vgpr52_vgpr53
.LBB23_354:
	ds_load_b64 v[52:53], v1
.LBB23_355:
	s_mov_b32 s2, exec_lo
	v_cmpx_ne_u32_e32 12, v0
	s_cbranch_execz .LBB23_359
; %bb.356:
	v_add_nc_u32_e32 v55, 0xc8, v42
	v_add3_u32 v56, 0, v42, 8
	v_mov_b32_e32 v57, v0
	s_mov_b32 s3, 0
.LBB23_357:                             ; =>This Inner Loop Header: Depth=1
	scratch_load_b64 v[58:59], v56, off
	ds_load_b64 v[60:61], v55
	s_wait_xcnt 0x0
	v_dual_add_nc_u32 v55, 8, v55 :: v_dual_add_nc_u32 v56, 8, v56
	s_wait_loadcnt_dscnt 0x0
	v_pk_mul_f32 v[62:63], v[60:61], v[58:59] op_sel:[1,1] op_sel_hi:[0,1]
	s_delay_alu instid0(VALU_DEP_1) | instskip(SKIP_2) | instid1(VALU_DEP_3)
	v_pk_fma_f32 v[64:65], v[60:61], v[58:59], v[62:63] op_sel_hi:[1,0,1]
	v_add_nc_u32_e32 v57, 1, v57
	v_pk_fma_f32 v[58:59], v[60:61], v[58:59], v[62:63] neg_lo:[0,0,1] neg_hi:[0,0,1]
	v_mov_b32_e32 v59, v65
	s_delay_alu instid0(VALU_DEP_3) | instskip(NEXT) | instid1(VALU_DEP_2)
	v_cmp_lt_u32_e32 vcc_lo, 11, v57
	v_pk_add_f32 v[52:53], v[52:53], v[58:59]
	s_or_b32 s3, vcc_lo, s3
	s_delay_alu instid0(SALU_CYCLE_1)
	s_and_not1_b32 exec_lo, exec_lo, s3
	s_cbranch_execnz .LBB23_357
; %bb.358:
	s_or_b32 exec_lo, exec_lo, s3
.LBB23_359:
	s_delay_alu instid0(SALU_CYCLE_1) | instskip(SKIP_4) | instid1(VALU_DEP_1)
	s_or_b32 exec_lo, exec_lo, s2
	v_mov_b32_e32 v55, 0
	ds_load_b64 v[56:57], v55 offset:104
	s_wait_dscnt 0x0
	v_pk_mul_f32 v[58:59], v[52:53], v[56:57] op_sel:[1,1] op_sel_hi:[0,1]
	v_pk_fma_f32 v[60:61], v[52:53], v[56:57], v[58:59] op_sel_hi:[1,0,1]
	v_pk_fma_f32 v[52:53], v[52:53], v[56:57], v[58:59] neg_lo:[0,0,1] neg_hi:[0,0,1]
	s_delay_alu instid0(VALU_DEP_2)
	v_mov_b32_e32 v53, v61
	scratch_store_b64 off, v[52:53], off offset:104
.LBB23_360:
	s_wait_xcnt 0x0
	s_or_b32 exec_lo, exec_lo, s0
	scratch_load_b64 v[52:53], off, off offset:112
	s_mov_b32 s0, exec_lo
	s_wait_loadcnt 0x0
	ds_store_b64 v1, v[52:53]
	s_wait_storecnt_dscnt 0x0
	s_barrier_signal -1
	s_barrier_wait -1
	s_wait_xcnt 0x0
	v_cmpx_gt_u32_e32 14, v0
	s_cbranch_execz .LBB23_370
; %bb.361:
	v_cmp_ne_u32_e32 vcc_lo, 1, v54
	s_cbranch_vccnz .LBB23_363
; %bb.362:
	scratch_load_b64 v[52:53], v43, off
	ds_load_b64 v[56:57], v1
	s_wait_loadcnt_dscnt 0x0
	v_pk_mul_f32 v[58:59], v[56:57], v[52:53] op_sel:[1,1] op_sel_hi:[0,1]
	s_delay_alu instid0(VALU_DEP_1) | instskip(SKIP_1) | instid1(VALU_DEP_2)
	v_pk_fma_f32 v[60:61], v[56:57], v[52:53], v[58:59] op_sel_hi:[1,0,1]
	v_pk_fma_f32 v[52:53], v[56:57], v[52:53], v[58:59] neg_lo:[0,0,1] neg_hi:[0,0,1]
	v_mov_b32_e32 v53, v61
	s_cbranch_execz .LBB23_364
	s_branch .LBB23_365
.LBB23_363:
                                        ; implicit-def: $vgpr52_vgpr53
.LBB23_364:
	ds_load_b64 v[52:53], v1
.LBB23_365:
	s_mov_b32 s2, exec_lo
	v_cmpx_ne_u32_e32 13, v0
	s_cbranch_execz .LBB23_369
; %bb.366:
	v_add_nc_u32_e32 v55, 0xc8, v42
	v_add3_u32 v56, 0, v42, 8
	v_mov_b32_e32 v57, v0
	s_mov_b32 s3, 0
.LBB23_367:                             ; =>This Inner Loop Header: Depth=1
	scratch_load_b64 v[58:59], v56, off
	ds_load_b64 v[60:61], v55
	s_wait_xcnt 0x0
	v_dual_add_nc_u32 v55, 8, v55 :: v_dual_add_nc_u32 v56, 8, v56
	s_wait_loadcnt_dscnt 0x0
	v_pk_mul_f32 v[62:63], v[60:61], v[58:59] op_sel:[1,1] op_sel_hi:[0,1]
	s_delay_alu instid0(VALU_DEP_1) | instskip(SKIP_2) | instid1(VALU_DEP_3)
	v_pk_fma_f32 v[64:65], v[60:61], v[58:59], v[62:63] op_sel_hi:[1,0,1]
	v_add_nc_u32_e32 v57, 1, v57
	v_pk_fma_f32 v[58:59], v[60:61], v[58:59], v[62:63] neg_lo:[0,0,1] neg_hi:[0,0,1]
	v_mov_b32_e32 v59, v65
	s_delay_alu instid0(VALU_DEP_3) | instskip(NEXT) | instid1(VALU_DEP_2)
	v_cmp_lt_u32_e32 vcc_lo, 12, v57
	v_pk_add_f32 v[52:53], v[52:53], v[58:59]
	s_or_b32 s3, vcc_lo, s3
	s_delay_alu instid0(SALU_CYCLE_1)
	s_and_not1_b32 exec_lo, exec_lo, s3
	s_cbranch_execnz .LBB23_367
; %bb.368:
	s_or_b32 exec_lo, exec_lo, s3
.LBB23_369:
	s_delay_alu instid0(SALU_CYCLE_1) | instskip(SKIP_4) | instid1(VALU_DEP_1)
	s_or_b32 exec_lo, exec_lo, s2
	v_mov_b32_e32 v55, 0
	ds_load_b64 v[56:57], v55 offset:112
	s_wait_dscnt 0x0
	v_pk_mul_f32 v[58:59], v[52:53], v[56:57] op_sel:[1,1] op_sel_hi:[0,1]
	v_pk_fma_f32 v[60:61], v[52:53], v[56:57], v[58:59] op_sel_hi:[1,0,1]
	v_pk_fma_f32 v[52:53], v[52:53], v[56:57], v[58:59] neg_lo:[0,0,1] neg_hi:[0,0,1]
	s_delay_alu instid0(VALU_DEP_2)
	v_mov_b32_e32 v53, v61
	scratch_store_b64 off, v[52:53], off offset:112
.LBB23_370:
	s_wait_xcnt 0x0
	s_or_b32 exec_lo, exec_lo, s0
	scratch_load_b64 v[52:53], off, off offset:120
	s_mov_b32 s0, exec_lo
	s_wait_loadcnt 0x0
	ds_store_b64 v1, v[52:53]
	s_wait_storecnt_dscnt 0x0
	s_barrier_signal -1
	s_barrier_wait -1
	s_wait_xcnt 0x0
	v_cmpx_gt_u32_e32 15, v0
	s_cbranch_execz .LBB23_380
; %bb.371:
	v_cmp_ne_u32_e32 vcc_lo, 1, v54
	s_cbranch_vccnz .LBB23_373
; %bb.372:
	scratch_load_b64 v[52:53], v43, off
	ds_load_b64 v[56:57], v1
	s_wait_loadcnt_dscnt 0x0
	v_pk_mul_f32 v[58:59], v[56:57], v[52:53] op_sel:[1,1] op_sel_hi:[0,1]
	s_delay_alu instid0(VALU_DEP_1) | instskip(SKIP_1) | instid1(VALU_DEP_2)
	v_pk_fma_f32 v[60:61], v[56:57], v[52:53], v[58:59] op_sel_hi:[1,0,1]
	v_pk_fma_f32 v[52:53], v[56:57], v[52:53], v[58:59] neg_lo:[0,0,1] neg_hi:[0,0,1]
	v_mov_b32_e32 v53, v61
	s_cbranch_execz .LBB23_374
	s_branch .LBB23_375
.LBB23_373:
                                        ; implicit-def: $vgpr52_vgpr53
.LBB23_374:
	ds_load_b64 v[52:53], v1
.LBB23_375:
	s_mov_b32 s2, exec_lo
	v_cmpx_ne_u32_e32 14, v0
	s_cbranch_execz .LBB23_379
; %bb.376:
	v_add_nc_u32_e32 v55, 0xc8, v42
	v_add3_u32 v56, 0, v42, 8
	v_mov_b32_e32 v57, v0
	s_mov_b32 s3, 0
.LBB23_377:                             ; =>This Inner Loop Header: Depth=1
	scratch_load_b64 v[58:59], v56, off
	ds_load_b64 v[60:61], v55
	s_wait_xcnt 0x0
	v_dual_add_nc_u32 v55, 8, v55 :: v_dual_add_nc_u32 v56, 8, v56
	s_wait_loadcnt_dscnt 0x0
	v_pk_mul_f32 v[62:63], v[60:61], v[58:59] op_sel:[1,1] op_sel_hi:[0,1]
	s_delay_alu instid0(VALU_DEP_1) | instskip(SKIP_2) | instid1(VALU_DEP_3)
	v_pk_fma_f32 v[64:65], v[60:61], v[58:59], v[62:63] op_sel_hi:[1,0,1]
	v_add_nc_u32_e32 v57, 1, v57
	v_pk_fma_f32 v[58:59], v[60:61], v[58:59], v[62:63] neg_lo:[0,0,1] neg_hi:[0,0,1]
	v_mov_b32_e32 v59, v65
	s_delay_alu instid0(VALU_DEP_3) | instskip(NEXT) | instid1(VALU_DEP_2)
	v_cmp_lt_u32_e32 vcc_lo, 13, v57
	v_pk_add_f32 v[52:53], v[52:53], v[58:59]
	s_or_b32 s3, vcc_lo, s3
	s_delay_alu instid0(SALU_CYCLE_1)
	s_and_not1_b32 exec_lo, exec_lo, s3
	s_cbranch_execnz .LBB23_377
; %bb.378:
	s_or_b32 exec_lo, exec_lo, s3
.LBB23_379:
	s_delay_alu instid0(SALU_CYCLE_1) | instskip(SKIP_4) | instid1(VALU_DEP_1)
	s_or_b32 exec_lo, exec_lo, s2
	v_mov_b32_e32 v55, 0
	ds_load_b64 v[56:57], v55 offset:120
	s_wait_dscnt 0x0
	v_pk_mul_f32 v[58:59], v[52:53], v[56:57] op_sel:[1,1] op_sel_hi:[0,1]
	v_pk_fma_f32 v[60:61], v[52:53], v[56:57], v[58:59] op_sel_hi:[1,0,1]
	v_pk_fma_f32 v[52:53], v[52:53], v[56:57], v[58:59] neg_lo:[0,0,1] neg_hi:[0,0,1]
	s_delay_alu instid0(VALU_DEP_2)
	v_mov_b32_e32 v53, v61
	scratch_store_b64 off, v[52:53], off offset:120
.LBB23_380:
	s_wait_xcnt 0x0
	s_or_b32 exec_lo, exec_lo, s0
	scratch_load_b64 v[52:53], off, off offset:128
	s_mov_b32 s0, exec_lo
	s_wait_loadcnt 0x0
	ds_store_b64 v1, v[52:53]
	s_wait_storecnt_dscnt 0x0
	s_barrier_signal -1
	s_barrier_wait -1
	s_wait_xcnt 0x0
	v_cmpx_gt_u32_e32 16, v0
	s_cbranch_execz .LBB23_390
; %bb.381:
	v_cmp_ne_u32_e32 vcc_lo, 1, v54
	s_cbranch_vccnz .LBB23_383
; %bb.382:
	scratch_load_b64 v[52:53], v43, off
	ds_load_b64 v[56:57], v1
	s_wait_loadcnt_dscnt 0x0
	v_pk_mul_f32 v[58:59], v[56:57], v[52:53] op_sel:[1,1] op_sel_hi:[0,1]
	s_delay_alu instid0(VALU_DEP_1) | instskip(SKIP_1) | instid1(VALU_DEP_2)
	v_pk_fma_f32 v[60:61], v[56:57], v[52:53], v[58:59] op_sel_hi:[1,0,1]
	v_pk_fma_f32 v[52:53], v[56:57], v[52:53], v[58:59] neg_lo:[0,0,1] neg_hi:[0,0,1]
	v_mov_b32_e32 v53, v61
	s_cbranch_execz .LBB23_384
	s_branch .LBB23_385
.LBB23_383:
                                        ; implicit-def: $vgpr52_vgpr53
.LBB23_384:
	ds_load_b64 v[52:53], v1
.LBB23_385:
	s_mov_b32 s2, exec_lo
	v_cmpx_ne_u32_e32 15, v0
	s_cbranch_execz .LBB23_389
; %bb.386:
	v_add_nc_u32_e32 v55, 0xc8, v42
	v_add3_u32 v56, 0, v42, 8
	v_mov_b32_e32 v57, v0
	s_mov_b32 s3, 0
.LBB23_387:                             ; =>This Inner Loop Header: Depth=1
	scratch_load_b64 v[58:59], v56, off
	ds_load_b64 v[60:61], v55
	s_wait_xcnt 0x0
	v_dual_add_nc_u32 v55, 8, v55 :: v_dual_add_nc_u32 v56, 8, v56
	s_wait_loadcnt_dscnt 0x0
	v_pk_mul_f32 v[62:63], v[60:61], v[58:59] op_sel:[1,1] op_sel_hi:[0,1]
	s_delay_alu instid0(VALU_DEP_1) | instskip(SKIP_2) | instid1(VALU_DEP_3)
	v_pk_fma_f32 v[64:65], v[60:61], v[58:59], v[62:63] op_sel_hi:[1,0,1]
	v_add_nc_u32_e32 v57, 1, v57
	v_pk_fma_f32 v[58:59], v[60:61], v[58:59], v[62:63] neg_lo:[0,0,1] neg_hi:[0,0,1]
	v_mov_b32_e32 v59, v65
	s_delay_alu instid0(VALU_DEP_3) | instskip(NEXT) | instid1(VALU_DEP_2)
	v_cmp_lt_u32_e32 vcc_lo, 14, v57
	v_pk_add_f32 v[52:53], v[52:53], v[58:59]
	s_or_b32 s3, vcc_lo, s3
	s_delay_alu instid0(SALU_CYCLE_1)
	s_and_not1_b32 exec_lo, exec_lo, s3
	s_cbranch_execnz .LBB23_387
; %bb.388:
	s_or_b32 exec_lo, exec_lo, s3
.LBB23_389:
	s_delay_alu instid0(SALU_CYCLE_1) | instskip(SKIP_4) | instid1(VALU_DEP_1)
	s_or_b32 exec_lo, exec_lo, s2
	v_mov_b32_e32 v55, 0
	ds_load_b64 v[56:57], v55 offset:128
	s_wait_dscnt 0x0
	v_pk_mul_f32 v[58:59], v[52:53], v[56:57] op_sel:[1,1] op_sel_hi:[0,1]
	v_pk_fma_f32 v[60:61], v[52:53], v[56:57], v[58:59] op_sel_hi:[1,0,1]
	v_pk_fma_f32 v[52:53], v[52:53], v[56:57], v[58:59] neg_lo:[0,0,1] neg_hi:[0,0,1]
	s_delay_alu instid0(VALU_DEP_2)
	v_mov_b32_e32 v53, v61
	scratch_store_b64 off, v[52:53], off offset:128
.LBB23_390:
	s_wait_xcnt 0x0
	s_or_b32 exec_lo, exec_lo, s0
	scratch_load_b64 v[52:53], off, off offset:136
	s_mov_b32 s0, exec_lo
	s_wait_loadcnt 0x0
	ds_store_b64 v1, v[52:53]
	s_wait_storecnt_dscnt 0x0
	s_barrier_signal -1
	s_barrier_wait -1
	s_wait_xcnt 0x0
	v_cmpx_gt_u32_e32 17, v0
	s_cbranch_execz .LBB23_400
; %bb.391:
	v_cmp_ne_u32_e32 vcc_lo, 1, v54
	s_cbranch_vccnz .LBB23_393
; %bb.392:
	scratch_load_b64 v[52:53], v43, off
	ds_load_b64 v[56:57], v1
	s_wait_loadcnt_dscnt 0x0
	v_pk_mul_f32 v[58:59], v[56:57], v[52:53] op_sel:[1,1] op_sel_hi:[0,1]
	s_delay_alu instid0(VALU_DEP_1) | instskip(SKIP_1) | instid1(VALU_DEP_2)
	v_pk_fma_f32 v[60:61], v[56:57], v[52:53], v[58:59] op_sel_hi:[1,0,1]
	v_pk_fma_f32 v[52:53], v[56:57], v[52:53], v[58:59] neg_lo:[0,0,1] neg_hi:[0,0,1]
	v_mov_b32_e32 v53, v61
	s_cbranch_execz .LBB23_394
	s_branch .LBB23_395
.LBB23_393:
                                        ; implicit-def: $vgpr52_vgpr53
.LBB23_394:
	ds_load_b64 v[52:53], v1
.LBB23_395:
	s_mov_b32 s2, exec_lo
	v_cmpx_ne_u32_e32 16, v0
	s_cbranch_execz .LBB23_399
; %bb.396:
	v_add_nc_u32_e32 v55, 0xc8, v42
	v_add3_u32 v56, 0, v42, 8
	v_mov_b32_e32 v57, v0
	s_mov_b32 s3, 0
.LBB23_397:                             ; =>This Inner Loop Header: Depth=1
	scratch_load_b64 v[58:59], v56, off
	ds_load_b64 v[60:61], v55
	s_wait_xcnt 0x0
	v_dual_add_nc_u32 v55, 8, v55 :: v_dual_add_nc_u32 v56, 8, v56
	s_wait_loadcnt_dscnt 0x0
	v_pk_mul_f32 v[62:63], v[60:61], v[58:59] op_sel:[1,1] op_sel_hi:[0,1]
	s_delay_alu instid0(VALU_DEP_1) | instskip(SKIP_2) | instid1(VALU_DEP_3)
	v_pk_fma_f32 v[64:65], v[60:61], v[58:59], v[62:63] op_sel_hi:[1,0,1]
	v_add_nc_u32_e32 v57, 1, v57
	v_pk_fma_f32 v[58:59], v[60:61], v[58:59], v[62:63] neg_lo:[0,0,1] neg_hi:[0,0,1]
	v_mov_b32_e32 v59, v65
	s_delay_alu instid0(VALU_DEP_3) | instskip(NEXT) | instid1(VALU_DEP_2)
	v_cmp_lt_u32_e32 vcc_lo, 15, v57
	v_pk_add_f32 v[52:53], v[52:53], v[58:59]
	s_or_b32 s3, vcc_lo, s3
	s_delay_alu instid0(SALU_CYCLE_1)
	s_and_not1_b32 exec_lo, exec_lo, s3
	s_cbranch_execnz .LBB23_397
; %bb.398:
	s_or_b32 exec_lo, exec_lo, s3
.LBB23_399:
	s_delay_alu instid0(SALU_CYCLE_1) | instskip(SKIP_4) | instid1(VALU_DEP_1)
	s_or_b32 exec_lo, exec_lo, s2
	v_mov_b32_e32 v55, 0
	ds_load_b64 v[56:57], v55 offset:136
	s_wait_dscnt 0x0
	v_pk_mul_f32 v[58:59], v[52:53], v[56:57] op_sel:[1,1] op_sel_hi:[0,1]
	v_pk_fma_f32 v[60:61], v[52:53], v[56:57], v[58:59] op_sel_hi:[1,0,1]
	v_pk_fma_f32 v[52:53], v[52:53], v[56:57], v[58:59] neg_lo:[0,0,1] neg_hi:[0,0,1]
	s_delay_alu instid0(VALU_DEP_2)
	v_mov_b32_e32 v53, v61
	scratch_store_b64 off, v[52:53], off offset:136
.LBB23_400:
	s_wait_xcnt 0x0
	s_or_b32 exec_lo, exec_lo, s0
	scratch_load_b64 v[52:53], off, off offset:144
	s_mov_b32 s0, exec_lo
	s_wait_loadcnt 0x0
	ds_store_b64 v1, v[52:53]
	s_wait_storecnt_dscnt 0x0
	s_barrier_signal -1
	s_barrier_wait -1
	s_wait_xcnt 0x0
	v_cmpx_gt_u32_e32 18, v0
	s_cbranch_execz .LBB23_410
; %bb.401:
	v_cmp_ne_u32_e32 vcc_lo, 1, v54
	s_cbranch_vccnz .LBB23_403
; %bb.402:
	scratch_load_b64 v[52:53], v43, off
	ds_load_b64 v[56:57], v1
	s_wait_loadcnt_dscnt 0x0
	v_pk_mul_f32 v[58:59], v[56:57], v[52:53] op_sel:[1,1] op_sel_hi:[0,1]
	s_delay_alu instid0(VALU_DEP_1) | instskip(SKIP_1) | instid1(VALU_DEP_2)
	v_pk_fma_f32 v[60:61], v[56:57], v[52:53], v[58:59] op_sel_hi:[1,0,1]
	v_pk_fma_f32 v[52:53], v[56:57], v[52:53], v[58:59] neg_lo:[0,0,1] neg_hi:[0,0,1]
	v_mov_b32_e32 v53, v61
	s_cbranch_execz .LBB23_404
	s_branch .LBB23_405
.LBB23_403:
                                        ; implicit-def: $vgpr52_vgpr53
.LBB23_404:
	ds_load_b64 v[52:53], v1
.LBB23_405:
	s_mov_b32 s2, exec_lo
	v_cmpx_ne_u32_e32 17, v0
	s_cbranch_execz .LBB23_409
; %bb.406:
	v_add_nc_u32_e32 v55, 0xc8, v42
	v_add3_u32 v56, 0, v42, 8
	v_mov_b32_e32 v57, v0
	s_mov_b32 s3, 0
.LBB23_407:                             ; =>This Inner Loop Header: Depth=1
	scratch_load_b64 v[58:59], v56, off
	ds_load_b64 v[60:61], v55
	s_wait_xcnt 0x0
	v_dual_add_nc_u32 v55, 8, v55 :: v_dual_add_nc_u32 v56, 8, v56
	s_wait_loadcnt_dscnt 0x0
	v_pk_mul_f32 v[62:63], v[60:61], v[58:59] op_sel:[1,1] op_sel_hi:[0,1]
	s_delay_alu instid0(VALU_DEP_1) | instskip(SKIP_2) | instid1(VALU_DEP_3)
	v_pk_fma_f32 v[64:65], v[60:61], v[58:59], v[62:63] op_sel_hi:[1,0,1]
	v_add_nc_u32_e32 v57, 1, v57
	v_pk_fma_f32 v[58:59], v[60:61], v[58:59], v[62:63] neg_lo:[0,0,1] neg_hi:[0,0,1]
	v_mov_b32_e32 v59, v65
	s_delay_alu instid0(VALU_DEP_3) | instskip(NEXT) | instid1(VALU_DEP_2)
	v_cmp_lt_u32_e32 vcc_lo, 16, v57
	v_pk_add_f32 v[52:53], v[52:53], v[58:59]
	s_or_b32 s3, vcc_lo, s3
	s_delay_alu instid0(SALU_CYCLE_1)
	s_and_not1_b32 exec_lo, exec_lo, s3
	s_cbranch_execnz .LBB23_407
; %bb.408:
	s_or_b32 exec_lo, exec_lo, s3
.LBB23_409:
	s_delay_alu instid0(SALU_CYCLE_1) | instskip(SKIP_4) | instid1(VALU_DEP_1)
	s_or_b32 exec_lo, exec_lo, s2
	v_mov_b32_e32 v55, 0
	ds_load_b64 v[56:57], v55 offset:144
	s_wait_dscnt 0x0
	v_pk_mul_f32 v[58:59], v[52:53], v[56:57] op_sel:[1,1] op_sel_hi:[0,1]
	v_pk_fma_f32 v[60:61], v[52:53], v[56:57], v[58:59] op_sel_hi:[1,0,1]
	v_pk_fma_f32 v[52:53], v[52:53], v[56:57], v[58:59] neg_lo:[0,0,1] neg_hi:[0,0,1]
	s_delay_alu instid0(VALU_DEP_2)
	v_mov_b32_e32 v53, v61
	scratch_store_b64 off, v[52:53], off offset:144
.LBB23_410:
	s_wait_xcnt 0x0
	s_or_b32 exec_lo, exec_lo, s0
	scratch_load_b64 v[52:53], off, off offset:152
	s_mov_b32 s0, exec_lo
	s_wait_loadcnt 0x0
	ds_store_b64 v1, v[52:53]
	s_wait_storecnt_dscnt 0x0
	s_barrier_signal -1
	s_barrier_wait -1
	s_wait_xcnt 0x0
	v_cmpx_gt_u32_e32 19, v0
	s_cbranch_execz .LBB23_420
; %bb.411:
	v_cmp_ne_u32_e32 vcc_lo, 1, v54
	s_cbranch_vccnz .LBB23_413
; %bb.412:
	scratch_load_b64 v[52:53], v43, off
	ds_load_b64 v[56:57], v1
	s_wait_loadcnt_dscnt 0x0
	v_pk_mul_f32 v[58:59], v[56:57], v[52:53] op_sel:[1,1] op_sel_hi:[0,1]
	s_delay_alu instid0(VALU_DEP_1) | instskip(SKIP_1) | instid1(VALU_DEP_2)
	v_pk_fma_f32 v[60:61], v[56:57], v[52:53], v[58:59] op_sel_hi:[1,0,1]
	v_pk_fma_f32 v[52:53], v[56:57], v[52:53], v[58:59] neg_lo:[0,0,1] neg_hi:[0,0,1]
	v_mov_b32_e32 v53, v61
	s_cbranch_execz .LBB23_414
	s_branch .LBB23_415
.LBB23_413:
                                        ; implicit-def: $vgpr52_vgpr53
.LBB23_414:
	ds_load_b64 v[52:53], v1
.LBB23_415:
	s_mov_b32 s2, exec_lo
	v_cmpx_ne_u32_e32 18, v0
	s_cbranch_execz .LBB23_419
; %bb.416:
	v_add_nc_u32_e32 v55, 0xc8, v42
	v_add3_u32 v56, 0, v42, 8
	v_mov_b32_e32 v57, v0
	s_mov_b32 s3, 0
.LBB23_417:                             ; =>This Inner Loop Header: Depth=1
	scratch_load_b64 v[58:59], v56, off
	ds_load_b64 v[60:61], v55
	s_wait_xcnt 0x0
	v_dual_add_nc_u32 v55, 8, v55 :: v_dual_add_nc_u32 v56, 8, v56
	s_wait_loadcnt_dscnt 0x0
	v_pk_mul_f32 v[62:63], v[60:61], v[58:59] op_sel:[1,1] op_sel_hi:[0,1]
	s_delay_alu instid0(VALU_DEP_1) | instskip(SKIP_2) | instid1(VALU_DEP_3)
	v_pk_fma_f32 v[64:65], v[60:61], v[58:59], v[62:63] op_sel_hi:[1,0,1]
	v_add_nc_u32_e32 v57, 1, v57
	v_pk_fma_f32 v[58:59], v[60:61], v[58:59], v[62:63] neg_lo:[0,0,1] neg_hi:[0,0,1]
	v_mov_b32_e32 v59, v65
	s_delay_alu instid0(VALU_DEP_3) | instskip(NEXT) | instid1(VALU_DEP_2)
	v_cmp_lt_u32_e32 vcc_lo, 17, v57
	v_pk_add_f32 v[52:53], v[52:53], v[58:59]
	s_or_b32 s3, vcc_lo, s3
	s_delay_alu instid0(SALU_CYCLE_1)
	s_and_not1_b32 exec_lo, exec_lo, s3
	s_cbranch_execnz .LBB23_417
; %bb.418:
	s_or_b32 exec_lo, exec_lo, s3
.LBB23_419:
	s_delay_alu instid0(SALU_CYCLE_1) | instskip(SKIP_4) | instid1(VALU_DEP_1)
	s_or_b32 exec_lo, exec_lo, s2
	v_mov_b32_e32 v55, 0
	ds_load_b64 v[56:57], v55 offset:152
	s_wait_dscnt 0x0
	v_pk_mul_f32 v[58:59], v[52:53], v[56:57] op_sel:[1,1] op_sel_hi:[0,1]
	v_pk_fma_f32 v[60:61], v[52:53], v[56:57], v[58:59] op_sel_hi:[1,0,1]
	v_pk_fma_f32 v[52:53], v[52:53], v[56:57], v[58:59] neg_lo:[0,0,1] neg_hi:[0,0,1]
	s_delay_alu instid0(VALU_DEP_2)
	v_mov_b32_e32 v53, v61
	scratch_store_b64 off, v[52:53], off offset:152
.LBB23_420:
	s_wait_xcnt 0x0
	s_or_b32 exec_lo, exec_lo, s0
	scratch_load_b64 v[52:53], off, off offset:160
	s_mov_b32 s0, exec_lo
	s_wait_loadcnt 0x0
	ds_store_b64 v1, v[52:53]
	s_wait_storecnt_dscnt 0x0
	s_barrier_signal -1
	s_barrier_wait -1
	s_wait_xcnt 0x0
	v_cmpx_gt_u32_e32 20, v0
	s_cbranch_execz .LBB23_430
; %bb.421:
	v_cmp_ne_u32_e32 vcc_lo, 1, v54
	s_cbranch_vccnz .LBB23_423
; %bb.422:
	scratch_load_b64 v[52:53], v43, off
	ds_load_b64 v[56:57], v1
	s_wait_loadcnt_dscnt 0x0
	v_pk_mul_f32 v[58:59], v[56:57], v[52:53] op_sel:[1,1] op_sel_hi:[0,1]
	s_delay_alu instid0(VALU_DEP_1) | instskip(SKIP_1) | instid1(VALU_DEP_2)
	v_pk_fma_f32 v[60:61], v[56:57], v[52:53], v[58:59] op_sel_hi:[1,0,1]
	v_pk_fma_f32 v[52:53], v[56:57], v[52:53], v[58:59] neg_lo:[0,0,1] neg_hi:[0,0,1]
	v_mov_b32_e32 v53, v61
	s_cbranch_execz .LBB23_424
	s_branch .LBB23_425
.LBB23_423:
                                        ; implicit-def: $vgpr52_vgpr53
.LBB23_424:
	ds_load_b64 v[52:53], v1
.LBB23_425:
	s_mov_b32 s2, exec_lo
	v_cmpx_ne_u32_e32 19, v0
	s_cbranch_execz .LBB23_429
; %bb.426:
	v_add_nc_u32_e32 v55, 0xc8, v42
	v_add3_u32 v56, 0, v42, 8
	v_mov_b32_e32 v57, v0
	s_mov_b32 s3, 0
.LBB23_427:                             ; =>This Inner Loop Header: Depth=1
	scratch_load_b64 v[58:59], v56, off
	ds_load_b64 v[60:61], v55
	s_wait_xcnt 0x0
	v_dual_add_nc_u32 v55, 8, v55 :: v_dual_add_nc_u32 v56, 8, v56
	s_wait_loadcnt_dscnt 0x0
	v_pk_mul_f32 v[62:63], v[60:61], v[58:59] op_sel:[1,1] op_sel_hi:[0,1]
	s_delay_alu instid0(VALU_DEP_1) | instskip(SKIP_2) | instid1(VALU_DEP_3)
	v_pk_fma_f32 v[64:65], v[60:61], v[58:59], v[62:63] op_sel_hi:[1,0,1]
	v_add_nc_u32_e32 v57, 1, v57
	v_pk_fma_f32 v[58:59], v[60:61], v[58:59], v[62:63] neg_lo:[0,0,1] neg_hi:[0,0,1]
	v_mov_b32_e32 v59, v65
	s_delay_alu instid0(VALU_DEP_3) | instskip(NEXT) | instid1(VALU_DEP_2)
	v_cmp_lt_u32_e32 vcc_lo, 18, v57
	v_pk_add_f32 v[52:53], v[52:53], v[58:59]
	s_or_b32 s3, vcc_lo, s3
	s_delay_alu instid0(SALU_CYCLE_1)
	s_and_not1_b32 exec_lo, exec_lo, s3
	s_cbranch_execnz .LBB23_427
; %bb.428:
	s_or_b32 exec_lo, exec_lo, s3
.LBB23_429:
	s_delay_alu instid0(SALU_CYCLE_1) | instskip(SKIP_4) | instid1(VALU_DEP_1)
	s_or_b32 exec_lo, exec_lo, s2
	v_mov_b32_e32 v55, 0
	ds_load_b64 v[56:57], v55 offset:160
	s_wait_dscnt 0x0
	v_pk_mul_f32 v[58:59], v[52:53], v[56:57] op_sel:[1,1] op_sel_hi:[0,1]
	v_pk_fma_f32 v[60:61], v[52:53], v[56:57], v[58:59] op_sel_hi:[1,0,1]
	v_pk_fma_f32 v[52:53], v[52:53], v[56:57], v[58:59] neg_lo:[0,0,1] neg_hi:[0,0,1]
	s_delay_alu instid0(VALU_DEP_2)
	v_mov_b32_e32 v53, v61
	scratch_store_b64 off, v[52:53], off offset:160
.LBB23_430:
	s_wait_xcnt 0x0
	s_or_b32 exec_lo, exec_lo, s0
	scratch_load_b64 v[52:53], off, off offset:168
	s_mov_b32 s0, exec_lo
	s_wait_loadcnt 0x0
	ds_store_b64 v1, v[52:53]
	s_wait_storecnt_dscnt 0x0
	s_barrier_signal -1
	s_barrier_wait -1
	s_wait_xcnt 0x0
	v_cmpx_gt_u32_e32 21, v0
	s_cbranch_execz .LBB23_440
; %bb.431:
	v_cmp_ne_u32_e32 vcc_lo, 1, v54
	s_cbranch_vccnz .LBB23_433
; %bb.432:
	scratch_load_b64 v[52:53], v43, off
	ds_load_b64 v[56:57], v1
	s_wait_loadcnt_dscnt 0x0
	v_pk_mul_f32 v[58:59], v[56:57], v[52:53] op_sel:[1,1] op_sel_hi:[0,1]
	s_delay_alu instid0(VALU_DEP_1) | instskip(SKIP_1) | instid1(VALU_DEP_2)
	v_pk_fma_f32 v[60:61], v[56:57], v[52:53], v[58:59] op_sel_hi:[1,0,1]
	v_pk_fma_f32 v[52:53], v[56:57], v[52:53], v[58:59] neg_lo:[0,0,1] neg_hi:[0,0,1]
	v_mov_b32_e32 v53, v61
	s_cbranch_execz .LBB23_434
	s_branch .LBB23_435
.LBB23_433:
                                        ; implicit-def: $vgpr52_vgpr53
.LBB23_434:
	ds_load_b64 v[52:53], v1
.LBB23_435:
	s_mov_b32 s2, exec_lo
	v_cmpx_ne_u32_e32 20, v0
	s_cbranch_execz .LBB23_439
; %bb.436:
	v_add_nc_u32_e32 v55, 0xc8, v42
	v_add3_u32 v56, 0, v42, 8
	v_mov_b32_e32 v57, v0
	s_mov_b32 s3, 0
.LBB23_437:                             ; =>This Inner Loop Header: Depth=1
	scratch_load_b64 v[58:59], v56, off
	ds_load_b64 v[60:61], v55
	s_wait_xcnt 0x0
	v_dual_add_nc_u32 v55, 8, v55 :: v_dual_add_nc_u32 v56, 8, v56
	s_wait_loadcnt_dscnt 0x0
	v_pk_mul_f32 v[62:63], v[60:61], v[58:59] op_sel:[1,1] op_sel_hi:[0,1]
	s_delay_alu instid0(VALU_DEP_1) | instskip(SKIP_2) | instid1(VALU_DEP_3)
	v_pk_fma_f32 v[64:65], v[60:61], v[58:59], v[62:63] op_sel_hi:[1,0,1]
	v_add_nc_u32_e32 v57, 1, v57
	v_pk_fma_f32 v[58:59], v[60:61], v[58:59], v[62:63] neg_lo:[0,0,1] neg_hi:[0,0,1]
	v_mov_b32_e32 v59, v65
	s_delay_alu instid0(VALU_DEP_3) | instskip(NEXT) | instid1(VALU_DEP_2)
	v_cmp_lt_u32_e32 vcc_lo, 19, v57
	v_pk_add_f32 v[52:53], v[52:53], v[58:59]
	s_or_b32 s3, vcc_lo, s3
	s_delay_alu instid0(SALU_CYCLE_1)
	s_and_not1_b32 exec_lo, exec_lo, s3
	s_cbranch_execnz .LBB23_437
; %bb.438:
	s_or_b32 exec_lo, exec_lo, s3
.LBB23_439:
	s_delay_alu instid0(SALU_CYCLE_1) | instskip(SKIP_4) | instid1(VALU_DEP_1)
	s_or_b32 exec_lo, exec_lo, s2
	v_mov_b32_e32 v55, 0
	ds_load_b64 v[56:57], v55 offset:168
	s_wait_dscnt 0x0
	v_pk_mul_f32 v[58:59], v[52:53], v[56:57] op_sel:[1,1] op_sel_hi:[0,1]
	v_pk_fma_f32 v[60:61], v[52:53], v[56:57], v[58:59] op_sel_hi:[1,0,1]
	v_pk_fma_f32 v[52:53], v[52:53], v[56:57], v[58:59] neg_lo:[0,0,1] neg_hi:[0,0,1]
	s_delay_alu instid0(VALU_DEP_2)
	v_mov_b32_e32 v53, v61
	scratch_store_b64 off, v[52:53], off offset:168
.LBB23_440:
	s_wait_xcnt 0x0
	s_or_b32 exec_lo, exec_lo, s0
	scratch_load_b64 v[52:53], off, off offset:176
	v_cmp_gt_u32_e64 s0, 22, v0
	s_wait_loadcnt 0x0
	ds_store_b64 v1, v[52:53]
	s_wait_storecnt_dscnt 0x0
	s_barrier_signal -1
	s_barrier_wait -1
	s_wait_xcnt 0x0
	s_and_saveexec_b32 s2, s0
	s_cbranch_execz .LBB23_450
; %bb.441:
	v_cmp_ne_u32_e32 vcc_lo, 1, v54
	s_cbranch_vccnz .LBB23_443
; %bb.442:
	scratch_load_b64 v[52:53], v43, off
	ds_load_b64 v[56:57], v1
	s_wait_loadcnt_dscnt 0x0
	v_pk_mul_f32 v[58:59], v[56:57], v[52:53] op_sel:[1,1] op_sel_hi:[0,1]
	s_delay_alu instid0(VALU_DEP_1) | instskip(SKIP_1) | instid1(VALU_DEP_2)
	v_pk_fma_f32 v[60:61], v[56:57], v[52:53], v[58:59] op_sel_hi:[1,0,1]
	v_pk_fma_f32 v[52:53], v[56:57], v[52:53], v[58:59] neg_lo:[0,0,1] neg_hi:[0,0,1]
	v_mov_b32_e32 v53, v61
	s_cbranch_execz .LBB23_444
	s_branch .LBB23_445
.LBB23_443:
                                        ; implicit-def: $vgpr52_vgpr53
.LBB23_444:
	ds_load_b64 v[52:53], v1
.LBB23_445:
	s_mov_b32 s3, exec_lo
	v_cmpx_ne_u32_e32 21, v0
	s_cbranch_execz .LBB23_449
; %bb.446:
	v_add_nc_u32_e32 v55, 0xc8, v42
	v_add3_u32 v56, 0, v42, 8
	v_mov_b32_e32 v57, v0
	s_mov_b32 s4, 0
.LBB23_447:                             ; =>This Inner Loop Header: Depth=1
	scratch_load_b64 v[58:59], v56, off
	ds_load_b64 v[60:61], v55
	s_wait_xcnt 0x0
	v_dual_add_nc_u32 v55, 8, v55 :: v_dual_add_nc_u32 v56, 8, v56
	s_wait_loadcnt_dscnt 0x0
	v_pk_mul_f32 v[62:63], v[60:61], v[58:59] op_sel:[1,1] op_sel_hi:[0,1]
	s_delay_alu instid0(VALU_DEP_1) | instskip(SKIP_2) | instid1(VALU_DEP_3)
	v_pk_fma_f32 v[64:65], v[60:61], v[58:59], v[62:63] op_sel_hi:[1,0,1]
	v_add_nc_u32_e32 v57, 1, v57
	v_pk_fma_f32 v[58:59], v[60:61], v[58:59], v[62:63] neg_lo:[0,0,1] neg_hi:[0,0,1]
	v_mov_b32_e32 v59, v65
	s_delay_alu instid0(VALU_DEP_3) | instskip(NEXT) | instid1(VALU_DEP_2)
	v_cmp_lt_u32_e32 vcc_lo, 20, v57
	v_pk_add_f32 v[52:53], v[52:53], v[58:59]
	s_or_b32 s4, vcc_lo, s4
	s_delay_alu instid0(SALU_CYCLE_1)
	s_and_not1_b32 exec_lo, exec_lo, s4
	s_cbranch_execnz .LBB23_447
; %bb.448:
	s_or_b32 exec_lo, exec_lo, s4
.LBB23_449:
	s_delay_alu instid0(SALU_CYCLE_1) | instskip(SKIP_4) | instid1(VALU_DEP_1)
	s_or_b32 exec_lo, exec_lo, s3
	v_mov_b32_e32 v55, 0
	ds_load_b64 v[56:57], v55 offset:176
	s_wait_dscnt 0x0
	v_pk_mul_f32 v[58:59], v[52:53], v[56:57] op_sel:[1,1] op_sel_hi:[0,1]
	v_pk_fma_f32 v[60:61], v[52:53], v[56:57], v[58:59] op_sel_hi:[1,0,1]
	v_pk_fma_f32 v[52:53], v[52:53], v[56:57], v[58:59] neg_lo:[0,0,1] neg_hi:[0,0,1]
	s_delay_alu instid0(VALU_DEP_2)
	v_mov_b32_e32 v53, v61
	scratch_store_b64 off, v[52:53], off offset:176
.LBB23_450:
	s_wait_xcnt 0x0
	s_or_b32 exec_lo, exec_lo, s2
	scratch_load_b64 v[52:53], off, off offset:184
	s_mov_b32 s2, exec_lo
                                        ; implicit-def: $vgpr58
                                        ; implicit-def: $sgpr4
	s_wait_loadcnt 0x0
	ds_store_b64 v1, v[52:53]
	s_wait_storecnt_dscnt 0x0
	s_barrier_signal -1
	s_barrier_wait -1
	s_wait_xcnt 0x0
	v_cmpx_ne_u32_e32 23, v0
	s_cbranch_execz .LBB23_460
; %bb.451:
	v_cmp_ne_u32_e32 vcc_lo, 1, v54
	s_cbranch_vccnz .LBB23_453
; %bb.452:
	scratch_load_b64 v[54:55], v43, off
	ds_load_b64 v[56:57], v1
	s_wait_loadcnt_dscnt 0x0
	v_dual_mul_f32 v43, v57, v55 :: v_dual_mul_f32 v53, v56, v55
	s_delay_alu instid0(VALU_DEP_1)
	v_dual_fma_f32 v52, v56, v54, -v43 :: v_dual_fmac_f32 v53, v57, v54
	s_cbranch_execz .LBB23_454
	s_branch .LBB23_455
.LBB23_453:
                                        ; implicit-def: $vgpr53
.LBB23_454:
	ds_load_b64 v[52:53], v1
.LBB23_455:
	s_and_saveexec_b32 s3, s0
	s_cbranch_execz .LBB23_459
; %bb.456:
	v_add_nc_u32_e32 v1, 0xc8, v42
	v_add3_u32 v42, 0, v42, 8
	s_mov_b32 s0, 0
.LBB23_457:                             ; =>This Inner Loop Header: Depth=1
	scratch_load_b64 v[54:55], v42, off
	ds_load_b64 v[56:57], v1
	s_wait_loadcnt_dscnt 0x0
	v_dual_add_nc_u32 v1, 8, v1 :: v_dual_mul_f32 v43, v57, v55
	v_dual_mul_f32 v55, v56, v55 :: v_dual_add_nc_u32 v0, 1, v0
	s_delay_alu instid0(VALU_DEP_2) | instskip(NEXT) | instid1(VALU_DEP_2)
	v_fma_f32 v43, v56, v54, -v43
	v_fmac_f32_e32 v55, v57, v54
	s_delay_alu instid0(VALU_DEP_3) | instskip(NEXT) | instid1(VALU_DEP_3)
	v_cmp_lt_u32_e32 vcc_lo, 21, v0
	v_dual_add_nc_u32 v42, 8, v42 :: v_dual_add_f32 v52, v52, v43
	s_delay_alu instid0(VALU_DEP_3) | instskip(SKIP_1) | instid1(SALU_CYCLE_1)
	v_add_f32_e32 v53, v53, v55
	s_or_b32 s0, vcc_lo, s0
	s_and_not1_b32 exec_lo, exec_lo, s0
	s_cbranch_execnz .LBB23_457
; %bb.458:
	s_or_b32 exec_lo, exec_lo, s0
.LBB23_459:
	s_delay_alu instid0(SALU_CYCLE_1)
	s_or_b32 exec_lo, exec_lo, s3
	v_mov_b32_e32 v0, 0
	s_movk_i32 s4, 0xbc
	s_or_b32 s1, s1, exec_lo
	ds_load_b64 v[0:1], v0 offset:184
	s_wait_dscnt 0x0
	v_dual_mul_f32 v42, v53, v1 :: v_dual_mul_f32 v58, v52, v1
	s_delay_alu instid0(VALU_DEP_1) | instskip(NEXT) | instid1(VALU_DEP_2)
	v_fma_f32 v1, v52, v0, -v42
	v_fmac_f32_e32 v58, v53, v0
	scratch_store_b32 off, v1, off offset:184
.LBB23_460:
	s_wait_xcnt 0x0
	s_or_b32 exec_lo, exec_lo, s2
.LBB23_461:
	v_lshl_add_u64 v[54:55], v[6:7], 3, s[6:7]
	v_lshl_add_u64 v[56:57], v[8:9], 3, s[6:7]
	;; [unrolled: 1-line block ×22, first 2 shown]
	s_and_saveexec_b32 s0, s1
	s_cbranch_execz .LBB23_463
; %bb.462:
	scratch_store_b32 off, v58, s4
.LBB23_463:
	s_wait_xcnt 0x0
	s_or_b32 exec_lo, exec_lo, s0
	s_clause 0x6
	scratch_load_b128 v[44:47], off, off
	scratch_load_b128 v[48:51], off, off offset:16
	scratch_load_b128 v[58:61], off, off offset:32
	;; [unrolled: 1-line block ×6, first 2 shown]
	s_wait_loadcnt 0x6
	s_clause 0x1
	global_store_b64 v[2:3], v[44:45], off
	global_store_b64 v[4:5], v[46:47], off
	s_clause 0x1
	scratch_load_b128 v[2:5], off, off offset:112
	scratch_load_b128 v[44:47], off, off offset:128
	s_wait_loadcnt 0x7
	s_clause 0x1
	global_store_b64 v[54:55], v[48:49], off
	global_store_b64 v[56:57], v[50:51], off
	s_clause 0x1
	scratch_load_b128 v[48:51], off, off offset:144
	scratch_load_b128 v[54:57], off, off offset:160
	s_wait_loadcnt 0x8
	s_clause 0x1
	global_store_b64 v[42:43], v[58:59], off
	global_store_b64 v[52:53], v[60:61], off
	scratch_load_b128 v[40:43], off, off offset:176
	s_wait_loadcnt 0x8
	s_clause 0x1
	global_store_b64 v[8:9], v[62:63], off
	global_store_b64 v[10:11], v[64:65], off
	s_wait_loadcnt 0x7
	s_clause 0x1
	global_store_b64 v[12:13], v[66:67], off
	global_store_b64 v[14:15], v[68:69], off
	;; [unrolled: 4-line block ×9, first 2 shown]
.LBB23_464:
	s_sendmsg sendmsg(MSG_DEALLOC_VGPRS)
	s_endpgm
	.section	.rodata,"a",@progbits
	.p2align	6, 0x0
	.amdhsa_kernel _ZN9rocsolver6v33100L18trti2_kernel_smallILi24E19rocblas_complex_numIfEPS3_EEv13rocblas_fill_17rocblas_diagonal_T1_iil
		.amdhsa_group_segment_fixed_size 384
		.amdhsa_private_segment_fixed_size 208
		.amdhsa_kernarg_size 32
		.amdhsa_user_sgpr_count 2
		.amdhsa_user_sgpr_dispatch_ptr 0
		.amdhsa_user_sgpr_queue_ptr 0
		.amdhsa_user_sgpr_kernarg_segment_ptr 1
		.amdhsa_user_sgpr_dispatch_id 0
		.amdhsa_user_sgpr_kernarg_preload_length 0
		.amdhsa_user_sgpr_kernarg_preload_offset 0
		.amdhsa_user_sgpr_private_segment_size 0
		.amdhsa_wavefront_size32 1
		.amdhsa_uses_dynamic_stack 0
		.amdhsa_enable_private_segment 1
		.amdhsa_system_sgpr_workgroup_id_x 1
		.amdhsa_system_sgpr_workgroup_id_y 0
		.amdhsa_system_sgpr_workgroup_id_z 0
		.amdhsa_system_sgpr_workgroup_info 0
		.amdhsa_system_vgpr_workitem_id 0
		.amdhsa_next_free_vgpr 80
		.amdhsa_next_free_sgpr 19
		.amdhsa_named_barrier_count 0
		.amdhsa_reserve_vcc 1
		.amdhsa_float_round_mode_32 0
		.amdhsa_float_round_mode_16_64 0
		.amdhsa_float_denorm_mode_32 3
		.amdhsa_float_denorm_mode_16_64 3
		.amdhsa_fp16_overflow 0
		.amdhsa_memory_ordered 1
		.amdhsa_forward_progress 1
		.amdhsa_inst_pref_size 141
		.amdhsa_round_robin_scheduling 0
		.amdhsa_exception_fp_ieee_invalid_op 0
		.amdhsa_exception_fp_denorm_src 0
		.amdhsa_exception_fp_ieee_div_zero 0
		.amdhsa_exception_fp_ieee_overflow 0
		.amdhsa_exception_fp_ieee_underflow 0
		.amdhsa_exception_fp_ieee_inexact 0
		.amdhsa_exception_int_div_zero 0
	.end_amdhsa_kernel
	.section	.text._ZN9rocsolver6v33100L18trti2_kernel_smallILi24E19rocblas_complex_numIfEPS3_EEv13rocblas_fill_17rocblas_diagonal_T1_iil,"axG",@progbits,_ZN9rocsolver6v33100L18trti2_kernel_smallILi24E19rocblas_complex_numIfEPS3_EEv13rocblas_fill_17rocblas_diagonal_T1_iil,comdat
.Lfunc_end23:
	.size	_ZN9rocsolver6v33100L18trti2_kernel_smallILi24E19rocblas_complex_numIfEPS3_EEv13rocblas_fill_17rocblas_diagonal_T1_iil, .Lfunc_end23-_ZN9rocsolver6v33100L18trti2_kernel_smallILi24E19rocblas_complex_numIfEPS3_EEv13rocblas_fill_17rocblas_diagonal_T1_iil
                                        ; -- End function
	.set _ZN9rocsolver6v33100L18trti2_kernel_smallILi24E19rocblas_complex_numIfEPS3_EEv13rocblas_fill_17rocblas_diagonal_T1_iil.num_vgpr, 80
	.set _ZN9rocsolver6v33100L18trti2_kernel_smallILi24E19rocblas_complex_numIfEPS3_EEv13rocblas_fill_17rocblas_diagonal_T1_iil.num_agpr, 0
	.set _ZN9rocsolver6v33100L18trti2_kernel_smallILi24E19rocblas_complex_numIfEPS3_EEv13rocblas_fill_17rocblas_diagonal_T1_iil.numbered_sgpr, 19
	.set _ZN9rocsolver6v33100L18trti2_kernel_smallILi24E19rocblas_complex_numIfEPS3_EEv13rocblas_fill_17rocblas_diagonal_T1_iil.num_named_barrier, 0
	.set _ZN9rocsolver6v33100L18trti2_kernel_smallILi24E19rocblas_complex_numIfEPS3_EEv13rocblas_fill_17rocblas_diagonal_T1_iil.private_seg_size, 208
	.set _ZN9rocsolver6v33100L18trti2_kernel_smallILi24E19rocblas_complex_numIfEPS3_EEv13rocblas_fill_17rocblas_diagonal_T1_iil.uses_vcc, 1
	.set _ZN9rocsolver6v33100L18trti2_kernel_smallILi24E19rocblas_complex_numIfEPS3_EEv13rocblas_fill_17rocblas_diagonal_T1_iil.uses_flat_scratch, 1
	.set _ZN9rocsolver6v33100L18trti2_kernel_smallILi24E19rocblas_complex_numIfEPS3_EEv13rocblas_fill_17rocblas_diagonal_T1_iil.has_dyn_sized_stack, 0
	.set _ZN9rocsolver6v33100L18trti2_kernel_smallILi24E19rocblas_complex_numIfEPS3_EEv13rocblas_fill_17rocblas_diagonal_T1_iil.has_recursion, 0
	.set _ZN9rocsolver6v33100L18trti2_kernel_smallILi24E19rocblas_complex_numIfEPS3_EEv13rocblas_fill_17rocblas_diagonal_T1_iil.has_indirect_call, 0
	.section	.AMDGPU.csdata,"",@progbits
; Kernel info:
; codeLenInByte = 18012
; TotalNumSgprs: 21
; NumVgprs: 80
; ScratchSize: 208
; MemoryBound: 0
; FloatMode: 240
; IeeeMode: 1
; LDSByteSize: 384 bytes/workgroup (compile time only)
; SGPRBlocks: 0
; VGPRBlocks: 4
; NumSGPRsForWavesPerEU: 21
; NumVGPRsForWavesPerEU: 80
; NamedBarCnt: 0
; Occupancy: 12
; WaveLimiterHint : 0
; COMPUTE_PGM_RSRC2:SCRATCH_EN: 1
; COMPUTE_PGM_RSRC2:USER_SGPR: 2
; COMPUTE_PGM_RSRC2:TRAP_HANDLER: 0
; COMPUTE_PGM_RSRC2:TGID_X_EN: 1
; COMPUTE_PGM_RSRC2:TGID_Y_EN: 0
; COMPUTE_PGM_RSRC2:TGID_Z_EN: 0
; COMPUTE_PGM_RSRC2:TIDIG_COMP_CNT: 0
	.section	.text._ZN9rocsolver6v33100L18trti2_kernel_smallILi25E19rocblas_complex_numIfEPS3_EEv13rocblas_fill_17rocblas_diagonal_T1_iil,"axG",@progbits,_ZN9rocsolver6v33100L18trti2_kernel_smallILi25E19rocblas_complex_numIfEPS3_EEv13rocblas_fill_17rocblas_diagonal_T1_iil,comdat
	.globl	_ZN9rocsolver6v33100L18trti2_kernel_smallILi25E19rocblas_complex_numIfEPS3_EEv13rocblas_fill_17rocblas_diagonal_T1_iil ; -- Begin function _ZN9rocsolver6v33100L18trti2_kernel_smallILi25E19rocblas_complex_numIfEPS3_EEv13rocblas_fill_17rocblas_diagonal_T1_iil
	.p2align	8
	.type	_ZN9rocsolver6v33100L18trti2_kernel_smallILi25E19rocblas_complex_numIfEPS3_EEv13rocblas_fill_17rocblas_diagonal_T1_iil,@function
_ZN9rocsolver6v33100L18trti2_kernel_smallILi25E19rocblas_complex_numIfEPS3_EEv13rocblas_fill_17rocblas_diagonal_T1_iil: ; @_ZN9rocsolver6v33100L18trti2_kernel_smallILi25E19rocblas_complex_numIfEPS3_EEv13rocblas_fill_17rocblas_diagonal_T1_iil
; %bb.0:
	s_mov_b32 s2, exec_lo
	v_cmpx_gt_u32_e32 25, v0
	s_cbranch_execz .LBB24_484
; %bb.1:
	s_load_b256 s[4:11], s[0:1], 0x0
	s_wait_xcnt 0x0
	s_bfe_u32 s0, ttmp6, 0x4000c
	s_and_b32 s1, ttmp6, 15
	s_add_co_i32 s0, s0, 1
	s_getreg_b32 s2, hwreg(HW_REG_IB_STS2, 6, 4)
	s_mul_i32 s0, ttmp9, s0
	v_mov_b32_e32 v47, 0
	s_add_co_i32 s0, s1, s0
	v_lshlrev_b32_e32 v46, 3, v0
	s_wait_kmcnt 0x0
	v_add3_u32 v6, s9, s9, v0
	s_ashr_i32 s1, s8, 31
	s_cmp_eq_u32 s2, 0
	s_cselect_b32 s2, ttmp9, s0
	s_delay_alu instid0(VALU_DEP_1)
	v_add_nc_u32_e32 v8, s9, v6
	s_ashr_i32 s3, s2, 31
	s_mov_b32 s0, s8
	s_mul_u64 s[2:3], s[10:11], s[2:3]
	s_lshl_b64 s[0:1], s[0:1], 3
	v_add_nc_u32_e32 v10, s9, v8
	s_lshl_b64 s[2:3], s[2:3], 3
	s_delay_alu instid0(SALU_CYCLE_1) | instskip(NEXT) | instid1(VALU_DEP_1)
	s_add_nc_u64 s[2:3], s[6:7], s[2:3]
	v_add_nc_u32_e32 v12, s9, v10
	s_add_nc_u64 s[6:7], s[2:3], s[0:1]
	s_mov_b32 s0, s9
	s_ashr_i32 s1, s9, 31
	s_cmp_lg_u32 s5, 0x84
	v_add_nc_u32_e32 v14, s9, v12
	v_add_nc_u64_e32 v[2:3], s[6:7], v[46:47]
	s_cselect_b32 s3, -1, 0
	s_delay_alu instid0(SALU_CYCLE_1) | instskip(NEXT) | instid1(VALU_DEP_2)
	s_and_b32 vcc_lo, exec_lo, s3
	v_add_nc_u32_e32 v16, s9, v14
	s_delay_alu instid0(VALU_DEP_2) | instskip(SKIP_1) | instid1(VALU_DEP_2)
	v_lshl_add_u64 v[4:5], s[0:1], 3, v[2:3]
	s_mov_b32 s0, -1
	v_add_nc_u32_e32 v18, s9, v16
	s_clause 0x3
	global_load_b64 v[48:49], v0, s[6:7] scale_offset
	global_load_b64 v[50:51], v[4:5], off
	global_load_b64 v[52:53], v6, s[6:7] scale_offset
	global_load_b64 v[54:55], v8, s[6:7] scale_offset
	v_add_nc_u32_e32 v20, s9, v18
	s_delay_alu instid0(VALU_DEP_1)
	v_add_nc_u32_e32 v22, s9, v20
	s_clause 0x3
	global_load_b64 v[56:57], v10, s[6:7] scale_offset
	global_load_b64 v[58:59], v12, s[6:7] scale_offset
	;; [unrolled: 1-line block ×4, first 2 shown]
	v_add_nc_u32_e32 v24, s9, v22
	s_delay_alu instid0(VALU_DEP_1) | instskip(NEXT) | instid1(VALU_DEP_1)
	v_add_nc_u32_e32 v26, s9, v24
	v_add_nc_u32_e32 v28, s9, v26
	s_delay_alu instid0(VALU_DEP_1) | instskip(NEXT) | instid1(VALU_DEP_1)
	v_add_nc_u32_e32 v30, s9, v28
	v_add_nc_u32_e32 v32, s9, v30
	s_delay_alu instid0(VALU_DEP_1)
	v_add_nc_u32_e32 v34, s9, v32
	s_clause 0x5
	global_load_b64 v[64:65], v18, s[6:7] scale_offset
	global_load_b64 v[66:67], v20, s[6:7] scale_offset
	;; [unrolled: 1-line block ×6, first 2 shown]
	v_add_nc_u32_e32 v36, s9, v34
	s_delay_alu instid0(VALU_DEP_1) | instskip(NEXT) | instid1(VALU_DEP_1)
	v_add_nc_u32_e32 v38, s9, v36
	v_add_nc_u32_e32 v40, s9, v38
	s_delay_alu instid0(VALU_DEP_1) | instskip(NEXT) | instid1(VALU_DEP_1)
	v_add_nc_u32_e32 v42, s9, v40
	v_add_nc_u32_e32 v44, s9, v42
	s_wait_loadcnt 0xc
	scratch_store_b128 off, v[48:51], off
	s_wait_xcnt 0x0
	v_add_nc_u32_e32 v48, s9, v44
	s_wait_loadcnt 0xa
	scratch_store_b128 off, v[52:55], off offset:16
	s_clause 0x1
	global_load_b64 v[76:77], v30, s[6:7] scale_offset
	global_load_b64 v[78:79], v32, s[6:7] scale_offset
	s_wait_loadcnt 0xa
	scratch_store_b128 off, v[56:59], off offset:32
	s_wait_loadcnt 0x8
	scratch_store_b128 off, v[60:63], off offset:48
	v_add_nc_u32_e32 v50, s9, v48
	s_clause 0x3
	global_load_b64 v[54:55], v34, s[6:7] scale_offset
	global_load_b64 v[56:57], v36, s[6:7] scale_offset
	;; [unrolled: 1-line block ×4, first 2 shown]
	v_add_nc_u32_e32 v52, s9, v50
	s_wait_loadcnt 0xa
	scratch_store_b128 off, v[64:67], off offset:64
	s_wait_loadcnt 0x8
	scratch_store_b128 off, v[68:71], off offset:80
	;; [unrolled: 2-line block ×3, first 2 shown]
	s_clause 0x4
	global_load_b64 v[62:63], v42, s[6:7] scale_offset
	global_load_b64 v[64:65], v44, s[6:7] scale_offset
	;; [unrolled: 1-line block ×5, first 2 shown]
	s_wait_loadcnt 0x9
	scratch_store_b128 off, v[76:79], off offset:112
	s_wait_loadcnt 0x7
	scratch_store_b128 off, v[54:57], off offset:128
	;; [unrolled: 2-line block ×5, first 2 shown]
	s_wait_loadcnt 0x0
	scratch_store_b64 off, v[70:71], off offset:192
	s_cbranch_vccz .LBB24_7
; %bb.2:
	scratch_load_b64 v[54:55], v0, off scale_offset
                                        ; implicit-def: $vgpr59
                                        ; implicit-def: $vgpr56
	s_wait_loadcnt 0x0
	v_cmp_ngt_f32_e64 s0, |v54|, |v55|
	s_wait_xcnt 0x0
	s_and_saveexec_b32 s1, s0
	s_delay_alu instid0(SALU_CYCLE_1)
	s_xor_b32 s0, exec_lo, s1
	s_cbranch_execz .LBB24_4
; %bb.3:
	v_div_scale_f32 v1, null, v55, v55, v54
	v_div_scale_f32 v11, vcc_lo, v54, v55, v54
	s_delay_alu instid0(VALU_DEP_2) | instskip(SKIP_1) | instid1(TRANS32_DEP_1)
	v_rcp_f32_e32 v7, v1
	v_nop
	v_fma_f32 v9, -v1, v7, 1.0
	s_delay_alu instid0(VALU_DEP_1) | instskip(NEXT) | instid1(VALU_DEP_1)
	v_fmac_f32_e32 v7, v9, v7
	v_mul_f32_e32 v9, v11, v7
	s_delay_alu instid0(VALU_DEP_1) | instskip(NEXT) | instid1(VALU_DEP_1)
	v_fma_f32 v13, -v1, v9, v11
	v_fmac_f32_e32 v9, v13, v7
	s_delay_alu instid0(VALU_DEP_1) | instskip(NEXT) | instid1(VALU_DEP_1)
	v_fma_f32 v1, -v1, v9, v11
	v_div_fmas_f32 v1, v1, v7, v9
	s_delay_alu instid0(VALU_DEP_1) | instskip(NEXT) | instid1(VALU_DEP_1)
	v_div_fixup_f32 v1, v1, v55, v54
	v_fmac_f32_e32 v55, v54, v1
	s_delay_alu instid0(VALU_DEP_1) | instskip(NEXT) | instid1(VALU_DEP_1)
	v_div_scale_f32 v7, null, v55, v55, -1.0
	v_rcp_f32_e32 v9, v7
	v_nop
	s_delay_alu instid0(TRANS32_DEP_1) | instskip(NEXT) | instid1(VALU_DEP_1)
	v_fma_f32 v11, -v7, v9, 1.0
	v_fmac_f32_e32 v9, v11, v9
	v_div_scale_f32 v11, vcc_lo, -1.0, v55, -1.0
	s_delay_alu instid0(VALU_DEP_1) | instskip(NEXT) | instid1(VALU_DEP_1)
	v_mul_f32_e32 v13, v11, v9
	v_fma_f32 v15, -v7, v13, v11
	s_delay_alu instid0(VALU_DEP_1) | instskip(NEXT) | instid1(VALU_DEP_1)
	v_fmac_f32_e32 v13, v15, v9
	v_fma_f32 v7, -v7, v13, v11
	s_delay_alu instid0(VALU_DEP_1) | instskip(NEXT) | instid1(VALU_DEP_1)
	v_div_fmas_f32 v7, v7, v9, v13
	v_div_fixup_f32 v59, v7, v55, -1.0
                                        ; implicit-def: $vgpr54_vgpr55
	s_delay_alu instid0(VALU_DEP_1) | instskip(NEXT) | instid1(VALU_DEP_1)
	v_mul_f32_e32 v56, v1, v59
	v_xor_b32_e32 v58, 0x80000000, v56
.LBB24_4:
	s_or_saveexec_b32 s0, s0
	v_lshl_add_u32 v1, v0, 3, 0
	s_xor_b32 exec_lo, exec_lo, s0
	s_cbranch_execz .LBB24_6
; %bb.5:
	v_div_scale_f32 v7, null, v54, v54, v55
	v_div_scale_f32 v13, vcc_lo, v55, v54, v55
	s_delay_alu instid0(VALU_DEP_2) | instskip(SKIP_1) | instid1(TRANS32_DEP_1)
	v_rcp_f32_e32 v9, v7
	v_nop
	v_fma_f32 v11, -v7, v9, 1.0
	s_delay_alu instid0(VALU_DEP_1) | instskip(NEXT) | instid1(VALU_DEP_1)
	v_fmac_f32_e32 v9, v11, v9
	v_mul_f32_e32 v11, v13, v9
	s_delay_alu instid0(VALU_DEP_1) | instskip(NEXT) | instid1(VALU_DEP_1)
	v_fma_f32 v15, -v7, v11, v13
	v_fmac_f32_e32 v11, v15, v9
	s_delay_alu instid0(VALU_DEP_1) | instskip(NEXT) | instid1(VALU_DEP_1)
	v_fma_f32 v7, -v7, v11, v13
	v_div_fmas_f32 v7, v7, v9, v11
	s_delay_alu instid0(VALU_DEP_1) | instskip(NEXT) | instid1(VALU_DEP_1)
	v_div_fixup_f32 v7, v7, v54, v55
	v_fmac_f32_e32 v54, v55, v7
	s_delay_alu instid0(VALU_DEP_1) | instskip(SKIP_1) | instid1(VALU_DEP_2)
	v_div_scale_f32 v9, null, v54, v54, 1.0
	v_div_scale_f32 v15, vcc_lo, 1.0, v54, 1.0
	v_rcp_f32_e32 v11, v9
	v_nop
	s_delay_alu instid0(TRANS32_DEP_1) | instskip(NEXT) | instid1(VALU_DEP_1)
	v_fma_f32 v13, -v9, v11, 1.0
	v_fmac_f32_e32 v11, v13, v11
	s_delay_alu instid0(VALU_DEP_1) | instskip(NEXT) | instid1(VALU_DEP_1)
	v_mul_f32_e32 v13, v15, v11
	v_fma_f32 v17, -v9, v13, v15
	s_delay_alu instid0(VALU_DEP_1) | instskip(NEXT) | instid1(VALU_DEP_1)
	v_fmac_f32_e32 v13, v17, v11
	v_fma_f32 v9, -v9, v13, v15
	s_delay_alu instid0(VALU_DEP_1) | instskip(NEXT) | instid1(VALU_DEP_1)
	v_div_fmas_f32 v9, v9, v11, v13
	v_div_fixup_f32 v58, v9, v54, 1.0
	s_delay_alu instid0(VALU_DEP_1)
	v_xor_b32_e32 v56, 0x80000000, v58
	v_mul_f32_e64 v59, v7, -v58
.LBB24_6:
	s_or_b32 exec_lo, exec_lo, s0
	s_delay_alu instid0(VALU_DEP_1)
	v_xor_b32_e32 v57, 0x80000000, v59
	s_mov_b32 s0, 0
	scratch_store_b64 v1, v[58:59], off
	ds_store_b64 v46, v[56:57]
.LBB24_7:
	s_and_b32 vcc_lo, exec_lo, s0
	s_cbranch_vccz .LBB24_9
; %bb.8:
	s_mov_b64 s[0:1], 0xbf800000
	s_wait_xcnt 0x4
	v_mov_b64_e32 v[54:55], s[0:1]
	ds_store_b64 v46, v[54:55]
.LBB24_9:
	v_dual_ashrrev_i32 v7, 31, v6 :: v_dual_ashrrev_i32 v9, 31, v8
	v_dual_ashrrev_i32 v11, 31, v10 :: v_dual_ashrrev_i32 v13, 31, v12
	;; [unrolled: 1-line block ×11, first 2 shown]
	v_dual_ashrrev_i32 v53, 31, v52 :: v_dual_mov_b32 v47, v46
	s_wait_xcnt 0x0
	v_add_nc_u32_e32 v1, 0xd0, v46
	s_cmp_eq_u32 s4, 0x79
	s_cbranch_scc1 .LBB24_13
; %bb.10:
	scratch_load_b64 v[54:55], off, off offset:184
	v_cmp_eq_u32_e64 s0, 24, v0
	s_movk_i32 s1, 0x50
	s_movk_i32 s2, 0x60
	;; [unrolled: 1-line block ×7, first 2 shown]
	s_wait_loadcnt 0x0
	ds_store_b64 v1, v[54:55]
	s_wait_storecnt_dscnt 0x0
	s_barrier_signal -1
	s_barrier_wait -1
	s_wait_xcnt 0x0
	s_and_saveexec_b32 s4, s0
	s_cbranch_execz .LBB24_17
; %bb.11:
	s_and_b32 vcc_lo, exec_lo, s3
	s_cbranch_vccz .LBB24_14
; %bb.12:
	scratch_load_b64 v[54:55], v47, off
	ds_load_b64 v[56:57], v1
	s_wait_loadcnt_dscnt 0x0
	v_pk_mul_f32 v[58:59], v[56:57], v[54:55] op_sel:[1,1] op_sel_hi:[0,1]
	v_pk_mul_f32 v[60:61], v[56:57], v[54:55] op_sel_hi:[1,0]
	s_delay_alu instid0(VALU_DEP_2) | instskip(NEXT) | instid1(VALU_DEP_2)
	v_pk_fma_f32 v[54:55], v[56:57], v[54:55], v[58:59] op_sel_hi:[1,0,1]
	v_sub_f32_e32 v54, v60, v58
	s_cbranch_execz .LBB24_15
	s_branch .LBB24_16
.LBB24_13:
	s_mov_b32 s1, 0
                                        ; implicit-def: $vgpr60
                                        ; implicit-def: $sgpr4
	s_cbranch_execnz .LBB24_246
	s_branch .LBB24_481
.LBB24_14:
                                        ; implicit-def: $vgpr55
.LBB24_15:
	ds_load_b64 v[54:55], v1
.LBB24_16:
	s_wait_dscnt 0x0
	v_dual_mov_b32 v56, 0 :: v_dual_mov_b32 v58, v55
	v_mov_b32_e32 v59, v54
	ds_load_b64 v[56:57], v56 offset:184
	s_wait_dscnt 0x0
	v_pk_mul_f32 v[58:59], v[58:59], v[56:57] op_sel:[0,1]
	s_delay_alu instid0(VALU_DEP_1) | instskip(SKIP_1) | instid1(VALU_DEP_2)
	v_pk_fma_f32 v[60:61], v[54:55], v[56:57], v[58:59] op_sel_hi:[1,0,1]
	v_pk_fma_f32 v[54:55], v[54:55], v[56:57], v[58:59] neg_lo:[0,0,1] neg_hi:[0,0,1]
	v_mov_b32_e32 v55, v61
	scratch_store_b64 off, v[54:55], off offset:184
.LBB24_17:
	s_wait_xcnt 0x0
	s_or_b32 exec_lo, exec_lo, s4
	scratch_load_b64 v[54:55], off, off offset:176
	s_mov_b32 s11, s2
	v_cmp_lt_u32_e64 s2, 22, v0
	s_mov_b32 s4, 16
	s_mov_b32 s5, 32
	;; [unrolled: 1-line block ×5, first 2 shown]
	s_wait_loadcnt 0x0
	ds_store_b64 v1, v[54:55]
	s_wait_storecnt_dscnt 0x0
	s_barrier_signal -1
	s_barrier_wait -1
	s_wait_xcnt 0x0
	s_and_saveexec_b32 s1, s2
	s_cbranch_execz .LBB24_25
; %bb.18:
	s_and_not1_b32 vcc_lo, exec_lo, s3
	s_cbranch_vccnz .LBB24_20
; %bb.19:
	scratch_load_b64 v[54:55], v47, off
	ds_load_b64 v[56:57], v1
	s_wait_loadcnt_dscnt 0x0
	v_pk_mul_f32 v[58:59], v[56:57], v[54:55] op_sel:[1,1] op_sel_hi:[0,1]
	s_delay_alu instid0(VALU_DEP_1) | instskip(SKIP_1) | instid1(VALU_DEP_2)
	v_pk_fma_f32 v[60:61], v[56:57], v[54:55], v[58:59] op_sel_hi:[1,0,1]
	v_pk_fma_f32 v[54:55], v[56:57], v[54:55], v[58:59] neg_lo:[0,0,1] neg_hi:[0,0,1]
	v_mov_b32_e32 v55, v61
	s_cbranch_execz .LBB24_21
	s_branch .LBB24_22
.LBB24_20:
                                        ; implicit-def: $vgpr54_vgpr55
.LBB24_21:
	ds_load_b64 v[54:55], v1
.LBB24_22:
	s_and_saveexec_b32 s17, s0
	s_cbranch_execz .LBB24_24
; %bb.23:
	scratch_load_b64 v[56:57], off, off offset:184
	v_mov_b32_e32 v58, 0
	ds_load_b64 v[58:59], v58 offset:392
	s_wait_loadcnt_dscnt 0x0
	v_pk_mul_f32 v[60:61], v[58:59], v[56:57] op_sel:[1,1] op_sel_hi:[0,1]
	s_delay_alu instid0(VALU_DEP_1) | instskip(SKIP_1) | instid1(VALU_DEP_2)
	v_pk_fma_f32 v[62:63], v[58:59], v[56:57], v[60:61] op_sel_hi:[1,0,1]
	v_pk_fma_f32 v[56:57], v[58:59], v[56:57], v[60:61] neg_lo:[0,0,1] neg_hi:[0,0,1]
	v_mov_b32_e32 v57, v63
	s_delay_alu instid0(VALU_DEP_1)
	v_pk_add_f32 v[54:55], v[54:55], v[56:57]
.LBB24_24:
	s_or_b32 exec_lo, exec_lo, s17
	v_mov_b32_e32 v56, 0
	ds_load_b64 v[56:57], v56 offset:176
	s_wait_dscnt 0x0
	v_pk_mul_f32 v[58:59], v[54:55], v[56:57] op_sel:[1,1] op_sel_hi:[0,1]
	s_delay_alu instid0(VALU_DEP_1) | instskip(SKIP_1) | instid1(VALU_DEP_2)
	v_pk_fma_f32 v[60:61], v[54:55], v[56:57], v[58:59] op_sel_hi:[1,0,1]
	v_pk_fma_f32 v[54:55], v[54:55], v[56:57], v[58:59] neg_lo:[0,0,1] neg_hi:[0,0,1]
	v_mov_b32_e32 v55, v61
	scratch_store_b64 off, v[54:55], off offset:176
.LBB24_25:
	s_wait_xcnt 0x0
	s_or_b32 exec_lo, exec_lo, s1
	scratch_load_b64 v[54:55], off, off offset:168
	v_cmp_lt_u32_e64 s1, 21, v0
	s_wait_loadcnt 0x0
	ds_store_b64 v1, v[54:55]
	s_wait_storecnt_dscnt 0x0
	s_barrier_signal -1
	s_barrier_wait -1
	s_wait_xcnt 0x0
	s_and_saveexec_b32 s0, s1
	s_cbranch_execz .LBB24_35
; %bb.26:
	s_and_not1_b32 vcc_lo, exec_lo, s3
	s_cbranch_vccnz .LBB24_28
; %bb.27:
	scratch_load_b64 v[54:55], v47, off
	ds_load_b64 v[56:57], v1
	s_wait_loadcnt_dscnt 0x0
	v_pk_mul_f32 v[58:59], v[56:57], v[54:55] op_sel:[1,1] op_sel_hi:[0,1]
	s_delay_alu instid0(VALU_DEP_1) | instskip(SKIP_1) | instid1(VALU_DEP_2)
	v_pk_fma_f32 v[60:61], v[56:57], v[54:55], v[58:59] op_sel_hi:[1,0,1]
	v_pk_fma_f32 v[54:55], v[56:57], v[54:55], v[58:59] neg_lo:[0,0,1] neg_hi:[0,0,1]
	v_mov_b32_e32 v55, v61
	s_cbranch_execz .LBB24_29
	s_branch .LBB24_30
.LBB24_28:
                                        ; implicit-def: $vgpr54_vgpr55
.LBB24_29:
	ds_load_b64 v[54:55], v1
.LBB24_30:
	s_and_saveexec_b32 s17, s2
	s_cbranch_execz .LBB24_34
; %bb.31:
	v_subrev_nc_u32_e32 v56, 22, v0
	s_movk_i32 s18, 0x180
	s_mov_b32 s2, 0
.LBB24_32:                              ; =>This Inner Loop Header: Depth=1
	scratch_load_b64 v[58:59], off, s16
	v_dual_mov_b32 v57, s18 :: v_dual_add_nc_u32 v56, -1, v56
	s_add_co_i32 s18, s18, 8
	s_wait_xcnt 0x0
	s_add_co_i32 s16, s16, 8
	ds_load_b64 v[60:61], v57
	v_cmp_eq_u32_e32 vcc_lo, 0, v56
	s_or_b32 s2, vcc_lo, s2
	s_wait_loadcnt_dscnt 0x0
	v_pk_mul_f32 v[62:63], v[60:61], v[58:59] op_sel:[1,1] op_sel_hi:[0,1]
	s_delay_alu instid0(VALU_DEP_1) | instskip(SKIP_1) | instid1(VALU_DEP_2)
	v_pk_fma_f32 v[64:65], v[60:61], v[58:59], v[62:63] op_sel_hi:[1,0,1]
	v_pk_fma_f32 v[58:59], v[60:61], v[58:59], v[62:63] neg_lo:[0,0,1] neg_hi:[0,0,1]
	v_mov_b32_e32 v59, v65
	s_delay_alu instid0(VALU_DEP_1)
	v_pk_add_f32 v[54:55], v[54:55], v[58:59]
	s_and_not1_b32 exec_lo, exec_lo, s2
	s_cbranch_execnz .LBB24_32
; %bb.33:
	s_or_b32 exec_lo, exec_lo, s2
.LBB24_34:
	s_delay_alu instid0(SALU_CYCLE_1) | instskip(SKIP_4) | instid1(VALU_DEP_1)
	s_or_b32 exec_lo, exec_lo, s17
	v_mov_b32_e32 v56, 0
	ds_load_b64 v[56:57], v56 offset:168
	s_wait_dscnt 0x0
	v_pk_mul_f32 v[58:59], v[54:55], v[56:57] op_sel:[1,1] op_sel_hi:[0,1]
	v_pk_fma_f32 v[60:61], v[54:55], v[56:57], v[58:59] op_sel_hi:[1,0,1]
	v_pk_fma_f32 v[54:55], v[54:55], v[56:57], v[58:59] neg_lo:[0,0,1] neg_hi:[0,0,1]
	s_delay_alu instid0(VALU_DEP_2)
	v_mov_b32_e32 v55, v61
	scratch_store_b64 off, v[54:55], off offset:168
.LBB24_35:
	s_wait_xcnt 0x0
	s_or_b32 exec_lo, exec_lo, s0
	scratch_load_b64 v[54:55], off, off offset:160
	v_cmp_lt_u32_e64 s0, 20, v0
	s_wait_loadcnt 0x0
	ds_store_b64 v1, v[54:55]
	s_wait_storecnt_dscnt 0x0
	s_barrier_signal -1
	s_barrier_wait -1
	s_wait_xcnt 0x0
	s_and_saveexec_b32 s2, s0
	s_cbranch_execz .LBB24_45
; %bb.36:
	s_and_not1_b32 vcc_lo, exec_lo, s3
	s_cbranch_vccnz .LBB24_38
; %bb.37:
	scratch_load_b64 v[54:55], v47, off
	ds_load_b64 v[56:57], v1
	s_wait_loadcnt_dscnt 0x0
	v_pk_mul_f32 v[58:59], v[56:57], v[54:55] op_sel:[1,1] op_sel_hi:[0,1]
	s_delay_alu instid0(VALU_DEP_1) | instskip(SKIP_1) | instid1(VALU_DEP_2)
	v_pk_fma_f32 v[60:61], v[56:57], v[54:55], v[58:59] op_sel_hi:[1,0,1]
	v_pk_fma_f32 v[54:55], v[56:57], v[54:55], v[58:59] neg_lo:[0,0,1] neg_hi:[0,0,1]
	v_mov_b32_e32 v55, v61
	s_cbranch_execz .LBB24_39
	s_branch .LBB24_40
.LBB24_38:
                                        ; implicit-def: $vgpr54_vgpr55
.LBB24_39:
	ds_load_b64 v[54:55], v1
.LBB24_40:
	s_and_saveexec_b32 s16, s1
	s_cbranch_execz .LBB24_44
; %bb.41:
	v_subrev_nc_u32_e32 v56, 21, v0
	s_movk_i32 s1, 0xa8
	s_movk_i32 s18, 0x178
	s_mov_b32 s17, 0
.LBB24_42:                              ; =>This Inner Loop Header: Depth=1
	scratch_load_b64 v[58:59], off, s1
	v_dual_mov_b32 v57, s18 :: v_dual_add_nc_u32 v56, -1, v56
	s_add_co_i32 s18, s18, 8
	s_wait_xcnt 0x0
	s_add_co_i32 s1, s1, 8
	ds_load_b64 v[60:61], v57
	v_cmp_eq_u32_e32 vcc_lo, 0, v56
	s_or_b32 s17, vcc_lo, s17
	s_wait_loadcnt_dscnt 0x0
	v_pk_mul_f32 v[62:63], v[60:61], v[58:59] op_sel:[1,1] op_sel_hi:[0,1]
	s_delay_alu instid0(VALU_DEP_1) | instskip(SKIP_1) | instid1(VALU_DEP_2)
	v_pk_fma_f32 v[64:65], v[60:61], v[58:59], v[62:63] op_sel_hi:[1,0,1]
	v_pk_fma_f32 v[58:59], v[60:61], v[58:59], v[62:63] neg_lo:[0,0,1] neg_hi:[0,0,1]
	v_mov_b32_e32 v59, v65
	s_delay_alu instid0(VALU_DEP_1)
	v_pk_add_f32 v[54:55], v[54:55], v[58:59]
	s_and_not1_b32 exec_lo, exec_lo, s17
	s_cbranch_execnz .LBB24_42
; %bb.43:
	s_or_b32 exec_lo, exec_lo, s17
.LBB24_44:
	s_delay_alu instid0(SALU_CYCLE_1) | instskip(SKIP_4) | instid1(VALU_DEP_1)
	s_or_b32 exec_lo, exec_lo, s16
	v_mov_b32_e32 v56, 0
	ds_load_b64 v[56:57], v56 offset:160
	s_wait_dscnt 0x0
	v_pk_mul_f32 v[58:59], v[54:55], v[56:57] op_sel:[1,1] op_sel_hi:[0,1]
	v_pk_fma_f32 v[60:61], v[54:55], v[56:57], v[58:59] op_sel_hi:[1,0,1]
	v_pk_fma_f32 v[54:55], v[54:55], v[56:57], v[58:59] neg_lo:[0,0,1] neg_hi:[0,0,1]
	s_delay_alu instid0(VALU_DEP_2)
	v_mov_b32_e32 v55, v61
	scratch_store_b64 off, v[54:55], off offset:160
.LBB24_45:
	s_wait_xcnt 0x0
	s_or_b32 exec_lo, exec_lo, s2
	scratch_load_b64 v[54:55], off, off offset:152
	v_cmp_lt_u32_e64 s1, 19, v0
	s_wait_loadcnt 0x0
	ds_store_b64 v1, v[54:55]
	s_wait_storecnt_dscnt 0x0
	s_barrier_signal -1
	s_barrier_wait -1
	s_wait_xcnt 0x0
	s_and_saveexec_b32 s2, s1
	s_cbranch_execz .LBB24_55
; %bb.46:
	s_and_not1_b32 vcc_lo, exec_lo, s3
	s_cbranch_vccnz .LBB24_48
; %bb.47:
	scratch_load_b64 v[54:55], v47, off
	ds_load_b64 v[56:57], v1
	s_wait_loadcnt_dscnt 0x0
	v_pk_mul_f32 v[58:59], v[56:57], v[54:55] op_sel:[1,1] op_sel_hi:[0,1]
	s_delay_alu instid0(VALU_DEP_1) | instskip(SKIP_1) | instid1(VALU_DEP_2)
	v_pk_fma_f32 v[60:61], v[56:57], v[54:55], v[58:59] op_sel_hi:[1,0,1]
	v_pk_fma_f32 v[54:55], v[56:57], v[54:55], v[58:59] neg_lo:[0,0,1] neg_hi:[0,0,1]
	v_mov_b32_e32 v55, v61
	s_cbranch_execz .LBB24_49
	s_branch .LBB24_50
.LBB24_48:
                                        ; implicit-def: $vgpr54_vgpr55
.LBB24_49:
	ds_load_b64 v[54:55], v1
.LBB24_50:
	s_and_saveexec_b32 s16, s0
	s_cbranch_execz .LBB24_54
; %bb.51:
	v_subrev_nc_u32_e32 v56, 20, v0
	s_movk_i32 s17, 0x170
	s_mov_b32 s0, 0
.LBB24_52:                              ; =>This Inner Loop Header: Depth=1
	scratch_load_b64 v[58:59], off, s15
	v_dual_mov_b32 v57, s17 :: v_dual_add_nc_u32 v56, -1, v56
	s_add_co_i32 s17, s17, 8
	s_wait_xcnt 0x0
	s_add_co_i32 s15, s15, 8
	ds_load_b64 v[60:61], v57
	v_cmp_eq_u32_e32 vcc_lo, 0, v56
	s_or_b32 s0, vcc_lo, s0
	s_wait_loadcnt_dscnt 0x0
	v_pk_mul_f32 v[62:63], v[60:61], v[58:59] op_sel:[1,1] op_sel_hi:[0,1]
	s_delay_alu instid0(VALU_DEP_1) | instskip(SKIP_1) | instid1(VALU_DEP_2)
	v_pk_fma_f32 v[64:65], v[60:61], v[58:59], v[62:63] op_sel_hi:[1,0,1]
	v_pk_fma_f32 v[58:59], v[60:61], v[58:59], v[62:63] neg_lo:[0,0,1] neg_hi:[0,0,1]
	v_mov_b32_e32 v59, v65
	s_delay_alu instid0(VALU_DEP_1)
	v_pk_add_f32 v[54:55], v[54:55], v[58:59]
	s_and_not1_b32 exec_lo, exec_lo, s0
	s_cbranch_execnz .LBB24_52
; %bb.53:
	s_or_b32 exec_lo, exec_lo, s0
.LBB24_54:
	s_delay_alu instid0(SALU_CYCLE_1) | instskip(SKIP_4) | instid1(VALU_DEP_1)
	s_or_b32 exec_lo, exec_lo, s16
	v_mov_b32_e32 v56, 0
	ds_load_b64 v[56:57], v56 offset:152
	s_wait_dscnt 0x0
	v_pk_mul_f32 v[58:59], v[54:55], v[56:57] op_sel:[1,1] op_sel_hi:[0,1]
	v_pk_fma_f32 v[60:61], v[54:55], v[56:57], v[58:59] op_sel_hi:[1,0,1]
	v_pk_fma_f32 v[54:55], v[54:55], v[56:57], v[58:59] neg_lo:[0,0,1] neg_hi:[0,0,1]
	s_delay_alu instid0(VALU_DEP_2)
	v_mov_b32_e32 v55, v61
	scratch_store_b64 off, v[54:55], off offset:152
.LBB24_55:
	s_wait_xcnt 0x0
	s_or_b32 exec_lo, exec_lo, s2
	scratch_load_b64 v[54:55], off, off offset:144
	v_cmp_lt_u32_e64 s0, 18, v0
	s_wait_loadcnt 0x0
	ds_store_b64 v1, v[54:55]
	s_wait_storecnt_dscnt 0x0
	s_barrier_signal -1
	s_barrier_wait -1
	s_wait_xcnt 0x0
	s_and_saveexec_b32 s2, s0
	s_cbranch_execz .LBB24_65
; %bb.56:
	s_and_not1_b32 vcc_lo, exec_lo, s3
	s_cbranch_vccnz .LBB24_58
; %bb.57:
	scratch_load_b64 v[54:55], v47, off
	ds_load_b64 v[56:57], v1
	s_wait_loadcnt_dscnt 0x0
	v_pk_mul_f32 v[58:59], v[56:57], v[54:55] op_sel:[1,1] op_sel_hi:[0,1]
	s_delay_alu instid0(VALU_DEP_1) | instskip(SKIP_1) | instid1(VALU_DEP_2)
	v_pk_fma_f32 v[60:61], v[56:57], v[54:55], v[58:59] op_sel_hi:[1,0,1]
	v_pk_fma_f32 v[54:55], v[56:57], v[54:55], v[58:59] neg_lo:[0,0,1] neg_hi:[0,0,1]
	v_mov_b32_e32 v55, v61
	s_cbranch_execz .LBB24_59
	s_branch .LBB24_60
.LBB24_58:
                                        ; implicit-def: $vgpr54_vgpr55
.LBB24_59:
	ds_load_b64 v[54:55], v1
.LBB24_60:
	s_and_saveexec_b32 s15, s1
	s_cbranch_execz .LBB24_64
; %bb.61:
	v_subrev_nc_u32_e32 v56, 19, v0
	s_movk_i32 s1, 0x98
	s_movk_i32 s17, 0x168
	s_mov_b32 s16, 0
.LBB24_62:                              ; =>This Inner Loop Header: Depth=1
	scratch_load_b64 v[58:59], off, s1
	v_dual_mov_b32 v57, s17 :: v_dual_add_nc_u32 v56, -1, v56
	s_add_co_i32 s17, s17, 8
	s_wait_xcnt 0x0
	s_add_co_i32 s1, s1, 8
	ds_load_b64 v[60:61], v57
	v_cmp_eq_u32_e32 vcc_lo, 0, v56
	s_or_b32 s16, vcc_lo, s16
	s_wait_loadcnt_dscnt 0x0
	v_pk_mul_f32 v[62:63], v[60:61], v[58:59] op_sel:[1,1] op_sel_hi:[0,1]
	s_delay_alu instid0(VALU_DEP_1) | instskip(SKIP_1) | instid1(VALU_DEP_2)
	v_pk_fma_f32 v[64:65], v[60:61], v[58:59], v[62:63] op_sel_hi:[1,0,1]
	v_pk_fma_f32 v[58:59], v[60:61], v[58:59], v[62:63] neg_lo:[0,0,1] neg_hi:[0,0,1]
	v_mov_b32_e32 v59, v65
	s_delay_alu instid0(VALU_DEP_1)
	v_pk_add_f32 v[54:55], v[54:55], v[58:59]
	s_and_not1_b32 exec_lo, exec_lo, s16
	s_cbranch_execnz .LBB24_62
; %bb.63:
	s_or_b32 exec_lo, exec_lo, s16
.LBB24_64:
	s_delay_alu instid0(SALU_CYCLE_1) | instskip(SKIP_4) | instid1(VALU_DEP_1)
	s_or_b32 exec_lo, exec_lo, s15
	v_mov_b32_e32 v56, 0
	ds_load_b64 v[56:57], v56 offset:144
	s_wait_dscnt 0x0
	v_pk_mul_f32 v[58:59], v[54:55], v[56:57] op_sel:[1,1] op_sel_hi:[0,1]
	v_pk_fma_f32 v[60:61], v[54:55], v[56:57], v[58:59] op_sel_hi:[1,0,1]
	v_pk_fma_f32 v[54:55], v[54:55], v[56:57], v[58:59] neg_lo:[0,0,1] neg_hi:[0,0,1]
	s_delay_alu instid0(VALU_DEP_2)
	v_mov_b32_e32 v55, v61
	scratch_store_b64 off, v[54:55], off offset:144
.LBB24_65:
	s_wait_xcnt 0x0
	s_or_b32 exec_lo, exec_lo, s2
	scratch_load_b64 v[54:55], off, off offset:136
	v_cmp_lt_u32_e64 s1, 17, v0
	s_wait_loadcnt 0x0
	ds_store_b64 v1, v[54:55]
	s_wait_storecnt_dscnt 0x0
	s_barrier_signal -1
	s_barrier_wait -1
	s_wait_xcnt 0x0
	s_and_saveexec_b32 s2, s1
	s_cbranch_execz .LBB24_75
; %bb.66:
	s_and_not1_b32 vcc_lo, exec_lo, s3
	s_cbranch_vccnz .LBB24_68
; %bb.67:
	scratch_load_b64 v[54:55], v47, off
	ds_load_b64 v[56:57], v1
	s_wait_loadcnt_dscnt 0x0
	v_pk_mul_f32 v[58:59], v[56:57], v[54:55] op_sel:[1,1] op_sel_hi:[0,1]
	s_delay_alu instid0(VALU_DEP_1) | instskip(SKIP_1) | instid1(VALU_DEP_2)
	v_pk_fma_f32 v[60:61], v[56:57], v[54:55], v[58:59] op_sel_hi:[1,0,1]
	v_pk_fma_f32 v[54:55], v[56:57], v[54:55], v[58:59] neg_lo:[0,0,1] neg_hi:[0,0,1]
	v_mov_b32_e32 v55, v61
	s_cbranch_execz .LBB24_69
	s_branch .LBB24_70
.LBB24_68:
                                        ; implicit-def: $vgpr54_vgpr55
.LBB24_69:
	ds_load_b64 v[54:55], v1
.LBB24_70:
	s_and_saveexec_b32 s15, s0
	s_cbranch_execz .LBB24_74
; %bb.71:
	v_subrev_nc_u32_e32 v56, 18, v0
	s_movk_i32 s16, 0x160
	s_mov_b32 s0, 0
.LBB24_72:                              ; =>This Inner Loop Header: Depth=1
	scratch_load_b64 v[58:59], off, s14
	v_dual_mov_b32 v57, s16 :: v_dual_add_nc_u32 v56, -1, v56
	s_add_co_i32 s16, s16, 8
	s_wait_xcnt 0x0
	s_add_co_i32 s14, s14, 8
	ds_load_b64 v[60:61], v57
	v_cmp_eq_u32_e32 vcc_lo, 0, v56
	s_or_b32 s0, vcc_lo, s0
	s_wait_loadcnt_dscnt 0x0
	v_pk_mul_f32 v[62:63], v[60:61], v[58:59] op_sel:[1,1] op_sel_hi:[0,1]
	s_delay_alu instid0(VALU_DEP_1) | instskip(SKIP_1) | instid1(VALU_DEP_2)
	v_pk_fma_f32 v[64:65], v[60:61], v[58:59], v[62:63] op_sel_hi:[1,0,1]
	v_pk_fma_f32 v[58:59], v[60:61], v[58:59], v[62:63] neg_lo:[0,0,1] neg_hi:[0,0,1]
	v_mov_b32_e32 v59, v65
	s_delay_alu instid0(VALU_DEP_1)
	v_pk_add_f32 v[54:55], v[54:55], v[58:59]
	s_and_not1_b32 exec_lo, exec_lo, s0
	s_cbranch_execnz .LBB24_72
; %bb.73:
	s_or_b32 exec_lo, exec_lo, s0
.LBB24_74:
	s_delay_alu instid0(SALU_CYCLE_1) | instskip(SKIP_4) | instid1(VALU_DEP_1)
	s_or_b32 exec_lo, exec_lo, s15
	v_mov_b32_e32 v56, 0
	ds_load_b64 v[56:57], v56 offset:136
	s_wait_dscnt 0x0
	v_pk_mul_f32 v[58:59], v[54:55], v[56:57] op_sel:[1,1] op_sel_hi:[0,1]
	v_pk_fma_f32 v[60:61], v[54:55], v[56:57], v[58:59] op_sel_hi:[1,0,1]
	v_pk_fma_f32 v[54:55], v[54:55], v[56:57], v[58:59] neg_lo:[0,0,1] neg_hi:[0,0,1]
	s_delay_alu instid0(VALU_DEP_2)
	v_mov_b32_e32 v55, v61
	scratch_store_b64 off, v[54:55], off offset:136
.LBB24_75:
	s_wait_xcnt 0x0
	s_or_b32 exec_lo, exec_lo, s2
	scratch_load_b64 v[54:55], off, off offset:128
	v_cmp_lt_u32_e64 s0, 16, v0
	s_wait_loadcnt 0x0
	ds_store_b64 v1, v[54:55]
	s_wait_storecnt_dscnt 0x0
	s_barrier_signal -1
	s_barrier_wait -1
	s_wait_xcnt 0x0
	s_and_saveexec_b32 s2, s0
	s_cbranch_execz .LBB24_85
; %bb.76:
	s_and_not1_b32 vcc_lo, exec_lo, s3
	s_cbranch_vccnz .LBB24_78
; %bb.77:
	scratch_load_b64 v[54:55], v47, off
	ds_load_b64 v[56:57], v1
	s_wait_loadcnt_dscnt 0x0
	v_pk_mul_f32 v[58:59], v[56:57], v[54:55] op_sel:[1,1] op_sel_hi:[0,1]
	s_delay_alu instid0(VALU_DEP_1) | instskip(SKIP_1) | instid1(VALU_DEP_2)
	v_pk_fma_f32 v[60:61], v[56:57], v[54:55], v[58:59] op_sel_hi:[1,0,1]
	v_pk_fma_f32 v[54:55], v[56:57], v[54:55], v[58:59] neg_lo:[0,0,1] neg_hi:[0,0,1]
	v_mov_b32_e32 v55, v61
	s_cbranch_execz .LBB24_79
	s_branch .LBB24_80
.LBB24_78:
                                        ; implicit-def: $vgpr54_vgpr55
.LBB24_79:
	ds_load_b64 v[54:55], v1
.LBB24_80:
	s_and_saveexec_b32 s14, s1
	s_cbranch_execz .LBB24_84
; %bb.81:
	v_subrev_nc_u32_e32 v56, 17, v0
	s_movk_i32 s1, 0x88
	s_movk_i32 s16, 0x158
	s_mov_b32 s15, 0
.LBB24_82:                              ; =>This Inner Loop Header: Depth=1
	scratch_load_b64 v[58:59], off, s1
	v_dual_mov_b32 v57, s16 :: v_dual_add_nc_u32 v56, -1, v56
	s_add_co_i32 s16, s16, 8
	s_wait_xcnt 0x0
	s_add_co_i32 s1, s1, 8
	ds_load_b64 v[60:61], v57
	v_cmp_eq_u32_e32 vcc_lo, 0, v56
	s_or_b32 s15, vcc_lo, s15
	s_wait_loadcnt_dscnt 0x0
	v_pk_mul_f32 v[62:63], v[60:61], v[58:59] op_sel:[1,1] op_sel_hi:[0,1]
	s_delay_alu instid0(VALU_DEP_1) | instskip(SKIP_1) | instid1(VALU_DEP_2)
	v_pk_fma_f32 v[64:65], v[60:61], v[58:59], v[62:63] op_sel_hi:[1,0,1]
	v_pk_fma_f32 v[58:59], v[60:61], v[58:59], v[62:63] neg_lo:[0,0,1] neg_hi:[0,0,1]
	v_mov_b32_e32 v59, v65
	s_delay_alu instid0(VALU_DEP_1)
	v_pk_add_f32 v[54:55], v[54:55], v[58:59]
	s_and_not1_b32 exec_lo, exec_lo, s15
	s_cbranch_execnz .LBB24_82
; %bb.83:
	s_or_b32 exec_lo, exec_lo, s15
.LBB24_84:
	s_delay_alu instid0(SALU_CYCLE_1) | instskip(SKIP_4) | instid1(VALU_DEP_1)
	s_or_b32 exec_lo, exec_lo, s14
	v_mov_b32_e32 v56, 0
	ds_load_b64 v[56:57], v56 offset:128
	s_wait_dscnt 0x0
	v_pk_mul_f32 v[58:59], v[54:55], v[56:57] op_sel:[1,1] op_sel_hi:[0,1]
	v_pk_fma_f32 v[60:61], v[54:55], v[56:57], v[58:59] op_sel_hi:[1,0,1]
	v_pk_fma_f32 v[54:55], v[54:55], v[56:57], v[58:59] neg_lo:[0,0,1] neg_hi:[0,0,1]
	s_delay_alu instid0(VALU_DEP_2)
	v_mov_b32_e32 v55, v61
	scratch_store_b64 off, v[54:55], off offset:128
.LBB24_85:
	s_wait_xcnt 0x0
	s_or_b32 exec_lo, exec_lo, s2
	scratch_load_b64 v[54:55], off, off offset:120
	v_cmp_lt_u32_e64 s1, 15, v0
	s_wait_loadcnt 0x0
	ds_store_b64 v1, v[54:55]
	s_wait_storecnt_dscnt 0x0
	s_barrier_signal -1
	s_barrier_wait -1
	s_wait_xcnt 0x0
	s_and_saveexec_b32 s2, s1
	s_cbranch_execz .LBB24_95
; %bb.86:
	s_and_not1_b32 vcc_lo, exec_lo, s3
	s_cbranch_vccnz .LBB24_88
; %bb.87:
	scratch_load_b64 v[54:55], v47, off
	ds_load_b64 v[56:57], v1
	s_wait_loadcnt_dscnt 0x0
	v_pk_mul_f32 v[58:59], v[56:57], v[54:55] op_sel:[1,1] op_sel_hi:[0,1]
	s_delay_alu instid0(VALU_DEP_1) | instskip(SKIP_1) | instid1(VALU_DEP_2)
	v_pk_fma_f32 v[60:61], v[56:57], v[54:55], v[58:59] op_sel_hi:[1,0,1]
	v_pk_fma_f32 v[54:55], v[56:57], v[54:55], v[58:59] neg_lo:[0,0,1] neg_hi:[0,0,1]
	v_mov_b32_e32 v55, v61
	s_cbranch_execz .LBB24_89
	s_branch .LBB24_90
.LBB24_88:
                                        ; implicit-def: $vgpr54_vgpr55
.LBB24_89:
	ds_load_b64 v[54:55], v1
.LBB24_90:
	s_and_saveexec_b32 s14, s0
	s_cbranch_execz .LBB24_94
; %bb.91:
	v_add_nc_u32_e32 v56, -16, v0
	s_movk_i32 s15, 0x150
	s_mov_b32 s0, 0
.LBB24_92:                              ; =>This Inner Loop Header: Depth=1
	scratch_load_b64 v[58:59], off, s13
	v_dual_mov_b32 v57, s15 :: v_dual_add_nc_u32 v56, -1, v56
	s_add_co_i32 s15, s15, 8
	s_wait_xcnt 0x0
	s_add_co_i32 s13, s13, 8
	ds_load_b64 v[60:61], v57
	v_cmp_eq_u32_e32 vcc_lo, 0, v56
	s_or_b32 s0, vcc_lo, s0
	s_wait_loadcnt_dscnt 0x0
	v_pk_mul_f32 v[62:63], v[60:61], v[58:59] op_sel:[1,1] op_sel_hi:[0,1]
	s_delay_alu instid0(VALU_DEP_1) | instskip(SKIP_1) | instid1(VALU_DEP_2)
	v_pk_fma_f32 v[64:65], v[60:61], v[58:59], v[62:63] op_sel_hi:[1,0,1]
	v_pk_fma_f32 v[58:59], v[60:61], v[58:59], v[62:63] neg_lo:[0,0,1] neg_hi:[0,0,1]
	v_mov_b32_e32 v59, v65
	s_delay_alu instid0(VALU_DEP_1)
	v_pk_add_f32 v[54:55], v[54:55], v[58:59]
	s_and_not1_b32 exec_lo, exec_lo, s0
	s_cbranch_execnz .LBB24_92
; %bb.93:
	s_or_b32 exec_lo, exec_lo, s0
.LBB24_94:
	s_delay_alu instid0(SALU_CYCLE_1) | instskip(SKIP_4) | instid1(VALU_DEP_1)
	s_or_b32 exec_lo, exec_lo, s14
	v_mov_b32_e32 v56, 0
	ds_load_b64 v[56:57], v56 offset:120
	s_wait_dscnt 0x0
	v_pk_mul_f32 v[58:59], v[54:55], v[56:57] op_sel:[1,1] op_sel_hi:[0,1]
	v_pk_fma_f32 v[60:61], v[54:55], v[56:57], v[58:59] op_sel_hi:[1,0,1]
	v_pk_fma_f32 v[54:55], v[54:55], v[56:57], v[58:59] neg_lo:[0,0,1] neg_hi:[0,0,1]
	s_delay_alu instid0(VALU_DEP_2)
	v_mov_b32_e32 v55, v61
	scratch_store_b64 off, v[54:55], off offset:120
.LBB24_95:
	s_wait_xcnt 0x0
	s_or_b32 exec_lo, exec_lo, s2
	scratch_load_b64 v[54:55], off, off offset:112
	v_cmp_lt_u32_e64 s0, 14, v0
	s_wait_loadcnt 0x0
	ds_store_b64 v1, v[54:55]
	s_wait_storecnt_dscnt 0x0
	s_barrier_signal -1
	s_barrier_wait -1
	s_wait_xcnt 0x0
	s_and_saveexec_b32 s2, s0
	s_cbranch_execz .LBB24_105
; %bb.96:
	s_and_not1_b32 vcc_lo, exec_lo, s3
	s_cbranch_vccnz .LBB24_98
; %bb.97:
	scratch_load_b64 v[54:55], v47, off
	ds_load_b64 v[56:57], v1
	s_wait_loadcnt_dscnt 0x0
	v_pk_mul_f32 v[58:59], v[56:57], v[54:55] op_sel:[1,1] op_sel_hi:[0,1]
	s_delay_alu instid0(VALU_DEP_1) | instskip(SKIP_1) | instid1(VALU_DEP_2)
	v_pk_fma_f32 v[60:61], v[56:57], v[54:55], v[58:59] op_sel_hi:[1,0,1]
	v_pk_fma_f32 v[54:55], v[56:57], v[54:55], v[58:59] neg_lo:[0,0,1] neg_hi:[0,0,1]
	v_mov_b32_e32 v55, v61
	s_cbranch_execz .LBB24_99
	s_branch .LBB24_100
.LBB24_98:
                                        ; implicit-def: $vgpr54_vgpr55
.LBB24_99:
	ds_load_b64 v[54:55], v1
.LBB24_100:
	s_and_saveexec_b32 s13, s1
	s_cbranch_execz .LBB24_104
; %bb.101:
	v_add_nc_u32_e32 v56, -15, v0
	s_movk_i32 s1, 0x78
	s_movk_i32 s15, 0x148
	s_mov_b32 s14, 0
.LBB24_102:                             ; =>This Inner Loop Header: Depth=1
	scratch_load_b64 v[58:59], off, s1
	v_dual_mov_b32 v57, s15 :: v_dual_add_nc_u32 v56, -1, v56
	s_add_co_i32 s15, s15, 8
	s_wait_xcnt 0x0
	s_add_co_i32 s1, s1, 8
	ds_load_b64 v[60:61], v57
	v_cmp_eq_u32_e32 vcc_lo, 0, v56
	s_or_b32 s14, vcc_lo, s14
	s_wait_loadcnt_dscnt 0x0
	v_pk_mul_f32 v[62:63], v[60:61], v[58:59] op_sel:[1,1] op_sel_hi:[0,1]
	s_delay_alu instid0(VALU_DEP_1) | instskip(SKIP_1) | instid1(VALU_DEP_2)
	v_pk_fma_f32 v[64:65], v[60:61], v[58:59], v[62:63] op_sel_hi:[1,0,1]
	v_pk_fma_f32 v[58:59], v[60:61], v[58:59], v[62:63] neg_lo:[0,0,1] neg_hi:[0,0,1]
	v_mov_b32_e32 v59, v65
	s_delay_alu instid0(VALU_DEP_1)
	v_pk_add_f32 v[54:55], v[54:55], v[58:59]
	s_and_not1_b32 exec_lo, exec_lo, s14
	s_cbranch_execnz .LBB24_102
; %bb.103:
	s_or_b32 exec_lo, exec_lo, s14
.LBB24_104:
	s_delay_alu instid0(SALU_CYCLE_1) | instskip(SKIP_4) | instid1(VALU_DEP_1)
	s_or_b32 exec_lo, exec_lo, s13
	v_mov_b32_e32 v56, 0
	ds_load_b64 v[56:57], v56 offset:112
	s_wait_dscnt 0x0
	v_pk_mul_f32 v[58:59], v[54:55], v[56:57] op_sel:[1,1] op_sel_hi:[0,1]
	v_pk_fma_f32 v[60:61], v[54:55], v[56:57], v[58:59] op_sel_hi:[1,0,1]
	v_pk_fma_f32 v[54:55], v[54:55], v[56:57], v[58:59] neg_lo:[0,0,1] neg_hi:[0,0,1]
	s_delay_alu instid0(VALU_DEP_2)
	v_mov_b32_e32 v55, v61
	scratch_store_b64 off, v[54:55], off offset:112
.LBB24_105:
	s_wait_xcnt 0x0
	s_or_b32 exec_lo, exec_lo, s2
	scratch_load_b64 v[54:55], off, off offset:104
	v_cmp_lt_u32_e64 s1, 13, v0
	s_wait_loadcnt 0x0
	ds_store_b64 v1, v[54:55]
	s_wait_storecnt_dscnt 0x0
	s_barrier_signal -1
	s_barrier_wait -1
	s_wait_xcnt 0x0
	s_and_saveexec_b32 s2, s1
	s_cbranch_execz .LBB24_115
; %bb.106:
	s_and_not1_b32 vcc_lo, exec_lo, s3
	s_cbranch_vccnz .LBB24_108
; %bb.107:
	scratch_load_b64 v[54:55], v47, off
	ds_load_b64 v[56:57], v1
	s_wait_loadcnt_dscnt 0x0
	v_pk_mul_f32 v[58:59], v[56:57], v[54:55] op_sel:[1,1] op_sel_hi:[0,1]
	s_delay_alu instid0(VALU_DEP_1) | instskip(SKIP_1) | instid1(VALU_DEP_2)
	v_pk_fma_f32 v[60:61], v[56:57], v[54:55], v[58:59] op_sel_hi:[1,0,1]
	v_pk_fma_f32 v[54:55], v[56:57], v[54:55], v[58:59] neg_lo:[0,0,1] neg_hi:[0,0,1]
	v_mov_b32_e32 v55, v61
	s_cbranch_execz .LBB24_109
	s_branch .LBB24_110
.LBB24_108:
                                        ; implicit-def: $vgpr54_vgpr55
.LBB24_109:
	ds_load_b64 v[54:55], v1
.LBB24_110:
	s_and_saveexec_b32 s13, s0
	s_cbranch_execz .LBB24_114
; %bb.111:
	v_add_nc_u32_e32 v56, -14, v0
	s_movk_i32 s14, 0x140
	s_mov_b32 s0, 0
.LBB24_112:                             ; =>This Inner Loop Header: Depth=1
	scratch_load_b64 v[58:59], off, s12
	v_dual_mov_b32 v57, s14 :: v_dual_add_nc_u32 v56, -1, v56
	s_add_co_i32 s14, s14, 8
	s_wait_xcnt 0x0
	s_add_co_i32 s12, s12, 8
	ds_load_b64 v[60:61], v57
	v_cmp_eq_u32_e32 vcc_lo, 0, v56
	s_or_b32 s0, vcc_lo, s0
	s_wait_loadcnt_dscnt 0x0
	v_pk_mul_f32 v[62:63], v[60:61], v[58:59] op_sel:[1,1] op_sel_hi:[0,1]
	s_delay_alu instid0(VALU_DEP_1) | instskip(SKIP_1) | instid1(VALU_DEP_2)
	v_pk_fma_f32 v[64:65], v[60:61], v[58:59], v[62:63] op_sel_hi:[1,0,1]
	v_pk_fma_f32 v[58:59], v[60:61], v[58:59], v[62:63] neg_lo:[0,0,1] neg_hi:[0,0,1]
	v_mov_b32_e32 v59, v65
	s_delay_alu instid0(VALU_DEP_1)
	v_pk_add_f32 v[54:55], v[54:55], v[58:59]
	s_and_not1_b32 exec_lo, exec_lo, s0
	s_cbranch_execnz .LBB24_112
; %bb.113:
	s_or_b32 exec_lo, exec_lo, s0
.LBB24_114:
	s_delay_alu instid0(SALU_CYCLE_1) | instskip(SKIP_4) | instid1(VALU_DEP_1)
	s_or_b32 exec_lo, exec_lo, s13
	v_mov_b32_e32 v56, 0
	ds_load_b64 v[56:57], v56 offset:104
	s_wait_dscnt 0x0
	v_pk_mul_f32 v[58:59], v[54:55], v[56:57] op_sel:[1,1] op_sel_hi:[0,1]
	v_pk_fma_f32 v[60:61], v[54:55], v[56:57], v[58:59] op_sel_hi:[1,0,1]
	v_pk_fma_f32 v[54:55], v[54:55], v[56:57], v[58:59] neg_lo:[0,0,1] neg_hi:[0,0,1]
	s_delay_alu instid0(VALU_DEP_2)
	v_mov_b32_e32 v55, v61
	scratch_store_b64 off, v[54:55], off offset:104
.LBB24_115:
	s_wait_xcnt 0x0
	s_or_b32 exec_lo, exec_lo, s2
	scratch_load_b64 v[54:55], off, off offset:96
	v_cmp_lt_u32_e64 s0, 12, v0
	s_wait_loadcnt 0x0
	ds_store_b64 v1, v[54:55]
	s_wait_storecnt_dscnt 0x0
	s_barrier_signal -1
	s_barrier_wait -1
	s_wait_xcnt 0x0
	s_and_saveexec_b32 s2, s0
	s_cbranch_execz .LBB24_125
; %bb.116:
	s_and_not1_b32 vcc_lo, exec_lo, s3
	s_cbranch_vccnz .LBB24_118
; %bb.117:
	scratch_load_b64 v[54:55], v47, off
	ds_load_b64 v[56:57], v1
	s_wait_loadcnt_dscnt 0x0
	v_pk_mul_f32 v[58:59], v[56:57], v[54:55] op_sel:[1,1] op_sel_hi:[0,1]
	s_delay_alu instid0(VALU_DEP_1) | instskip(SKIP_1) | instid1(VALU_DEP_2)
	v_pk_fma_f32 v[60:61], v[56:57], v[54:55], v[58:59] op_sel_hi:[1,0,1]
	v_pk_fma_f32 v[54:55], v[56:57], v[54:55], v[58:59] neg_lo:[0,0,1] neg_hi:[0,0,1]
	v_mov_b32_e32 v55, v61
	s_cbranch_execz .LBB24_119
	s_branch .LBB24_120
.LBB24_118:
                                        ; implicit-def: $vgpr54_vgpr55
.LBB24_119:
	ds_load_b64 v[54:55], v1
.LBB24_120:
	s_and_saveexec_b32 s12, s1
	s_cbranch_execz .LBB24_124
; %bb.121:
	v_add_nc_u32_e32 v56, -13, v0
	s_movk_i32 s1, 0x68
	s_movk_i32 s14, 0x138
	s_mov_b32 s13, 0
.LBB24_122:                             ; =>This Inner Loop Header: Depth=1
	scratch_load_b64 v[58:59], off, s1
	v_dual_mov_b32 v57, s14 :: v_dual_add_nc_u32 v56, -1, v56
	s_add_co_i32 s14, s14, 8
	s_wait_xcnt 0x0
	s_add_co_i32 s1, s1, 8
	ds_load_b64 v[60:61], v57
	v_cmp_eq_u32_e32 vcc_lo, 0, v56
	s_or_b32 s13, vcc_lo, s13
	s_wait_loadcnt_dscnt 0x0
	v_pk_mul_f32 v[62:63], v[60:61], v[58:59] op_sel:[1,1] op_sel_hi:[0,1]
	s_delay_alu instid0(VALU_DEP_1) | instskip(SKIP_1) | instid1(VALU_DEP_2)
	v_pk_fma_f32 v[64:65], v[60:61], v[58:59], v[62:63] op_sel_hi:[1,0,1]
	v_pk_fma_f32 v[58:59], v[60:61], v[58:59], v[62:63] neg_lo:[0,0,1] neg_hi:[0,0,1]
	v_mov_b32_e32 v59, v65
	s_delay_alu instid0(VALU_DEP_1)
	v_pk_add_f32 v[54:55], v[54:55], v[58:59]
	s_and_not1_b32 exec_lo, exec_lo, s13
	s_cbranch_execnz .LBB24_122
; %bb.123:
	s_or_b32 exec_lo, exec_lo, s13
.LBB24_124:
	s_delay_alu instid0(SALU_CYCLE_1) | instskip(SKIP_4) | instid1(VALU_DEP_1)
	s_or_b32 exec_lo, exec_lo, s12
	v_mov_b32_e32 v56, 0
	ds_load_b64 v[56:57], v56 offset:96
	s_wait_dscnt 0x0
	v_pk_mul_f32 v[58:59], v[54:55], v[56:57] op_sel:[1,1] op_sel_hi:[0,1]
	v_pk_fma_f32 v[60:61], v[54:55], v[56:57], v[58:59] op_sel_hi:[1,0,1]
	v_pk_fma_f32 v[54:55], v[54:55], v[56:57], v[58:59] neg_lo:[0,0,1] neg_hi:[0,0,1]
	s_delay_alu instid0(VALU_DEP_2)
	v_mov_b32_e32 v55, v61
	scratch_store_b64 off, v[54:55], off offset:96
.LBB24_125:
	s_wait_xcnt 0x0
	s_or_b32 exec_lo, exec_lo, s2
	scratch_load_b64 v[54:55], off, off offset:88
	v_cmp_lt_u32_e64 s1, 11, v0
	s_wait_loadcnt 0x0
	ds_store_b64 v1, v[54:55]
	s_wait_storecnt_dscnt 0x0
	s_barrier_signal -1
	s_barrier_wait -1
	s_wait_xcnt 0x0
	s_and_saveexec_b32 s2, s1
	s_cbranch_execz .LBB24_135
; %bb.126:
	s_and_not1_b32 vcc_lo, exec_lo, s3
	s_cbranch_vccnz .LBB24_128
; %bb.127:
	scratch_load_b64 v[54:55], v47, off
	ds_load_b64 v[56:57], v1
	s_wait_loadcnt_dscnt 0x0
	v_pk_mul_f32 v[58:59], v[56:57], v[54:55] op_sel:[1,1] op_sel_hi:[0,1]
	s_delay_alu instid0(VALU_DEP_1) | instskip(SKIP_1) | instid1(VALU_DEP_2)
	v_pk_fma_f32 v[60:61], v[56:57], v[54:55], v[58:59] op_sel_hi:[1,0,1]
	v_pk_fma_f32 v[54:55], v[56:57], v[54:55], v[58:59] neg_lo:[0,0,1] neg_hi:[0,0,1]
	v_mov_b32_e32 v55, v61
	s_cbranch_execz .LBB24_129
	s_branch .LBB24_130
.LBB24_128:
                                        ; implicit-def: $vgpr54_vgpr55
.LBB24_129:
	ds_load_b64 v[54:55], v1
.LBB24_130:
	s_and_saveexec_b32 s12, s0
	s_cbranch_execz .LBB24_134
; %bb.131:
	v_add_nc_u32_e32 v56, -12, v0
	s_movk_i32 s13, 0x130
	s_mov_b32 s0, 0
.LBB24_132:                             ; =>This Inner Loop Header: Depth=1
	scratch_load_b64 v[58:59], off, s11
	v_dual_mov_b32 v57, s13 :: v_dual_add_nc_u32 v56, -1, v56
	s_add_co_i32 s13, s13, 8
	s_wait_xcnt 0x0
	s_add_co_i32 s11, s11, 8
	ds_load_b64 v[60:61], v57
	v_cmp_eq_u32_e32 vcc_lo, 0, v56
	s_or_b32 s0, vcc_lo, s0
	s_wait_loadcnt_dscnt 0x0
	v_pk_mul_f32 v[62:63], v[60:61], v[58:59] op_sel:[1,1] op_sel_hi:[0,1]
	s_delay_alu instid0(VALU_DEP_1) | instskip(SKIP_1) | instid1(VALU_DEP_2)
	v_pk_fma_f32 v[64:65], v[60:61], v[58:59], v[62:63] op_sel_hi:[1,0,1]
	v_pk_fma_f32 v[58:59], v[60:61], v[58:59], v[62:63] neg_lo:[0,0,1] neg_hi:[0,0,1]
	v_mov_b32_e32 v59, v65
	s_delay_alu instid0(VALU_DEP_1)
	v_pk_add_f32 v[54:55], v[54:55], v[58:59]
	s_and_not1_b32 exec_lo, exec_lo, s0
	s_cbranch_execnz .LBB24_132
; %bb.133:
	s_or_b32 exec_lo, exec_lo, s0
.LBB24_134:
	s_delay_alu instid0(SALU_CYCLE_1) | instskip(SKIP_4) | instid1(VALU_DEP_1)
	s_or_b32 exec_lo, exec_lo, s12
	v_mov_b32_e32 v56, 0
	ds_load_b64 v[56:57], v56 offset:88
	s_wait_dscnt 0x0
	v_pk_mul_f32 v[58:59], v[54:55], v[56:57] op_sel:[1,1] op_sel_hi:[0,1]
	v_pk_fma_f32 v[60:61], v[54:55], v[56:57], v[58:59] op_sel_hi:[1,0,1]
	v_pk_fma_f32 v[54:55], v[54:55], v[56:57], v[58:59] neg_lo:[0,0,1] neg_hi:[0,0,1]
	s_delay_alu instid0(VALU_DEP_2)
	v_mov_b32_e32 v55, v61
	scratch_store_b64 off, v[54:55], off offset:88
.LBB24_135:
	s_wait_xcnt 0x0
	s_or_b32 exec_lo, exec_lo, s2
	scratch_load_b64 v[54:55], off, off offset:80
	v_cmp_lt_u32_e64 s0, 10, v0
	s_wait_loadcnt 0x0
	ds_store_b64 v1, v[54:55]
	s_wait_storecnt_dscnt 0x0
	s_barrier_signal -1
	s_barrier_wait -1
	s_wait_xcnt 0x0
	s_and_saveexec_b32 s2, s0
	s_cbranch_execz .LBB24_145
; %bb.136:
	s_and_not1_b32 vcc_lo, exec_lo, s3
	s_cbranch_vccnz .LBB24_138
; %bb.137:
	scratch_load_b64 v[54:55], v47, off
	ds_load_b64 v[56:57], v1
	s_wait_loadcnt_dscnt 0x0
	v_pk_mul_f32 v[58:59], v[56:57], v[54:55] op_sel:[1,1] op_sel_hi:[0,1]
	s_delay_alu instid0(VALU_DEP_1) | instskip(SKIP_1) | instid1(VALU_DEP_2)
	v_pk_fma_f32 v[60:61], v[56:57], v[54:55], v[58:59] op_sel_hi:[1,0,1]
	v_pk_fma_f32 v[54:55], v[56:57], v[54:55], v[58:59] neg_lo:[0,0,1] neg_hi:[0,0,1]
	v_mov_b32_e32 v55, v61
	s_cbranch_execz .LBB24_139
	s_branch .LBB24_140
.LBB24_138:
                                        ; implicit-def: $vgpr54_vgpr55
.LBB24_139:
	ds_load_b64 v[54:55], v1
.LBB24_140:
	s_and_saveexec_b32 s11, s1
	s_cbranch_execz .LBB24_144
; %bb.141:
	v_add_nc_u32_e32 v56, -11, v0
	s_movk_i32 s1, 0x58
	s_movk_i32 s13, 0x128
	s_mov_b32 s12, 0
.LBB24_142:                             ; =>This Inner Loop Header: Depth=1
	scratch_load_b64 v[58:59], off, s1
	v_dual_mov_b32 v57, s13 :: v_dual_add_nc_u32 v56, -1, v56
	s_add_co_i32 s13, s13, 8
	s_wait_xcnt 0x0
	s_add_co_i32 s1, s1, 8
	ds_load_b64 v[60:61], v57
	v_cmp_eq_u32_e32 vcc_lo, 0, v56
	s_or_b32 s12, vcc_lo, s12
	s_wait_loadcnt_dscnt 0x0
	v_pk_mul_f32 v[62:63], v[60:61], v[58:59] op_sel:[1,1] op_sel_hi:[0,1]
	s_delay_alu instid0(VALU_DEP_1) | instskip(SKIP_1) | instid1(VALU_DEP_2)
	v_pk_fma_f32 v[64:65], v[60:61], v[58:59], v[62:63] op_sel_hi:[1,0,1]
	v_pk_fma_f32 v[58:59], v[60:61], v[58:59], v[62:63] neg_lo:[0,0,1] neg_hi:[0,0,1]
	v_mov_b32_e32 v59, v65
	s_delay_alu instid0(VALU_DEP_1)
	v_pk_add_f32 v[54:55], v[54:55], v[58:59]
	s_and_not1_b32 exec_lo, exec_lo, s12
	s_cbranch_execnz .LBB24_142
; %bb.143:
	s_or_b32 exec_lo, exec_lo, s12
.LBB24_144:
	s_delay_alu instid0(SALU_CYCLE_1) | instskip(SKIP_4) | instid1(VALU_DEP_1)
	s_or_b32 exec_lo, exec_lo, s11
	v_mov_b32_e32 v56, 0
	ds_load_b64 v[56:57], v56 offset:80
	s_wait_dscnt 0x0
	v_pk_mul_f32 v[58:59], v[54:55], v[56:57] op_sel:[1,1] op_sel_hi:[0,1]
	v_pk_fma_f32 v[60:61], v[54:55], v[56:57], v[58:59] op_sel_hi:[1,0,1]
	v_pk_fma_f32 v[54:55], v[54:55], v[56:57], v[58:59] neg_lo:[0,0,1] neg_hi:[0,0,1]
	s_delay_alu instid0(VALU_DEP_2)
	v_mov_b32_e32 v55, v61
	scratch_store_b64 off, v[54:55], off offset:80
.LBB24_145:
	s_wait_xcnt 0x0
	s_or_b32 exec_lo, exec_lo, s2
	scratch_load_b64 v[54:55], off, off offset:72
	v_cmp_lt_u32_e64 s1, 9, v0
	s_wait_loadcnt 0x0
	ds_store_b64 v1, v[54:55]
	s_wait_storecnt_dscnt 0x0
	s_barrier_signal -1
	s_barrier_wait -1
	s_wait_xcnt 0x0
	s_and_saveexec_b32 s2, s1
	s_cbranch_execz .LBB24_155
; %bb.146:
	s_and_not1_b32 vcc_lo, exec_lo, s3
	s_cbranch_vccnz .LBB24_148
; %bb.147:
	scratch_load_b64 v[54:55], v47, off
	ds_load_b64 v[56:57], v1
	s_wait_loadcnt_dscnt 0x0
	v_pk_mul_f32 v[58:59], v[56:57], v[54:55] op_sel:[1,1] op_sel_hi:[0,1]
	s_delay_alu instid0(VALU_DEP_1) | instskip(SKIP_1) | instid1(VALU_DEP_2)
	v_pk_fma_f32 v[60:61], v[56:57], v[54:55], v[58:59] op_sel_hi:[1,0,1]
	v_pk_fma_f32 v[54:55], v[56:57], v[54:55], v[58:59] neg_lo:[0,0,1] neg_hi:[0,0,1]
	v_mov_b32_e32 v55, v61
	s_cbranch_execz .LBB24_149
	s_branch .LBB24_150
.LBB24_148:
                                        ; implicit-def: $vgpr54_vgpr55
.LBB24_149:
	ds_load_b64 v[54:55], v1
.LBB24_150:
	s_and_saveexec_b32 s11, s0
	s_cbranch_execz .LBB24_154
; %bb.151:
	v_add_nc_u32_e32 v56, -10, v0
	s_movk_i32 s12, 0x120
	s_mov_b32 s0, 0
.LBB24_152:                             ; =>This Inner Loop Header: Depth=1
	scratch_load_b64 v[58:59], off, s10
	v_dual_mov_b32 v57, s12 :: v_dual_add_nc_u32 v56, -1, v56
	s_add_co_i32 s12, s12, 8
	s_wait_xcnt 0x0
	s_add_co_i32 s10, s10, 8
	ds_load_b64 v[60:61], v57
	v_cmp_eq_u32_e32 vcc_lo, 0, v56
	s_or_b32 s0, vcc_lo, s0
	s_wait_loadcnt_dscnt 0x0
	v_pk_mul_f32 v[62:63], v[60:61], v[58:59] op_sel:[1,1] op_sel_hi:[0,1]
	s_delay_alu instid0(VALU_DEP_1) | instskip(SKIP_1) | instid1(VALU_DEP_2)
	v_pk_fma_f32 v[64:65], v[60:61], v[58:59], v[62:63] op_sel_hi:[1,0,1]
	v_pk_fma_f32 v[58:59], v[60:61], v[58:59], v[62:63] neg_lo:[0,0,1] neg_hi:[0,0,1]
	v_mov_b32_e32 v59, v65
	s_delay_alu instid0(VALU_DEP_1)
	v_pk_add_f32 v[54:55], v[54:55], v[58:59]
	s_and_not1_b32 exec_lo, exec_lo, s0
	s_cbranch_execnz .LBB24_152
; %bb.153:
	s_or_b32 exec_lo, exec_lo, s0
.LBB24_154:
	s_delay_alu instid0(SALU_CYCLE_1) | instskip(SKIP_4) | instid1(VALU_DEP_1)
	s_or_b32 exec_lo, exec_lo, s11
	v_mov_b32_e32 v56, 0
	ds_load_b64 v[56:57], v56 offset:72
	s_wait_dscnt 0x0
	v_pk_mul_f32 v[58:59], v[54:55], v[56:57] op_sel:[1,1] op_sel_hi:[0,1]
	v_pk_fma_f32 v[60:61], v[54:55], v[56:57], v[58:59] op_sel_hi:[1,0,1]
	v_pk_fma_f32 v[54:55], v[54:55], v[56:57], v[58:59] neg_lo:[0,0,1] neg_hi:[0,0,1]
	s_delay_alu instid0(VALU_DEP_2)
	v_mov_b32_e32 v55, v61
	scratch_store_b64 off, v[54:55], off offset:72
.LBB24_155:
	s_wait_xcnt 0x0
	s_or_b32 exec_lo, exec_lo, s2
	scratch_load_b64 v[54:55], off, off offset:64
	v_cmp_lt_u32_e64 s0, 8, v0
	s_wait_loadcnt 0x0
	ds_store_b64 v1, v[54:55]
	s_wait_storecnt_dscnt 0x0
	s_barrier_signal -1
	s_barrier_wait -1
	s_wait_xcnt 0x0
	s_and_saveexec_b32 s2, s0
	s_cbranch_execz .LBB24_165
; %bb.156:
	s_and_not1_b32 vcc_lo, exec_lo, s3
	s_cbranch_vccnz .LBB24_158
; %bb.157:
	scratch_load_b64 v[54:55], v47, off
	ds_load_b64 v[56:57], v1
	s_wait_loadcnt_dscnt 0x0
	v_pk_mul_f32 v[58:59], v[56:57], v[54:55] op_sel:[1,1] op_sel_hi:[0,1]
	s_delay_alu instid0(VALU_DEP_1) | instskip(SKIP_1) | instid1(VALU_DEP_2)
	v_pk_fma_f32 v[60:61], v[56:57], v[54:55], v[58:59] op_sel_hi:[1,0,1]
	v_pk_fma_f32 v[54:55], v[56:57], v[54:55], v[58:59] neg_lo:[0,0,1] neg_hi:[0,0,1]
	v_mov_b32_e32 v55, v61
	s_cbranch_execz .LBB24_159
	s_branch .LBB24_160
.LBB24_158:
                                        ; implicit-def: $vgpr54_vgpr55
.LBB24_159:
	ds_load_b64 v[54:55], v1
.LBB24_160:
	s_and_saveexec_b32 s10, s1
	s_cbranch_execz .LBB24_164
; %bb.161:
	v_add_nc_u32_e32 v56, -9, v0
	s_movk_i32 s1, 0x48
	s_movk_i32 s12, 0x118
	s_mov_b32 s11, 0
.LBB24_162:                             ; =>This Inner Loop Header: Depth=1
	scratch_load_b64 v[58:59], off, s1
	v_dual_mov_b32 v57, s12 :: v_dual_add_nc_u32 v56, -1, v56
	s_add_co_i32 s12, s12, 8
	s_wait_xcnt 0x0
	s_add_co_i32 s1, s1, 8
	ds_load_b64 v[60:61], v57
	v_cmp_eq_u32_e32 vcc_lo, 0, v56
	s_or_b32 s11, vcc_lo, s11
	s_wait_loadcnt_dscnt 0x0
	v_pk_mul_f32 v[62:63], v[60:61], v[58:59] op_sel:[1,1] op_sel_hi:[0,1]
	s_delay_alu instid0(VALU_DEP_1) | instskip(SKIP_1) | instid1(VALU_DEP_2)
	v_pk_fma_f32 v[64:65], v[60:61], v[58:59], v[62:63] op_sel_hi:[1,0,1]
	v_pk_fma_f32 v[58:59], v[60:61], v[58:59], v[62:63] neg_lo:[0,0,1] neg_hi:[0,0,1]
	v_mov_b32_e32 v59, v65
	s_delay_alu instid0(VALU_DEP_1)
	v_pk_add_f32 v[54:55], v[54:55], v[58:59]
	s_and_not1_b32 exec_lo, exec_lo, s11
	s_cbranch_execnz .LBB24_162
; %bb.163:
	s_or_b32 exec_lo, exec_lo, s11
.LBB24_164:
	s_delay_alu instid0(SALU_CYCLE_1) | instskip(SKIP_4) | instid1(VALU_DEP_1)
	s_or_b32 exec_lo, exec_lo, s10
	v_mov_b32_e32 v56, 0
	ds_load_b64 v[56:57], v56 offset:64
	s_wait_dscnt 0x0
	v_pk_mul_f32 v[58:59], v[54:55], v[56:57] op_sel:[1,1] op_sel_hi:[0,1]
	v_pk_fma_f32 v[60:61], v[54:55], v[56:57], v[58:59] op_sel_hi:[1,0,1]
	v_pk_fma_f32 v[54:55], v[54:55], v[56:57], v[58:59] neg_lo:[0,0,1] neg_hi:[0,0,1]
	s_delay_alu instid0(VALU_DEP_2)
	v_mov_b32_e32 v55, v61
	scratch_store_b64 off, v[54:55], off offset:64
.LBB24_165:
	s_wait_xcnt 0x0
	s_or_b32 exec_lo, exec_lo, s2
	scratch_load_b64 v[54:55], off, off offset:56
	v_cmp_lt_u32_e64 s1, 7, v0
	s_wait_loadcnt 0x0
	ds_store_b64 v1, v[54:55]
	s_wait_storecnt_dscnt 0x0
	s_barrier_signal -1
	s_barrier_wait -1
	s_wait_xcnt 0x0
	s_and_saveexec_b32 s2, s1
	s_cbranch_execz .LBB24_175
; %bb.166:
	s_and_not1_b32 vcc_lo, exec_lo, s3
	s_cbranch_vccnz .LBB24_168
; %bb.167:
	scratch_load_b64 v[54:55], v47, off
	ds_load_b64 v[56:57], v1
	s_wait_loadcnt_dscnt 0x0
	v_pk_mul_f32 v[58:59], v[56:57], v[54:55] op_sel:[1,1] op_sel_hi:[0,1]
	s_delay_alu instid0(VALU_DEP_1) | instskip(SKIP_1) | instid1(VALU_DEP_2)
	v_pk_fma_f32 v[60:61], v[56:57], v[54:55], v[58:59] op_sel_hi:[1,0,1]
	v_pk_fma_f32 v[54:55], v[56:57], v[54:55], v[58:59] neg_lo:[0,0,1] neg_hi:[0,0,1]
	v_mov_b32_e32 v55, v61
	s_cbranch_execz .LBB24_169
	s_branch .LBB24_170
.LBB24_168:
                                        ; implicit-def: $vgpr54_vgpr55
.LBB24_169:
	ds_load_b64 v[54:55], v1
.LBB24_170:
	s_and_saveexec_b32 s10, s0
	s_cbranch_execz .LBB24_174
; %bb.171:
	v_add_nc_u32_e32 v56, -8, v0
	s_movk_i32 s11, 0x110
	s_mov_b32 s0, 0
.LBB24_172:                             ; =>This Inner Loop Header: Depth=1
	scratch_load_b64 v[58:59], off, s9
	v_dual_mov_b32 v57, s11 :: v_dual_add_nc_u32 v56, -1, v56
	s_add_co_i32 s11, s11, 8
	s_wait_xcnt 0x0
	s_add_co_i32 s9, s9, 8
	ds_load_b64 v[60:61], v57
	v_cmp_eq_u32_e32 vcc_lo, 0, v56
	s_or_b32 s0, vcc_lo, s0
	s_wait_loadcnt_dscnt 0x0
	v_pk_mul_f32 v[62:63], v[60:61], v[58:59] op_sel:[1,1] op_sel_hi:[0,1]
	s_delay_alu instid0(VALU_DEP_1) | instskip(SKIP_1) | instid1(VALU_DEP_2)
	v_pk_fma_f32 v[64:65], v[60:61], v[58:59], v[62:63] op_sel_hi:[1,0,1]
	v_pk_fma_f32 v[58:59], v[60:61], v[58:59], v[62:63] neg_lo:[0,0,1] neg_hi:[0,0,1]
	v_mov_b32_e32 v59, v65
	s_delay_alu instid0(VALU_DEP_1)
	v_pk_add_f32 v[54:55], v[54:55], v[58:59]
	s_and_not1_b32 exec_lo, exec_lo, s0
	s_cbranch_execnz .LBB24_172
; %bb.173:
	s_or_b32 exec_lo, exec_lo, s0
.LBB24_174:
	s_delay_alu instid0(SALU_CYCLE_1) | instskip(SKIP_4) | instid1(VALU_DEP_1)
	s_or_b32 exec_lo, exec_lo, s10
	v_mov_b32_e32 v56, 0
	ds_load_b64 v[56:57], v56 offset:56
	s_wait_dscnt 0x0
	v_pk_mul_f32 v[58:59], v[54:55], v[56:57] op_sel:[1,1] op_sel_hi:[0,1]
	v_pk_fma_f32 v[60:61], v[54:55], v[56:57], v[58:59] op_sel_hi:[1,0,1]
	v_pk_fma_f32 v[54:55], v[54:55], v[56:57], v[58:59] neg_lo:[0,0,1] neg_hi:[0,0,1]
	s_delay_alu instid0(VALU_DEP_2)
	v_mov_b32_e32 v55, v61
	scratch_store_b64 off, v[54:55], off offset:56
.LBB24_175:
	s_wait_xcnt 0x0
	s_or_b32 exec_lo, exec_lo, s2
	scratch_load_b64 v[54:55], off, off offset:48
	v_cmp_lt_u32_e64 s0, 6, v0
	s_wait_loadcnt 0x0
	ds_store_b64 v1, v[54:55]
	s_wait_storecnt_dscnt 0x0
	s_barrier_signal -1
	s_barrier_wait -1
	s_wait_xcnt 0x0
	s_and_saveexec_b32 s2, s0
	s_cbranch_execz .LBB24_185
; %bb.176:
	s_and_not1_b32 vcc_lo, exec_lo, s3
	s_cbranch_vccnz .LBB24_178
; %bb.177:
	scratch_load_b64 v[54:55], v47, off
	ds_load_b64 v[56:57], v1
	s_wait_loadcnt_dscnt 0x0
	v_pk_mul_f32 v[58:59], v[56:57], v[54:55] op_sel:[1,1] op_sel_hi:[0,1]
	s_delay_alu instid0(VALU_DEP_1) | instskip(SKIP_1) | instid1(VALU_DEP_2)
	v_pk_fma_f32 v[60:61], v[56:57], v[54:55], v[58:59] op_sel_hi:[1,0,1]
	v_pk_fma_f32 v[54:55], v[56:57], v[54:55], v[58:59] neg_lo:[0,0,1] neg_hi:[0,0,1]
	v_mov_b32_e32 v55, v61
	s_cbranch_execz .LBB24_179
	s_branch .LBB24_180
.LBB24_178:
                                        ; implicit-def: $vgpr54_vgpr55
.LBB24_179:
	ds_load_b64 v[54:55], v1
.LBB24_180:
	s_and_saveexec_b32 s9, s1
	s_cbranch_execz .LBB24_184
; %bb.181:
	v_add_nc_u32_e32 v56, -7, v0
	s_mov_b32 s1, 56
	s_movk_i32 s11, 0x108
	s_mov_b32 s10, 0
.LBB24_182:                             ; =>This Inner Loop Header: Depth=1
	scratch_load_b64 v[58:59], off, s1
	v_dual_mov_b32 v57, s11 :: v_dual_add_nc_u32 v56, -1, v56
	s_add_co_i32 s11, s11, 8
	s_wait_xcnt 0x0
	s_add_co_i32 s1, s1, 8
	ds_load_b64 v[60:61], v57
	v_cmp_eq_u32_e32 vcc_lo, 0, v56
	s_or_b32 s10, vcc_lo, s10
	s_wait_loadcnt_dscnt 0x0
	v_pk_mul_f32 v[62:63], v[60:61], v[58:59] op_sel:[1,1] op_sel_hi:[0,1]
	s_delay_alu instid0(VALU_DEP_1) | instskip(SKIP_1) | instid1(VALU_DEP_2)
	v_pk_fma_f32 v[64:65], v[60:61], v[58:59], v[62:63] op_sel_hi:[1,0,1]
	v_pk_fma_f32 v[58:59], v[60:61], v[58:59], v[62:63] neg_lo:[0,0,1] neg_hi:[0,0,1]
	v_mov_b32_e32 v59, v65
	s_delay_alu instid0(VALU_DEP_1)
	v_pk_add_f32 v[54:55], v[54:55], v[58:59]
	s_and_not1_b32 exec_lo, exec_lo, s10
	s_cbranch_execnz .LBB24_182
; %bb.183:
	s_or_b32 exec_lo, exec_lo, s10
.LBB24_184:
	s_delay_alu instid0(SALU_CYCLE_1) | instskip(SKIP_4) | instid1(VALU_DEP_1)
	s_or_b32 exec_lo, exec_lo, s9
	v_mov_b32_e32 v56, 0
	ds_load_b64 v[56:57], v56 offset:48
	s_wait_dscnt 0x0
	v_pk_mul_f32 v[58:59], v[54:55], v[56:57] op_sel:[1,1] op_sel_hi:[0,1]
	v_pk_fma_f32 v[60:61], v[54:55], v[56:57], v[58:59] op_sel_hi:[1,0,1]
	v_pk_fma_f32 v[54:55], v[54:55], v[56:57], v[58:59] neg_lo:[0,0,1] neg_hi:[0,0,1]
	s_delay_alu instid0(VALU_DEP_2)
	v_mov_b32_e32 v55, v61
	scratch_store_b64 off, v[54:55], off offset:48
.LBB24_185:
	s_wait_xcnt 0x0
	s_or_b32 exec_lo, exec_lo, s2
	scratch_load_b64 v[54:55], off, off offset:40
	v_cmp_lt_u32_e64 s1, 5, v0
	s_wait_loadcnt 0x0
	ds_store_b64 v1, v[54:55]
	s_wait_storecnt_dscnt 0x0
	s_barrier_signal -1
	s_barrier_wait -1
	s_wait_xcnt 0x0
	s_and_saveexec_b32 s2, s1
	s_cbranch_execz .LBB24_195
; %bb.186:
	s_and_not1_b32 vcc_lo, exec_lo, s3
	s_cbranch_vccnz .LBB24_188
; %bb.187:
	scratch_load_b64 v[54:55], v47, off
	ds_load_b64 v[56:57], v1
	s_wait_loadcnt_dscnt 0x0
	v_pk_mul_f32 v[58:59], v[56:57], v[54:55] op_sel:[1,1] op_sel_hi:[0,1]
	s_delay_alu instid0(VALU_DEP_1) | instskip(SKIP_1) | instid1(VALU_DEP_2)
	v_pk_fma_f32 v[60:61], v[56:57], v[54:55], v[58:59] op_sel_hi:[1,0,1]
	v_pk_fma_f32 v[54:55], v[56:57], v[54:55], v[58:59] neg_lo:[0,0,1] neg_hi:[0,0,1]
	v_mov_b32_e32 v55, v61
	s_cbranch_execz .LBB24_189
	s_branch .LBB24_190
.LBB24_188:
                                        ; implicit-def: $vgpr54_vgpr55
.LBB24_189:
	ds_load_b64 v[54:55], v1
.LBB24_190:
	s_and_saveexec_b32 s9, s0
	s_cbranch_execz .LBB24_194
; %bb.191:
	v_add_nc_u32_e32 v56, -6, v0
	s_movk_i32 s10, 0x100
	s_mov_b32 s0, 0
.LBB24_192:                             ; =>This Inner Loop Header: Depth=1
	scratch_load_b64 v[58:59], off, s8
	v_dual_mov_b32 v57, s10 :: v_dual_add_nc_u32 v56, -1, v56
	s_add_co_i32 s10, s10, 8
	s_wait_xcnt 0x0
	s_add_co_i32 s8, s8, 8
	ds_load_b64 v[60:61], v57
	v_cmp_eq_u32_e32 vcc_lo, 0, v56
	s_or_b32 s0, vcc_lo, s0
	s_wait_loadcnt_dscnt 0x0
	v_pk_mul_f32 v[62:63], v[60:61], v[58:59] op_sel:[1,1] op_sel_hi:[0,1]
	s_delay_alu instid0(VALU_DEP_1) | instskip(SKIP_1) | instid1(VALU_DEP_2)
	v_pk_fma_f32 v[64:65], v[60:61], v[58:59], v[62:63] op_sel_hi:[1,0,1]
	v_pk_fma_f32 v[58:59], v[60:61], v[58:59], v[62:63] neg_lo:[0,0,1] neg_hi:[0,0,1]
	v_mov_b32_e32 v59, v65
	s_delay_alu instid0(VALU_DEP_1)
	v_pk_add_f32 v[54:55], v[54:55], v[58:59]
	s_and_not1_b32 exec_lo, exec_lo, s0
	s_cbranch_execnz .LBB24_192
; %bb.193:
	s_or_b32 exec_lo, exec_lo, s0
.LBB24_194:
	s_delay_alu instid0(SALU_CYCLE_1) | instskip(SKIP_4) | instid1(VALU_DEP_1)
	s_or_b32 exec_lo, exec_lo, s9
	v_mov_b32_e32 v56, 0
	ds_load_b64 v[56:57], v56 offset:40
	s_wait_dscnt 0x0
	v_pk_mul_f32 v[58:59], v[54:55], v[56:57] op_sel:[1,1] op_sel_hi:[0,1]
	v_pk_fma_f32 v[60:61], v[54:55], v[56:57], v[58:59] op_sel_hi:[1,0,1]
	v_pk_fma_f32 v[54:55], v[54:55], v[56:57], v[58:59] neg_lo:[0,0,1] neg_hi:[0,0,1]
	s_delay_alu instid0(VALU_DEP_2)
	v_mov_b32_e32 v55, v61
	scratch_store_b64 off, v[54:55], off offset:40
.LBB24_195:
	s_wait_xcnt 0x0
	s_or_b32 exec_lo, exec_lo, s2
	scratch_load_b64 v[54:55], off, off offset:32
	v_cmp_lt_u32_e64 s0, 4, v0
	s_wait_loadcnt 0x0
	ds_store_b64 v1, v[54:55]
	s_wait_storecnt_dscnt 0x0
	s_barrier_signal -1
	s_barrier_wait -1
	s_wait_xcnt 0x0
	s_and_saveexec_b32 s2, s0
	s_cbranch_execz .LBB24_205
; %bb.196:
	s_and_not1_b32 vcc_lo, exec_lo, s3
	s_cbranch_vccnz .LBB24_198
; %bb.197:
	scratch_load_b64 v[54:55], v47, off
	ds_load_b64 v[56:57], v1
	s_wait_loadcnt_dscnt 0x0
	v_pk_mul_f32 v[58:59], v[56:57], v[54:55] op_sel:[1,1] op_sel_hi:[0,1]
	s_delay_alu instid0(VALU_DEP_1) | instskip(SKIP_1) | instid1(VALU_DEP_2)
	v_pk_fma_f32 v[60:61], v[56:57], v[54:55], v[58:59] op_sel_hi:[1,0,1]
	v_pk_fma_f32 v[54:55], v[56:57], v[54:55], v[58:59] neg_lo:[0,0,1] neg_hi:[0,0,1]
	v_mov_b32_e32 v55, v61
	s_cbranch_execz .LBB24_199
	s_branch .LBB24_200
.LBB24_198:
                                        ; implicit-def: $vgpr54_vgpr55
.LBB24_199:
	ds_load_b64 v[54:55], v1
.LBB24_200:
	s_and_saveexec_b32 s8, s1
	s_cbranch_execz .LBB24_204
; %bb.201:
	v_add_nc_u32_e32 v56, -5, v0
	s_mov_b32 s1, 40
	s_movk_i32 s10, 0xf8
	s_mov_b32 s9, 0
.LBB24_202:                             ; =>This Inner Loop Header: Depth=1
	scratch_load_b64 v[58:59], off, s1
	v_dual_mov_b32 v57, s10 :: v_dual_add_nc_u32 v56, -1, v56
	s_add_co_i32 s10, s10, 8
	s_wait_xcnt 0x0
	s_add_co_i32 s1, s1, 8
	ds_load_b64 v[60:61], v57
	v_cmp_eq_u32_e32 vcc_lo, 0, v56
	s_or_b32 s9, vcc_lo, s9
	s_wait_loadcnt_dscnt 0x0
	v_pk_mul_f32 v[62:63], v[60:61], v[58:59] op_sel:[1,1] op_sel_hi:[0,1]
	s_delay_alu instid0(VALU_DEP_1) | instskip(SKIP_1) | instid1(VALU_DEP_2)
	v_pk_fma_f32 v[64:65], v[60:61], v[58:59], v[62:63] op_sel_hi:[1,0,1]
	v_pk_fma_f32 v[58:59], v[60:61], v[58:59], v[62:63] neg_lo:[0,0,1] neg_hi:[0,0,1]
	v_mov_b32_e32 v59, v65
	s_delay_alu instid0(VALU_DEP_1)
	v_pk_add_f32 v[54:55], v[54:55], v[58:59]
	s_and_not1_b32 exec_lo, exec_lo, s9
	s_cbranch_execnz .LBB24_202
; %bb.203:
	s_or_b32 exec_lo, exec_lo, s9
.LBB24_204:
	s_delay_alu instid0(SALU_CYCLE_1) | instskip(SKIP_4) | instid1(VALU_DEP_1)
	s_or_b32 exec_lo, exec_lo, s8
	v_mov_b32_e32 v56, 0
	ds_load_b64 v[56:57], v56 offset:32
	s_wait_dscnt 0x0
	v_pk_mul_f32 v[58:59], v[54:55], v[56:57] op_sel:[1,1] op_sel_hi:[0,1]
	v_pk_fma_f32 v[60:61], v[54:55], v[56:57], v[58:59] op_sel_hi:[1,0,1]
	v_pk_fma_f32 v[54:55], v[54:55], v[56:57], v[58:59] neg_lo:[0,0,1] neg_hi:[0,0,1]
	s_delay_alu instid0(VALU_DEP_2)
	v_mov_b32_e32 v55, v61
	scratch_store_b64 off, v[54:55], off offset:32
.LBB24_205:
	s_wait_xcnt 0x0
	s_or_b32 exec_lo, exec_lo, s2
	scratch_load_b64 v[54:55], off, off offset:24
	v_cmp_lt_u32_e64 s2, 3, v0
	s_wait_loadcnt 0x0
	ds_store_b64 v1, v[54:55]
	s_wait_storecnt_dscnt 0x0
	s_barrier_signal -1
	s_barrier_wait -1
	s_wait_xcnt 0x0
	s_and_saveexec_b32 s1, s2
	s_cbranch_execz .LBB24_215
; %bb.206:
	s_and_not1_b32 vcc_lo, exec_lo, s3
	s_cbranch_vccnz .LBB24_208
; %bb.207:
	scratch_load_b64 v[54:55], v47, off
	ds_load_b64 v[56:57], v1
	s_wait_loadcnt_dscnt 0x0
	v_pk_mul_f32 v[58:59], v[56:57], v[54:55] op_sel:[1,1] op_sel_hi:[0,1]
	s_delay_alu instid0(VALU_DEP_1) | instskip(SKIP_1) | instid1(VALU_DEP_2)
	v_pk_fma_f32 v[60:61], v[56:57], v[54:55], v[58:59] op_sel_hi:[1,0,1]
	v_pk_fma_f32 v[54:55], v[56:57], v[54:55], v[58:59] neg_lo:[0,0,1] neg_hi:[0,0,1]
	v_mov_b32_e32 v55, v61
	s_cbranch_execz .LBB24_209
	s_branch .LBB24_210
.LBB24_208:
                                        ; implicit-def: $vgpr54_vgpr55
.LBB24_209:
	ds_load_b64 v[54:55], v1
.LBB24_210:
	s_and_saveexec_b32 s8, s0
	s_cbranch_execz .LBB24_214
; %bb.211:
	v_add_nc_u32_e32 v56, -4, v0
	s_movk_i32 s9, 0xf0
	s_mov_b32 s0, 0
.LBB24_212:                             ; =>This Inner Loop Header: Depth=1
	scratch_load_b64 v[58:59], off, s5
	v_dual_mov_b32 v57, s9 :: v_dual_add_nc_u32 v56, -1, v56
	s_add_co_i32 s9, s9, 8
	s_wait_xcnt 0x0
	s_add_co_i32 s5, s5, 8
	ds_load_b64 v[60:61], v57
	v_cmp_eq_u32_e32 vcc_lo, 0, v56
	s_or_b32 s0, vcc_lo, s0
	s_wait_loadcnt_dscnt 0x0
	v_pk_mul_f32 v[62:63], v[60:61], v[58:59] op_sel:[1,1] op_sel_hi:[0,1]
	s_delay_alu instid0(VALU_DEP_1) | instskip(SKIP_1) | instid1(VALU_DEP_2)
	v_pk_fma_f32 v[64:65], v[60:61], v[58:59], v[62:63] op_sel_hi:[1,0,1]
	v_pk_fma_f32 v[58:59], v[60:61], v[58:59], v[62:63] neg_lo:[0,0,1] neg_hi:[0,0,1]
	v_mov_b32_e32 v59, v65
	s_delay_alu instid0(VALU_DEP_1)
	v_pk_add_f32 v[54:55], v[54:55], v[58:59]
	s_and_not1_b32 exec_lo, exec_lo, s0
	s_cbranch_execnz .LBB24_212
; %bb.213:
	s_or_b32 exec_lo, exec_lo, s0
.LBB24_214:
	s_delay_alu instid0(SALU_CYCLE_1) | instskip(SKIP_4) | instid1(VALU_DEP_1)
	s_or_b32 exec_lo, exec_lo, s8
	v_mov_b32_e32 v56, 0
	ds_load_b64 v[56:57], v56 offset:24
	s_wait_dscnt 0x0
	v_pk_mul_f32 v[58:59], v[54:55], v[56:57] op_sel:[1,1] op_sel_hi:[0,1]
	v_pk_fma_f32 v[60:61], v[54:55], v[56:57], v[58:59] op_sel_hi:[1,0,1]
	v_pk_fma_f32 v[54:55], v[54:55], v[56:57], v[58:59] neg_lo:[0,0,1] neg_hi:[0,0,1]
	s_delay_alu instid0(VALU_DEP_2)
	v_mov_b32_e32 v55, v61
	scratch_store_b64 off, v[54:55], off offset:24
.LBB24_215:
	s_wait_xcnt 0x0
	s_or_b32 exec_lo, exec_lo, s1
	scratch_load_b64 v[54:55], off, off offset:16
	v_cmp_lt_u32_e64 s1, 2, v0
	s_wait_loadcnt 0x0
	ds_store_b64 v1, v[54:55]
	s_wait_storecnt_dscnt 0x0
	s_barrier_signal -1
	s_barrier_wait -1
	s_wait_xcnt 0x0
	s_and_saveexec_b32 s0, s1
	s_cbranch_execz .LBB24_225
; %bb.216:
	s_and_not1_b32 vcc_lo, exec_lo, s3
	s_cbranch_vccnz .LBB24_218
; %bb.217:
	scratch_load_b64 v[54:55], v47, off
	ds_load_b64 v[56:57], v1
	s_wait_loadcnt_dscnt 0x0
	v_pk_mul_f32 v[58:59], v[56:57], v[54:55] op_sel:[1,1] op_sel_hi:[0,1]
	s_delay_alu instid0(VALU_DEP_1) | instskip(SKIP_1) | instid1(VALU_DEP_2)
	v_pk_fma_f32 v[60:61], v[56:57], v[54:55], v[58:59] op_sel_hi:[1,0,1]
	v_pk_fma_f32 v[54:55], v[56:57], v[54:55], v[58:59] neg_lo:[0,0,1] neg_hi:[0,0,1]
	v_mov_b32_e32 v55, v61
	s_cbranch_execz .LBB24_219
	s_branch .LBB24_220
.LBB24_218:
                                        ; implicit-def: $vgpr54_vgpr55
.LBB24_219:
	ds_load_b64 v[54:55], v1
.LBB24_220:
	s_and_saveexec_b32 s5, s2
	s_cbranch_execz .LBB24_224
; %bb.221:
	v_add_nc_u32_e32 v56, -3, v0
	s_mov_b32 s2, 24
	s_movk_i32 s9, 0xe8
	s_mov_b32 s8, 0
.LBB24_222:                             ; =>This Inner Loop Header: Depth=1
	scratch_load_b64 v[58:59], off, s2
	v_dual_mov_b32 v57, s9 :: v_dual_add_nc_u32 v56, -1, v56
	s_add_co_i32 s9, s9, 8
	s_wait_xcnt 0x0
	s_add_co_i32 s2, s2, 8
	ds_load_b64 v[60:61], v57
	v_cmp_eq_u32_e32 vcc_lo, 0, v56
	s_or_b32 s8, vcc_lo, s8
	s_wait_loadcnt_dscnt 0x0
	v_pk_mul_f32 v[62:63], v[60:61], v[58:59] op_sel:[1,1] op_sel_hi:[0,1]
	s_delay_alu instid0(VALU_DEP_1) | instskip(SKIP_1) | instid1(VALU_DEP_2)
	v_pk_fma_f32 v[64:65], v[60:61], v[58:59], v[62:63] op_sel_hi:[1,0,1]
	v_pk_fma_f32 v[58:59], v[60:61], v[58:59], v[62:63] neg_lo:[0,0,1] neg_hi:[0,0,1]
	v_mov_b32_e32 v59, v65
	s_delay_alu instid0(VALU_DEP_1)
	v_pk_add_f32 v[54:55], v[54:55], v[58:59]
	s_and_not1_b32 exec_lo, exec_lo, s8
	s_cbranch_execnz .LBB24_222
; %bb.223:
	s_or_b32 exec_lo, exec_lo, s8
.LBB24_224:
	s_delay_alu instid0(SALU_CYCLE_1) | instskip(SKIP_4) | instid1(VALU_DEP_1)
	s_or_b32 exec_lo, exec_lo, s5
	v_mov_b32_e32 v56, 0
	ds_load_b64 v[56:57], v56 offset:16
	s_wait_dscnt 0x0
	v_pk_mul_f32 v[58:59], v[54:55], v[56:57] op_sel:[1,1] op_sel_hi:[0,1]
	v_pk_fma_f32 v[60:61], v[54:55], v[56:57], v[58:59] op_sel_hi:[1,0,1]
	v_pk_fma_f32 v[54:55], v[54:55], v[56:57], v[58:59] neg_lo:[0,0,1] neg_hi:[0,0,1]
	s_delay_alu instid0(VALU_DEP_2)
	v_mov_b32_e32 v55, v61
	scratch_store_b64 off, v[54:55], off offset:16
.LBB24_225:
	s_wait_xcnt 0x0
	s_or_b32 exec_lo, exec_lo, s0
	scratch_load_b64 v[54:55], off, off offset:8
	v_cmp_lt_u32_e64 s0, 1, v0
	s_wait_loadcnt 0x0
	ds_store_b64 v1, v[54:55]
	s_wait_storecnt_dscnt 0x0
	s_barrier_signal -1
	s_barrier_wait -1
	s_wait_xcnt 0x0
	s_and_saveexec_b32 s2, s0
	s_cbranch_execz .LBB24_235
; %bb.226:
	s_and_not1_b32 vcc_lo, exec_lo, s3
	s_cbranch_vccnz .LBB24_228
; %bb.227:
	scratch_load_b64 v[54:55], v47, off
	ds_load_b64 v[56:57], v1
	s_wait_loadcnt_dscnt 0x0
	v_pk_mul_f32 v[58:59], v[56:57], v[54:55] op_sel:[1,1] op_sel_hi:[0,1]
	s_delay_alu instid0(VALU_DEP_1) | instskip(SKIP_1) | instid1(VALU_DEP_2)
	v_pk_fma_f32 v[60:61], v[56:57], v[54:55], v[58:59] op_sel_hi:[1,0,1]
	v_pk_fma_f32 v[54:55], v[56:57], v[54:55], v[58:59] neg_lo:[0,0,1] neg_hi:[0,0,1]
	v_mov_b32_e32 v55, v61
	s_cbranch_execz .LBB24_229
	s_branch .LBB24_230
.LBB24_228:
                                        ; implicit-def: $vgpr54_vgpr55
.LBB24_229:
	ds_load_b64 v[54:55], v1
.LBB24_230:
	s_and_saveexec_b32 s5, s1
	s_cbranch_execz .LBB24_234
; %bb.231:
	v_add_nc_u32_e32 v56, -2, v0
	s_movk_i32 s8, 0xe0
	s_mov_b32 s1, 0
.LBB24_232:                             ; =>This Inner Loop Header: Depth=1
	scratch_load_b64 v[58:59], off, s4
	v_dual_mov_b32 v57, s8 :: v_dual_add_nc_u32 v56, -1, v56
	s_add_co_i32 s8, s8, 8
	s_wait_xcnt 0x0
	s_add_co_i32 s4, s4, 8
	ds_load_b64 v[60:61], v57
	v_cmp_eq_u32_e32 vcc_lo, 0, v56
	s_or_b32 s1, vcc_lo, s1
	s_wait_loadcnt_dscnt 0x0
	v_pk_mul_f32 v[62:63], v[60:61], v[58:59] op_sel:[1,1] op_sel_hi:[0,1]
	s_delay_alu instid0(VALU_DEP_1) | instskip(SKIP_1) | instid1(VALU_DEP_2)
	v_pk_fma_f32 v[64:65], v[60:61], v[58:59], v[62:63] op_sel_hi:[1,0,1]
	v_pk_fma_f32 v[58:59], v[60:61], v[58:59], v[62:63] neg_lo:[0,0,1] neg_hi:[0,0,1]
	v_mov_b32_e32 v59, v65
	s_delay_alu instid0(VALU_DEP_1)
	v_pk_add_f32 v[54:55], v[54:55], v[58:59]
	s_and_not1_b32 exec_lo, exec_lo, s1
	s_cbranch_execnz .LBB24_232
; %bb.233:
	s_or_b32 exec_lo, exec_lo, s1
.LBB24_234:
	s_delay_alu instid0(SALU_CYCLE_1) | instskip(SKIP_4) | instid1(VALU_DEP_1)
	s_or_b32 exec_lo, exec_lo, s5
	v_mov_b32_e32 v56, 0
	ds_load_b64 v[56:57], v56 offset:8
	s_wait_dscnt 0x0
	v_pk_mul_f32 v[58:59], v[54:55], v[56:57] op_sel:[1,1] op_sel_hi:[0,1]
	v_pk_fma_f32 v[60:61], v[54:55], v[56:57], v[58:59] op_sel_hi:[1,0,1]
	v_pk_fma_f32 v[54:55], v[54:55], v[56:57], v[58:59] neg_lo:[0,0,1] neg_hi:[0,0,1]
	s_delay_alu instid0(VALU_DEP_2)
	v_mov_b32_e32 v55, v61
	scratch_store_b64 off, v[54:55], off offset:8
.LBB24_235:
	s_wait_xcnt 0x0
	s_or_b32 exec_lo, exec_lo, s2
	scratch_load_b64 v[54:55], off, off
	s_mov_b32 s2, 0
	s_mov_b32 s1, 0
	s_mov_b32 s5, exec_lo
                                        ; implicit-def: $vgpr60
                                        ; implicit-def: $sgpr4
	s_wait_loadcnt 0x0
	ds_store_b64 v1, v[54:55]
	s_wait_storecnt_dscnt 0x0
	s_barrier_signal -1
	s_barrier_wait -1
	s_wait_xcnt 0x0
	v_cmpx_ne_u32_e32 0, v0
	s_cbranch_execz .LBB24_245
; %bb.236:
	s_and_not1_b32 vcc_lo, exec_lo, s3
	s_cbranch_vccnz .LBB24_238
; %bb.237:
	scratch_load_b64 v[56:57], v47, off
	ds_load_b64 v[58:59], v1
	s_wait_loadcnt_dscnt 0x0
	v_dual_mul_f32 v54, v59, v57 :: v_dual_mul_f32 v55, v58, v57
	s_delay_alu instid0(VALU_DEP_1)
	v_dual_fma_f32 v54, v58, v56, -v54 :: v_dual_fmac_f32 v55, v59, v56
	s_and_not1_b32 vcc_lo, exec_lo, s1
	s_cbranch_vccz .LBB24_239
	s_branch .LBB24_240
.LBB24_238:
                                        ; implicit-def: $vgpr54
.LBB24_239:
	ds_load_b64 v[54:55], v1
.LBB24_240:
	s_and_saveexec_b32 s1, s0
	s_cbranch_execz .LBB24_244
; %bb.241:
	v_add_nc_u32_e32 v56, -1, v0
	s_or_b32 s0, 0, 8
	s_movk_i32 s8, 0xd8
	s_mov_b32 s4, 0
.LBB24_242:                             ; =>This Inner Loop Header: Depth=1
	scratch_load_b64 v[58:59], off, s0
	v_mov_b32_e32 v57, s8
	s_add_co_i32 s8, s8, 8
	s_wait_xcnt 0x0
	s_add_co_i32 s0, s0, 8
	v_add_nc_u32_e32 v56, -1, v56
	ds_load_b64 v[60:61], v57
	v_cmp_eq_u32_e32 vcc_lo, 0, v56
	s_or_b32 s4, vcc_lo, s4
	s_wait_loadcnt_dscnt 0x0
	v_dual_mul_f32 v57, v61, v59 :: v_dual_mul_f32 v59, v60, v59
	s_delay_alu instid0(VALU_DEP_1) | instskip(NEXT) | instid1(VALU_DEP_1)
	v_dual_fma_f32 v57, v60, v58, -v57 :: v_dual_fmac_f32 v59, v61, v58
	v_dual_add_f32 v54, v54, v57 :: v_dual_add_f32 v55, v55, v59
	s_and_not1_b32 exec_lo, exec_lo, s4
	s_cbranch_execnz .LBB24_242
; %bb.243:
	s_or_b32 exec_lo, exec_lo, s4
.LBB24_244:
	s_delay_alu instid0(SALU_CYCLE_1)
	s_or_b32 exec_lo, exec_lo, s1
	v_mov_b32_e32 v56, 0
	s_mov_b32 s1, exec_lo
	s_or_b32 s4, 0, 4
	ds_load_b64 v[56:57], v56
	s_wait_dscnt 0x0
	v_dual_mul_f32 v58, v55, v57 :: v_dual_mul_f32 v60, v54, v57
	s_delay_alu instid0(VALU_DEP_1)
	v_dual_fma_f32 v54, v54, v56, -v58 :: v_dual_fmac_f32 v60, v55, v56
	scratch_store_b32 off, v54, off
.LBB24_245:
	s_wait_xcnt 0x0
	s_or_b32 exec_lo, exec_lo, s5
	s_delay_alu instid0(SALU_CYCLE_1)
	s_and_b32 vcc_lo, exec_lo, s2
	s_cbranch_vccz .LBB24_481
.LBB24_246:
	scratch_load_b64 v[54:55], off, off offset:8
	v_cmp_eq_u32_e64 s0, 0, v0
	s_wait_loadcnt 0x0
	ds_store_b64 v1, v[54:55]
	s_wait_storecnt_dscnt 0x0
	s_barrier_signal -1
	s_barrier_wait -1
	s_wait_xcnt 0x0
	s_and_saveexec_b32 s2, s0
	s_cbranch_execz .LBB24_252
; %bb.247:
	s_and_b32 vcc_lo, exec_lo, s3
	s_cbranch_vccz .LBB24_249
; %bb.248:
	scratch_load_b64 v[54:55], v47, off
	ds_load_b64 v[56:57], v1
	s_wait_loadcnt_dscnt 0x0
	v_pk_mul_f32 v[58:59], v[56:57], v[54:55] op_sel:[1,1] op_sel_hi:[0,1]
	v_pk_mul_f32 v[60:61], v[56:57], v[54:55] op_sel_hi:[1,0]
	s_delay_alu instid0(VALU_DEP_2) | instskip(NEXT) | instid1(VALU_DEP_2)
	v_pk_fma_f32 v[54:55], v[56:57], v[54:55], v[58:59] op_sel_hi:[1,0,1]
	v_sub_f32_e32 v54, v60, v58
	s_cbranch_execz .LBB24_250
	s_branch .LBB24_251
.LBB24_249:
                                        ; implicit-def: $vgpr55
.LBB24_250:
	ds_load_b64 v[54:55], v1
.LBB24_251:
	s_wait_dscnt 0x0
	v_dual_mov_b32 v56, 0 :: v_dual_mov_b32 v58, v55
	v_mov_b32_e32 v59, v54
	ds_load_b64 v[56:57], v56 offset:8
	s_wait_dscnt 0x0
	v_pk_mul_f32 v[58:59], v[58:59], v[56:57] op_sel:[0,1]
	s_delay_alu instid0(VALU_DEP_1) | instskip(SKIP_1) | instid1(VALU_DEP_2)
	v_pk_fma_f32 v[60:61], v[54:55], v[56:57], v[58:59] op_sel_hi:[1,0,1]
	v_pk_fma_f32 v[54:55], v[54:55], v[56:57], v[58:59] neg_lo:[0,0,1] neg_hi:[0,0,1]
	v_mov_b32_e32 v55, v61
	scratch_store_b64 off, v[54:55], off offset:8
.LBB24_252:
	s_wait_xcnt 0x0
	s_or_b32 exec_lo, exec_lo, s2
	scratch_load_b64 v[54:55], off, off offset:16
	v_cndmask_b32_e64 v56, 0, 1, s3
	s_mov_b32 s2, exec_lo
	s_wait_loadcnt 0x0
	ds_store_b64 v1, v[54:55]
	s_wait_storecnt_dscnt 0x0
	s_barrier_signal -1
	s_barrier_wait -1
	s_wait_xcnt 0x0
	v_cmpx_gt_u32_e32 2, v0
	s_cbranch_execz .LBB24_260
; %bb.253:
	s_and_not1_b32 vcc_lo, exec_lo, s3
	s_cbranch_vccnz .LBB24_255
; %bb.254:
	scratch_load_b64 v[54:55], v47, off
	ds_load_b64 v[58:59], v1
	s_wait_loadcnt_dscnt 0x0
	v_pk_mul_f32 v[60:61], v[58:59], v[54:55] op_sel:[1,1] op_sel_hi:[0,1]
	s_delay_alu instid0(VALU_DEP_1) | instskip(SKIP_1) | instid1(VALU_DEP_2)
	v_pk_fma_f32 v[62:63], v[58:59], v[54:55], v[60:61] op_sel_hi:[1,0,1]
	v_pk_fma_f32 v[54:55], v[58:59], v[54:55], v[60:61] neg_lo:[0,0,1] neg_hi:[0,0,1]
	v_mov_b32_e32 v55, v63
	s_cbranch_execz .LBB24_256
	s_branch .LBB24_257
.LBB24_255:
                                        ; implicit-def: $vgpr54_vgpr55
.LBB24_256:
	ds_load_b64 v[54:55], v1
.LBB24_257:
	s_and_saveexec_b32 s3, s0
	s_cbranch_execz .LBB24_259
; %bb.258:
	scratch_load_b64 v[58:59], off, off offset:8
	v_mov_b32_e32 v57, 0
	ds_load_b64 v[60:61], v57 offset:216
	s_wait_loadcnt_dscnt 0x0
	v_pk_mul_f32 v[62:63], v[60:61], v[58:59] op_sel:[1,1] op_sel_hi:[0,1]
	s_delay_alu instid0(VALU_DEP_1) | instskip(SKIP_1) | instid1(VALU_DEP_2)
	v_pk_fma_f32 v[64:65], v[60:61], v[58:59], v[62:63] op_sel_hi:[1,0,1]
	v_pk_fma_f32 v[58:59], v[60:61], v[58:59], v[62:63] neg_lo:[0,0,1] neg_hi:[0,0,1]
	v_mov_b32_e32 v59, v65
	s_delay_alu instid0(VALU_DEP_1)
	v_pk_add_f32 v[54:55], v[54:55], v[58:59]
.LBB24_259:
	s_or_b32 exec_lo, exec_lo, s3
	v_mov_b32_e32 v57, 0
	ds_load_b64 v[58:59], v57 offset:16
	s_wait_dscnt 0x0
	v_pk_mul_f32 v[60:61], v[54:55], v[58:59] op_sel:[1,1] op_sel_hi:[0,1]
	s_delay_alu instid0(VALU_DEP_1) | instskip(SKIP_1) | instid1(VALU_DEP_2)
	v_pk_fma_f32 v[62:63], v[54:55], v[58:59], v[60:61] op_sel_hi:[1,0,1]
	v_pk_fma_f32 v[54:55], v[54:55], v[58:59], v[60:61] neg_lo:[0,0,1] neg_hi:[0,0,1]
	v_mov_b32_e32 v55, v63
	scratch_store_b64 off, v[54:55], off offset:16
.LBB24_260:
	s_wait_xcnt 0x0
	s_or_b32 exec_lo, exec_lo, s2
	scratch_load_b64 v[54:55], off, off offset:24
	s_mov_b32 s2, exec_lo
	s_wait_loadcnt 0x0
	ds_store_b64 v1, v[54:55]
	s_wait_storecnt_dscnt 0x0
	s_barrier_signal -1
	s_barrier_wait -1
	s_wait_xcnt 0x0
	v_cmpx_gt_u32_e32 3, v0
	s_cbranch_execz .LBB24_270
; %bb.261:
	v_cmp_ne_u32_e32 vcc_lo, 1, v56
	s_cbranch_vccnz .LBB24_263
; %bb.262:
	scratch_load_b64 v[54:55], v47, off
	ds_load_b64 v[58:59], v1
	s_wait_loadcnt_dscnt 0x0
	v_pk_mul_f32 v[60:61], v[58:59], v[54:55] op_sel:[1,1] op_sel_hi:[0,1]
	s_delay_alu instid0(VALU_DEP_1) | instskip(SKIP_1) | instid1(VALU_DEP_2)
	v_pk_fma_f32 v[62:63], v[58:59], v[54:55], v[60:61] op_sel_hi:[1,0,1]
	v_pk_fma_f32 v[54:55], v[58:59], v[54:55], v[60:61] neg_lo:[0,0,1] neg_hi:[0,0,1]
	v_mov_b32_e32 v55, v63
	s_cbranch_execz .LBB24_264
	s_branch .LBB24_265
.LBB24_263:
                                        ; implicit-def: $vgpr54_vgpr55
.LBB24_264:
	ds_load_b64 v[54:55], v1
.LBB24_265:
	s_mov_b32 s3, exec_lo
	v_cmpx_ne_u32_e32 2, v0
	s_cbranch_execz .LBB24_269
; %bb.266:
	scratch_load_b64 v[58:59], v47, off offset:8
	ds_load_b64 v[60:61], v1 offset:8
	s_wait_loadcnt_dscnt 0x0
	v_pk_mul_f32 v[62:63], v[60:61], v[58:59] op_sel:[1,1] op_sel_hi:[0,1]
	s_delay_alu instid0(VALU_DEP_1) | instskip(SKIP_1) | instid1(VALU_DEP_2)
	v_pk_fma_f32 v[64:65], v[60:61], v[58:59], v[62:63] op_sel_hi:[1,0,1]
	v_pk_fma_f32 v[58:59], v[60:61], v[58:59], v[62:63] neg_lo:[0,0,1] neg_hi:[0,0,1]
	v_mov_b32_e32 v59, v65
	s_delay_alu instid0(VALU_DEP_1)
	v_pk_add_f32 v[54:55], v[54:55], v[58:59]
	s_and_saveexec_b32 s4, s0
	s_cbranch_execz .LBB24_268
; %bb.267:
	scratch_load_b64 v[58:59], off, off offset:16
	v_mov_b32_e32 v57, 0
	ds_load_b64 v[60:61], v57 offset:224
	s_wait_loadcnt_dscnt 0x0
	v_pk_mul_f32 v[62:63], v[60:61], v[58:59] op_sel:[1,1] op_sel_hi:[0,1]
	s_delay_alu instid0(VALU_DEP_1) | instskip(SKIP_1) | instid1(VALU_DEP_2)
	v_pk_fma_f32 v[64:65], v[60:61], v[58:59], v[62:63] op_sel_hi:[1,0,1]
	v_pk_fma_f32 v[58:59], v[60:61], v[58:59], v[62:63] neg_lo:[0,0,1] neg_hi:[0,0,1]
	v_mov_b32_e32 v59, v65
	s_delay_alu instid0(VALU_DEP_1)
	v_pk_add_f32 v[54:55], v[54:55], v[58:59]
.LBB24_268:
	s_or_b32 exec_lo, exec_lo, s4
.LBB24_269:
	s_delay_alu instid0(SALU_CYCLE_1) | instskip(SKIP_4) | instid1(VALU_DEP_1)
	s_or_b32 exec_lo, exec_lo, s3
	v_mov_b32_e32 v57, 0
	ds_load_b64 v[58:59], v57 offset:24
	s_wait_dscnt 0x0
	v_pk_mul_f32 v[60:61], v[54:55], v[58:59] op_sel:[1,1] op_sel_hi:[0,1]
	v_pk_fma_f32 v[62:63], v[54:55], v[58:59], v[60:61] op_sel_hi:[1,0,1]
	v_pk_fma_f32 v[54:55], v[54:55], v[58:59], v[60:61] neg_lo:[0,0,1] neg_hi:[0,0,1]
	s_delay_alu instid0(VALU_DEP_2)
	v_mov_b32_e32 v55, v63
	scratch_store_b64 off, v[54:55], off offset:24
.LBB24_270:
	s_wait_xcnt 0x0
	s_or_b32 exec_lo, exec_lo, s2
	scratch_load_b64 v[54:55], off, off offset:32
	s_mov_b32 s0, exec_lo
	s_wait_loadcnt 0x0
	ds_store_b64 v1, v[54:55]
	s_wait_storecnt_dscnt 0x0
	s_barrier_signal -1
	s_barrier_wait -1
	s_wait_xcnt 0x0
	v_cmpx_gt_u32_e32 4, v0
	s_cbranch_execz .LBB24_280
; %bb.271:
	v_cmp_ne_u32_e32 vcc_lo, 1, v56
	s_cbranch_vccnz .LBB24_273
; %bb.272:
	scratch_load_b64 v[54:55], v47, off
	ds_load_b64 v[58:59], v1
	s_wait_loadcnt_dscnt 0x0
	v_pk_mul_f32 v[60:61], v[58:59], v[54:55] op_sel:[1,1] op_sel_hi:[0,1]
	s_delay_alu instid0(VALU_DEP_1) | instskip(SKIP_1) | instid1(VALU_DEP_2)
	v_pk_fma_f32 v[62:63], v[58:59], v[54:55], v[60:61] op_sel_hi:[1,0,1]
	v_pk_fma_f32 v[54:55], v[58:59], v[54:55], v[60:61] neg_lo:[0,0,1] neg_hi:[0,0,1]
	v_mov_b32_e32 v55, v63
	s_cbranch_execz .LBB24_274
	s_branch .LBB24_275
.LBB24_273:
                                        ; implicit-def: $vgpr54_vgpr55
.LBB24_274:
	ds_load_b64 v[54:55], v1
.LBB24_275:
	s_mov_b32 s2, exec_lo
	v_cmpx_ne_u32_e32 3, v0
	s_cbranch_execz .LBB24_279
; %bb.276:
	v_add_nc_u32_e32 v57, 0xd8, v46
	v_add3_u32 v58, 0, v46, 8
	v_mov_b32_e32 v59, v0
	s_mov_b32 s3, 0
.LBB24_277:                             ; =>This Inner Loop Header: Depth=1
	scratch_load_b64 v[60:61], v58, off
	ds_load_b64 v[62:63], v57
	s_wait_xcnt 0x0
	v_dual_add_nc_u32 v57, 8, v57 :: v_dual_add_nc_u32 v58, 8, v58
	s_wait_loadcnt_dscnt 0x0
	v_pk_mul_f32 v[64:65], v[62:63], v[60:61] op_sel:[1,1] op_sel_hi:[0,1]
	s_delay_alu instid0(VALU_DEP_1) | instskip(SKIP_2) | instid1(VALU_DEP_3)
	v_pk_fma_f32 v[66:67], v[62:63], v[60:61], v[64:65] op_sel_hi:[1,0,1]
	v_add_nc_u32_e32 v59, 1, v59
	v_pk_fma_f32 v[60:61], v[62:63], v[60:61], v[64:65] neg_lo:[0,0,1] neg_hi:[0,0,1]
	v_mov_b32_e32 v61, v67
	s_delay_alu instid0(VALU_DEP_3) | instskip(NEXT) | instid1(VALU_DEP_2)
	v_cmp_lt_u32_e32 vcc_lo, 2, v59
	v_pk_add_f32 v[54:55], v[54:55], v[60:61]
	s_or_b32 s3, vcc_lo, s3
	s_delay_alu instid0(SALU_CYCLE_1)
	s_and_not1_b32 exec_lo, exec_lo, s3
	s_cbranch_execnz .LBB24_277
; %bb.278:
	s_or_b32 exec_lo, exec_lo, s3
.LBB24_279:
	s_delay_alu instid0(SALU_CYCLE_1) | instskip(SKIP_4) | instid1(VALU_DEP_1)
	s_or_b32 exec_lo, exec_lo, s2
	v_mov_b32_e32 v57, 0
	ds_load_b64 v[58:59], v57 offset:32
	s_wait_dscnt 0x0
	v_pk_mul_f32 v[60:61], v[54:55], v[58:59] op_sel:[1,1] op_sel_hi:[0,1]
	v_pk_fma_f32 v[62:63], v[54:55], v[58:59], v[60:61] op_sel_hi:[1,0,1]
	v_pk_fma_f32 v[54:55], v[54:55], v[58:59], v[60:61] neg_lo:[0,0,1] neg_hi:[0,0,1]
	s_delay_alu instid0(VALU_DEP_2)
	v_mov_b32_e32 v55, v63
	scratch_store_b64 off, v[54:55], off offset:32
.LBB24_280:
	s_wait_xcnt 0x0
	s_or_b32 exec_lo, exec_lo, s0
	scratch_load_b64 v[54:55], off, off offset:40
	s_mov_b32 s0, exec_lo
	s_wait_loadcnt 0x0
	ds_store_b64 v1, v[54:55]
	s_wait_storecnt_dscnt 0x0
	s_barrier_signal -1
	s_barrier_wait -1
	s_wait_xcnt 0x0
	v_cmpx_gt_u32_e32 5, v0
	s_cbranch_execz .LBB24_290
; %bb.281:
	v_cmp_ne_u32_e32 vcc_lo, 1, v56
	s_cbranch_vccnz .LBB24_283
; %bb.282:
	scratch_load_b64 v[54:55], v47, off
	ds_load_b64 v[58:59], v1
	s_wait_loadcnt_dscnt 0x0
	v_pk_mul_f32 v[60:61], v[58:59], v[54:55] op_sel:[1,1] op_sel_hi:[0,1]
	s_delay_alu instid0(VALU_DEP_1) | instskip(SKIP_1) | instid1(VALU_DEP_2)
	v_pk_fma_f32 v[62:63], v[58:59], v[54:55], v[60:61] op_sel_hi:[1,0,1]
	v_pk_fma_f32 v[54:55], v[58:59], v[54:55], v[60:61] neg_lo:[0,0,1] neg_hi:[0,0,1]
	v_mov_b32_e32 v55, v63
	s_cbranch_execz .LBB24_284
	s_branch .LBB24_285
.LBB24_283:
                                        ; implicit-def: $vgpr54_vgpr55
.LBB24_284:
	ds_load_b64 v[54:55], v1
.LBB24_285:
	s_mov_b32 s2, exec_lo
	v_cmpx_ne_u32_e32 4, v0
	s_cbranch_execz .LBB24_289
; %bb.286:
	v_add_nc_u32_e32 v57, 0xd8, v46
	v_add3_u32 v58, 0, v46, 8
	v_mov_b32_e32 v59, v0
	s_mov_b32 s3, 0
.LBB24_287:                             ; =>This Inner Loop Header: Depth=1
	scratch_load_b64 v[60:61], v58, off
	ds_load_b64 v[62:63], v57
	s_wait_xcnt 0x0
	v_dual_add_nc_u32 v57, 8, v57 :: v_dual_add_nc_u32 v58, 8, v58
	s_wait_loadcnt_dscnt 0x0
	v_pk_mul_f32 v[64:65], v[62:63], v[60:61] op_sel:[1,1] op_sel_hi:[0,1]
	s_delay_alu instid0(VALU_DEP_1) | instskip(SKIP_2) | instid1(VALU_DEP_3)
	v_pk_fma_f32 v[66:67], v[62:63], v[60:61], v[64:65] op_sel_hi:[1,0,1]
	v_add_nc_u32_e32 v59, 1, v59
	v_pk_fma_f32 v[60:61], v[62:63], v[60:61], v[64:65] neg_lo:[0,0,1] neg_hi:[0,0,1]
	v_mov_b32_e32 v61, v67
	s_delay_alu instid0(VALU_DEP_3) | instskip(NEXT) | instid1(VALU_DEP_2)
	v_cmp_lt_u32_e32 vcc_lo, 3, v59
	v_pk_add_f32 v[54:55], v[54:55], v[60:61]
	s_or_b32 s3, vcc_lo, s3
	s_delay_alu instid0(SALU_CYCLE_1)
	s_and_not1_b32 exec_lo, exec_lo, s3
	s_cbranch_execnz .LBB24_287
; %bb.288:
	s_or_b32 exec_lo, exec_lo, s3
.LBB24_289:
	s_delay_alu instid0(SALU_CYCLE_1) | instskip(SKIP_4) | instid1(VALU_DEP_1)
	s_or_b32 exec_lo, exec_lo, s2
	v_mov_b32_e32 v57, 0
	ds_load_b64 v[58:59], v57 offset:40
	s_wait_dscnt 0x0
	v_pk_mul_f32 v[60:61], v[54:55], v[58:59] op_sel:[1,1] op_sel_hi:[0,1]
	v_pk_fma_f32 v[62:63], v[54:55], v[58:59], v[60:61] op_sel_hi:[1,0,1]
	v_pk_fma_f32 v[54:55], v[54:55], v[58:59], v[60:61] neg_lo:[0,0,1] neg_hi:[0,0,1]
	s_delay_alu instid0(VALU_DEP_2)
	v_mov_b32_e32 v55, v63
	scratch_store_b64 off, v[54:55], off offset:40
.LBB24_290:
	s_wait_xcnt 0x0
	s_or_b32 exec_lo, exec_lo, s0
	scratch_load_b64 v[54:55], off, off offset:48
	s_mov_b32 s0, exec_lo
	s_wait_loadcnt 0x0
	ds_store_b64 v1, v[54:55]
	s_wait_storecnt_dscnt 0x0
	s_barrier_signal -1
	s_barrier_wait -1
	s_wait_xcnt 0x0
	v_cmpx_gt_u32_e32 6, v0
	s_cbranch_execz .LBB24_300
; %bb.291:
	v_cmp_ne_u32_e32 vcc_lo, 1, v56
	s_cbranch_vccnz .LBB24_293
; %bb.292:
	scratch_load_b64 v[54:55], v47, off
	ds_load_b64 v[58:59], v1
	s_wait_loadcnt_dscnt 0x0
	v_pk_mul_f32 v[60:61], v[58:59], v[54:55] op_sel:[1,1] op_sel_hi:[0,1]
	s_delay_alu instid0(VALU_DEP_1) | instskip(SKIP_1) | instid1(VALU_DEP_2)
	v_pk_fma_f32 v[62:63], v[58:59], v[54:55], v[60:61] op_sel_hi:[1,0,1]
	v_pk_fma_f32 v[54:55], v[58:59], v[54:55], v[60:61] neg_lo:[0,0,1] neg_hi:[0,0,1]
	v_mov_b32_e32 v55, v63
	s_cbranch_execz .LBB24_294
	s_branch .LBB24_295
.LBB24_293:
                                        ; implicit-def: $vgpr54_vgpr55
.LBB24_294:
	ds_load_b64 v[54:55], v1
.LBB24_295:
	s_mov_b32 s2, exec_lo
	v_cmpx_ne_u32_e32 5, v0
	s_cbranch_execz .LBB24_299
; %bb.296:
	v_add_nc_u32_e32 v57, 0xd8, v46
	v_add3_u32 v58, 0, v46, 8
	v_mov_b32_e32 v59, v0
	s_mov_b32 s3, 0
.LBB24_297:                             ; =>This Inner Loop Header: Depth=1
	scratch_load_b64 v[60:61], v58, off
	ds_load_b64 v[62:63], v57
	s_wait_xcnt 0x0
	v_dual_add_nc_u32 v57, 8, v57 :: v_dual_add_nc_u32 v58, 8, v58
	s_wait_loadcnt_dscnt 0x0
	v_pk_mul_f32 v[64:65], v[62:63], v[60:61] op_sel:[1,1] op_sel_hi:[0,1]
	s_delay_alu instid0(VALU_DEP_1) | instskip(SKIP_2) | instid1(VALU_DEP_3)
	v_pk_fma_f32 v[66:67], v[62:63], v[60:61], v[64:65] op_sel_hi:[1,0,1]
	v_add_nc_u32_e32 v59, 1, v59
	v_pk_fma_f32 v[60:61], v[62:63], v[60:61], v[64:65] neg_lo:[0,0,1] neg_hi:[0,0,1]
	v_mov_b32_e32 v61, v67
	s_delay_alu instid0(VALU_DEP_3) | instskip(NEXT) | instid1(VALU_DEP_2)
	v_cmp_lt_u32_e32 vcc_lo, 4, v59
	v_pk_add_f32 v[54:55], v[54:55], v[60:61]
	s_or_b32 s3, vcc_lo, s3
	s_delay_alu instid0(SALU_CYCLE_1)
	s_and_not1_b32 exec_lo, exec_lo, s3
	s_cbranch_execnz .LBB24_297
; %bb.298:
	s_or_b32 exec_lo, exec_lo, s3
.LBB24_299:
	s_delay_alu instid0(SALU_CYCLE_1) | instskip(SKIP_4) | instid1(VALU_DEP_1)
	s_or_b32 exec_lo, exec_lo, s2
	v_mov_b32_e32 v57, 0
	ds_load_b64 v[58:59], v57 offset:48
	s_wait_dscnt 0x0
	v_pk_mul_f32 v[60:61], v[54:55], v[58:59] op_sel:[1,1] op_sel_hi:[0,1]
	v_pk_fma_f32 v[62:63], v[54:55], v[58:59], v[60:61] op_sel_hi:[1,0,1]
	v_pk_fma_f32 v[54:55], v[54:55], v[58:59], v[60:61] neg_lo:[0,0,1] neg_hi:[0,0,1]
	s_delay_alu instid0(VALU_DEP_2)
	v_mov_b32_e32 v55, v63
	scratch_store_b64 off, v[54:55], off offset:48
.LBB24_300:
	s_wait_xcnt 0x0
	s_or_b32 exec_lo, exec_lo, s0
	scratch_load_b64 v[54:55], off, off offset:56
	s_mov_b32 s0, exec_lo
	s_wait_loadcnt 0x0
	ds_store_b64 v1, v[54:55]
	s_wait_storecnt_dscnt 0x0
	s_barrier_signal -1
	s_barrier_wait -1
	s_wait_xcnt 0x0
	v_cmpx_gt_u32_e32 7, v0
	s_cbranch_execz .LBB24_310
; %bb.301:
	v_cmp_ne_u32_e32 vcc_lo, 1, v56
	s_cbranch_vccnz .LBB24_303
; %bb.302:
	scratch_load_b64 v[54:55], v47, off
	ds_load_b64 v[58:59], v1
	s_wait_loadcnt_dscnt 0x0
	v_pk_mul_f32 v[60:61], v[58:59], v[54:55] op_sel:[1,1] op_sel_hi:[0,1]
	s_delay_alu instid0(VALU_DEP_1) | instskip(SKIP_1) | instid1(VALU_DEP_2)
	v_pk_fma_f32 v[62:63], v[58:59], v[54:55], v[60:61] op_sel_hi:[1,0,1]
	v_pk_fma_f32 v[54:55], v[58:59], v[54:55], v[60:61] neg_lo:[0,0,1] neg_hi:[0,0,1]
	v_mov_b32_e32 v55, v63
	s_cbranch_execz .LBB24_304
	s_branch .LBB24_305
.LBB24_303:
                                        ; implicit-def: $vgpr54_vgpr55
.LBB24_304:
	ds_load_b64 v[54:55], v1
.LBB24_305:
	s_mov_b32 s2, exec_lo
	v_cmpx_ne_u32_e32 6, v0
	s_cbranch_execz .LBB24_309
; %bb.306:
	v_add_nc_u32_e32 v57, 0xd8, v46
	v_add3_u32 v58, 0, v46, 8
	v_mov_b32_e32 v59, v0
	s_mov_b32 s3, 0
.LBB24_307:                             ; =>This Inner Loop Header: Depth=1
	scratch_load_b64 v[60:61], v58, off
	ds_load_b64 v[62:63], v57
	s_wait_xcnt 0x0
	v_dual_add_nc_u32 v57, 8, v57 :: v_dual_add_nc_u32 v58, 8, v58
	s_wait_loadcnt_dscnt 0x0
	v_pk_mul_f32 v[64:65], v[62:63], v[60:61] op_sel:[1,1] op_sel_hi:[0,1]
	s_delay_alu instid0(VALU_DEP_1) | instskip(SKIP_2) | instid1(VALU_DEP_3)
	v_pk_fma_f32 v[66:67], v[62:63], v[60:61], v[64:65] op_sel_hi:[1,0,1]
	v_add_nc_u32_e32 v59, 1, v59
	v_pk_fma_f32 v[60:61], v[62:63], v[60:61], v[64:65] neg_lo:[0,0,1] neg_hi:[0,0,1]
	v_mov_b32_e32 v61, v67
	s_delay_alu instid0(VALU_DEP_3) | instskip(NEXT) | instid1(VALU_DEP_2)
	v_cmp_lt_u32_e32 vcc_lo, 5, v59
	v_pk_add_f32 v[54:55], v[54:55], v[60:61]
	s_or_b32 s3, vcc_lo, s3
	s_delay_alu instid0(SALU_CYCLE_1)
	s_and_not1_b32 exec_lo, exec_lo, s3
	s_cbranch_execnz .LBB24_307
; %bb.308:
	s_or_b32 exec_lo, exec_lo, s3
.LBB24_309:
	s_delay_alu instid0(SALU_CYCLE_1) | instskip(SKIP_4) | instid1(VALU_DEP_1)
	s_or_b32 exec_lo, exec_lo, s2
	v_mov_b32_e32 v57, 0
	ds_load_b64 v[58:59], v57 offset:56
	s_wait_dscnt 0x0
	v_pk_mul_f32 v[60:61], v[54:55], v[58:59] op_sel:[1,1] op_sel_hi:[0,1]
	v_pk_fma_f32 v[62:63], v[54:55], v[58:59], v[60:61] op_sel_hi:[1,0,1]
	v_pk_fma_f32 v[54:55], v[54:55], v[58:59], v[60:61] neg_lo:[0,0,1] neg_hi:[0,0,1]
	s_delay_alu instid0(VALU_DEP_2)
	v_mov_b32_e32 v55, v63
	scratch_store_b64 off, v[54:55], off offset:56
.LBB24_310:
	s_wait_xcnt 0x0
	s_or_b32 exec_lo, exec_lo, s0
	scratch_load_b64 v[54:55], off, off offset:64
	s_mov_b32 s0, exec_lo
	s_wait_loadcnt 0x0
	ds_store_b64 v1, v[54:55]
	s_wait_storecnt_dscnt 0x0
	s_barrier_signal -1
	s_barrier_wait -1
	s_wait_xcnt 0x0
	v_cmpx_gt_u32_e32 8, v0
	s_cbranch_execz .LBB24_320
; %bb.311:
	v_cmp_ne_u32_e32 vcc_lo, 1, v56
	s_cbranch_vccnz .LBB24_313
; %bb.312:
	scratch_load_b64 v[54:55], v47, off
	ds_load_b64 v[58:59], v1
	s_wait_loadcnt_dscnt 0x0
	v_pk_mul_f32 v[60:61], v[58:59], v[54:55] op_sel:[1,1] op_sel_hi:[0,1]
	s_delay_alu instid0(VALU_DEP_1) | instskip(SKIP_1) | instid1(VALU_DEP_2)
	v_pk_fma_f32 v[62:63], v[58:59], v[54:55], v[60:61] op_sel_hi:[1,0,1]
	v_pk_fma_f32 v[54:55], v[58:59], v[54:55], v[60:61] neg_lo:[0,0,1] neg_hi:[0,0,1]
	v_mov_b32_e32 v55, v63
	s_cbranch_execz .LBB24_314
	s_branch .LBB24_315
.LBB24_313:
                                        ; implicit-def: $vgpr54_vgpr55
.LBB24_314:
	ds_load_b64 v[54:55], v1
.LBB24_315:
	s_mov_b32 s2, exec_lo
	v_cmpx_ne_u32_e32 7, v0
	s_cbranch_execz .LBB24_319
; %bb.316:
	v_add_nc_u32_e32 v57, 0xd8, v46
	v_add3_u32 v58, 0, v46, 8
	v_mov_b32_e32 v59, v0
	s_mov_b32 s3, 0
.LBB24_317:                             ; =>This Inner Loop Header: Depth=1
	scratch_load_b64 v[60:61], v58, off
	ds_load_b64 v[62:63], v57
	s_wait_xcnt 0x0
	v_dual_add_nc_u32 v57, 8, v57 :: v_dual_add_nc_u32 v58, 8, v58
	s_wait_loadcnt_dscnt 0x0
	v_pk_mul_f32 v[64:65], v[62:63], v[60:61] op_sel:[1,1] op_sel_hi:[0,1]
	s_delay_alu instid0(VALU_DEP_1) | instskip(SKIP_2) | instid1(VALU_DEP_3)
	v_pk_fma_f32 v[66:67], v[62:63], v[60:61], v[64:65] op_sel_hi:[1,0,1]
	v_add_nc_u32_e32 v59, 1, v59
	v_pk_fma_f32 v[60:61], v[62:63], v[60:61], v[64:65] neg_lo:[0,0,1] neg_hi:[0,0,1]
	v_mov_b32_e32 v61, v67
	s_delay_alu instid0(VALU_DEP_3) | instskip(NEXT) | instid1(VALU_DEP_2)
	v_cmp_lt_u32_e32 vcc_lo, 6, v59
	v_pk_add_f32 v[54:55], v[54:55], v[60:61]
	s_or_b32 s3, vcc_lo, s3
	s_delay_alu instid0(SALU_CYCLE_1)
	s_and_not1_b32 exec_lo, exec_lo, s3
	s_cbranch_execnz .LBB24_317
; %bb.318:
	s_or_b32 exec_lo, exec_lo, s3
.LBB24_319:
	s_delay_alu instid0(SALU_CYCLE_1) | instskip(SKIP_4) | instid1(VALU_DEP_1)
	s_or_b32 exec_lo, exec_lo, s2
	v_mov_b32_e32 v57, 0
	ds_load_b64 v[58:59], v57 offset:64
	s_wait_dscnt 0x0
	v_pk_mul_f32 v[60:61], v[54:55], v[58:59] op_sel:[1,1] op_sel_hi:[0,1]
	v_pk_fma_f32 v[62:63], v[54:55], v[58:59], v[60:61] op_sel_hi:[1,0,1]
	v_pk_fma_f32 v[54:55], v[54:55], v[58:59], v[60:61] neg_lo:[0,0,1] neg_hi:[0,0,1]
	s_delay_alu instid0(VALU_DEP_2)
	v_mov_b32_e32 v55, v63
	scratch_store_b64 off, v[54:55], off offset:64
.LBB24_320:
	s_wait_xcnt 0x0
	s_or_b32 exec_lo, exec_lo, s0
	scratch_load_b64 v[54:55], off, off offset:72
	s_mov_b32 s0, exec_lo
	s_wait_loadcnt 0x0
	ds_store_b64 v1, v[54:55]
	s_wait_storecnt_dscnt 0x0
	s_barrier_signal -1
	s_barrier_wait -1
	s_wait_xcnt 0x0
	v_cmpx_gt_u32_e32 9, v0
	s_cbranch_execz .LBB24_330
; %bb.321:
	v_cmp_ne_u32_e32 vcc_lo, 1, v56
	s_cbranch_vccnz .LBB24_323
; %bb.322:
	scratch_load_b64 v[54:55], v47, off
	ds_load_b64 v[58:59], v1
	s_wait_loadcnt_dscnt 0x0
	v_pk_mul_f32 v[60:61], v[58:59], v[54:55] op_sel:[1,1] op_sel_hi:[0,1]
	s_delay_alu instid0(VALU_DEP_1) | instskip(SKIP_1) | instid1(VALU_DEP_2)
	v_pk_fma_f32 v[62:63], v[58:59], v[54:55], v[60:61] op_sel_hi:[1,0,1]
	v_pk_fma_f32 v[54:55], v[58:59], v[54:55], v[60:61] neg_lo:[0,0,1] neg_hi:[0,0,1]
	v_mov_b32_e32 v55, v63
	s_cbranch_execz .LBB24_324
	s_branch .LBB24_325
.LBB24_323:
                                        ; implicit-def: $vgpr54_vgpr55
.LBB24_324:
	ds_load_b64 v[54:55], v1
.LBB24_325:
	s_mov_b32 s2, exec_lo
	v_cmpx_ne_u32_e32 8, v0
	s_cbranch_execz .LBB24_329
; %bb.326:
	v_add_nc_u32_e32 v57, 0xd8, v46
	v_add3_u32 v58, 0, v46, 8
	v_mov_b32_e32 v59, v0
	s_mov_b32 s3, 0
.LBB24_327:                             ; =>This Inner Loop Header: Depth=1
	scratch_load_b64 v[60:61], v58, off
	ds_load_b64 v[62:63], v57
	s_wait_xcnt 0x0
	v_dual_add_nc_u32 v57, 8, v57 :: v_dual_add_nc_u32 v58, 8, v58
	s_wait_loadcnt_dscnt 0x0
	v_pk_mul_f32 v[64:65], v[62:63], v[60:61] op_sel:[1,1] op_sel_hi:[0,1]
	s_delay_alu instid0(VALU_DEP_1) | instskip(SKIP_2) | instid1(VALU_DEP_3)
	v_pk_fma_f32 v[66:67], v[62:63], v[60:61], v[64:65] op_sel_hi:[1,0,1]
	v_add_nc_u32_e32 v59, 1, v59
	v_pk_fma_f32 v[60:61], v[62:63], v[60:61], v[64:65] neg_lo:[0,0,1] neg_hi:[0,0,1]
	v_mov_b32_e32 v61, v67
	s_delay_alu instid0(VALU_DEP_3) | instskip(NEXT) | instid1(VALU_DEP_2)
	v_cmp_lt_u32_e32 vcc_lo, 7, v59
	v_pk_add_f32 v[54:55], v[54:55], v[60:61]
	s_or_b32 s3, vcc_lo, s3
	s_delay_alu instid0(SALU_CYCLE_1)
	s_and_not1_b32 exec_lo, exec_lo, s3
	s_cbranch_execnz .LBB24_327
; %bb.328:
	s_or_b32 exec_lo, exec_lo, s3
.LBB24_329:
	s_delay_alu instid0(SALU_CYCLE_1) | instskip(SKIP_4) | instid1(VALU_DEP_1)
	s_or_b32 exec_lo, exec_lo, s2
	v_mov_b32_e32 v57, 0
	ds_load_b64 v[58:59], v57 offset:72
	s_wait_dscnt 0x0
	v_pk_mul_f32 v[60:61], v[54:55], v[58:59] op_sel:[1,1] op_sel_hi:[0,1]
	v_pk_fma_f32 v[62:63], v[54:55], v[58:59], v[60:61] op_sel_hi:[1,0,1]
	v_pk_fma_f32 v[54:55], v[54:55], v[58:59], v[60:61] neg_lo:[0,0,1] neg_hi:[0,0,1]
	s_delay_alu instid0(VALU_DEP_2)
	v_mov_b32_e32 v55, v63
	scratch_store_b64 off, v[54:55], off offset:72
.LBB24_330:
	s_wait_xcnt 0x0
	s_or_b32 exec_lo, exec_lo, s0
	scratch_load_b64 v[54:55], off, off offset:80
	s_mov_b32 s0, exec_lo
	s_wait_loadcnt 0x0
	ds_store_b64 v1, v[54:55]
	s_wait_storecnt_dscnt 0x0
	s_barrier_signal -1
	s_barrier_wait -1
	s_wait_xcnt 0x0
	v_cmpx_gt_u32_e32 10, v0
	s_cbranch_execz .LBB24_340
; %bb.331:
	v_cmp_ne_u32_e32 vcc_lo, 1, v56
	s_cbranch_vccnz .LBB24_333
; %bb.332:
	scratch_load_b64 v[54:55], v47, off
	ds_load_b64 v[58:59], v1
	s_wait_loadcnt_dscnt 0x0
	v_pk_mul_f32 v[60:61], v[58:59], v[54:55] op_sel:[1,1] op_sel_hi:[0,1]
	s_delay_alu instid0(VALU_DEP_1) | instskip(SKIP_1) | instid1(VALU_DEP_2)
	v_pk_fma_f32 v[62:63], v[58:59], v[54:55], v[60:61] op_sel_hi:[1,0,1]
	v_pk_fma_f32 v[54:55], v[58:59], v[54:55], v[60:61] neg_lo:[0,0,1] neg_hi:[0,0,1]
	v_mov_b32_e32 v55, v63
	s_cbranch_execz .LBB24_334
	s_branch .LBB24_335
.LBB24_333:
                                        ; implicit-def: $vgpr54_vgpr55
.LBB24_334:
	ds_load_b64 v[54:55], v1
.LBB24_335:
	s_mov_b32 s2, exec_lo
	v_cmpx_ne_u32_e32 9, v0
	s_cbranch_execz .LBB24_339
; %bb.336:
	v_add_nc_u32_e32 v57, 0xd8, v46
	v_add3_u32 v58, 0, v46, 8
	v_mov_b32_e32 v59, v0
	s_mov_b32 s3, 0
.LBB24_337:                             ; =>This Inner Loop Header: Depth=1
	scratch_load_b64 v[60:61], v58, off
	ds_load_b64 v[62:63], v57
	s_wait_xcnt 0x0
	v_dual_add_nc_u32 v57, 8, v57 :: v_dual_add_nc_u32 v58, 8, v58
	s_wait_loadcnt_dscnt 0x0
	v_pk_mul_f32 v[64:65], v[62:63], v[60:61] op_sel:[1,1] op_sel_hi:[0,1]
	s_delay_alu instid0(VALU_DEP_1) | instskip(SKIP_2) | instid1(VALU_DEP_3)
	v_pk_fma_f32 v[66:67], v[62:63], v[60:61], v[64:65] op_sel_hi:[1,0,1]
	v_add_nc_u32_e32 v59, 1, v59
	v_pk_fma_f32 v[60:61], v[62:63], v[60:61], v[64:65] neg_lo:[0,0,1] neg_hi:[0,0,1]
	v_mov_b32_e32 v61, v67
	s_delay_alu instid0(VALU_DEP_3) | instskip(NEXT) | instid1(VALU_DEP_2)
	v_cmp_lt_u32_e32 vcc_lo, 8, v59
	v_pk_add_f32 v[54:55], v[54:55], v[60:61]
	s_or_b32 s3, vcc_lo, s3
	s_delay_alu instid0(SALU_CYCLE_1)
	s_and_not1_b32 exec_lo, exec_lo, s3
	s_cbranch_execnz .LBB24_337
; %bb.338:
	s_or_b32 exec_lo, exec_lo, s3
.LBB24_339:
	s_delay_alu instid0(SALU_CYCLE_1) | instskip(SKIP_4) | instid1(VALU_DEP_1)
	s_or_b32 exec_lo, exec_lo, s2
	v_mov_b32_e32 v57, 0
	ds_load_b64 v[58:59], v57 offset:80
	s_wait_dscnt 0x0
	v_pk_mul_f32 v[60:61], v[54:55], v[58:59] op_sel:[1,1] op_sel_hi:[0,1]
	v_pk_fma_f32 v[62:63], v[54:55], v[58:59], v[60:61] op_sel_hi:[1,0,1]
	v_pk_fma_f32 v[54:55], v[54:55], v[58:59], v[60:61] neg_lo:[0,0,1] neg_hi:[0,0,1]
	s_delay_alu instid0(VALU_DEP_2)
	v_mov_b32_e32 v55, v63
	scratch_store_b64 off, v[54:55], off offset:80
.LBB24_340:
	s_wait_xcnt 0x0
	s_or_b32 exec_lo, exec_lo, s0
	scratch_load_b64 v[54:55], off, off offset:88
	s_mov_b32 s0, exec_lo
	s_wait_loadcnt 0x0
	ds_store_b64 v1, v[54:55]
	s_wait_storecnt_dscnt 0x0
	s_barrier_signal -1
	s_barrier_wait -1
	s_wait_xcnt 0x0
	v_cmpx_gt_u32_e32 11, v0
	s_cbranch_execz .LBB24_350
; %bb.341:
	v_cmp_ne_u32_e32 vcc_lo, 1, v56
	s_cbranch_vccnz .LBB24_343
; %bb.342:
	scratch_load_b64 v[54:55], v47, off
	ds_load_b64 v[58:59], v1
	s_wait_loadcnt_dscnt 0x0
	v_pk_mul_f32 v[60:61], v[58:59], v[54:55] op_sel:[1,1] op_sel_hi:[0,1]
	s_delay_alu instid0(VALU_DEP_1) | instskip(SKIP_1) | instid1(VALU_DEP_2)
	v_pk_fma_f32 v[62:63], v[58:59], v[54:55], v[60:61] op_sel_hi:[1,0,1]
	v_pk_fma_f32 v[54:55], v[58:59], v[54:55], v[60:61] neg_lo:[0,0,1] neg_hi:[0,0,1]
	v_mov_b32_e32 v55, v63
	s_cbranch_execz .LBB24_344
	s_branch .LBB24_345
.LBB24_343:
                                        ; implicit-def: $vgpr54_vgpr55
.LBB24_344:
	ds_load_b64 v[54:55], v1
.LBB24_345:
	s_mov_b32 s2, exec_lo
	v_cmpx_ne_u32_e32 10, v0
	s_cbranch_execz .LBB24_349
; %bb.346:
	v_add_nc_u32_e32 v57, 0xd8, v46
	v_add3_u32 v58, 0, v46, 8
	v_mov_b32_e32 v59, v0
	s_mov_b32 s3, 0
.LBB24_347:                             ; =>This Inner Loop Header: Depth=1
	scratch_load_b64 v[60:61], v58, off
	ds_load_b64 v[62:63], v57
	s_wait_xcnt 0x0
	v_dual_add_nc_u32 v57, 8, v57 :: v_dual_add_nc_u32 v58, 8, v58
	s_wait_loadcnt_dscnt 0x0
	v_pk_mul_f32 v[64:65], v[62:63], v[60:61] op_sel:[1,1] op_sel_hi:[0,1]
	s_delay_alu instid0(VALU_DEP_1) | instskip(SKIP_2) | instid1(VALU_DEP_3)
	v_pk_fma_f32 v[66:67], v[62:63], v[60:61], v[64:65] op_sel_hi:[1,0,1]
	v_add_nc_u32_e32 v59, 1, v59
	v_pk_fma_f32 v[60:61], v[62:63], v[60:61], v[64:65] neg_lo:[0,0,1] neg_hi:[0,0,1]
	v_mov_b32_e32 v61, v67
	s_delay_alu instid0(VALU_DEP_3) | instskip(NEXT) | instid1(VALU_DEP_2)
	v_cmp_lt_u32_e32 vcc_lo, 9, v59
	v_pk_add_f32 v[54:55], v[54:55], v[60:61]
	s_or_b32 s3, vcc_lo, s3
	s_delay_alu instid0(SALU_CYCLE_1)
	s_and_not1_b32 exec_lo, exec_lo, s3
	s_cbranch_execnz .LBB24_347
; %bb.348:
	s_or_b32 exec_lo, exec_lo, s3
.LBB24_349:
	s_delay_alu instid0(SALU_CYCLE_1) | instskip(SKIP_4) | instid1(VALU_DEP_1)
	s_or_b32 exec_lo, exec_lo, s2
	v_mov_b32_e32 v57, 0
	ds_load_b64 v[58:59], v57 offset:88
	s_wait_dscnt 0x0
	v_pk_mul_f32 v[60:61], v[54:55], v[58:59] op_sel:[1,1] op_sel_hi:[0,1]
	v_pk_fma_f32 v[62:63], v[54:55], v[58:59], v[60:61] op_sel_hi:[1,0,1]
	v_pk_fma_f32 v[54:55], v[54:55], v[58:59], v[60:61] neg_lo:[0,0,1] neg_hi:[0,0,1]
	s_delay_alu instid0(VALU_DEP_2)
	v_mov_b32_e32 v55, v63
	scratch_store_b64 off, v[54:55], off offset:88
.LBB24_350:
	s_wait_xcnt 0x0
	s_or_b32 exec_lo, exec_lo, s0
	scratch_load_b64 v[54:55], off, off offset:96
	s_mov_b32 s0, exec_lo
	s_wait_loadcnt 0x0
	ds_store_b64 v1, v[54:55]
	s_wait_storecnt_dscnt 0x0
	s_barrier_signal -1
	s_barrier_wait -1
	s_wait_xcnt 0x0
	v_cmpx_gt_u32_e32 12, v0
	s_cbranch_execz .LBB24_360
; %bb.351:
	v_cmp_ne_u32_e32 vcc_lo, 1, v56
	s_cbranch_vccnz .LBB24_353
; %bb.352:
	scratch_load_b64 v[54:55], v47, off
	ds_load_b64 v[58:59], v1
	s_wait_loadcnt_dscnt 0x0
	v_pk_mul_f32 v[60:61], v[58:59], v[54:55] op_sel:[1,1] op_sel_hi:[0,1]
	s_delay_alu instid0(VALU_DEP_1) | instskip(SKIP_1) | instid1(VALU_DEP_2)
	v_pk_fma_f32 v[62:63], v[58:59], v[54:55], v[60:61] op_sel_hi:[1,0,1]
	v_pk_fma_f32 v[54:55], v[58:59], v[54:55], v[60:61] neg_lo:[0,0,1] neg_hi:[0,0,1]
	v_mov_b32_e32 v55, v63
	s_cbranch_execz .LBB24_354
	s_branch .LBB24_355
.LBB24_353:
                                        ; implicit-def: $vgpr54_vgpr55
.LBB24_354:
	ds_load_b64 v[54:55], v1
.LBB24_355:
	s_mov_b32 s2, exec_lo
	v_cmpx_ne_u32_e32 11, v0
	s_cbranch_execz .LBB24_359
; %bb.356:
	v_add_nc_u32_e32 v57, 0xd8, v46
	v_add3_u32 v58, 0, v46, 8
	v_mov_b32_e32 v59, v0
	s_mov_b32 s3, 0
.LBB24_357:                             ; =>This Inner Loop Header: Depth=1
	scratch_load_b64 v[60:61], v58, off
	ds_load_b64 v[62:63], v57
	s_wait_xcnt 0x0
	v_dual_add_nc_u32 v57, 8, v57 :: v_dual_add_nc_u32 v58, 8, v58
	s_wait_loadcnt_dscnt 0x0
	v_pk_mul_f32 v[64:65], v[62:63], v[60:61] op_sel:[1,1] op_sel_hi:[0,1]
	s_delay_alu instid0(VALU_DEP_1) | instskip(SKIP_2) | instid1(VALU_DEP_3)
	v_pk_fma_f32 v[66:67], v[62:63], v[60:61], v[64:65] op_sel_hi:[1,0,1]
	v_add_nc_u32_e32 v59, 1, v59
	v_pk_fma_f32 v[60:61], v[62:63], v[60:61], v[64:65] neg_lo:[0,0,1] neg_hi:[0,0,1]
	v_mov_b32_e32 v61, v67
	s_delay_alu instid0(VALU_DEP_3) | instskip(NEXT) | instid1(VALU_DEP_2)
	v_cmp_lt_u32_e32 vcc_lo, 10, v59
	v_pk_add_f32 v[54:55], v[54:55], v[60:61]
	s_or_b32 s3, vcc_lo, s3
	s_delay_alu instid0(SALU_CYCLE_1)
	s_and_not1_b32 exec_lo, exec_lo, s3
	s_cbranch_execnz .LBB24_357
; %bb.358:
	s_or_b32 exec_lo, exec_lo, s3
.LBB24_359:
	s_delay_alu instid0(SALU_CYCLE_1) | instskip(SKIP_4) | instid1(VALU_DEP_1)
	s_or_b32 exec_lo, exec_lo, s2
	v_mov_b32_e32 v57, 0
	ds_load_b64 v[58:59], v57 offset:96
	s_wait_dscnt 0x0
	v_pk_mul_f32 v[60:61], v[54:55], v[58:59] op_sel:[1,1] op_sel_hi:[0,1]
	v_pk_fma_f32 v[62:63], v[54:55], v[58:59], v[60:61] op_sel_hi:[1,0,1]
	v_pk_fma_f32 v[54:55], v[54:55], v[58:59], v[60:61] neg_lo:[0,0,1] neg_hi:[0,0,1]
	s_delay_alu instid0(VALU_DEP_2)
	v_mov_b32_e32 v55, v63
	scratch_store_b64 off, v[54:55], off offset:96
.LBB24_360:
	s_wait_xcnt 0x0
	s_or_b32 exec_lo, exec_lo, s0
	scratch_load_b64 v[54:55], off, off offset:104
	s_mov_b32 s0, exec_lo
	s_wait_loadcnt 0x0
	ds_store_b64 v1, v[54:55]
	s_wait_storecnt_dscnt 0x0
	s_barrier_signal -1
	s_barrier_wait -1
	s_wait_xcnt 0x0
	v_cmpx_gt_u32_e32 13, v0
	s_cbranch_execz .LBB24_370
; %bb.361:
	v_cmp_ne_u32_e32 vcc_lo, 1, v56
	s_cbranch_vccnz .LBB24_363
; %bb.362:
	scratch_load_b64 v[54:55], v47, off
	ds_load_b64 v[58:59], v1
	s_wait_loadcnt_dscnt 0x0
	v_pk_mul_f32 v[60:61], v[58:59], v[54:55] op_sel:[1,1] op_sel_hi:[0,1]
	s_delay_alu instid0(VALU_DEP_1) | instskip(SKIP_1) | instid1(VALU_DEP_2)
	v_pk_fma_f32 v[62:63], v[58:59], v[54:55], v[60:61] op_sel_hi:[1,0,1]
	v_pk_fma_f32 v[54:55], v[58:59], v[54:55], v[60:61] neg_lo:[0,0,1] neg_hi:[0,0,1]
	v_mov_b32_e32 v55, v63
	s_cbranch_execz .LBB24_364
	s_branch .LBB24_365
.LBB24_363:
                                        ; implicit-def: $vgpr54_vgpr55
.LBB24_364:
	ds_load_b64 v[54:55], v1
.LBB24_365:
	s_mov_b32 s2, exec_lo
	v_cmpx_ne_u32_e32 12, v0
	s_cbranch_execz .LBB24_369
; %bb.366:
	v_add_nc_u32_e32 v57, 0xd8, v46
	v_add3_u32 v58, 0, v46, 8
	v_mov_b32_e32 v59, v0
	s_mov_b32 s3, 0
.LBB24_367:                             ; =>This Inner Loop Header: Depth=1
	scratch_load_b64 v[60:61], v58, off
	ds_load_b64 v[62:63], v57
	s_wait_xcnt 0x0
	v_dual_add_nc_u32 v57, 8, v57 :: v_dual_add_nc_u32 v58, 8, v58
	s_wait_loadcnt_dscnt 0x0
	v_pk_mul_f32 v[64:65], v[62:63], v[60:61] op_sel:[1,1] op_sel_hi:[0,1]
	s_delay_alu instid0(VALU_DEP_1) | instskip(SKIP_2) | instid1(VALU_DEP_3)
	v_pk_fma_f32 v[66:67], v[62:63], v[60:61], v[64:65] op_sel_hi:[1,0,1]
	v_add_nc_u32_e32 v59, 1, v59
	v_pk_fma_f32 v[60:61], v[62:63], v[60:61], v[64:65] neg_lo:[0,0,1] neg_hi:[0,0,1]
	v_mov_b32_e32 v61, v67
	s_delay_alu instid0(VALU_DEP_3) | instskip(NEXT) | instid1(VALU_DEP_2)
	v_cmp_lt_u32_e32 vcc_lo, 11, v59
	v_pk_add_f32 v[54:55], v[54:55], v[60:61]
	s_or_b32 s3, vcc_lo, s3
	s_delay_alu instid0(SALU_CYCLE_1)
	s_and_not1_b32 exec_lo, exec_lo, s3
	s_cbranch_execnz .LBB24_367
; %bb.368:
	s_or_b32 exec_lo, exec_lo, s3
.LBB24_369:
	s_delay_alu instid0(SALU_CYCLE_1) | instskip(SKIP_4) | instid1(VALU_DEP_1)
	s_or_b32 exec_lo, exec_lo, s2
	v_mov_b32_e32 v57, 0
	ds_load_b64 v[58:59], v57 offset:104
	s_wait_dscnt 0x0
	v_pk_mul_f32 v[60:61], v[54:55], v[58:59] op_sel:[1,1] op_sel_hi:[0,1]
	v_pk_fma_f32 v[62:63], v[54:55], v[58:59], v[60:61] op_sel_hi:[1,0,1]
	v_pk_fma_f32 v[54:55], v[54:55], v[58:59], v[60:61] neg_lo:[0,0,1] neg_hi:[0,0,1]
	s_delay_alu instid0(VALU_DEP_2)
	v_mov_b32_e32 v55, v63
	scratch_store_b64 off, v[54:55], off offset:104
.LBB24_370:
	s_wait_xcnt 0x0
	s_or_b32 exec_lo, exec_lo, s0
	scratch_load_b64 v[54:55], off, off offset:112
	s_mov_b32 s0, exec_lo
	s_wait_loadcnt 0x0
	ds_store_b64 v1, v[54:55]
	s_wait_storecnt_dscnt 0x0
	s_barrier_signal -1
	s_barrier_wait -1
	s_wait_xcnt 0x0
	v_cmpx_gt_u32_e32 14, v0
	s_cbranch_execz .LBB24_380
; %bb.371:
	v_cmp_ne_u32_e32 vcc_lo, 1, v56
	s_cbranch_vccnz .LBB24_373
; %bb.372:
	scratch_load_b64 v[54:55], v47, off
	ds_load_b64 v[58:59], v1
	s_wait_loadcnt_dscnt 0x0
	v_pk_mul_f32 v[60:61], v[58:59], v[54:55] op_sel:[1,1] op_sel_hi:[0,1]
	s_delay_alu instid0(VALU_DEP_1) | instskip(SKIP_1) | instid1(VALU_DEP_2)
	v_pk_fma_f32 v[62:63], v[58:59], v[54:55], v[60:61] op_sel_hi:[1,0,1]
	v_pk_fma_f32 v[54:55], v[58:59], v[54:55], v[60:61] neg_lo:[0,0,1] neg_hi:[0,0,1]
	v_mov_b32_e32 v55, v63
	s_cbranch_execz .LBB24_374
	s_branch .LBB24_375
.LBB24_373:
                                        ; implicit-def: $vgpr54_vgpr55
.LBB24_374:
	ds_load_b64 v[54:55], v1
.LBB24_375:
	s_mov_b32 s2, exec_lo
	v_cmpx_ne_u32_e32 13, v0
	s_cbranch_execz .LBB24_379
; %bb.376:
	v_add_nc_u32_e32 v57, 0xd8, v46
	v_add3_u32 v58, 0, v46, 8
	v_mov_b32_e32 v59, v0
	s_mov_b32 s3, 0
.LBB24_377:                             ; =>This Inner Loop Header: Depth=1
	scratch_load_b64 v[60:61], v58, off
	ds_load_b64 v[62:63], v57
	s_wait_xcnt 0x0
	v_dual_add_nc_u32 v57, 8, v57 :: v_dual_add_nc_u32 v58, 8, v58
	s_wait_loadcnt_dscnt 0x0
	v_pk_mul_f32 v[64:65], v[62:63], v[60:61] op_sel:[1,1] op_sel_hi:[0,1]
	s_delay_alu instid0(VALU_DEP_1) | instskip(SKIP_2) | instid1(VALU_DEP_3)
	v_pk_fma_f32 v[66:67], v[62:63], v[60:61], v[64:65] op_sel_hi:[1,0,1]
	v_add_nc_u32_e32 v59, 1, v59
	v_pk_fma_f32 v[60:61], v[62:63], v[60:61], v[64:65] neg_lo:[0,0,1] neg_hi:[0,0,1]
	v_mov_b32_e32 v61, v67
	s_delay_alu instid0(VALU_DEP_3) | instskip(NEXT) | instid1(VALU_DEP_2)
	v_cmp_lt_u32_e32 vcc_lo, 12, v59
	v_pk_add_f32 v[54:55], v[54:55], v[60:61]
	s_or_b32 s3, vcc_lo, s3
	s_delay_alu instid0(SALU_CYCLE_1)
	s_and_not1_b32 exec_lo, exec_lo, s3
	s_cbranch_execnz .LBB24_377
; %bb.378:
	s_or_b32 exec_lo, exec_lo, s3
.LBB24_379:
	s_delay_alu instid0(SALU_CYCLE_1) | instskip(SKIP_4) | instid1(VALU_DEP_1)
	s_or_b32 exec_lo, exec_lo, s2
	v_mov_b32_e32 v57, 0
	ds_load_b64 v[58:59], v57 offset:112
	s_wait_dscnt 0x0
	v_pk_mul_f32 v[60:61], v[54:55], v[58:59] op_sel:[1,1] op_sel_hi:[0,1]
	v_pk_fma_f32 v[62:63], v[54:55], v[58:59], v[60:61] op_sel_hi:[1,0,1]
	v_pk_fma_f32 v[54:55], v[54:55], v[58:59], v[60:61] neg_lo:[0,0,1] neg_hi:[0,0,1]
	s_delay_alu instid0(VALU_DEP_2)
	v_mov_b32_e32 v55, v63
	scratch_store_b64 off, v[54:55], off offset:112
.LBB24_380:
	s_wait_xcnt 0x0
	s_or_b32 exec_lo, exec_lo, s0
	scratch_load_b64 v[54:55], off, off offset:120
	s_mov_b32 s0, exec_lo
	s_wait_loadcnt 0x0
	ds_store_b64 v1, v[54:55]
	s_wait_storecnt_dscnt 0x0
	s_barrier_signal -1
	s_barrier_wait -1
	s_wait_xcnt 0x0
	v_cmpx_gt_u32_e32 15, v0
	s_cbranch_execz .LBB24_390
; %bb.381:
	v_cmp_ne_u32_e32 vcc_lo, 1, v56
	s_cbranch_vccnz .LBB24_383
; %bb.382:
	scratch_load_b64 v[54:55], v47, off
	ds_load_b64 v[58:59], v1
	s_wait_loadcnt_dscnt 0x0
	v_pk_mul_f32 v[60:61], v[58:59], v[54:55] op_sel:[1,1] op_sel_hi:[0,1]
	s_delay_alu instid0(VALU_DEP_1) | instskip(SKIP_1) | instid1(VALU_DEP_2)
	v_pk_fma_f32 v[62:63], v[58:59], v[54:55], v[60:61] op_sel_hi:[1,0,1]
	v_pk_fma_f32 v[54:55], v[58:59], v[54:55], v[60:61] neg_lo:[0,0,1] neg_hi:[0,0,1]
	v_mov_b32_e32 v55, v63
	s_cbranch_execz .LBB24_384
	s_branch .LBB24_385
.LBB24_383:
                                        ; implicit-def: $vgpr54_vgpr55
.LBB24_384:
	ds_load_b64 v[54:55], v1
.LBB24_385:
	s_mov_b32 s2, exec_lo
	v_cmpx_ne_u32_e32 14, v0
	s_cbranch_execz .LBB24_389
; %bb.386:
	v_add_nc_u32_e32 v57, 0xd8, v46
	v_add3_u32 v58, 0, v46, 8
	v_mov_b32_e32 v59, v0
	s_mov_b32 s3, 0
.LBB24_387:                             ; =>This Inner Loop Header: Depth=1
	scratch_load_b64 v[60:61], v58, off
	ds_load_b64 v[62:63], v57
	s_wait_xcnt 0x0
	v_dual_add_nc_u32 v57, 8, v57 :: v_dual_add_nc_u32 v58, 8, v58
	s_wait_loadcnt_dscnt 0x0
	v_pk_mul_f32 v[64:65], v[62:63], v[60:61] op_sel:[1,1] op_sel_hi:[0,1]
	s_delay_alu instid0(VALU_DEP_1) | instskip(SKIP_2) | instid1(VALU_DEP_3)
	v_pk_fma_f32 v[66:67], v[62:63], v[60:61], v[64:65] op_sel_hi:[1,0,1]
	v_add_nc_u32_e32 v59, 1, v59
	v_pk_fma_f32 v[60:61], v[62:63], v[60:61], v[64:65] neg_lo:[0,0,1] neg_hi:[0,0,1]
	v_mov_b32_e32 v61, v67
	s_delay_alu instid0(VALU_DEP_3) | instskip(NEXT) | instid1(VALU_DEP_2)
	v_cmp_lt_u32_e32 vcc_lo, 13, v59
	v_pk_add_f32 v[54:55], v[54:55], v[60:61]
	s_or_b32 s3, vcc_lo, s3
	s_delay_alu instid0(SALU_CYCLE_1)
	s_and_not1_b32 exec_lo, exec_lo, s3
	s_cbranch_execnz .LBB24_387
; %bb.388:
	s_or_b32 exec_lo, exec_lo, s3
.LBB24_389:
	s_delay_alu instid0(SALU_CYCLE_1) | instskip(SKIP_4) | instid1(VALU_DEP_1)
	s_or_b32 exec_lo, exec_lo, s2
	v_mov_b32_e32 v57, 0
	ds_load_b64 v[58:59], v57 offset:120
	s_wait_dscnt 0x0
	v_pk_mul_f32 v[60:61], v[54:55], v[58:59] op_sel:[1,1] op_sel_hi:[0,1]
	v_pk_fma_f32 v[62:63], v[54:55], v[58:59], v[60:61] op_sel_hi:[1,0,1]
	v_pk_fma_f32 v[54:55], v[54:55], v[58:59], v[60:61] neg_lo:[0,0,1] neg_hi:[0,0,1]
	s_delay_alu instid0(VALU_DEP_2)
	v_mov_b32_e32 v55, v63
	scratch_store_b64 off, v[54:55], off offset:120
.LBB24_390:
	s_wait_xcnt 0x0
	s_or_b32 exec_lo, exec_lo, s0
	scratch_load_b64 v[54:55], off, off offset:128
	s_mov_b32 s0, exec_lo
	s_wait_loadcnt 0x0
	ds_store_b64 v1, v[54:55]
	s_wait_storecnt_dscnt 0x0
	s_barrier_signal -1
	s_barrier_wait -1
	s_wait_xcnt 0x0
	v_cmpx_gt_u32_e32 16, v0
	s_cbranch_execz .LBB24_400
; %bb.391:
	v_cmp_ne_u32_e32 vcc_lo, 1, v56
	s_cbranch_vccnz .LBB24_393
; %bb.392:
	scratch_load_b64 v[54:55], v47, off
	ds_load_b64 v[58:59], v1
	s_wait_loadcnt_dscnt 0x0
	v_pk_mul_f32 v[60:61], v[58:59], v[54:55] op_sel:[1,1] op_sel_hi:[0,1]
	s_delay_alu instid0(VALU_DEP_1) | instskip(SKIP_1) | instid1(VALU_DEP_2)
	v_pk_fma_f32 v[62:63], v[58:59], v[54:55], v[60:61] op_sel_hi:[1,0,1]
	v_pk_fma_f32 v[54:55], v[58:59], v[54:55], v[60:61] neg_lo:[0,0,1] neg_hi:[0,0,1]
	v_mov_b32_e32 v55, v63
	s_cbranch_execz .LBB24_394
	s_branch .LBB24_395
.LBB24_393:
                                        ; implicit-def: $vgpr54_vgpr55
.LBB24_394:
	ds_load_b64 v[54:55], v1
.LBB24_395:
	s_mov_b32 s2, exec_lo
	v_cmpx_ne_u32_e32 15, v0
	s_cbranch_execz .LBB24_399
; %bb.396:
	v_add_nc_u32_e32 v57, 0xd8, v46
	v_add3_u32 v58, 0, v46, 8
	v_mov_b32_e32 v59, v0
	s_mov_b32 s3, 0
.LBB24_397:                             ; =>This Inner Loop Header: Depth=1
	scratch_load_b64 v[60:61], v58, off
	ds_load_b64 v[62:63], v57
	s_wait_xcnt 0x0
	v_dual_add_nc_u32 v57, 8, v57 :: v_dual_add_nc_u32 v58, 8, v58
	s_wait_loadcnt_dscnt 0x0
	v_pk_mul_f32 v[64:65], v[62:63], v[60:61] op_sel:[1,1] op_sel_hi:[0,1]
	s_delay_alu instid0(VALU_DEP_1) | instskip(SKIP_2) | instid1(VALU_DEP_3)
	v_pk_fma_f32 v[66:67], v[62:63], v[60:61], v[64:65] op_sel_hi:[1,0,1]
	v_add_nc_u32_e32 v59, 1, v59
	v_pk_fma_f32 v[60:61], v[62:63], v[60:61], v[64:65] neg_lo:[0,0,1] neg_hi:[0,0,1]
	v_mov_b32_e32 v61, v67
	s_delay_alu instid0(VALU_DEP_3) | instskip(NEXT) | instid1(VALU_DEP_2)
	v_cmp_lt_u32_e32 vcc_lo, 14, v59
	v_pk_add_f32 v[54:55], v[54:55], v[60:61]
	s_or_b32 s3, vcc_lo, s3
	s_delay_alu instid0(SALU_CYCLE_1)
	s_and_not1_b32 exec_lo, exec_lo, s3
	s_cbranch_execnz .LBB24_397
; %bb.398:
	s_or_b32 exec_lo, exec_lo, s3
.LBB24_399:
	s_delay_alu instid0(SALU_CYCLE_1) | instskip(SKIP_4) | instid1(VALU_DEP_1)
	s_or_b32 exec_lo, exec_lo, s2
	v_mov_b32_e32 v57, 0
	ds_load_b64 v[58:59], v57 offset:128
	s_wait_dscnt 0x0
	v_pk_mul_f32 v[60:61], v[54:55], v[58:59] op_sel:[1,1] op_sel_hi:[0,1]
	v_pk_fma_f32 v[62:63], v[54:55], v[58:59], v[60:61] op_sel_hi:[1,0,1]
	v_pk_fma_f32 v[54:55], v[54:55], v[58:59], v[60:61] neg_lo:[0,0,1] neg_hi:[0,0,1]
	s_delay_alu instid0(VALU_DEP_2)
	v_mov_b32_e32 v55, v63
	scratch_store_b64 off, v[54:55], off offset:128
.LBB24_400:
	s_wait_xcnt 0x0
	s_or_b32 exec_lo, exec_lo, s0
	scratch_load_b64 v[54:55], off, off offset:136
	s_mov_b32 s0, exec_lo
	s_wait_loadcnt 0x0
	ds_store_b64 v1, v[54:55]
	s_wait_storecnt_dscnt 0x0
	s_barrier_signal -1
	s_barrier_wait -1
	s_wait_xcnt 0x0
	v_cmpx_gt_u32_e32 17, v0
	s_cbranch_execz .LBB24_410
; %bb.401:
	v_cmp_ne_u32_e32 vcc_lo, 1, v56
	s_cbranch_vccnz .LBB24_403
; %bb.402:
	scratch_load_b64 v[54:55], v47, off
	ds_load_b64 v[58:59], v1
	s_wait_loadcnt_dscnt 0x0
	v_pk_mul_f32 v[60:61], v[58:59], v[54:55] op_sel:[1,1] op_sel_hi:[0,1]
	s_delay_alu instid0(VALU_DEP_1) | instskip(SKIP_1) | instid1(VALU_DEP_2)
	v_pk_fma_f32 v[62:63], v[58:59], v[54:55], v[60:61] op_sel_hi:[1,0,1]
	v_pk_fma_f32 v[54:55], v[58:59], v[54:55], v[60:61] neg_lo:[0,0,1] neg_hi:[0,0,1]
	v_mov_b32_e32 v55, v63
	s_cbranch_execz .LBB24_404
	s_branch .LBB24_405
.LBB24_403:
                                        ; implicit-def: $vgpr54_vgpr55
.LBB24_404:
	ds_load_b64 v[54:55], v1
.LBB24_405:
	s_mov_b32 s2, exec_lo
	v_cmpx_ne_u32_e32 16, v0
	s_cbranch_execz .LBB24_409
; %bb.406:
	v_add_nc_u32_e32 v57, 0xd8, v46
	v_add3_u32 v58, 0, v46, 8
	v_mov_b32_e32 v59, v0
	s_mov_b32 s3, 0
.LBB24_407:                             ; =>This Inner Loop Header: Depth=1
	scratch_load_b64 v[60:61], v58, off
	ds_load_b64 v[62:63], v57
	s_wait_xcnt 0x0
	v_dual_add_nc_u32 v57, 8, v57 :: v_dual_add_nc_u32 v58, 8, v58
	s_wait_loadcnt_dscnt 0x0
	v_pk_mul_f32 v[64:65], v[62:63], v[60:61] op_sel:[1,1] op_sel_hi:[0,1]
	s_delay_alu instid0(VALU_DEP_1) | instskip(SKIP_2) | instid1(VALU_DEP_3)
	v_pk_fma_f32 v[66:67], v[62:63], v[60:61], v[64:65] op_sel_hi:[1,0,1]
	v_add_nc_u32_e32 v59, 1, v59
	v_pk_fma_f32 v[60:61], v[62:63], v[60:61], v[64:65] neg_lo:[0,0,1] neg_hi:[0,0,1]
	v_mov_b32_e32 v61, v67
	s_delay_alu instid0(VALU_DEP_3) | instskip(NEXT) | instid1(VALU_DEP_2)
	v_cmp_lt_u32_e32 vcc_lo, 15, v59
	v_pk_add_f32 v[54:55], v[54:55], v[60:61]
	s_or_b32 s3, vcc_lo, s3
	s_delay_alu instid0(SALU_CYCLE_1)
	s_and_not1_b32 exec_lo, exec_lo, s3
	s_cbranch_execnz .LBB24_407
; %bb.408:
	s_or_b32 exec_lo, exec_lo, s3
.LBB24_409:
	s_delay_alu instid0(SALU_CYCLE_1) | instskip(SKIP_4) | instid1(VALU_DEP_1)
	s_or_b32 exec_lo, exec_lo, s2
	v_mov_b32_e32 v57, 0
	ds_load_b64 v[58:59], v57 offset:136
	s_wait_dscnt 0x0
	v_pk_mul_f32 v[60:61], v[54:55], v[58:59] op_sel:[1,1] op_sel_hi:[0,1]
	v_pk_fma_f32 v[62:63], v[54:55], v[58:59], v[60:61] op_sel_hi:[1,0,1]
	v_pk_fma_f32 v[54:55], v[54:55], v[58:59], v[60:61] neg_lo:[0,0,1] neg_hi:[0,0,1]
	s_delay_alu instid0(VALU_DEP_2)
	v_mov_b32_e32 v55, v63
	scratch_store_b64 off, v[54:55], off offset:136
.LBB24_410:
	s_wait_xcnt 0x0
	s_or_b32 exec_lo, exec_lo, s0
	scratch_load_b64 v[54:55], off, off offset:144
	s_mov_b32 s0, exec_lo
	s_wait_loadcnt 0x0
	ds_store_b64 v1, v[54:55]
	s_wait_storecnt_dscnt 0x0
	s_barrier_signal -1
	s_barrier_wait -1
	s_wait_xcnt 0x0
	v_cmpx_gt_u32_e32 18, v0
	s_cbranch_execz .LBB24_420
; %bb.411:
	v_cmp_ne_u32_e32 vcc_lo, 1, v56
	s_cbranch_vccnz .LBB24_413
; %bb.412:
	scratch_load_b64 v[54:55], v47, off
	ds_load_b64 v[58:59], v1
	s_wait_loadcnt_dscnt 0x0
	v_pk_mul_f32 v[60:61], v[58:59], v[54:55] op_sel:[1,1] op_sel_hi:[0,1]
	s_delay_alu instid0(VALU_DEP_1) | instskip(SKIP_1) | instid1(VALU_DEP_2)
	v_pk_fma_f32 v[62:63], v[58:59], v[54:55], v[60:61] op_sel_hi:[1,0,1]
	v_pk_fma_f32 v[54:55], v[58:59], v[54:55], v[60:61] neg_lo:[0,0,1] neg_hi:[0,0,1]
	v_mov_b32_e32 v55, v63
	s_cbranch_execz .LBB24_414
	s_branch .LBB24_415
.LBB24_413:
                                        ; implicit-def: $vgpr54_vgpr55
.LBB24_414:
	ds_load_b64 v[54:55], v1
.LBB24_415:
	s_mov_b32 s2, exec_lo
	v_cmpx_ne_u32_e32 17, v0
	s_cbranch_execz .LBB24_419
; %bb.416:
	v_add_nc_u32_e32 v57, 0xd8, v46
	v_add3_u32 v58, 0, v46, 8
	v_mov_b32_e32 v59, v0
	s_mov_b32 s3, 0
.LBB24_417:                             ; =>This Inner Loop Header: Depth=1
	scratch_load_b64 v[60:61], v58, off
	ds_load_b64 v[62:63], v57
	s_wait_xcnt 0x0
	v_dual_add_nc_u32 v57, 8, v57 :: v_dual_add_nc_u32 v58, 8, v58
	s_wait_loadcnt_dscnt 0x0
	v_pk_mul_f32 v[64:65], v[62:63], v[60:61] op_sel:[1,1] op_sel_hi:[0,1]
	s_delay_alu instid0(VALU_DEP_1) | instskip(SKIP_2) | instid1(VALU_DEP_3)
	v_pk_fma_f32 v[66:67], v[62:63], v[60:61], v[64:65] op_sel_hi:[1,0,1]
	v_add_nc_u32_e32 v59, 1, v59
	v_pk_fma_f32 v[60:61], v[62:63], v[60:61], v[64:65] neg_lo:[0,0,1] neg_hi:[0,0,1]
	v_mov_b32_e32 v61, v67
	s_delay_alu instid0(VALU_DEP_3) | instskip(NEXT) | instid1(VALU_DEP_2)
	v_cmp_lt_u32_e32 vcc_lo, 16, v59
	v_pk_add_f32 v[54:55], v[54:55], v[60:61]
	s_or_b32 s3, vcc_lo, s3
	s_delay_alu instid0(SALU_CYCLE_1)
	s_and_not1_b32 exec_lo, exec_lo, s3
	s_cbranch_execnz .LBB24_417
; %bb.418:
	s_or_b32 exec_lo, exec_lo, s3
.LBB24_419:
	s_delay_alu instid0(SALU_CYCLE_1) | instskip(SKIP_4) | instid1(VALU_DEP_1)
	s_or_b32 exec_lo, exec_lo, s2
	v_mov_b32_e32 v57, 0
	ds_load_b64 v[58:59], v57 offset:144
	s_wait_dscnt 0x0
	v_pk_mul_f32 v[60:61], v[54:55], v[58:59] op_sel:[1,1] op_sel_hi:[0,1]
	v_pk_fma_f32 v[62:63], v[54:55], v[58:59], v[60:61] op_sel_hi:[1,0,1]
	v_pk_fma_f32 v[54:55], v[54:55], v[58:59], v[60:61] neg_lo:[0,0,1] neg_hi:[0,0,1]
	s_delay_alu instid0(VALU_DEP_2)
	v_mov_b32_e32 v55, v63
	scratch_store_b64 off, v[54:55], off offset:144
.LBB24_420:
	s_wait_xcnt 0x0
	s_or_b32 exec_lo, exec_lo, s0
	scratch_load_b64 v[54:55], off, off offset:152
	s_mov_b32 s0, exec_lo
	s_wait_loadcnt 0x0
	ds_store_b64 v1, v[54:55]
	s_wait_storecnt_dscnt 0x0
	s_barrier_signal -1
	s_barrier_wait -1
	s_wait_xcnt 0x0
	v_cmpx_gt_u32_e32 19, v0
	s_cbranch_execz .LBB24_430
; %bb.421:
	v_cmp_ne_u32_e32 vcc_lo, 1, v56
	s_cbranch_vccnz .LBB24_423
; %bb.422:
	scratch_load_b64 v[54:55], v47, off
	ds_load_b64 v[58:59], v1
	s_wait_loadcnt_dscnt 0x0
	v_pk_mul_f32 v[60:61], v[58:59], v[54:55] op_sel:[1,1] op_sel_hi:[0,1]
	s_delay_alu instid0(VALU_DEP_1) | instskip(SKIP_1) | instid1(VALU_DEP_2)
	v_pk_fma_f32 v[62:63], v[58:59], v[54:55], v[60:61] op_sel_hi:[1,0,1]
	v_pk_fma_f32 v[54:55], v[58:59], v[54:55], v[60:61] neg_lo:[0,0,1] neg_hi:[0,0,1]
	v_mov_b32_e32 v55, v63
	s_cbranch_execz .LBB24_424
	s_branch .LBB24_425
.LBB24_423:
                                        ; implicit-def: $vgpr54_vgpr55
.LBB24_424:
	ds_load_b64 v[54:55], v1
.LBB24_425:
	s_mov_b32 s2, exec_lo
	v_cmpx_ne_u32_e32 18, v0
	s_cbranch_execz .LBB24_429
; %bb.426:
	v_add_nc_u32_e32 v57, 0xd8, v46
	v_add3_u32 v58, 0, v46, 8
	v_mov_b32_e32 v59, v0
	s_mov_b32 s3, 0
.LBB24_427:                             ; =>This Inner Loop Header: Depth=1
	scratch_load_b64 v[60:61], v58, off
	ds_load_b64 v[62:63], v57
	s_wait_xcnt 0x0
	v_dual_add_nc_u32 v57, 8, v57 :: v_dual_add_nc_u32 v58, 8, v58
	s_wait_loadcnt_dscnt 0x0
	v_pk_mul_f32 v[64:65], v[62:63], v[60:61] op_sel:[1,1] op_sel_hi:[0,1]
	s_delay_alu instid0(VALU_DEP_1) | instskip(SKIP_2) | instid1(VALU_DEP_3)
	v_pk_fma_f32 v[66:67], v[62:63], v[60:61], v[64:65] op_sel_hi:[1,0,1]
	v_add_nc_u32_e32 v59, 1, v59
	v_pk_fma_f32 v[60:61], v[62:63], v[60:61], v[64:65] neg_lo:[0,0,1] neg_hi:[0,0,1]
	v_mov_b32_e32 v61, v67
	s_delay_alu instid0(VALU_DEP_3) | instskip(NEXT) | instid1(VALU_DEP_2)
	v_cmp_lt_u32_e32 vcc_lo, 17, v59
	v_pk_add_f32 v[54:55], v[54:55], v[60:61]
	s_or_b32 s3, vcc_lo, s3
	s_delay_alu instid0(SALU_CYCLE_1)
	s_and_not1_b32 exec_lo, exec_lo, s3
	s_cbranch_execnz .LBB24_427
; %bb.428:
	s_or_b32 exec_lo, exec_lo, s3
.LBB24_429:
	s_delay_alu instid0(SALU_CYCLE_1) | instskip(SKIP_4) | instid1(VALU_DEP_1)
	s_or_b32 exec_lo, exec_lo, s2
	v_mov_b32_e32 v57, 0
	ds_load_b64 v[58:59], v57 offset:152
	s_wait_dscnt 0x0
	v_pk_mul_f32 v[60:61], v[54:55], v[58:59] op_sel:[1,1] op_sel_hi:[0,1]
	v_pk_fma_f32 v[62:63], v[54:55], v[58:59], v[60:61] op_sel_hi:[1,0,1]
	v_pk_fma_f32 v[54:55], v[54:55], v[58:59], v[60:61] neg_lo:[0,0,1] neg_hi:[0,0,1]
	s_delay_alu instid0(VALU_DEP_2)
	v_mov_b32_e32 v55, v63
	scratch_store_b64 off, v[54:55], off offset:152
.LBB24_430:
	s_wait_xcnt 0x0
	s_or_b32 exec_lo, exec_lo, s0
	scratch_load_b64 v[54:55], off, off offset:160
	s_mov_b32 s0, exec_lo
	s_wait_loadcnt 0x0
	ds_store_b64 v1, v[54:55]
	s_wait_storecnt_dscnt 0x0
	s_barrier_signal -1
	s_barrier_wait -1
	s_wait_xcnt 0x0
	v_cmpx_gt_u32_e32 20, v0
	s_cbranch_execz .LBB24_440
; %bb.431:
	v_cmp_ne_u32_e32 vcc_lo, 1, v56
	s_cbranch_vccnz .LBB24_433
; %bb.432:
	scratch_load_b64 v[54:55], v47, off
	ds_load_b64 v[58:59], v1
	s_wait_loadcnt_dscnt 0x0
	v_pk_mul_f32 v[60:61], v[58:59], v[54:55] op_sel:[1,1] op_sel_hi:[0,1]
	s_delay_alu instid0(VALU_DEP_1) | instskip(SKIP_1) | instid1(VALU_DEP_2)
	v_pk_fma_f32 v[62:63], v[58:59], v[54:55], v[60:61] op_sel_hi:[1,0,1]
	v_pk_fma_f32 v[54:55], v[58:59], v[54:55], v[60:61] neg_lo:[0,0,1] neg_hi:[0,0,1]
	v_mov_b32_e32 v55, v63
	s_cbranch_execz .LBB24_434
	s_branch .LBB24_435
.LBB24_433:
                                        ; implicit-def: $vgpr54_vgpr55
.LBB24_434:
	ds_load_b64 v[54:55], v1
.LBB24_435:
	s_mov_b32 s2, exec_lo
	v_cmpx_ne_u32_e32 19, v0
	s_cbranch_execz .LBB24_439
; %bb.436:
	v_add_nc_u32_e32 v57, 0xd8, v46
	v_add3_u32 v58, 0, v46, 8
	v_mov_b32_e32 v59, v0
	s_mov_b32 s3, 0
.LBB24_437:                             ; =>This Inner Loop Header: Depth=1
	scratch_load_b64 v[60:61], v58, off
	ds_load_b64 v[62:63], v57
	s_wait_xcnt 0x0
	v_dual_add_nc_u32 v57, 8, v57 :: v_dual_add_nc_u32 v58, 8, v58
	s_wait_loadcnt_dscnt 0x0
	v_pk_mul_f32 v[64:65], v[62:63], v[60:61] op_sel:[1,1] op_sel_hi:[0,1]
	s_delay_alu instid0(VALU_DEP_1) | instskip(SKIP_2) | instid1(VALU_DEP_3)
	v_pk_fma_f32 v[66:67], v[62:63], v[60:61], v[64:65] op_sel_hi:[1,0,1]
	v_add_nc_u32_e32 v59, 1, v59
	v_pk_fma_f32 v[60:61], v[62:63], v[60:61], v[64:65] neg_lo:[0,0,1] neg_hi:[0,0,1]
	v_mov_b32_e32 v61, v67
	s_delay_alu instid0(VALU_DEP_3) | instskip(NEXT) | instid1(VALU_DEP_2)
	v_cmp_lt_u32_e32 vcc_lo, 18, v59
	v_pk_add_f32 v[54:55], v[54:55], v[60:61]
	s_or_b32 s3, vcc_lo, s3
	s_delay_alu instid0(SALU_CYCLE_1)
	s_and_not1_b32 exec_lo, exec_lo, s3
	s_cbranch_execnz .LBB24_437
; %bb.438:
	s_or_b32 exec_lo, exec_lo, s3
.LBB24_439:
	s_delay_alu instid0(SALU_CYCLE_1) | instskip(SKIP_4) | instid1(VALU_DEP_1)
	s_or_b32 exec_lo, exec_lo, s2
	v_mov_b32_e32 v57, 0
	ds_load_b64 v[58:59], v57 offset:160
	s_wait_dscnt 0x0
	v_pk_mul_f32 v[60:61], v[54:55], v[58:59] op_sel:[1,1] op_sel_hi:[0,1]
	v_pk_fma_f32 v[62:63], v[54:55], v[58:59], v[60:61] op_sel_hi:[1,0,1]
	v_pk_fma_f32 v[54:55], v[54:55], v[58:59], v[60:61] neg_lo:[0,0,1] neg_hi:[0,0,1]
	s_delay_alu instid0(VALU_DEP_2)
	v_mov_b32_e32 v55, v63
	scratch_store_b64 off, v[54:55], off offset:160
.LBB24_440:
	s_wait_xcnt 0x0
	s_or_b32 exec_lo, exec_lo, s0
	scratch_load_b64 v[54:55], off, off offset:168
	s_mov_b32 s0, exec_lo
	s_wait_loadcnt 0x0
	ds_store_b64 v1, v[54:55]
	s_wait_storecnt_dscnt 0x0
	s_barrier_signal -1
	s_barrier_wait -1
	s_wait_xcnt 0x0
	v_cmpx_gt_u32_e32 21, v0
	s_cbranch_execz .LBB24_450
; %bb.441:
	v_cmp_ne_u32_e32 vcc_lo, 1, v56
	s_cbranch_vccnz .LBB24_443
; %bb.442:
	scratch_load_b64 v[54:55], v47, off
	ds_load_b64 v[58:59], v1
	s_wait_loadcnt_dscnt 0x0
	v_pk_mul_f32 v[60:61], v[58:59], v[54:55] op_sel:[1,1] op_sel_hi:[0,1]
	s_delay_alu instid0(VALU_DEP_1) | instskip(SKIP_1) | instid1(VALU_DEP_2)
	v_pk_fma_f32 v[62:63], v[58:59], v[54:55], v[60:61] op_sel_hi:[1,0,1]
	v_pk_fma_f32 v[54:55], v[58:59], v[54:55], v[60:61] neg_lo:[0,0,1] neg_hi:[0,0,1]
	v_mov_b32_e32 v55, v63
	s_cbranch_execz .LBB24_444
	s_branch .LBB24_445
.LBB24_443:
                                        ; implicit-def: $vgpr54_vgpr55
.LBB24_444:
	ds_load_b64 v[54:55], v1
.LBB24_445:
	s_mov_b32 s2, exec_lo
	v_cmpx_ne_u32_e32 20, v0
	s_cbranch_execz .LBB24_449
; %bb.446:
	v_add_nc_u32_e32 v57, 0xd8, v46
	v_add3_u32 v58, 0, v46, 8
	v_mov_b32_e32 v59, v0
	s_mov_b32 s3, 0
.LBB24_447:                             ; =>This Inner Loop Header: Depth=1
	scratch_load_b64 v[60:61], v58, off
	ds_load_b64 v[62:63], v57
	s_wait_xcnt 0x0
	v_dual_add_nc_u32 v57, 8, v57 :: v_dual_add_nc_u32 v58, 8, v58
	s_wait_loadcnt_dscnt 0x0
	v_pk_mul_f32 v[64:65], v[62:63], v[60:61] op_sel:[1,1] op_sel_hi:[0,1]
	s_delay_alu instid0(VALU_DEP_1) | instskip(SKIP_2) | instid1(VALU_DEP_3)
	v_pk_fma_f32 v[66:67], v[62:63], v[60:61], v[64:65] op_sel_hi:[1,0,1]
	v_add_nc_u32_e32 v59, 1, v59
	v_pk_fma_f32 v[60:61], v[62:63], v[60:61], v[64:65] neg_lo:[0,0,1] neg_hi:[0,0,1]
	v_mov_b32_e32 v61, v67
	s_delay_alu instid0(VALU_DEP_3) | instskip(NEXT) | instid1(VALU_DEP_2)
	v_cmp_lt_u32_e32 vcc_lo, 19, v59
	v_pk_add_f32 v[54:55], v[54:55], v[60:61]
	s_or_b32 s3, vcc_lo, s3
	s_delay_alu instid0(SALU_CYCLE_1)
	s_and_not1_b32 exec_lo, exec_lo, s3
	s_cbranch_execnz .LBB24_447
; %bb.448:
	s_or_b32 exec_lo, exec_lo, s3
.LBB24_449:
	s_delay_alu instid0(SALU_CYCLE_1) | instskip(SKIP_4) | instid1(VALU_DEP_1)
	s_or_b32 exec_lo, exec_lo, s2
	v_mov_b32_e32 v57, 0
	ds_load_b64 v[58:59], v57 offset:168
	s_wait_dscnt 0x0
	v_pk_mul_f32 v[60:61], v[54:55], v[58:59] op_sel:[1,1] op_sel_hi:[0,1]
	v_pk_fma_f32 v[62:63], v[54:55], v[58:59], v[60:61] op_sel_hi:[1,0,1]
	v_pk_fma_f32 v[54:55], v[54:55], v[58:59], v[60:61] neg_lo:[0,0,1] neg_hi:[0,0,1]
	s_delay_alu instid0(VALU_DEP_2)
	v_mov_b32_e32 v55, v63
	scratch_store_b64 off, v[54:55], off offset:168
.LBB24_450:
	s_wait_xcnt 0x0
	s_or_b32 exec_lo, exec_lo, s0
	scratch_load_b64 v[54:55], off, off offset:176
	s_mov_b32 s0, exec_lo
	s_wait_loadcnt 0x0
	ds_store_b64 v1, v[54:55]
	s_wait_storecnt_dscnt 0x0
	s_barrier_signal -1
	s_barrier_wait -1
	s_wait_xcnt 0x0
	v_cmpx_gt_u32_e32 22, v0
	s_cbranch_execz .LBB24_460
; %bb.451:
	v_cmp_ne_u32_e32 vcc_lo, 1, v56
	s_cbranch_vccnz .LBB24_453
; %bb.452:
	scratch_load_b64 v[54:55], v47, off
	ds_load_b64 v[58:59], v1
	s_wait_loadcnt_dscnt 0x0
	v_pk_mul_f32 v[60:61], v[58:59], v[54:55] op_sel:[1,1] op_sel_hi:[0,1]
	s_delay_alu instid0(VALU_DEP_1) | instskip(SKIP_1) | instid1(VALU_DEP_2)
	v_pk_fma_f32 v[62:63], v[58:59], v[54:55], v[60:61] op_sel_hi:[1,0,1]
	v_pk_fma_f32 v[54:55], v[58:59], v[54:55], v[60:61] neg_lo:[0,0,1] neg_hi:[0,0,1]
	v_mov_b32_e32 v55, v63
	s_cbranch_execz .LBB24_454
	s_branch .LBB24_455
.LBB24_453:
                                        ; implicit-def: $vgpr54_vgpr55
.LBB24_454:
	ds_load_b64 v[54:55], v1
.LBB24_455:
	s_mov_b32 s2, exec_lo
	v_cmpx_ne_u32_e32 21, v0
	s_cbranch_execz .LBB24_459
; %bb.456:
	v_add_nc_u32_e32 v57, 0xd8, v46
	v_add3_u32 v58, 0, v46, 8
	v_mov_b32_e32 v59, v0
	s_mov_b32 s3, 0
.LBB24_457:                             ; =>This Inner Loop Header: Depth=1
	scratch_load_b64 v[60:61], v58, off
	ds_load_b64 v[62:63], v57
	s_wait_xcnt 0x0
	v_dual_add_nc_u32 v57, 8, v57 :: v_dual_add_nc_u32 v58, 8, v58
	s_wait_loadcnt_dscnt 0x0
	v_pk_mul_f32 v[64:65], v[62:63], v[60:61] op_sel:[1,1] op_sel_hi:[0,1]
	s_delay_alu instid0(VALU_DEP_1) | instskip(SKIP_2) | instid1(VALU_DEP_3)
	v_pk_fma_f32 v[66:67], v[62:63], v[60:61], v[64:65] op_sel_hi:[1,0,1]
	v_add_nc_u32_e32 v59, 1, v59
	v_pk_fma_f32 v[60:61], v[62:63], v[60:61], v[64:65] neg_lo:[0,0,1] neg_hi:[0,0,1]
	v_mov_b32_e32 v61, v67
	s_delay_alu instid0(VALU_DEP_3) | instskip(NEXT) | instid1(VALU_DEP_2)
	v_cmp_lt_u32_e32 vcc_lo, 20, v59
	v_pk_add_f32 v[54:55], v[54:55], v[60:61]
	s_or_b32 s3, vcc_lo, s3
	s_delay_alu instid0(SALU_CYCLE_1)
	s_and_not1_b32 exec_lo, exec_lo, s3
	s_cbranch_execnz .LBB24_457
; %bb.458:
	s_or_b32 exec_lo, exec_lo, s3
.LBB24_459:
	s_delay_alu instid0(SALU_CYCLE_1) | instskip(SKIP_4) | instid1(VALU_DEP_1)
	s_or_b32 exec_lo, exec_lo, s2
	v_mov_b32_e32 v57, 0
	ds_load_b64 v[58:59], v57 offset:176
	s_wait_dscnt 0x0
	v_pk_mul_f32 v[60:61], v[54:55], v[58:59] op_sel:[1,1] op_sel_hi:[0,1]
	v_pk_fma_f32 v[62:63], v[54:55], v[58:59], v[60:61] op_sel_hi:[1,0,1]
	v_pk_fma_f32 v[54:55], v[54:55], v[58:59], v[60:61] neg_lo:[0,0,1] neg_hi:[0,0,1]
	s_delay_alu instid0(VALU_DEP_2)
	v_mov_b32_e32 v55, v63
	scratch_store_b64 off, v[54:55], off offset:176
.LBB24_460:
	s_wait_xcnt 0x0
	s_or_b32 exec_lo, exec_lo, s0
	scratch_load_b64 v[54:55], off, off offset:184
	v_cmp_gt_u32_e64 s0, 23, v0
	s_wait_loadcnt 0x0
	ds_store_b64 v1, v[54:55]
	s_wait_storecnt_dscnt 0x0
	s_barrier_signal -1
	s_barrier_wait -1
	s_wait_xcnt 0x0
	s_and_saveexec_b32 s2, s0
	s_cbranch_execz .LBB24_470
; %bb.461:
	v_cmp_ne_u32_e32 vcc_lo, 1, v56
	s_cbranch_vccnz .LBB24_463
; %bb.462:
	scratch_load_b64 v[54:55], v47, off
	ds_load_b64 v[58:59], v1
	s_wait_loadcnt_dscnt 0x0
	v_pk_mul_f32 v[60:61], v[58:59], v[54:55] op_sel:[1,1] op_sel_hi:[0,1]
	s_delay_alu instid0(VALU_DEP_1) | instskip(SKIP_1) | instid1(VALU_DEP_2)
	v_pk_fma_f32 v[62:63], v[58:59], v[54:55], v[60:61] op_sel_hi:[1,0,1]
	v_pk_fma_f32 v[54:55], v[58:59], v[54:55], v[60:61] neg_lo:[0,0,1] neg_hi:[0,0,1]
	v_mov_b32_e32 v55, v63
	s_cbranch_execz .LBB24_464
	s_branch .LBB24_465
.LBB24_463:
                                        ; implicit-def: $vgpr54_vgpr55
.LBB24_464:
	ds_load_b64 v[54:55], v1
.LBB24_465:
	s_mov_b32 s3, exec_lo
	v_cmpx_ne_u32_e32 22, v0
	s_cbranch_execz .LBB24_469
; %bb.466:
	v_add_nc_u32_e32 v57, 0xd8, v46
	v_add3_u32 v58, 0, v46, 8
	v_mov_b32_e32 v59, v0
	s_mov_b32 s4, 0
.LBB24_467:                             ; =>This Inner Loop Header: Depth=1
	scratch_load_b64 v[60:61], v58, off
	ds_load_b64 v[62:63], v57
	s_wait_xcnt 0x0
	v_dual_add_nc_u32 v57, 8, v57 :: v_dual_add_nc_u32 v58, 8, v58
	s_wait_loadcnt_dscnt 0x0
	v_pk_mul_f32 v[64:65], v[62:63], v[60:61] op_sel:[1,1] op_sel_hi:[0,1]
	s_delay_alu instid0(VALU_DEP_1) | instskip(SKIP_2) | instid1(VALU_DEP_3)
	v_pk_fma_f32 v[66:67], v[62:63], v[60:61], v[64:65] op_sel_hi:[1,0,1]
	v_add_nc_u32_e32 v59, 1, v59
	v_pk_fma_f32 v[60:61], v[62:63], v[60:61], v[64:65] neg_lo:[0,0,1] neg_hi:[0,0,1]
	v_mov_b32_e32 v61, v67
	s_delay_alu instid0(VALU_DEP_3) | instskip(NEXT) | instid1(VALU_DEP_2)
	v_cmp_lt_u32_e32 vcc_lo, 21, v59
	v_pk_add_f32 v[54:55], v[54:55], v[60:61]
	s_or_b32 s4, vcc_lo, s4
	s_delay_alu instid0(SALU_CYCLE_1)
	s_and_not1_b32 exec_lo, exec_lo, s4
	s_cbranch_execnz .LBB24_467
; %bb.468:
	s_or_b32 exec_lo, exec_lo, s4
.LBB24_469:
	s_delay_alu instid0(SALU_CYCLE_1) | instskip(SKIP_4) | instid1(VALU_DEP_1)
	s_or_b32 exec_lo, exec_lo, s3
	v_mov_b32_e32 v57, 0
	ds_load_b64 v[58:59], v57 offset:184
	s_wait_dscnt 0x0
	v_pk_mul_f32 v[60:61], v[54:55], v[58:59] op_sel:[1,1] op_sel_hi:[0,1]
	v_pk_fma_f32 v[62:63], v[54:55], v[58:59], v[60:61] op_sel_hi:[1,0,1]
	v_pk_fma_f32 v[54:55], v[54:55], v[58:59], v[60:61] neg_lo:[0,0,1] neg_hi:[0,0,1]
	s_delay_alu instid0(VALU_DEP_2)
	v_mov_b32_e32 v55, v63
	scratch_store_b64 off, v[54:55], off offset:184
.LBB24_470:
	s_wait_xcnt 0x0
	s_or_b32 exec_lo, exec_lo, s2
	scratch_load_b64 v[54:55], off, off offset:192
	s_mov_b32 s2, exec_lo
                                        ; implicit-def: $vgpr60
                                        ; implicit-def: $sgpr4
	s_wait_loadcnt 0x0
	ds_store_b64 v1, v[54:55]
	s_wait_storecnt_dscnt 0x0
	s_barrier_signal -1
	s_barrier_wait -1
	s_wait_xcnt 0x0
	v_cmpx_ne_u32_e32 24, v0
	s_cbranch_execz .LBB24_480
; %bb.471:
	v_cmp_ne_u32_e32 vcc_lo, 1, v56
	s_cbranch_vccnz .LBB24_473
; %bb.472:
	scratch_load_b64 v[56:57], v47, off
	ds_load_b64 v[58:59], v1
	s_wait_loadcnt_dscnt 0x0
	v_dual_mul_f32 v47, v59, v57 :: v_dual_mul_f32 v55, v58, v57
	s_delay_alu instid0(VALU_DEP_1) | instskip(NEXT) | instid1(VALU_DEP_2)
	v_fma_f32 v54, v58, v56, -v47
	v_fmac_f32_e32 v55, v59, v56
	s_cbranch_execz .LBB24_474
	s_branch .LBB24_475
.LBB24_473:
                                        ; implicit-def: $vgpr55
.LBB24_474:
	ds_load_b64 v[54:55], v1
.LBB24_475:
	s_and_saveexec_b32 s3, s0
	s_cbranch_execz .LBB24_479
; %bb.476:
	v_add_nc_u32_e32 v1, 0xd8, v46
	v_add3_u32 v46, 0, v46, 8
	s_mov_b32 s0, 0
.LBB24_477:                             ; =>This Inner Loop Header: Depth=1
	scratch_load_b64 v[56:57], v46, off
	ds_load_b64 v[58:59], v1
	v_dual_add_nc_u32 v0, 1, v0 :: v_dual_add_nc_u32 v1, 8, v1
	s_delay_alu instid0(VALU_DEP_1) | instskip(SKIP_3) | instid1(VALU_DEP_1)
	v_cmp_lt_u32_e32 vcc_lo, 22, v0
	s_or_b32 s0, vcc_lo, s0
	s_wait_loadcnt_dscnt 0x0
	v_dual_mul_f32 v47, v59, v57 :: v_dual_mul_f32 v57, v58, v57
	v_dual_fma_f32 v47, v58, v56, -v47 :: v_dual_fmac_f32 v57, v59, v56
	s_delay_alu instid0(VALU_DEP_1) | instskip(NEXT) | instid1(VALU_DEP_2)
	v_dual_add_nc_u32 v46, 8, v46 :: v_dual_add_f32 v54, v54, v47
	v_add_f32_e32 v55, v55, v57
	s_and_not1_b32 exec_lo, exec_lo, s0
	s_cbranch_execnz .LBB24_477
; %bb.478:
	s_or_b32 exec_lo, exec_lo, s0
.LBB24_479:
	s_delay_alu instid0(SALU_CYCLE_1)
	s_or_b32 exec_lo, exec_lo, s3
	v_mov_b32_e32 v0, 0
	s_movk_i32 s4, 0xc4
	s_or_b32 s1, s1, exec_lo
	ds_load_b64 v[0:1], v0 offset:192
	s_wait_dscnt 0x0
	v_dual_mul_f32 v46, v55, v1 :: v_dual_mul_f32 v60, v54, v1
	s_delay_alu instid0(VALU_DEP_1)
	v_dual_fma_f32 v1, v54, v0, -v46 :: v_dual_fmac_f32 v60, v55, v0
	scratch_store_b32 off, v1, off offset:192
.LBB24_480:
	s_wait_xcnt 0x0
	s_or_b32 exec_lo, exec_lo, s2
.LBB24_481:
	v_lshl_add_u64 v[58:59], v[6:7], 3, s[6:7]
	v_lshl_add_u64 v[56:57], v[8:9], 3, s[6:7]
	;; [unrolled: 1-line block ×23, first 2 shown]
	s_and_saveexec_b32 s0, s1
	s_cbranch_execz .LBB24_483
; %bb.482:
	scratch_store_b32 off, v60, s4
.LBB24_483:
	s_wait_xcnt 0x0
	s_or_b32 exec_lo, exec_lo, s0
	s_clause 0x6
	scratch_load_b128 v[42:45], off, off
	scratch_load_b128 v[48:51], off, off offset:16
	scratch_load_b128 v[60:63], off, off offset:32
	scratch_load_b128 v[64:67], off, off offset:48
	scratch_load_b128 v[68:71], off, off offset:64
	scratch_load_b128 v[72:75], off, off offset:80
	scratch_load_b128 v[76:79], off, off offset:96
	s_wait_loadcnt 0x6
	s_clause 0x1
	global_store_b64 v[2:3], v[42:43], off
	global_store_b64 v[4:5], v[44:45], off
	s_wait_loadcnt 0x5
	s_clause 0x1
	global_store_b64 v[58:59], v[48:49], off
	global_store_b64 v[56:57], v[50:51], off
	;; [unrolled: 4-line block ×3, first 2 shown]
	s_clause 0x5
	scratch_load_b128 v[2:5], off, off offset:112
	scratch_load_b128 v[42:45], off, off offset:128
	;; [unrolled: 1-line block ×5, first 2 shown]
	scratch_load_b64 v[46:47], off, off offset:192
	s_wait_loadcnt 0x9
	s_clause 0x1
	global_store_b64 v[0:1], v[64:65], off
	global_store_b64 v[6:7], v[66:67], off
	s_wait_loadcnt 0x8
	s_clause 0x1
	global_store_b64 v[8:9], v[68:69], off
	global_store_b64 v[10:11], v[70:71], off
	;; [unrolled: 4-line block ×9, first 2 shown]
	s_wait_loadcnt 0x0
	global_store_b64 v[40:41], v[46:47], off
.LBB24_484:
	s_sendmsg sendmsg(MSG_DEALLOC_VGPRS)
	s_endpgm
	.section	.rodata,"a",@progbits
	.p2align	6, 0x0
	.amdhsa_kernel _ZN9rocsolver6v33100L18trti2_kernel_smallILi25E19rocblas_complex_numIfEPS3_EEv13rocblas_fill_17rocblas_diagonal_T1_iil
		.amdhsa_group_segment_fixed_size 408
		.amdhsa_private_segment_fixed_size 208
		.amdhsa_kernarg_size 32
		.amdhsa_user_sgpr_count 2
		.amdhsa_user_sgpr_dispatch_ptr 0
		.amdhsa_user_sgpr_queue_ptr 0
		.amdhsa_user_sgpr_kernarg_segment_ptr 1
		.amdhsa_user_sgpr_dispatch_id 0
		.amdhsa_user_sgpr_kernarg_preload_length 0
		.amdhsa_user_sgpr_kernarg_preload_offset 0
		.amdhsa_user_sgpr_private_segment_size 0
		.amdhsa_wavefront_size32 1
		.amdhsa_uses_dynamic_stack 0
		.amdhsa_enable_private_segment 1
		.amdhsa_system_sgpr_workgroup_id_x 1
		.amdhsa_system_sgpr_workgroup_id_y 0
		.amdhsa_system_sgpr_workgroup_id_z 0
		.amdhsa_system_sgpr_workgroup_info 0
		.amdhsa_system_vgpr_workitem_id 0
		.amdhsa_next_free_vgpr 80
		.amdhsa_next_free_sgpr 19
		.amdhsa_named_barrier_count 0
		.amdhsa_reserve_vcc 1
		.amdhsa_float_round_mode_32 0
		.amdhsa_float_round_mode_16_64 0
		.amdhsa_float_denorm_mode_32 3
		.amdhsa_float_denorm_mode_16_64 3
		.amdhsa_fp16_overflow 0
		.amdhsa_memory_ordered 1
		.amdhsa_forward_progress 1
		.amdhsa_inst_pref_size 147
		.amdhsa_round_robin_scheduling 0
		.amdhsa_exception_fp_ieee_invalid_op 0
		.amdhsa_exception_fp_denorm_src 0
		.amdhsa_exception_fp_ieee_div_zero 0
		.amdhsa_exception_fp_ieee_overflow 0
		.amdhsa_exception_fp_ieee_underflow 0
		.amdhsa_exception_fp_ieee_inexact 0
		.amdhsa_exception_int_div_zero 0
	.end_amdhsa_kernel
	.section	.text._ZN9rocsolver6v33100L18trti2_kernel_smallILi25E19rocblas_complex_numIfEPS3_EEv13rocblas_fill_17rocblas_diagonal_T1_iil,"axG",@progbits,_ZN9rocsolver6v33100L18trti2_kernel_smallILi25E19rocblas_complex_numIfEPS3_EEv13rocblas_fill_17rocblas_diagonal_T1_iil,comdat
.Lfunc_end24:
	.size	_ZN9rocsolver6v33100L18trti2_kernel_smallILi25E19rocblas_complex_numIfEPS3_EEv13rocblas_fill_17rocblas_diagonal_T1_iil, .Lfunc_end24-_ZN9rocsolver6v33100L18trti2_kernel_smallILi25E19rocblas_complex_numIfEPS3_EEv13rocblas_fill_17rocblas_diagonal_T1_iil
                                        ; -- End function
	.set _ZN9rocsolver6v33100L18trti2_kernel_smallILi25E19rocblas_complex_numIfEPS3_EEv13rocblas_fill_17rocblas_diagonal_T1_iil.num_vgpr, 80
	.set _ZN9rocsolver6v33100L18trti2_kernel_smallILi25E19rocblas_complex_numIfEPS3_EEv13rocblas_fill_17rocblas_diagonal_T1_iil.num_agpr, 0
	.set _ZN9rocsolver6v33100L18trti2_kernel_smallILi25E19rocblas_complex_numIfEPS3_EEv13rocblas_fill_17rocblas_diagonal_T1_iil.numbered_sgpr, 19
	.set _ZN9rocsolver6v33100L18trti2_kernel_smallILi25E19rocblas_complex_numIfEPS3_EEv13rocblas_fill_17rocblas_diagonal_T1_iil.num_named_barrier, 0
	.set _ZN9rocsolver6v33100L18trti2_kernel_smallILi25E19rocblas_complex_numIfEPS3_EEv13rocblas_fill_17rocblas_diagonal_T1_iil.private_seg_size, 208
	.set _ZN9rocsolver6v33100L18trti2_kernel_smallILi25E19rocblas_complex_numIfEPS3_EEv13rocblas_fill_17rocblas_diagonal_T1_iil.uses_vcc, 1
	.set _ZN9rocsolver6v33100L18trti2_kernel_smallILi25E19rocblas_complex_numIfEPS3_EEv13rocblas_fill_17rocblas_diagonal_T1_iil.uses_flat_scratch, 1
	.set _ZN9rocsolver6v33100L18trti2_kernel_smallILi25E19rocblas_complex_numIfEPS3_EEv13rocblas_fill_17rocblas_diagonal_T1_iil.has_dyn_sized_stack, 0
	.set _ZN9rocsolver6v33100L18trti2_kernel_smallILi25E19rocblas_complex_numIfEPS3_EEv13rocblas_fill_17rocblas_diagonal_T1_iil.has_recursion, 0
	.set _ZN9rocsolver6v33100L18trti2_kernel_smallILi25E19rocblas_complex_numIfEPS3_EEv13rocblas_fill_17rocblas_diagonal_T1_iil.has_indirect_call, 0
	.section	.AMDGPU.csdata,"",@progbits
; Kernel info:
; codeLenInByte = 18788
; TotalNumSgprs: 21
; NumVgprs: 80
; ScratchSize: 208
; MemoryBound: 0
; FloatMode: 240
; IeeeMode: 1
; LDSByteSize: 408 bytes/workgroup (compile time only)
; SGPRBlocks: 0
; VGPRBlocks: 4
; NumSGPRsForWavesPerEU: 21
; NumVGPRsForWavesPerEU: 80
; NamedBarCnt: 0
; Occupancy: 12
; WaveLimiterHint : 0
; COMPUTE_PGM_RSRC2:SCRATCH_EN: 1
; COMPUTE_PGM_RSRC2:USER_SGPR: 2
; COMPUTE_PGM_RSRC2:TRAP_HANDLER: 0
; COMPUTE_PGM_RSRC2:TGID_X_EN: 1
; COMPUTE_PGM_RSRC2:TGID_Y_EN: 0
; COMPUTE_PGM_RSRC2:TGID_Z_EN: 0
; COMPUTE_PGM_RSRC2:TIDIG_COMP_CNT: 0
	.section	.text._ZN9rocsolver6v33100L18trti2_kernel_smallILi26E19rocblas_complex_numIfEPS3_EEv13rocblas_fill_17rocblas_diagonal_T1_iil,"axG",@progbits,_ZN9rocsolver6v33100L18trti2_kernel_smallILi26E19rocblas_complex_numIfEPS3_EEv13rocblas_fill_17rocblas_diagonal_T1_iil,comdat
	.globl	_ZN9rocsolver6v33100L18trti2_kernel_smallILi26E19rocblas_complex_numIfEPS3_EEv13rocblas_fill_17rocblas_diagonal_T1_iil ; -- Begin function _ZN9rocsolver6v33100L18trti2_kernel_smallILi26E19rocblas_complex_numIfEPS3_EEv13rocblas_fill_17rocblas_diagonal_T1_iil
	.p2align	8
	.type	_ZN9rocsolver6v33100L18trti2_kernel_smallILi26E19rocblas_complex_numIfEPS3_EEv13rocblas_fill_17rocblas_diagonal_T1_iil,@function
_ZN9rocsolver6v33100L18trti2_kernel_smallILi26E19rocblas_complex_numIfEPS3_EEv13rocblas_fill_17rocblas_diagonal_T1_iil: ; @_ZN9rocsolver6v33100L18trti2_kernel_smallILi26E19rocblas_complex_numIfEPS3_EEv13rocblas_fill_17rocblas_diagonal_T1_iil
; %bb.0:
	s_mov_b32 s2, exec_lo
	v_cmpx_gt_u32_e32 26, v0
	s_cbranch_execz .LBB25_504
; %bb.1:
	s_load_b256 s[4:11], s[0:1], 0x0
	s_wait_xcnt 0x0
	s_bfe_u32 s0, ttmp6, 0x4000c
	s_and_b32 s1, ttmp6, 15
	s_add_co_i32 s0, s0, 1
	s_getreg_b32 s2, hwreg(HW_REG_IB_STS2, 6, 4)
	s_mul_i32 s0, ttmp9, s0
	s_delay_alu instid0(SALU_CYCLE_1)
	s_add_co_i32 s0, s1, s0
	s_wait_kmcnt 0x0
	v_add3_u32 v4, s9, s9, v0
	s_ashr_i32 s1, s8, 31
	s_cmp_eq_u32 s2, 0
	s_cselect_b32 s2, ttmp9, s0
	s_delay_alu instid0(VALU_DEP_1)
	v_add_nc_u32_e32 v6, s9, v4
	s_ashr_i32 s3, s2, 31
	s_mov_b32 s0, s8
	s_mul_u64 s[2:3], s[10:11], s[2:3]
	s_lshl_b64 s[0:1], s[0:1], 3
	v_add_nc_u32_e32 v10, s9, v6
	s_lshl_b64 s[2:3], s[2:3], 3
	s_delay_alu instid0(SALU_CYCLE_1) | instskip(NEXT) | instid1(SALU_CYCLE_1)
	s_add_nc_u64 s[2:3], s[6:7], s[2:3]
	s_add_nc_u64 s[6:7], s[2:3], s[0:1]
	s_delay_alu instid0(VALU_DEP_1) | instskip(SKIP_3) | instid1(VALU_DEP_1)
	v_add_nc_u32_e32 v12, s9, v10
	s_mov_b32 s0, s9
	s_ashr_i32 s1, s9, 31
	s_cmp_lg_u32 s5, 0x84
	v_add_nc_u32_e32 v14, s9, v12
	v_lshlrev_b32_e32 v40, 3, v0
	s_clause 0x1
	global_load_b64 v[44:45], v10, s[6:7] scale_offset
	global_load_b64 v[46:47], v12, s[6:7] scale_offset
	s_cselect_b32 s3, -1, 0
	v_dual_mov_b32 v41, 0 :: v_dual_add_nc_u32 v16, s9, v14
	s_and_b32 vcc_lo, exec_lo, s3
	s_delay_alu instid0(VALU_DEP_1) | instskip(NEXT) | instid1(VALU_DEP_2)
	v_add_nc_u32_e32 v18, s9, v16
	v_add_nc_u64_e32 v[2:3], s[6:7], v[40:41]
	s_delay_alu instid0(VALU_DEP_2) | instskip(NEXT) | instid1(VALU_DEP_2)
	v_add_nc_u32_e32 v20, s9, v18
	v_lshl_add_u64 v[8:9], s[0:1], 3, v[2:3]
	s_mov_b32 s0, -1
	s_delay_alu instid0(VALU_DEP_2)
	v_add_nc_u32_e32 v22, s9, v20
	s_clause 0x5
	global_load_b64 v[48:49], v0, s[6:7] scale_offset
	global_load_b64 v[50:51], v[8:9], off
	global_load_b64 v[52:53], v4, s[6:7] scale_offset
	global_load_b64 v[54:55], v6, s[6:7] scale_offset
	;; [unrolled: 1-line block ×4, first 2 shown]
	v_add_nc_u32_e32 v24, s9, v22
	s_delay_alu instid0(VALU_DEP_1) | instskip(NEXT) | instid1(VALU_DEP_1)
	v_add_nc_u32_e32 v26, s9, v24
	v_add_nc_u32_e32 v28, s9, v26
	s_delay_alu instid0(VALU_DEP_1)
	v_add_nc_u32_e32 v30, s9, v28
	s_clause 0x3
	global_load_b64 v[60:61], v18, s[6:7] scale_offset
	global_load_b64 v[62:63], v20, s[6:7] scale_offset
	;; [unrolled: 1-line block ×4, first 2 shown]
	v_add_nc_u32_e32 v32, s9, v30
	s_delay_alu instid0(VALU_DEP_1) | instskip(NEXT) | instid1(VALU_DEP_1)
	v_add_nc_u32_e32 v34, s9, v32
	v_add_nc_u32_e32 v36, s9, v34
	s_delay_alu instid0(VALU_DEP_1)
	v_add_nc_u32_e32 v38, s9, v36
	s_clause 0x3
	global_load_b64 v[68:69], v26, s[6:7] scale_offset
	global_load_b64 v[70:71], v28, s[6:7] scale_offset
	;; [unrolled: 1-line block ×4, first 2 shown]
	v_add_nc_u32_e32 v42, s9, v38
	s_wait_loadcnt 0xe
	scratch_store_b128 off, v[44:47], off offset:32
	s_wait_xcnt 0x0
	v_add_nc_u32_e32 v44, s9, v42
	s_delay_alu instid0(VALU_DEP_1)
	v_add_nc_u32_e32 v46, s9, v44
	s_wait_loadcnt 0xa
	s_clause 0x1
	scratch_store_b128 off, v[52:55], off offset:16
	scratch_store_b128 off, v[48:51], off
	s_wait_xcnt 0x0
	v_add_nc_u32_e32 v48, s9, v46
	s_wait_loadcnt 0x8
	scratch_store_b128 off, v[56:59], off offset:48
	s_wait_loadcnt 0x6
	scratch_store_b128 off, v[60:63], off offset:64
	v_add_nc_u32_e32 v50, s9, v48
	s_clause 0x3
	global_load_b64 v[56:57], v34, s[6:7] scale_offset
	global_load_b64 v[58:59], v36, s[6:7] scale_offset
	;; [unrolled: 1-line block ×4, first 2 shown]
	s_wait_loadcnt 0x8
	scratch_store_b128 off, v[64:67], off offset:80
	s_wait_loadcnt 0x6
	scratch_store_b128 off, v[68:71], off offset:96
	v_add_nc_u32_e32 v52, s9, v50
	s_delay_alu instid0(VALU_DEP_1)
	v_add_nc_u32_e32 v54, s9, v52
	s_clause 0x3
	global_load_b64 v[64:65], v44, s[6:7] scale_offset
	global_load_b64 v[66:67], v46, s[6:7] scale_offset
	;; [unrolled: 1-line block ×4, first 2 shown]
	s_wait_loadcnt 0x8
	scratch_store_b128 off, v[72:75], off offset:112
	s_clause 0x1
	global_load_b64 v[72:73], v52, s[6:7] scale_offset
	global_load_b64 v[74:75], v54, s[6:7] scale_offset
	s_wait_loadcnt 0x8
	scratch_store_b128 off, v[56:59], off offset:128
	s_wait_loadcnt 0x6
	scratch_store_b128 off, v[60:63], off offset:144
	;; [unrolled: 2-line block ×5, first 2 shown]
	s_cbranch_vccz .LBB25_7
; %bb.2:
	scratch_load_b64 v[56:57], v0, off scale_offset
                                        ; implicit-def: $vgpr61
                                        ; implicit-def: $vgpr58
	s_wait_loadcnt 0x0
	v_cmp_ngt_f32_e64 s0, |v56|, |v57|
	s_wait_xcnt 0x0
	s_and_saveexec_b32 s1, s0
	s_delay_alu instid0(SALU_CYCLE_1)
	s_xor_b32 s0, exec_lo, s1
	s_cbranch_execz .LBB25_4
; %bb.3:
	v_div_scale_f32 v1, null, v57, v57, v56
	v_div_scale_f32 v11, vcc_lo, v56, v57, v56
	s_delay_alu instid0(VALU_DEP_2) | instskip(SKIP_1) | instid1(TRANS32_DEP_1)
	v_rcp_f32_e32 v5, v1
	v_nop
	v_fma_f32 v7, -v1, v5, 1.0
	s_delay_alu instid0(VALU_DEP_1) | instskip(NEXT) | instid1(VALU_DEP_1)
	v_fmac_f32_e32 v5, v7, v5
	v_mul_f32_e32 v7, v11, v5
	s_delay_alu instid0(VALU_DEP_1) | instskip(NEXT) | instid1(VALU_DEP_1)
	v_fma_f32 v13, -v1, v7, v11
	v_fmac_f32_e32 v7, v13, v5
	s_delay_alu instid0(VALU_DEP_1) | instskip(NEXT) | instid1(VALU_DEP_1)
	v_fma_f32 v1, -v1, v7, v11
	v_div_fmas_f32 v1, v1, v5, v7
	s_delay_alu instid0(VALU_DEP_1) | instskip(NEXT) | instid1(VALU_DEP_1)
	v_div_fixup_f32 v1, v1, v57, v56
	v_fmac_f32_e32 v57, v56, v1
	s_delay_alu instid0(VALU_DEP_1) | instskip(NEXT) | instid1(VALU_DEP_1)
	v_div_scale_f32 v5, null, v57, v57, -1.0
	v_rcp_f32_e32 v7, v5
	v_nop
	s_delay_alu instid0(TRANS32_DEP_1) | instskip(NEXT) | instid1(VALU_DEP_1)
	v_fma_f32 v11, -v5, v7, 1.0
	v_fmac_f32_e32 v7, v11, v7
	v_div_scale_f32 v11, vcc_lo, -1.0, v57, -1.0
	s_delay_alu instid0(VALU_DEP_1) | instskip(NEXT) | instid1(VALU_DEP_1)
	v_mul_f32_e32 v13, v11, v7
	v_fma_f32 v15, -v5, v13, v11
	s_delay_alu instid0(VALU_DEP_1) | instskip(NEXT) | instid1(VALU_DEP_1)
	v_fmac_f32_e32 v13, v15, v7
	v_fma_f32 v5, -v5, v13, v11
	s_delay_alu instid0(VALU_DEP_1) | instskip(NEXT) | instid1(VALU_DEP_1)
	v_div_fmas_f32 v5, v5, v7, v13
	v_div_fixup_f32 v61, v5, v57, -1.0
                                        ; implicit-def: $vgpr56_vgpr57
	s_delay_alu instid0(VALU_DEP_1) | instskip(NEXT) | instid1(VALU_DEP_1)
	v_mul_f32_e32 v58, v1, v61
	v_xor_b32_e32 v60, 0x80000000, v58
.LBB25_4:
	s_or_saveexec_b32 s0, s0
	v_lshl_add_u32 v1, v0, 3, 0
	s_xor_b32 exec_lo, exec_lo, s0
	s_cbranch_execz .LBB25_6
; %bb.5:
	v_div_scale_f32 v5, null, v56, v56, v57
	v_div_scale_f32 v13, vcc_lo, v57, v56, v57
	s_delay_alu instid0(VALU_DEP_2) | instskip(SKIP_1) | instid1(TRANS32_DEP_1)
	v_rcp_f32_e32 v7, v5
	v_nop
	v_fma_f32 v11, -v5, v7, 1.0
	s_delay_alu instid0(VALU_DEP_1) | instskip(NEXT) | instid1(VALU_DEP_1)
	v_fmac_f32_e32 v7, v11, v7
	v_mul_f32_e32 v11, v13, v7
	s_delay_alu instid0(VALU_DEP_1) | instskip(NEXT) | instid1(VALU_DEP_1)
	v_fma_f32 v15, -v5, v11, v13
	v_fmac_f32_e32 v11, v15, v7
	s_delay_alu instid0(VALU_DEP_1) | instskip(NEXT) | instid1(VALU_DEP_1)
	v_fma_f32 v5, -v5, v11, v13
	v_div_fmas_f32 v5, v5, v7, v11
	s_delay_alu instid0(VALU_DEP_1) | instskip(NEXT) | instid1(VALU_DEP_1)
	v_div_fixup_f32 v5, v5, v56, v57
	v_fmac_f32_e32 v56, v57, v5
	s_delay_alu instid0(VALU_DEP_1) | instskip(SKIP_1) | instid1(VALU_DEP_2)
	v_div_scale_f32 v7, null, v56, v56, 1.0
	v_div_scale_f32 v15, vcc_lo, 1.0, v56, 1.0
	v_rcp_f32_e32 v11, v7
	v_nop
	s_delay_alu instid0(TRANS32_DEP_1) | instskip(NEXT) | instid1(VALU_DEP_1)
	v_fma_f32 v13, -v7, v11, 1.0
	v_fmac_f32_e32 v11, v13, v11
	s_delay_alu instid0(VALU_DEP_1) | instskip(NEXT) | instid1(VALU_DEP_1)
	v_mul_f32_e32 v13, v15, v11
	v_fma_f32 v17, -v7, v13, v15
	s_delay_alu instid0(VALU_DEP_1) | instskip(NEXT) | instid1(VALU_DEP_1)
	v_fmac_f32_e32 v13, v17, v11
	v_fma_f32 v7, -v7, v13, v15
	s_delay_alu instid0(VALU_DEP_1) | instskip(NEXT) | instid1(VALU_DEP_1)
	v_div_fmas_f32 v7, v7, v11, v13
	v_div_fixup_f32 v60, v7, v56, 1.0
	s_delay_alu instid0(VALU_DEP_1)
	v_xor_b32_e32 v58, 0x80000000, v60
	v_mul_f32_e64 v61, v5, -v60
.LBB25_6:
	s_or_b32 exec_lo, exec_lo, s0
	s_delay_alu instid0(VALU_DEP_1)
	v_xor_b32_e32 v59, 0x80000000, v61
	s_mov_b32 s0, 0
	scratch_store_b64 v1, v[60:61], off
	ds_store_b64 v40, v[58:59]
.LBB25_7:
	s_and_b32 vcc_lo, exec_lo, s0
	s_cbranch_vccz .LBB25_9
; %bb.8:
	s_mov_b64 s[0:1], 0xbf800000
	s_wait_xcnt 0x4
	v_mov_b64_e32 v[56:57], s[0:1]
	ds_store_b64 v40, v[56:57]
.LBB25_9:
	v_dual_ashrrev_i32 v5, 31, v4 :: v_dual_ashrrev_i32 v7, 31, v6
	v_dual_ashrrev_i32 v11, 31, v10 :: v_dual_ashrrev_i32 v13, 31, v12
	;; [unrolled: 1-line block ×11, first 2 shown]
	v_dual_ashrrev_i32 v51, 31, v50 :: v_dual_mov_b32 v41, v40
	v_ashrrev_i32_e32 v55, 31, v54
	s_wait_xcnt 0x0
	v_add_nc_u32_e32 v1, 0xd0, v40
	s_cmp_eq_u32 s4, 0x79
	s_cbranch_scc1 .LBB25_13
; %bb.10:
	scratch_load_b64 v[56:57], off, off offset:192
	v_cmp_eq_u32_e64 s0, 25, v0
	s_movk_i32 s1, 0x50
	s_movk_i32 s10, 0x60
	;; [unrolled: 1-line block ×7, first 2 shown]
	s_wait_loadcnt 0x0
	ds_store_b64 v1, v[56:57]
	s_wait_storecnt_dscnt 0x0
	s_barrier_signal -1
	s_barrier_wait -1
	s_wait_xcnt 0x0
	s_and_saveexec_b32 s2, s0
	s_cbranch_execz .LBB25_17
; %bb.11:
	s_and_b32 vcc_lo, exec_lo, s3
	s_cbranch_vccz .LBB25_14
; %bb.12:
	scratch_load_b64 v[56:57], v41, off
	ds_load_b64 v[58:59], v1
	s_wait_loadcnt_dscnt 0x0
	v_pk_mul_f32 v[60:61], v[58:59], v[56:57] op_sel:[1,1] op_sel_hi:[0,1]
	v_pk_mul_f32 v[62:63], v[58:59], v[56:57] op_sel_hi:[1,0]
	s_delay_alu instid0(VALU_DEP_2) | instskip(NEXT) | instid1(VALU_DEP_2)
	v_pk_fma_f32 v[56:57], v[58:59], v[56:57], v[60:61] op_sel_hi:[1,0,1]
	v_sub_f32_e32 v56, v62, v60
	s_cbranch_execz .LBB25_15
	s_branch .LBB25_16
.LBB25_13:
	s_mov_b32 s1, 0
                                        ; implicit-def: $vgpr66
                                        ; implicit-def: $sgpr4
	s_cbranch_execnz .LBB25_256
	s_branch .LBB25_501
.LBB25_14:
                                        ; implicit-def: $vgpr57
.LBB25_15:
	ds_load_b64 v[56:57], v1
.LBB25_16:
	s_wait_dscnt 0x0
	v_dual_mov_b32 v58, 0 :: v_dual_mov_b32 v60, v57
	v_mov_b32_e32 v61, v56
	ds_load_b64 v[58:59], v58 offset:192
	s_wait_dscnt 0x0
	v_pk_mul_f32 v[60:61], v[60:61], v[58:59] op_sel:[0,1]
	s_delay_alu instid0(VALU_DEP_1) | instskip(SKIP_1) | instid1(VALU_DEP_2)
	v_pk_fma_f32 v[62:63], v[56:57], v[58:59], v[60:61] op_sel_hi:[1,0,1]
	v_pk_fma_f32 v[56:57], v[56:57], v[58:59], v[60:61] neg_lo:[0,0,1] neg_hi:[0,0,1]
	v_mov_b32_e32 v57, v63
	scratch_store_b64 off, v[56:57], off offset:192
.LBB25_17:
	s_wait_xcnt 0x0
	s_or_b32 exec_lo, exec_lo, s2
	scratch_load_b64 v[56:57], off, off offset:184
	s_mov_b32 s9, s1
	v_cmp_lt_u32_e64 s1, 23, v0
	s_mov_b32 s4, 16
	s_mov_b32 s5, 32
	;; [unrolled: 1-line block ×4, first 2 shown]
	s_wait_loadcnt 0x0
	ds_store_b64 v1, v[56:57]
	s_wait_storecnt_dscnt 0x0
	s_barrier_signal -1
	s_barrier_wait -1
	s_wait_xcnt 0x0
	s_and_saveexec_b32 s16, s1
	s_cbranch_execz .LBB25_25
; %bb.18:
	s_and_not1_b32 vcc_lo, exec_lo, s3
	s_cbranch_vccnz .LBB25_20
; %bb.19:
	scratch_load_b64 v[56:57], v41, off
	ds_load_b64 v[58:59], v1
	s_wait_loadcnt_dscnt 0x0
	v_pk_mul_f32 v[60:61], v[58:59], v[56:57] op_sel:[1,1] op_sel_hi:[0,1]
	s_delay_alu instid0(VALU_DEP_1) | instskip(SKIP_1) | instid1(VALU_DEP_2)
	v_pk_fma_f32 v[62:63], v[58:59], v[56:57], v[60:61] op_sel_hi:[1,0,1]
	v_pk_fma_f32 v[56:57], v[58:59], v[56:57], v[60:61] neg_lo:[0,0,1] neg_hi:[0,0,1]
	v_mov_b32_e32 v57, v63
	s_cbranch_execz .LBB25_21
	s_branch .LBB25_22
.LBB25_20:
                                        ; implicit-def: $vgpr56_vgpr57
.LBB25_21:
	ds_load_b64 v[56:57], v1
.LBB25_22:
	s_and_saveexec_b32 s17, s0
	s_cbranch_execz .LBB25_24
; %bb.23:
	scratch_load_b64 v[58:59], off, off offset:192
	v_mov_b32_e32 v60, 0
	ds_load_b64 v[60:61], v60 offset:400
	s_wait_loadcnt_dscnt 0x0
	v_pk_mul_f32 v[62:63], v[60:61], v[58:59] op_sel:[1,1] op_sel_hi:[0,1]
	s_delay_alu instid0(VALU_DEP_1) | instskip(SKIP_1) | instid1(VALU_DEP_2)
	v_pk_fma_f32 v[64:65], v[60:61], v[58:59], v[62:63] op_sel_hi:[1,0,1]
	v_pk_fma_f32 v[58:59], v[60:61], v[58:59], v[62:63] neg_lo:[0,0,1] neg_hi:[0,0,1]
	v_mov_b32_e32 v59, v65
	s_delay_alu instid0(VALU_DEP_1)
	v_pk_add_f32 v[56:57], v[56:57], v[58:59]
.LBB25_24:
	s_or_b32 exec_lo, exec_lo, s17
	v_mov_b32_e32 v58, 0
	ds_load_b64 v[58:59], v58 offset:184
	s_wait_dscnt 0x0
	v_pk_mul_f32 v[60:61], v[56:57], v[58:59] op_sel:[1,1] op_sel_hi:[0,1]
	s_delay_alu instid0(VALU_DEP_1) | instskip(SKIP_1) | instid1(VALU_DEP_2)
	v_pk_fma_f32 v[62:63], v[56:57], v[58:59], v[60:61] op_sel_hi:[1,0,1]
	v_pk_fma_f32 v[56:57], v[56:57], v[58:59], v[60:61] neg_lo:[0,0,1] neg_hi:[0,0,1]
	v_mov_b32_e32 v57, v63
	scratch_store_b64 off, v[56:57], off offset:184
.LBB25_25:
	s_wait_xcnt 0x0
	s_or_b32 exec_lo, exec_lo, s16
	scratch_load_b64 v[56:57], off, off offset:176
	v_cmp_lt_u32_e64 s0, 22, v0
	s_wait_loadcnt 0x0
	ds_store_b64 v1, v[56:57]
	s_wait_storecnt_dscnt 0x0
	s_barrier_signal -1
	s_barrier_wait -1
	s_wait_xcnt 0x0
	s_and_saveexec_b32 s16, s0
	s_cbranch_execz .LBB25_35
; %bb.26:
	s_and_not1_b32 vcc_lo, exec_lo, s3
	s_cbranch_vccnz .LBB25_28
; %bb.27:
	scratch_load_b64 v[56:57], v41, off
	ds_load_b64 v[58:59], v1
	s_wait_loadcnt_dscnt 0x0
	v_pk_mul_f32 v[60:61], v[58:59], v[56:57] op_sel:[1,1] op_sel_hi:[0,1]
	s_delay_alu instid0(VALU_DEP_1) | instskip(SKIP_1) | instid1(VALU_DEP_2)
	v_pk_fma_f32 v[62:63], v[58:59], v[56:57], v[60:61] op_sel_hi:[1,0,1]
	v_pk_fma_f32 v[56:57], v[58:59], v[56:57], v[60:61] neg_lo:[0,0,1] neg_hi:[0,0,1]
	v_mov_b32_e32 v57, v63
	s_cbranch_execz .LBB25_29
	s_branch .LBB25_30
.LBB25_28:
                                        ; implicit-def: $vgpr56_vgpr57
.LBB25_29:
	ds_load_b64 v[56:57], v1
.LBB25_30:
	s_and_saveexec_b32 s17, s1
	s_cbranch_execz .LBB25_34
; %bb.31:
	v_subrev_nc_u32_e32 v58, 23, v0
	s_movk_i32 s1, 0xb8
	s_movk_i32 s19, 0x188
	s_mov_b32 s18, 0
.LBB25_32:                              ; =>This Inner Loop Header: Depth=1
	scratch_load_b64 v[60:61], off, s1
	v_dual_mov_b32 v59, s19 :: v_dual_add_nc_u32 v58, -1, v58
	s_add_co_i32 s19, s19, 8
	s_wait_xcnt 0x0
	s_add_co_i32 s1, s1, 8
	ds_load_b64 v[62:63], v59
	v_cmp_eq_u32_e32 vcc_lo, 0, v58
	s_or_b32 s18, vcc_lo, s18
	s_wait_loadcnt_dscnt 0x0
	v_pk_mul_f32 v[64:65], v[62:63], v[60:61] op_sel:[1,1] op_sel_hi:[0,1]
	s_delay_alu instid0(VALU_DEP_1) | instskip(SKIP_1) | instid1(VALU_DEP_2)
	v_pk_fma_f32 v[66:67], v[62:63], v[60:61], v[64:65] op_sel_hi:[1,0,1]
	v_pk_fma_f32 v[60:61], v[62:63], v[60:61], v[64:65] neg_lo:[0,0,1] neg_hi:[0,0,1]
	v_mov_b32_e32 v61, v67
	s_delay_alu instid0(VALU_DEP_1)
	v_pk_add_f32 v[56:57], v[56:57], v[60:61]
	s_and_not1_b32 exec_lo, exec_lo, s18
	s_cbranch_execnz .LBB25_32
; %bb.33:
	s_or_b32 exec_lo, exec_lo, s18
.LBB25_34:
	s_delay_alu instid0(SALU_CYCLE_1) | instskip(SKIP_4) | instid1(VALU_DEP_1)
	s_or_b32 exec_lo, exec_lo, s17
	v_mov_b32_e32 v58, 0
	ds_load_b64 v[58:59], v58 offset:176
	s_wait_dscnt 0x0
	v_pk_mul_f32 v[60:61], v[56:57], v[58:59] op_sel:[1,1] op_sel_hi:[0,1]
	v_pk_fma_f32 v[62:63], v[56:57], v[58:59], v[60:61] op_sel_hi:[1,0,1]
	v_pk_fma_f32 v[56:57], v[56:57], v[58:59], v[60:61] neg_lo:[0,0,1] neg_hi:[0,0,1]
	s_delay_alu instid0(VALU_DEP_2)
	v_mov_b32_e32 v57, v63
	scratch_store_b64 off, v[56:57], off offset:176
.LBB25_35:
	s_wait_xcnt 0x0
	s_or_b32 exec_lo, exec_lo, s16
	scratch_load_b64 v[56:57], off, off offset:168
	v_cmp_lt_u32_e64 s1, 21, v0
	s_wait_loadcnt 0x0
	ds_store_b64 v1, v[56:57]
	s_wait_storecnt_dscnt 0x0
	s_barrier_signal -1
	s_barrier_wait -1
	s_wait_xcnt 0x0
	s_and_saveexec_b32 s16, s1
	s_cbranch_execz .LBB25_45
; %bb.36:
	s_and_not1_b32 vcc_lo, exec_lo, s3
	s_cbranch_vccnz .LBB25_38
; %bb.37:
	scratch_load_b64 v[56:57], v41, off
	ds_load_b64 v[58:59], v1
	s_wait_loadcnt_dscnt 0x0
	v_pk_mul_f32 v[60:61], v[58:59], v[56:57] op_sel:[1,1] op_sel_hi:[0,1]
	s_delay_alu instid0(VALU_DEP_1) | instskip(SKIP_1) | instid1(VALU_DEP_2)
	v_pk_fma_f32 v[62:63], v[58:59], v[56:57], v[60:61] op_sel_hi:[1,0,1]
	v_pk_fma_f32 v[56:57], v[58:59], v[56:57], v[60:61] neg_lo:[0,0,1] neg_hi:[0,0,1]
	v_mov_b32_e32 v57, v63
	s_cbranch_execz .LBB25_39
	s_branch .LBB25_40
.LBB25_38:
                                        ; implicit-def: $vgpr56_vgpr57
.LBB25_39:
	ds_load_b64 v[56:57], v1
.LBB25_40:
	s_and_saveexec_b32 s17, s0
	s_cbranch_execz .LBB25_44
; %bb.41:
	v_subrev_nc_u32_e32 v58, 22, v0
	s_movk_i32 s18, 0x180
	s_mov_b32 s0, 0
.LBB25_42:                              ; =>This Inner Loop Header: Depth=1
	scratch_load_b64 v[60:61], off, s15
	v_dual_mov_b32 v59, s18 :: v_dual_add_nc_u32 v58, -1, v58
	s_add_co_i32 s18, s18, 8
	s_wait_xcnt 0x0
	s_add_co_i32 s15, s15, 8
	ds_load_b64 v[62:63], v59
	v_cmp_eq_u32_e32 vcc_lo, 0, v58
	s_or_b32 s0, vcc_lo, s0
	s_wait_loadcnt_dscnt 0x0
	v_pk_mul_f32 v[64:65], v[62:63], v[60:61] op_sel:[1,1] op_sel_hi:[0,1]
	s_delay_alu instid0(VALU_DEP_1) | instskip(SKIP_1) | instid1(VALU_DEP_2)
	v_pk_fma_f32 v[66:67], v[62:63], v[60:61], v[64:65] op_sel_hi:[1,0,1]
	v_pk_fma_f32 v[60:61], v[62:63], v[60:61], v[64:65] neg_lo:[0,0,1] neg_hi:[0,0,1]
	v_mov_b32_e32 v61, v67
	s_delay_alu instid0(VALU_DEP_1)
	v_pk_add_f32 v[56:57], v[56:57], v[60:61]
	s_and_not1_b32 exec_lo, exec_lo, s0
	s_cbranch_execnz .LBB25_42
; %bb.43:
	s_or_b32 exec_lo, exec_lo, s0
.LBB25_44:
	s_delay_alu instid0(SALU_CYCLE_1) | instskip(SKIP_4) | instid1(VALU_DEP_1)
	s_or_b32 exec_lo, exec_lo, s17
	v_mov_b32_e32 v58, 0
	ds_load_b64 v[58:59], v58 offset:168
	s_wait_dscnt 0x0
	v_pk_mul_f32 v[60:61], v[56:57], v[58:59] op_sel:[1,1] op_sel_hi:[0,1]
	v_pk_fma_f32 v[62:63], v[56:57], v[58:59], v[60:61] op_sel_hi:[1,0,1]
	v_pk_fma_f32 v[56:57], v[56:57], v[58:59], v[60:61] neg_lo:[0,0,1] neg_hi:[0,0,1]
	s_delay_alu instid0(VALU_DEP_2)
	v_mov_b32_e32 v57, v63
	scratch_store_b64 off, v[56:57], off offset:168
.LBB25_45:
	s_wait_xcnt 0x0
	s_or_b32 exec_lo, exec_lo, s16
	scratch_load_b64 v[56:57], off, off offset:160
	v_cmp_lt_u32_e64 s0, 20, v0
	s_wait_loadcnt 0x0
	ds_store_b64 v1, v[56:57]
	s_wait_storecnt_dscnt 0x0
	s_barrier_signal -1
	s_barrier_wait -1
	s_wait_xcnt 0x0
	s_and_saveexec_b32 s15, s0
	s_cbranch_execz .LBB25_55
; %bb.46:
	s_and_not1_b32 vcc_lo, exec_lo, s3
	s_cbranch_vccnz .LBB25_48
; %bb.47:
	scratch_load_b64 v[56:57], v41, off
	ds_load_b64 v[58:59], v1
	s_wait_loadcnt_dscnt 0x0
	v_pk_mul_f32 v[60:61], v[58:59], v[56:57] op_sel:[1,1] op_sel_hi:[0,1]
	s_delay_alu instid0(VALU_DEP_1) | instskip(SKIP_1) | instid1(VALU_DEP_2)
	v_pk_fma_f32 v[62:63], v[58:59], v[56:57], v[60:61] op_sel_hi:[1,0,1]
	v_pk_fma_f32 v[56:57], v[58:59], v[56:57], v[60:61] neg_lo:[0,0,1] neg_hi:[0,0,1]
	v_mov_b32_e32 v57, v63
	s_cbranch_execz .LBB25_49
	s_branch .LBB25_50
.LBB25_48:
                                        ; implicit-def: $vgpr56_vgpr57
.LBB25_49:
	ds_load_b64 v[56:57], v1
.LBB25_50:
	s_and_saveexec_b32 s16, s1
	s_cbranch_execz .LBB25_54
; %bb.51:
	v_subrev_nc_u32_e32 v58, 21, v0
	s_movk_i32 s1, 0xa8
	s_movk_i32 s18, 0x178
	s_mov_b32 s17, 0
.LBB25_52:                              ; =>This Inner Loop Header: Depth=1
	scratch_load_b64 v[60:61], off, s1
	v_dual_mov_b32 v59, s18 :: v_dual_add_nc_u32 v58, -1, v58
	s_add_co_i32 s18, s18, 8
	s_wait_xcnt 0x0
	s_add_co_i32 s1, s1, 8
	ds_load_b64 v[62:63], v59
	v_cmp_eq_u32_e32 vcc_lo, 0, v58
	s_or_b32 s17, vcc_lo, s17
	s_wait_loadcnt_dscnt 0x0
	v_pk_mul_f32 v[64:65], v[62:63], v[60:61] op_sel:[1,1] op_sel_hi:[0,1]
	s_delay_alu instid0(VALU_DEP_1) | instskip(SKIP_1) | instid1(VALU_DEP_2)
	v_pk_fma_f32 v[66:67], v[62:63], v[60:61], v[64:65] op_sel_hi:[1,0,1]
	v_pk_fma_f32 v[60:61], v[62:63], v[60:61], v[64:65] neg_lo:[0,0,1] neg_hi:[0,0,1]
	v_mov_b32_e32 v61, v67
	s_delay_alu instid0(VALU_DEP_1)
	v_pk_add_f32 v[56:57], v[56:57], v[60:61]
	s_and_not1_b32 exec_lo, exec_lo, s17
	s_cbranch_execnz .LBB25_52
; %bb.53:
	s_or_b32 exec_lo, exec_lo, s17
.LBB25_54:
	s_delay_alu instid0(SALU_CYCLE_1) | instskip(SKIP_4) | instid1(VALU_DEP_1)
	s_or_b32 exec_lo, exec_lo, s16
	v_mov_b32_e32 v58, 0
	ds_load_b64 v[58:59], v58 offset:160
	s_wait_dscnt 0x0
	v_pk_mul_f32 v[60:61], v[56:57], v[58:59] op_sel:[1,1] op_sel_hi:[0,1]
	v_pk_fma_f32 v[62:63], v[56:57], v[58:59], v[60:61] op_sel_hi:[1,0,1]
	v_pk_fma_f32 v[56:57], v[56:57], v[58:59], v[60:61] neg_lo:[0,0,1] neg_hi:[0,0,1]
	s_delay_alu instid0(VALU_DEP_2)
	v_mov_b32_e32 v57, v63
	scratch_store_b64 off, v[56:57], off offset:160
.LBB25_55:
	s_wait_xcnt 0x0
	s_or_b32 exec_lo, exec_lo, s15
	scratch_load_b64 v[56:57], off, off offset:152
	v_cmp_lt_u32_e64 s1, 19, v0
	s_wait_loadcnt 0x0
	ds_store_b64 v1, v[56:57]
	s_wait_storecnt_dscnt 0x0
	s_barrier_signal -1
	s_barrier_wait -1
	s_wait_xcnt 0x0
	s_and_saveexec_b32 s15, s1
	s_cbranch_execz .LBB25_65
; %bb.56:
	s_and_not1_b32 vcc_lo, exec_lo, s3
	s_cbranch_vccnz .LBB25_58
; %bb.57:
	scratch_load_b64 v[56:57], v41, off
	ds_load_b64 v[58:59], v1
	s_wait_loadcnt_dscnt 0x0
	v_pk_mul_f32 v[60:61], v[58:59], v[56:57] op_sel:[1,1] op_sel_hi:[0,1]
	s_delay_alu instid0(VALU_DEP_1) | instskip(SKIP_1) | instid1(VALU_DEP_2)
	v_pk_fma_f32 v[62:63], v[58:59], v[56:57], v[60:61] op_sel_hi:[1,0,1]
	v_pk_fma_f32 v[56:57], v[58:59], v[56:57], v[60:61] neg_lo:[0,0,1] neg_hi:[0,0,1]
	v_mov_b32_e32 v57, v63
	s_cbranch_execz .LBB25_59
	s_branch .LBB25_60
.LBB25_58:
                                        ; implicit-def: $vgpr56_vgpr57
.LBB25_59:
	ds_load_b64 v[56:57], v1
.LBB25_60:
	s_and_saveexec_b32 s16, s0
	s_cbranch_execz .LBB25_64
; %bb.61:
	v_subrev_nc_u32_e32 v58, 20, v0
	s_movk_i32 s17, 0x170
	s_mov_b32 s0, 0
.LBB25_62:                              ; =>This Inner Loop Header: Depth=1
	scratch_load_b64 v[60:61], off, s14
	v_dual_mov_b32 v59, s17 :: v_dual_add_nc_u32 v58, -1, v58
	s_add_co_i32 s17, s17, 8
	s_wait_xcnt 0x0
	s_add_co_i32 s14, s14, 8
	ds_load_b64 v[62:63], v59
	v_cmp_eq_u32_e32 vcc_lo, 0, v58
	s_or_b32 s0, vcc_lo, s0
	s_wait_loadcnt_dscnt 0x0
	v_pk_mul_f32 v[64:65], v[62:63], v[60:61] op_sel:[1,1] op_sel_hi:[0,1]
	s_delay_alu instid0(VALU_DEP_1) | instskip(SKIP_1) | instid1(VALU_DEP_2)
	v_pk_fma_f32 v[66:67], v[62:63], v[60:61], v[64:65] op_sel_hi:[1,0,1]
	v_pk_fma_f32 v[60:61], v[62:63], v[60:61], v[64:65] neg_lo:[0,0,1] neg_hi:[0,0,1]
	v_mov_b32_e32 v61, v67
	s_delay_alu instid0(VALU_DEP_1)
	v_pk_add_f32 v[56:57], v[56:57], v[60:61]
	s_and_not1_b32 exec_lo, exec_lo, s0
	s_cbranch_execnz .LBB25_62
; %bb.63:
	s_or_b32 exec_lo, exec_lo, s0
.LBB25_64:
	s_delay_alu instid0(SALU_CYCLE_1) | instskip(SKIP_4) | instid1(VALU_DEP_1)
	s_or_b32 exec_lo, exec_lo, s16
	v_mov_b32_e32 v58, 0
	ds_load_b64 v[58:59], v58 offset:152
	s_wait_dscnt 0x0
	v_pk_mul_f32 v[60:61], v[56:57], v[58:59] op_sel:[1,1] op_sel_hi:[0,1]
	v_pk_fma_f32 v[62:63], v[56:57], v[58:59], v[60:61] op_sel_hi:[1,0,1]
	v_pk_fma_f32 v[56:57], v[56:57], v[58:59], v[60:61] neg_lo:[0,0,1] neg_hi:[0,0,1]
	s_delay_alu instid0(VALU_DEP_2)
	v_mov_b32_e32 v57, v63
	scratch_store_b64 off, v[56:57], off offset:152
.LBB25_65:
	s_wait_xcnt 0x0
	s_or_b32 exec_lo, exec_lo, s15
	scratch_load_b64 v[56:57], off, off offset:144
	v_cmp_lt_u32_e64 s0, 18, v0
	s_wait_loadcnt 0x0
	ds_store_b64 v1, v[56:57]
	s_wait_storecnt_dscnt 0x0
	s_barrier_signal -1
	s_barrier_wait -1
	s_wait_xcnt 0x0
	s_and_saveexec_b32 s14, s0
	s_cbranch_execz .LBB25_75
; %bb.66:
	s_and_not1_b32 vcc_lo, exec_lo, s3
	s_cbranch_vccnz .LBB25_68
; %bb.67:
	scratch_load_b64 v[56:57], v41, off
	ds_load_b64 v[58:59], v1
	s_wait_loadcnt_dscnt 0x0
	v_pk_mul_f32 v[60:61], v[58:59], v[56:57] op_sel:[1,1] op_sel_hi:[0,1]
	s_delay_alu instid0(VALU_DEP_1) | instskip(SKIP_1) | instid1(VALU_DEP_2)
	v_pk_fma_f32 v[62:63], v[58:59], v[56:57], v[60:61] op_sel_hi:[1,0,1]
	v_pk_fma_f32 v[56:57], v[58:59], v[56:57], v[60:61] neg_lo:[0,0,1] neg_hi:[0,0,1]
	v_mov_b32_e32 v57, v63
	s_cbranch_execz .LBB25_69
	s_branch .LBB25_70
.LBB25_68:
                                        ; implicit-def: $vgpr56_vgpr57
.LBB25_69:
	ds_load_b64 v[56:57], v1
.LBB25_70:
	s_and_saveexec_b32 s15, s1
	s_cbranch_execz .LBB25_74
; %bb.71:
	v_subrev_nc_u32_e32 v58, 19, v0
	s_movk_i32 s1, 0x98
	s_movk_i32 s17, 0x168
	s_mov_b32 s16, 0
.LBB25_72:                              ; =>This Inner Loop Header: Depth=1
	scratch_load_b64 v[60:61], off, s1
	v_dual_mov_b32 v59, s17 :: v_dual_add_nc_u32 v58, -1, v58
	s_add_co_i32 s17, s17, 8
	s_wait_xcnt 0x0
	s_add_co_i32 s1, s1, 8
	ds_load_b64 v[62:63], v59
	v_cmp_eq_u32_e32 vcc_lo, 0, v58
	s_or_b32 s16, vcc_lo, s16
	s_wait_loadcnt_dscnt 0x0
	v_pk_mul_f32 v[64:65], v[62:63], v[60:61] op_sel:[1,1] op_sel_hi:[0,1]
	s_delay_alu instid0(VALU_DEP_1) | instskip(SKIP_1) | instid1(VALU_DEP_2)
	v_pk_fma_f32 v[66:67], v[62:63], v[60:61], v[64:65] op_sel_hi:[1,0,1]
	v_pk_fma_f32 v[60:61], v[62:63], v[60:61], v[64:65] neg_lo:[0,0,1] neg_hi:[0,0,1]
	v_mov_b32_e32 v61, v67
	s_delay_alu instid0(VALU_DEP_1)
	v_pk_add_f32 v[56:57], v[56:57], v[60:61]
	s_and_not1_b32 exec_lo, exec_lo, s16
	s_cbranch_execnz .LBB25_72
; %bb.73:
	s_or_b32 exec_lo, exec_lo, s16
.LBB25_74:
	s_delay_alu instid0(SALU_CYCLE_1) | instskip(SKIP_4) | instid1(VALU_DEP_1)
	s_or_b32 exec_lo, exec_lo, s15
	v_mov_b32_e32 v58, 0
	ds_load_b64 v[58:59], v58 offset:144
	s_wait_dscnt 0x0
	v_pk_mul_f32 v[60:61], v[56:57], v[58:59] op_sel:[1,1] op_sel_hi:[0,1]
	v_pk_fma_f32 v[62:63], v[56:57], v[58:59], v[60:61] op_sel_hi:[1,0,1]
	v_pk_fma_f32 v[56:57], v[56:57], v[58:59], v[60:61] neg_lo:[0,0,1] neg_hi:[0,0,1]
	s_delay_alu instid0(VALU_DEP_2)
	v_mov_b32_e32 v57, v63
	scratch_store_b64 off, v[56:57], off offset:144
.LBB25_75:
	s_wait_xcnt 0x0
	s_or_b32 exec_lo, exec_lo, s14
	scratch_load_b64 v[56:57], off, off offset:136
	v_cmp_lt_u32_e64 s1, 17, v0
	s_wait_loadcnt 0x0
	ds_store_b64 v1, v[56:57]
	s_wait_storecnt_dscnt 0x0
	s_barrier_signal -1
	s_barrier_wait -1
	s_wait_xcnt 0x0
	s_and_saveexec_b32 s14, s1
	s_cbranch_execz .LBB25_85
; %bb.76:
	s_and_not1_b32 vcc_lo, exec_lo, s3
	s_cbranch_vccnz .LBB25_78
; %bb.77:
	scratch_load_b64 v[56:57], v41, off
	ds_load_b64 v[58:59], v1
	s_wait_loadcnt_dscnt 0x0
	v_pk_mul_f32 v[60:61], v[58:59], v[56:57] op_sel:[1,1] op_sel_hi:[0,1]
	s_delay_alu instid0(VALU_DEP_1) | instskip(SKIP_1) | instid1(VALU_DEP_2)
	v_pk_fma_f32 v[62:63], v[58:59], v[56:57], v[60:61] op_sel_hi:[1,0,1]
	v_pk_fma_f32 v[56:57], v[58:59], v[56:57], v[60:61] neg_lo:[0,0,1] neg_hi:[0,0,1]
	v_mov_b32_e32 v57, v63
	s_cbranch_execz .LBB25_79
	s_branch .LBB25_80
.LBB25_78:
                                        ; implicit-def: $vgpr56_vgpr57
.LBB25_79:
	ds_load_b64 v[56:57], v1
.LBB25_80:
	s_and_saveexec_b32 s15, s0
	s_cbranch_execz .LBB25_84
; %bb.81:
	v_subrev_nc_u32_e32 v58, 18, v0
	s_movk_i32 s16, 0x160
	s_mov_b32 s0, 0
.LBB25_82:                              ; =>This Inner Loop Header: Depth=1
	scratch_load_b64 v[60:61], off, s13
	v_dual_mov_b32 v59, s16 :: v_dual_add_nc_u32 v58, -1, v58
	s_add_co_i32 s16, s16, 8
	s_wait_xcnt 0x0
	s_add_co_i32 s13, s13, 8
	ds_load_b64 v[62:63], v59
	v_cmp_eq_u32_e32 vcc_lo, 0, v58
	s_or_b32 s0, vcc_lo, s0
	s_wait_loadcnt_dscnt 0x0
	v_pk_mul_f32 v[64:65], v[62:63], v[60:61] op_sel:[1,1] op_sel_hi:[0,1]
	s_delay_alu instid0(VALU_DEP_1) | instskip(SKIP_1) | instid1(VALU_DEP_2)
	v_pk_fma_f32 v[66:67], v[62:63], v[60:61], v[64:65] op_sel_hi:[1,0,1]
	v_pk_fma_f32 v[60:61], v[62:63], v[60:61], v[64:65] neg_lo:[0,0,1] neg_hi:[0,0,1]
	v_mov_b32_e32 v61, v67
	s_delay_alu instid0(VALU_DEP_1)
	v_pk_add_f32 v[56:57], v[56:57], v[60:61]
	s_and_not1_b32 exec_lo, exec_lo, s0
	s_cbranch_execnz .LBB25_82
; %bb.83:
	s_or_b32 exec_lo, exec_lo, s0
.LBB25_84:
	s_delay_alu instid0(SALU_CYCLE_1) | instskip(SKIP_4) | instid1(VALU_DEP_1)
	s_or_b32 exec_lo, exec_lo, s15
	v_mov_b32_e32 v58, 0
	ds_load_b64 v[58:59], v58 offset:136
	s_wait_dscnt 0x0
	v_pk_mul_f32 v[60:61], v[56:57], v[58:59] op_sel:[1,1] op_sel_hi:[0,1]
	v_pk_fma_f32 v[62:63], v[56:57], v[58:59], v[60:61] op_sel_hi:[1,0,1]
	v_pk_fma_f32 v[56:57], v[56:57], v[58:59], v[60:61] neg_lo:[0,0,1] neg_hi:[0,0,1]
	s_delay_alu instid0(VALU_DEP_2)
	v_mov_b32_e32 v57, v63
	scratch_store_b64 off, v[56:57], off offset:136
.LBB25_85:
	s_wait_xcnt 0x0
	s_or_b32 exec_lo, exec_lo, s14
	scratch_load_b64 v[56:57], off, off offset:128
	v_cmp_lt_u32_e64 s0, 16, v0
	s_wait_loadcnt 0x0
	ds_store_b64 v1, v[56:57]
	s_wait_storecnt_dscnt 0x0
	s_barrier_signal -1
	s_barrier_wait -1
	s_wait_xcnt 0x0
	s_and_saveexec_b32 s13, s0
	s_cbranch_execz .LBB25_95
; %bb.86:
	s_and_not1_b32 vcc_lo, exec_lo, s3
	s_cbranch_vccnz .LBB25_88
; %bb.87:
	scratch_load_b64 v[56:57], v41, off
	ds_load_b64 v[58:59], v1
	s_wait_loadcnt_dscnt 0x0
	v_pk_mul_f32 v[60:61], v[58:59], v[56:57] op_sel:[1,1] op_sel_hi:[0,1]
	s_delay_alu instid0(VALU_DEP_1) | instskip(SKIP_1) | instid1(VALU_DEP_2)
	v_pk_fma_f32 v[62:63], v[58:59], v[56:57], v[60:61] op_sel_hi:[1,0,1]
	v_pk_fma_f32 v[56:57], v[58:59], v[56:57], v[60:61] neg_lo:[0,0,1] neg_hi:[0,0,1]
	v_mov_b32_e32 v57, v63
	s_cbranch_execz .LBB25_89
	s_branch .LBB25_90
.LBB25_88:
                                        ; implicit-def: $vgpr56_vgpr57
.LBB25_89:
	ds_load_b64 v[56:57], v1
.LBB25_90:
	s_and_saveexec_b32 s14, s1
	s_cbranch_execz .LBB25_94
; %bb.91:
	v_subrev_nc_u32_e32 v58, 17, v0
	s_movk_i32 s1, 0x88
	s_movk_i32 s16, 0x158
	s_mov_b32 s15, 0
.LBB25_92:                              ; =>This Inner Loop Header: Depth=1
	scratch_load_b64 v[60:61], off, s1
	v_dual_mov_b32 v59, s16 :: v_dual_add_nc_u32 v58, -1, v58
	s_add_co_i32 s16, s16, 8
	s_wait_xcnt 0x0
	s_add_co_i32 s1, s1, 8
	ds_load_b64 v[62:63], v59
	v_cmp_eq_u32_e32 vcc_lo, 0, v58
	s_or_b32 s15, vcc_lo, s15
	s_wait_loadcnt_dscnt 0x0
	v_pk_mul_f32 v[64:65], v[62:63], v[60:61] op_sel:[1,1] op_sel_hi:[0,1]
	s_delay_alu instid0(VALU_DEP_1) | instskip(SKIP_1) | instid1(VALU_DEP_2)
	v_pk_fma_f32 v[66:67], v[62:63], v[60:61], v[64:65] op_sel_hi:[1,0,1]
	v_pk_fma_f32 v[60:61], v[62:63], v[60:61], v[64:65] neg_lo:[0,0,1] neg_hi:[0,0,1]
	v_mov_b32_e32 v61, v67
	s_delay_alu instid0(VALU_DEP_1)
	v_pk_add_f32 v[56:57], v[56:57], v[60:61]
	s_and_not1_b32 exec_lo, exec_lo, s15
	s_cbranch_execnz .LBB25_92
; %bb.93:
	s_or_b32 exec_lo, exec_lo, s15
.LBB25_94:
	s_delay_alu instid0(SALU_CYCLE_1) | instskip(SKIP_4) | instid1(VALU_DEP_1)
	s_or_b32 exec_lo, exec_lo, s14
	v_mov_b32_e32 v58, 0
	ds_load_b64 v[58:59], v58 offset:128
	s_wait_dscnt 0x0
	v_pk_mul_f32 v[60:61], v[56:57], v[58:59] op_sel:[1,1] op_sel_hi:[0,1]
	v_pk_fma_f32 v[62:63], v[56:57], v[58:59], v[60:61] op_sel_hi:[1,0,1]
	v_pk_fma_f32 v[56:57], v[56:57], v[58:59], v[60:61] neg_lo:[0,0,1] neg_hi:[0,0,1]
	s_delay_alu instid0(VALU_DEP_2)
	v_mov_b32_e32 v57, v63
	scratch_store_b64 off, v[56:57], off offset:128
.LBB25_95:
	s_wait_xcnt 0x0
	s_or_b32 exec_lo, exec_lo, s13
	scratch_load_b64 v[56:57], off, off offset:120
	v_cmp_lt_u32_e64 s1, 15, v0
	s_wait_loadcnt 0x0
	ds_store_b64 v1, v[56:57]
	s_wait_storecnt_dscnt 0x0
	s_barrier_signal -1
	s_barrier_wait -1
	s_wait_xcnt 0x0
	s_and_saveexec_b32 s13, s1
	s_cbranch_execz .LBB25_105
; %bb.96:
	s_and_not1_b32 vcc_lo, exec_lo, s3
	s_cbranch_vccnz .LBB25_98
; %bb.97:
	scratch_load_b64 v[56:57], v41, off
	ds_load_b64 v[58:59], v1
	s_wait_loadcnt_dscnt 0x0
	v_pk_mul_f32 v[60:61], v[58:59], v[56:57] op_sel:[1,1] op_sel_hi:[0,1]
	s_delay_alu instid0(VALU_DEP_1) | instskip(SKIP_1) | instid1(VALU_DEP_2)
	v_pk_fma_f32 v[62:63], v[58:59], v[56:57], v[60:61] op_sel_hi:[1,0,1]
	v_pk_fma_f32 v[56:57], v[58:59], v[56:57], v[60:61] neg_lo:[0,0,1] neg_hi:[0,0,1]
	v_mov_b32_e32 v57, v63
	s_cbranch_execz .LBB25_99
	s_branch .LBB25_100
.LBB25_98:
                                        ; implicit-def: $vgpr56_vgpr57
.LBB25_99:
	ds_load_b64 v[56:57], v1
.LBB25_100:
	s_and_saveexec_b32 s14, s0
	s_cbranch_execz .LBB25_104
; %bb.101:
	v_add_nc_u32_e32 v58, -16, v0
	s_movk_i32 s15, 0x150
	s_mov_b32 s0, 0
.LBB25_102:                             ; =>This Inner Loop Header: Depth=1
	scratch_load_b64 v[60:61], off, s12
	v_dual_mov_b32 v59, s15 :: v_dual_add_nc_u32 v58, -1, v58
	s_add_co_i32 s15, s15, 8
	s_wait_xcnt 0x0
	s_add_co_i32 s12, s12, 8
	ds_load_b64 v[62:63], v59
	v_cmp_eq_u32_e32 vcc_lo, 0, v58
	s_or_b32 s0, vcc_lo, s0
	s_wait_loadcnt_dscnt 0x0
	v_pk_mul_f32 v[64:65], v[62:63], v[60:61] op_sel:[1,1] op_sel_hi:[0,1]
	s_delay_alu instid0(VALU_DEP_1) | instskip(SKIP_1) | instid1(VALU_DEP_2)
	v_pk_fma_f32 v[66:67], v[62:63], v[60:61], v[64:65] op_sel_hi:[1,0,1]
	v_pk_fma_f32 v[60:61], v[62:63], v[60:61], v[64:65] neg_lo:[0,0,1] neg_hi:[0,0,1]
	v_mov_b32_e32 v61, v67
	s_delay_alu instid0(VALU_DEP_1)
	v_pk_add_f32 v[56:57], v[56:57], v[60:61]
	s_and_not1_b32 exec_lo, exec_lo, s0
	s_cbranch_execnz .LBB25_102
; %bb.103:
	s_or_b32 exec_lo, exec_lo, s0
.LBB25_104:
	s_delay_alu instid0(SALU_CYCLE_1) | instskip(SKIP_4) | instid1(VALU_DEP_1)
	s_or_b32 exec_lo, exec_lo, s14
	v_mov_b32_e32 v58, 0
	ds_load_b64 v[58:59], v58 offset:120
	s_wait_dscnt 0x0
	v_pk_mul_f32 v[60:61], v[56:57], v[58:59] op_sel:[1,1] op_sel_hi:[0,1]
	v_pk_fma_f32 v[62:63], v[56:57], v[58:59], v[60:61] op_sel_hi:[1,0,1]
	v_pk_fma_f32 v[56:57], v[56:57], v[58:59], v[60:61] neg_lo:[0,0,1] neg_hi:[0,0,1]
	s_delay_alu instid0(VALU_DEP_2)
	v_mov_b32_e32 v57, v63
	scratch_store_b64 off, v[56:57], off offset:120
.LBB25_105:
	s_wait_xcnt 0x0
	s_or_b32 exec_lo, exec_lo, s13
	scratch_load_b64 v[56:57], off, off offset:112
	v_cmp_lt_u32_e64 s0, 14, v0
	s_wait_loadcnt 0x0
	ds_store_b64 v1, v[56:57]
	s_wait_storecnt_dscnt 0x0
	s_barrier_signal -1
	s_barrier_wait -1
	s_wait_xcnt 0x0
	s_and_saveexec_b32 s12, s0
	s_cbranch_execz .LBB25_115
; %bb.106:
	s_and_not1_b32 vcc_lo, exec_lo, s3
	s_cbranch_vccnz .LBB25_108
; %bb.107:
	scratch_load_b64 v[56:57], v41, off
	ds_load_b64 v[58:59], v1
	s_wait_loadcnt_dscnt 0x0
	v_pk_mul_f32 v[60:61], v[58:59], v[56:57] op_sel:[1,1] op_sel_hi:[0,1]
	s_delay_alu instid0(VALU_DEP_1) | instskip(SKIP_1) | instid1(VALU_DEP_2)
	v_pk_fma_f32 v[62:63], v[58:59], v[56:57], v[60:61] op_sel_hi:[1,0,1]
	v_pk_fma_f32 v[56:57], v[58:59], v[56:57], v[60:61] neg_lo:[0,0,1] neg_hi:[0,0,1]
	v_mov_b32_e32 v57, v63
	s_cbranch_execz .LBB25_109
	s_branch .LBB25_110
.LBB25_108:
                                        ; implicit-def: $vgpr56_vgpr57
.LBB25_109:
	ds_load_b64 v[56:57], v1
.LBB25_110:
	s_and_saveexec_b32 s13, s1
	s_cbranch_execz .LBB25_114
; %bb.111:
	v_add_nc_u32_e32 v58, -15, v0
	s_movk_i32 s1, 0x78
	s_movk_i32 s15, 0x148
	s_mov_b32 s14, 0
.LBB25_112:                             ; =>This Inner Loop Header: Depth=1
	scratch_load_b64 v[60:61], off, s1
	v_dual_mov_b32 v59, s15 :: v_dual_add_nc_u32 v58, -1, v58
	s_add_co_i32 s15, s15, 8
	s_wait_xcnt 0x0
	s_add_co_i32 s1, s1, 8
	ds_load_b64 v[62:63], v59
	v_cmp_eq_u32_e32 vcc_lo, 0, v58
	s_or_b32 s14, vcc_lo, s14
	s_wait_loadcnt_dscnt 0x0
	v_pk_mul_f32 v[64:65], v[62:63], v[60:61] op_sel:[1,1] op_sel_hi:[0,1]
	s_delay_alu instid0(VALU_DEP_1) | instskip(SKIP_1) | instid1(VALU_DEP_2)
	v_pk_fma_f32 v[66:67], v[62:63], v[60:61], v[64:65] op_sel_hi:[1,0,1]
	v_pk_fma_f32 v[60:61], v[62:63], v[60:61], v[64:65] neg_lo:[0,0,1] neg_hi:[0,0,1]
	v_mov_b32_e32 v61, v67
	s_delay_alu instid0(VALU_DEP_1)
	v_pk_add_f32 v[56:57], v[56:57], v[60:61]
	s_and_not1_b32 exec_lo, exec_lo, s14
	s_cbranch_execnz .LBB25_112
; %bb.113:
	s_or_b32 exec_lo, exec_lo, s14
.LBB25_114:
	s_delay_alu instid0(SALU_CYCLE_1) | instskip(SKIP_4) | instid1(VALU_DEP_1)
	s_or_b32 exec_lo, exec_lo, s13
	v_mov_b32_e32 v58, 0
	ds_load_b64 v[58:59], v58 offset:112
	s_wait_dscnt 0x0
	v_pk_mul_f32 v[60:61], v[56:57], v[58:59] op_sel:[1,1] op_sel_hi:[0,1]
	v_pk_fma_f32 v[62:63], v[56:57], v[58:59], v[60:61] op_sel_hi:[1,0,1]
	v_pk_fma_f32 v[56:57], v[56:57], v[58:59], v[60:61] neg_lo:[0,0,1] neg_hi:[0,0,1]
	s_delay_alu instid0(VALU_DEP_2)
	v_mov_b32_e32 v57, v63
	scratch_store_b64 off, v[56:57], off offset:112
.LBB25_115:
	s_wait_xcnt 0x0
	s_or_b32 exec_lo, exec_lo, s12
	scratch_load_b64 v[56:57], off, off offset:104
	v_cmp_lt_u32_e64 s1, 13, v0
	s_wait_loadcnt 0x0
	ds_store_b64 v1, v[56:57]
	s_wait_storecnt_dscnt 0x0
	s_barrier_signal -1
	s_barrier_wait -1
	s_wait_xcnt 0x0
	s_and_saveexec_b32 s12, s1
	s_cbranch_execz .LBB25_125
; %bb.116:
	s_and_not1_b32 vcc_lo, exec_lo, s3
	s_cbranch_vccnz .LBB25_118
; %bb.117:
	scratch_load_b64 v[56:57], v41, off
	ds_load_b64 v[58:59], v1
	s_wait_loadcnt_dscnt 0x0
	v_pk_mul_f32 v[60:61], v[58:59], v[56:57] op_sel:[1,1] op_sel_hi:[0,1]
	s_delay_alu instid0(VALU_DEP_1) | instskip(SKIP_1) | instid1(VALU_DEP_2)
	v_pk_fma_f32 v[62:63], v[58:59], v[56:57], v[60:61] op_sel_hi:[1,0,1]
	v_pk_fma_f32 v[56:57], v[58:59], v[56:57], v[60:61] neg_lo:[0,0,1] neg_hi:[0,0,1]
	v_mov_b32_e32 v57, v63
	s_cbranch_execz .LBB25_119
	s_branch .LBB25_120
.LBB25_118:
                                        ; implicit-def: $vgpr56_vgpr57
.LBB25_119:
	ds_load_b64 v[56:57], v1
.LBB25_120:
	s_and_saveexec_b32 s13, s0
	s_cbranch_execz .LBB25_124
; %bb.121:
	v_add_nc_u32_e32 v58, -14, v0
	s_movk_i32 s14, 0x140
	s_mov_b32 s0, 0
.LBB25_122:                             ; =>This Inner Loop Header: Depth=1
	scratch_load_b64 v[60:61], off, s11
	v_dual_mov_b32 v59, s14 :: v_dual_add_nc_u32 v58, -1, v58
	s_add_co_i32 s14, s14, 8
	s_wait_xcnt 0x0
	s_add_co_i32 s11, s11, 8
	ds_load_b64 v[62:63], v59
	v_cmp_eq_u32_e32 vcc_lo, 0, v58
	s_or_b32 s0, vcc_lo, s0
	s_wait_loadcnt_dscnt 0x0
	v_pk_mul_f32 v[64:65], v[62:63], v[60:61] op_sel:[1,1] op_sel_hi:[0,1]
	s_delay_alu instid0(VALU_DEP_1) | instskip(SKIP_1) | instid1(VALU_DEP_2)
	v_pk_fma_f32 v[66:67], v[62:63], v[60:61], v[64:65] op_sel_hi:[1,0,1]
	v_pk_fma_f32 v[60:61], v[62:63], v[60:61], v[64:65] neg_lo:[0,0,1] neg_hi:[0,0,1]
	v_mov_b32_e32 v61, v67
	s_delay_alu instid0(VALU_DEP_1)
	v_pk_add_f32 v[56:57], v[56:57], v[60:61]
	s_and_not1_b32 exec_lo, exec_lo, s0
	s_cbranch_execnz .LBB25_122
; %bb.123:
	s_or_b32 exec_lo, exec_lo, s0
.LBB25_124:
	s_delay_alu instid0(SALU_CYCLE_1) | instskip(SKIP_4) | instid1(VALU_DEP_1)
	s_or_b32 exec_lo, exec_lo, s13
	v_mov_b32_e32 v58, 0
	ds_load_b64 v[58:59], v58 offset:104
	s_wait_dscnt 0x0
	v_pk_mul_f32 v[60:61], v[56:57], v[58:59] op_sel:[1,1] op_sel_hi:[0,1]
	v_pk_fma_f32 v[62:63], v[56:57], v[58:59], v[60:61] op_sel_hi:[1,0,1]
	v_pk_fma_f32 v[56:57], v[56:57], v[58:59], v[60:61] neg_lo:[0,0,1] neg_hi:[0,0,1]
	s_delay_alu instid0(VALU_DEP_2)
	v_mov_b32_e32 v57, v63
	scratch_store_b64 off, v[56:57], off offset:104
.LBB25_125:
	s_wait_xcnt 0x0
	s_or_b32 exec_lo, exec_lo, s12
	scratch_load_b64 v[56:57], off, off offset:96
	v_cmp_lt_u32_e64 s0, 12, v0
	s_wait_loadcnt 0x0
	ds_store_b64 v1, v[56:57]
	s_wait_storecnt_dscnt 0x0
	s_barrier_signal -1
	s_barrier_wait -1
	s_wait_xcnt 0x0
	s_and_saveexec_b32 s11, s0
	s_cbranch_execz .LBB25_135
; %bb.126:
	s_and_not1_b32 vcc_lo, exec_lo, s3
	s_cbranch_vccnz .LBB25_128
; %bb.127:
	scratch_load_b64 v[56:57], v41, off
	ds_load_b64 v[58:59], v1
	s_wait_loadcnt_dscnt 0x0
	v_pk_mul_f32 v[60:61], v[58:59], v[56:57] op_sel:[1,1] op_sel_hi:[0,1]
	s_delay_alu instid0(VALU_DEP_1) | instskip(SKIP_1) | instid1(VALU_DEP_2)
	v_pk_fma_f32 v[62:63], v[58:59], v[56:57], v[60:61] op_sel_hi:[1,0,1]
	v_pk_fma_f32 v[56:57], v[58:59], v[56:57], v[60:61] neg_lo:[0,0,1] neg_hi:[0,0,1]
	v_mov_b32_e32 v57, v63
	s_cbranch_execz .LBB25_129
	s_branch .LBB25_130
.LBB25_128:
                                        ; implicit-def: $vgpr56_vgpr57
.LBB25_129:
	ds_load_b64 v[56:57], v1
.LBB25_130:
	s_and_saveexec_b32 s12, s1
	s_cbranch_execz .LBB25_134
; %bb.131:
	v_add_nc_u32_e32 v58, -13, v0
	s_movk_i32 s1, 0x68
	s_movk_i32 s14, 0x138
	s_mov_b32 s13, 0
.LBB25_132:                             ; =>This Inner Loop Header: Depth=1
	scratch_load_b64 v[60:61], off, s1
	v_dual_mov_b32 v59, s14 :: v_dual_add_nc_u32 v58, -1, v58
	s_add_co_i32 s14, s14, 8
	s_wait_xcnt 0x0
	s_add_co_i32 s1, s1, 8
	ds_load_b64 v[62:63], v59
	v_cmp_eq_u32_e32 vcc_lo, 0, v58
	s_or_b32 s13, vcc_lo, s13
	s_wait_loadcnt_dscnt 0x0
	v_pk_mul_f32 v[64:65], v[62:63], v[60:61] op_sel:[1,1] op_sel_hi:[0,1]
	s_delay_alu instid0(VALU_DEP_1) | instskip(SKIP_1) | instid1(VALU_DEP_2)
	v_pk_fma_f32 v[66:67], v[62:63], v[60:61], v[64:65] op_sel_hi:[1,0,1]
	v_pk_fma_f32 v[60:61], v[62:63], v[60:61], v[64:65] neg_lo:[0,0,1] neg_hi:[0,0,1]
	v_mov_b32_e32 v61, v67
	s_delay_alu instid0(VALU_DEP_1)
	v_pk_add_f32 v[56:57], v[56:57], v[60:61]
	s_and_not1_b32 exec_lo, exec_lo, s13
	s_cbranch_execnz .LBB25_132
; %bb.133:
	s_or_b32 exec_lo, exec_lo, s13
.LBB25_134:
	s_delay_alu instid0(SALU_CYCLE_1) | instskip(SKIP_4) | instid1(VALU_DEP_1)
	s_or_b32 exec_lo, exec_lo, s12
	v_mov_b32_e32 v58, 0
	ds_load_b64 v[58:59], v58 offset:96
	s_wait_dscnt 0x0
	v_pk_mul_f32 v[60:61], v[56:57], v[58:59] op_sel:[1,1] op_sel_hi:[0,1]
	v_pk_fma_f32 v[62:63], v[56:57], v[58:59], v[60:61] op_sel_hi:[1,0,1]
	v_pk_fma_f32 v[56:57], v[56:57], v[58:59], v[60:61] neg_lo:[0,0,1] neg_hi:[0,0,1]
	s_delay_alu instid0(VALU_DEP_2)
	v_mov_b32_e32 v57, v63
	scratch_store_b64 off, v[56:57], off offset:96
.LBB25_135:
	s_wait_xcnt 0x0
	s_or_b32 exec_lo, exec_lo, s11
	scratch_load_b64 v[56:57], off, off offset:88
	v_cmp_lt_u32_e64 s1, 11, v0
	s_wait_loadcnt 0x0
	ds_store_b64 v1, v[56:57]
	s_wait_storecnt_dscnt 0x0
	s_barrier_signal -1
	s_barrier_wait -1
	s_wait_xcnt 0x0
	s_and_saveexec_b32 s11, s1
	s_cbranch_execz .LBB25_145
; %bb.136:
	s_and_not1_b32 vcc_lo, exec_lo, s3
	s_cbranch_vccnz .LBB25_138
; %bb.137:
	scratch_load_b64 v[56:57], v41, off
	ds_load_b64 v[58:59], v1
	s_wait_loadcnt_dscnt 0x0
	v_pk_mul_f32 v[60:61], v[58:59], v[56:57] op_sel:[1,1] op_sel_hi:[0,1]
	s_delay_alu instid0(VALU_DEP_1) | instskip(SKIP_1) | instid1(VALU_DEP_2)
	v_pk_fma_f32 v[62:63], v[58:59], v[56:57], v[60:61] op_sel_hi:[1,0,1]
	v_pk_fma_f32 v[56:57], v[58:59], v[56:57], v[60:61] neg_lo:[0,0,1] neg_hi:[0,0,1]
	v_mov_b32_e32 v57, v63
	s_cbranch_execz .LBB25_139
	s_branch .LBB25_140
.LBB25_138:
                                        ; implicit-def: $vgpr56_vgpr57
.LBB25_139:
	ds_load_b64 v[56:57], v1
.LBB25_140:
	s_and_saveexec_b32 s12, s0
	s_cbranch_execz .LBB25_144
; %bb.141:
	v_add_nc_u32_e32 v58, -12, v0
	s_movk_i32 s13, 0x130
	s_mov_b32 s0, 0
.LBB25_142:                             ; =>This Inner Loop Header: Depth=1
	scratch_load_b64 v[60:61], off, s10
	v_dual_mov_b32 v59, s13 :: v_dual_add_nc_u32 v58, -1, v58
	s_add_co_i32 s13, s13, 8
	s_wait_xcnt 0x0
	s_add_co_i32 s10, s10, 8
	ds_load_b64 v[62:63], v59
	v_cmp_eq_u32_e32 vcc_lo, 0, v58
	s_or_b32 s0, vcc_lo, s0
	s_wait_loadcnt_dscnt 0x0
	v_pk_mul_f32 v[64:65], v[62:63], v[60:61] op_sel:[1,1] op_sel_hi:[0,1]
	s_delay_alu instid0(VALU_DEP_1) | instskip(SKIP_1) | instid1(VALU_DEP_2)
	v_pk_fma_f32 v[66:67], v[62:63], v[60:61], v[64:65] op_sel_hi:[1,0,1]
	v_pk_fma_f32 v[60:61], v[62:63], v[60:61], v[64:65] neg_lo:[0,0,1] neg_hi:[0,0,1]
	v_mov_b32_e32 v61, v67
	s_delay_alu instid0(VALU_DEP_1)
	v_pk_add_f32 v[56:57], v[56:57], v[60:61]
	s_and_not1_b32 exec_lo, exec_lo, s0
	s_cbranch_execnz .LBB25_142
; %bb.143:
	s_or_b32 exec_lo, exec_lo, s0
.LBB25_144:
	s_delay_alu instid0(SALU_CYCLE_1) | instskip(SKIP_4) | instid1(VALU_DEP_1)
	s_or_b32 exec_lo, exec_lo, s12
	v_mov_b32_e32 v58, 0
	ds_load_b64 v[58:59], v58 offset:88
	s_wait_dscnt 0x0
	v_pk_mul_f32 v[60:61], v[56:57], v[58:59] op_sel:[1,1] op_sel_hi:[0,1]
	v_pk_fma_f32 v[62:63], v[56:57], v[58:59], v[60:61] op_sel_hi:[1,0,1]
	v_pk_fma_f32 v[56:57], v[56:57], v[58:59], v[60:61] neg_lo:[0,0,1] neg_hi:[0,0,1]
	s_delay_alu instid0(VALU_DEP_2)
	v_mov_b32_e32 v57, v63
	scratch_store_b64 off, v[56:57], off offset:88
.LBB25_145:
	s_wait_xcnt 0x0
	s_or_b32 exec_lo, exec_lo, s11
	scratch_load_b64 v[56:57], off, off offset:80
	v_cmp_lt_u32_e64 s0, 10, v0
	s_wait_loadcnt 0x0
	ds_store_b64 v1, v[56:57]
	s_wait_storecnt_dscnt 0x0
	s_barrier_signal -1
	s_barrier_wait -1
	s_wait_xcnt 0x0
	s_and_saveexec_b32 s10, s0
	s_cbranch_execz .LBB25_155
; %bb.146:
	s_and_not1_b32 vcc_lo, exec_lo, s3
	s_cbranch_vccnz .LBB25_148
; %bb.147:
	scratch_load_b64 v[56:57], v41, off
	ds_load_b64 v[58:59], v1
	s_wait_loadcnt_dscnt 0x0
	v_pk_mul_f32 v[60:61], v[58:59], v[56:57] op_sel:[1,1] op_sel_hi:[0,1]
	s_delay_alu instid0(VALU_DEP_1) | instskip(SKIP_1) | instid1(VALU_DEP_2)
	v_pk_fma_f32 v[62:63], v[58:59], v[56:57], v[60:61] op_sel_hi:[1,0,1]
	v_pk_fma_f32 v[56:57], v[58:59], v[56:57], v[60:61] neg_lo:[0,0,1] neg_hi:[0,0,1]
	v_mov_b32_e32 v57, v63
	s_cbranch_execz .LBB25_149
	s_branch .LBB25_150
.LBB25_148:
                                        ; implicit-def: $vgpr56_vgpr57
.LBB25_149:
	ds_load_b64 v[56:57], v1
.LBB25_150:
	s_and_saveexec_b32 s11, s1
	s_cbranch_execz .LBB25_154
; %bb.151:
	v_add_nc_u32_e32 v58, -11, v0
	s_movk_i32 s1, 0x58
	s_movk_i32 s13, 0x128
	s_mov_b32 s12, 0
.LBB25_152:                             ; =>This Inner Loop Header: Depth=1
	scratch_load_b64 v[60:61], off, s1
	v_dual_mov_b32 v59, s13 :: v_dual_add_nc_u32 v58, -1, v58
	s_add_co_i32 s13, s13, 8
	s_wait_xcnt 0x0
	s_add_co_i32 s1, s1, 8
	ds_load_b64 v[62:63], v59
	v_cmp_eq_u32_e32 vcc_lo, 0, v58
	s_or_b32 s12, vcc_lo, s12
	s_wait_loadcnt_dscnt 0x0
	v_pk_mul_f32 v[64:65], v[62:63], v[60:61] op_sel:[1,1] op_sel_hi:[0,1]
	s_delay_alu instid0(VALU_DEP_1) | instskip(SKIP_1) | instid1(VALU_DEP_2)
	v_pk_fma_f32 v[66:67], v[62:63], v[60:61], v[64:65] op_sel_hi:[1,0,1]
	v_pk_fma_f32 v[60:61], v[62:63], v[60:61], v[64:65] neg_lo:[0,0,1] neg_hi:[0,0,1]
	v_mov_b32_e32 v61, v67
	s_delay_alu instid0(VALU_DEP_1)
	v_pk_add_f32 v[56:57], v[56:57], v[60:61]
	s_and_not1_b32 exec_lo, exec_lo, s12
	s_cbranch_execnz .LBB25_152
; %bb.153:
	s_or_b32 exec_lo, exec_lo, s12
.LBB25_154:
	s_delay_alu instid0(SALU_CYCLE_1) | instskip(SKIP_4) | instid1(VALU_DEP_1)
	s_or_b32 exec_lo, exec_lo, s11
	v_mov_b32_e32 v58, 0
	ds_load_b64 v[58:59], v58 offset:80
	s_wait_dscnt 0x0
	v_pk_mul_f32 v[60:61], v[56:57], v[58:59] op_sel:[1,1] op_sel_hi:[0,1]
	v_pk_fma_f32 v[62:63], v[56:57], v[58:59], v[60:61] op_sel_hi:[1,0,1]
	v_pk_fma_f32 v[56:57], v[56:57], v[58:59], v[60:61] neg_lo:[0,0,1] neg_hi:[0,0,1]
	s_delay_alu instid0(VALU_DEP_2)
	v_mov_b32_e32 v57, v63
	scratch_store_b64 off, v[56:57], off offset:80
.LBB25_155:
	s_wait_xcnt 0x0
	s_or_b32 exec_lo, exec_lo, s10
	scratch_load_b64 v[56:57], off, off offset:72
	v_cmp_lt_u32_e64 s1, 9, v0
	s_wait_loadcnt 0x0
	ds_store_b64 v1, v[56:57]
	s_wait_storecnt_dscnt 0x0
	s_barrier_signal -1
	s_barrier_wait -1
	s_wait_xcnt 0x0
	s_and_saveexec_b32 s10, s1
	s_cbranch_execz .LBB25_165
; %bb.156:
	s_and_not1_b32 vcc_lo, exec_lo, s3
	s_cbranch_vccnz .LBB25_158
; %bb.157:
	scratch_load_b64 v[56:57], v41, off
	ds_load_b64 v[58:59], v1
	s_wait_loadcnt_dscnt 0x0
	v_pk_mul_f32 v[60:61], v[58:59], v[56:57] op_sel:[1,1] op_sel_hi:[0,1]
	s_delay_alu instid0(VALU_DEP_1) | instskip(SKIP_1) | instid1(VALU_DEP_2)
	v_pk_fma_f32 v[62:63], v[58:59], v[56:57], v[60:61] op_sel_hi:[1,0,1]
	v_pk_fma_f32 v[56:57], v[58:59], v[56:57], v[60:61] neg_lo:[0,0,1] neg_hi:[0,0,1]
	v_mov_b32_e32 v57, v63
	s_cbranch_execz .LBB25_159
	s_branch .LBB25_160
.LBB25_158:
                                        ; implicit-def: $vgpr56_vgpr57
.LBB25_159:
	ds_load_b64 v[56:57], v1
.LBB25_160:
	s_and_saveexec_b32 s11, s0
	s_cbranch_execz .LBB25_164
; %bb.161:
	v_add_nc_u32_e32 v58, -10, v0
	s_movk_i32 s12, 0x120
	s_mov_b32 s0, 0
.LBB25_162:                             ; =>This Inner Loop Header: Depth=1
	scratch_load_b64 v[60:61], off, s9
	v_dual_mov_b32 v59, s12 :: v_dual_add_nc_u32 v58, -1, v58
	s_add_co_i32 s12, s12, 8
	s_wait_xcnt 0x0
	s_add_co_i32 s9, s9, 8
	ds_load_b64 v[62:63], v59
	v_cmp_eq_u32_e32 vcc_lo, 0, v58
	s_or_b32 s0, vcc_lo, s0
	s_wait_loadcnt_dscnt 0x0
	v_pk_mul_f32 v[64:65], v[62:63], v[60:61] op_sel:[1,1] op_sel_hi:[0,1]
	s_delay_alu instid0(VALU_DEP_1) | instskip(SKIP_1) | instid1(VALU_DEP_2)
	v_pk_fma_f32 v[66:67], v[62:63], v[60:61], v[64:65] op_sel_hi:[1,0,1]
	v_pk_fma_f32 v[60:61], v[62:63], v[60:61], v[64:65] neg_lo:[0,0,1] neg_hi:[0,0,1]
	v_mov_b32_e32 v61, v67
	s_delay_alu instid0(VALU_DEP_1)
	v_pk_add_f32 v[56:57], v[56:57], v[60:61]
	s_and_not1_b32 exec_lo, exec_lo, s0
	s_cbranch_execnz .LBB25_162
; %bb.163:
	s_or_b32 exec_lo, exec_lo, s0
.LBB25_164:
	s_delay_alu instid0(SALU_CYCLE_1) | instskip(SKIP_4) | instid1(VALU_DEP_1)
	s_or_b32 exec_lo, exec_lo, s11
	v_mov_b32_e32 v58, 0
	ds_load_b64 v[58:59], v58 offset:72
	s_wait_dscnt 0x0
	v_pk_mul_f32 v[60:61], v[56:57], v[58:59] op_sel:[1,1] op_sel_hi:[0,1]
	v_pk_fma_f32 v[62:63], v[56:57], v[58:59], v[60:61] op_sel_hi:[1,0,1]
	v_pk_fma_f32 v[56:57], v[56:57], v[58:59], v[60:61] neg_lo:[0,0,1] neg_hi:[0,0,1]
	s_delay_alu instid0(VALU_DEP_2)
	v_mov_b32_e32 v57, v63
	scratch_store_b64 off, v[56:57], off offset:72
.LBB25_165:
	s_wait_xcnt 0x0
	s_or_b32 exec_lo, exec_lo, s10
	scratch_load_b64 v[56:57], off, off offset:64
	v_cmp_lt_u32_e64 s0, 8, v0
	s_wait_loadcnt 0x0
	ds_store_b64 v1, v[56:57]
	s_wait_storecnt_dscnt 0x0
	s_barrier_signal -1
	s_barrier_wait -1
	s_wait_xcnt 0x0
	s_and_saveexec_b32 s9, s0
	s_cbranch_execz .LBB25_175
; %bb.166:
	s_and_not1_b32 vcc_lo, exec_lo, s3
	s_cbranch_vccnz .LBB25_168
; %bb.167:
	scratch_load_b64 v[56:57], v41, off
	ds_load_b64 v[58:59], v1
	s_wait_loadcnt_dscnt 0x0
	v_pk_mul_f32 v[60:61], v[58:59], v[56:57] op_sel:[1,1] op_sel_hi:[0,1]
	s_delay_alu instid0(VALU_DEP_1) | instskip(SKIP_1) | instid1(VALU_DEP_2)
	v_pk_fma_f32 v[62:63], v[58:59], v[56:57], v[60:61] op_sel_hi:[1,0,1]
	v_pk_fma_f32 v[56:57], v[58:59], v[56:57], v[60:61] neg_lo:[0,0,1] neg_hi:[0,0,1]
	v_mov_b32_e32 v57, v63
	s_cbranch_execz .LBB25_169
	s_branch .LBB25_170
.LBB25_168:
                                        ; implicit-def: $vgpr56_vgpr57
.LBB25_169:
	ds_load_b64 v[56:57], v1
.LBB25_170:
	s_and_saveexec_b32 s10, s1
	s_cbranch_execz .LBB25_174
; %bb.171:
	v_add_nc_u32_e32 v58, -9, v0
	s_movk_i32 s1, 0x48
	s_movk_i32 s12, 0x118
	s_mov_b32 s11, 0
.LBB25_172:                             ; =>This Inner Loop Header: Depth=1
	scratch_load_b64 v[60:61], off, s1
	v_dual_mov_b32 v59, s12 :: v_dual_add_nc_u32 v58, -1, v58
	s_add_co_i32 s12, s12, 8
	s_wait_xcnt 0x0
	s_add_co_i32 s1, s1, 8
	ds_load_b64 v[62:63], v59
	v_cmp_eq_u32_e32 vcc_lo, 0, v58
	s_or_b32 s11, vcc_lo, s11
	s_wait_loadcnt_dscnt 0x0
	v_pk_mul_f32 v[64:65], v[62:63], v[60:61] op_sel:[1,1] op_sel_hi:[0,1]
	s_delay_alu instid0(VALU_DEP_1) | instskip(SKIP_1) | instid1(VALU_DEP_2)
	v_pk_fma_f32 v[66:67], v[62:63], v[60:61], v[64:65] op_sel_hi:[1,0,1]
	v_pk_fma_f32 v[60:61], v[62:63], v[60:61], v[64:65] neg_lo:[0,0,1] neg_hi:[0,0,1]
	v_mov_b32_e32 v61, v67
	s_delay_alu instid0(VALU_DEP_1)
	v_pk_add_f32 v[56:57], v[56:57], v[60:61]
	s_and_not1_b32 exec_lo, exec_lo, s11
	s_cbranch_execnz .LBB25_172
; %bb.173:
	s_or_b32 exec_lo, exec_lo, s11
.LBB25_174:
	s_delay_alu instid0(SALU_CYCLE_1) | instskip(SKIP_4) | instid1(VALU_DEP_1)
	s_or_b32 exec_lo, exec_lo, s10
	v_mov_b32_e32 v58, 0
	ds_load_b64 v[58:59], v58 offset:64
	s_wait_dscnt 0x0
	v_pk_mul_f32 v[60:61], v[56:57], v[58:59] op_sel:[1,1] op_sel_hi:[0,1]
	v_pk_fma_f32 v[62:63], v[56:57], v[58:59], v[60:61] op_sel_hi:[1,0,1]
	v_pk_fma_f32 v[56:57], v[56:57], v[58:59], v[60:61] neg_lo:[0,0,1] neg_hi:[0,0,1]
	s_delay_alu instid0(VALU_DEP_2)
	v_mov_b32_e32 v57, v63
	scratch_store_b64 off, v[56:57], off offset:64
.LBB25_175:
	s_wait_xcnt 0x0
	s_or_b32 exec_lo, exec_lo, s9
	scratch_load_b64 v[56:57], off, off offset:56
	v_cmp_lt_u32_e64 s1, 7, v0
	s_wait_loadcnt 0x0
	ds_store_b64 v1, v[56:57]
	s_wait_storecnt_dscnt 0x0
	s_barrier_signal -1
	s_barrier_wait -1
	s_wait_xcnt 0x0
	s_and_saveexec_b32 s9, s1
	s_cbranch_execz .LBB25_185
; %bb.176:
	s_and_not1_b32 vcc_lo, exec_lo, s3
	s_cbranch_vccnz .LBB25_178
; %bb.177:
	scratch_load_b64 v[56:57], v41, off
	ds_load_b64 v[58:59], v1
	s_wait_loadcnt_dscnt 0x0
	v_pk_mul_f32 v[60:61], v[58:59], v[56:57] op_sel:[1,1] op_sel_hi:[0,1]
	s_delay_alu instid0(VALU_DEP_1) | instskip(SKIP_1) | instid1(VALU_DEP_2)
	v_pk_fma_f32 v[62:63], v[58:59], v[56:57], v[60:61] op_sel_hi:[1,0,1]
	v_pk_fma_f32 v[56:57], v[58:59], v[56:57], v[60:61] neg_lo:[0,0,1] neg_hi:[0,0,1]
	v_mov_b32_e32 v57, v63
	s_cbranch_execz .LBB25_179
	s_branch .LBB25_180
.LBB25_178:
                                        ; implicit-def: $vgpr56_vgpr57
.LBB25_179:
	ds_load_b64 v[56:57], v1
.LBB25_180:
	s_and_saveexec_b32 s10, s0
	s_cbranch_execz .LBB25_184
; %bb.181:
	v_add_nc_u32_e32 v58, -8, v0
	s_movk_i32 s11, 0x110
	s_mov_b32 s0, 0
.LBB25_182:                             ; =>This Inner Loop Header: Depth=1
	scratch_load_b64 v[60:61], off, s8
	v_dual_mov_b32 v59, s11 :: v_dual_add_nc_u32 v58, -1, v58
	s_add_co_i32 s11, s11, 8
	s_wait_xcnt 0x0
	s_add_co_i32 s8, s8, 8
	ds_load_b64 v[62:63], v59
	v_cmp_eq_u32_e32 vcc_lo, 0, v58
	s_or_b32 s0, vcc_lo, s0
	s_wait_loadcnt_dscnt 0x0
	v_pk_mul_f32 v[64:65], v[62:63], v[60:61] op_sel:[1,1] op_sel_hi:[0,1]
	s_delay_alu instid0(VALU_DEP_1) | instskip(SKIP_1) | instid1(VALU_DEP_2)
	v_pk_fma_f32 v[66:67], v[62:63], v[60:61], v[64:65] op_sel_hi:[1,0,1]
	v_pk_fma_f32 v[60:61], v[62:63], v[60:61], v[64:65] neg_lo:[0,0,1] neg_hi:[0,0,1]
	v_mov_b32_e32 v61, v67
	s_delay_alu instid0(VALU_DEP_1)
	v_pk_add_f32 v[56:57], v[56:57], v[60:61]
	s_and_not1_b32 exec_lo, exec_lo, s0
	s_cbranch_execnz .LBB25_182
; %bb.183:
	s_or_b32 exec_lo, exec_lo, s0
.LBB25_184:
	s_delay_alu instid0(SALU_CYCLE_1) | instskip(SKIP_4) | instid1(VALU_DEP_1)
	s_or_b32 exec_lo, exec_lo, s10
	v_mov_b32_e32 v58, 0
	ds_load_b64 v[58:59], v58 offset:56
	s_wait_dscnt 0x0
	v_pk_mul_f32 v[60:61], v[56:57], v[58:59] op_sel:[1,1] op_sel_hi:[0,1]
	v_pk_fma_f32 v[62:63], v[56:57], v[58:59], v[60:61] op_sel_hi:[1,0,1]
	v_pk_fma_f32 v[56:57], v[56:57], v[58:59], v[60:61] neg_lo:[0,0,1] neg_hi:[0,0,1]
	s_delay_alu instid0(VALU_DEP_2)
	v_mov_b32_e32 v57, v63
	scratch_store_b64 off, v[56:57], off offset:56
.LBB25_185:
	s_wait_xcnt 0x0
	s_or_b32 exec_lo, exec_lo, s9
	scratch_load_b64 v[56:57], off, off offset:48
	v_cmp_lt_u32_e64 s0, 6, v0
	s_wait_loadcnt 0x0
	ds_store_b64 v1, v[56:57]
	s_wait_storecnt_dscnt 0x0
	s_barrier_signal -1
	s_barrier_wait -1
	s_wait_xcnt 0x0
	s_and_saveexec_b32 s8, s0
	s_cbranch_execz .LBB25_195
; %bb.186:
	s_and_not1_b32 vcc_lo, exec_lo, s3
	s_cbranch_vccnz .LBB25_188
; %bb.187:
	scratch_load_b64 v[56:57], v41, off
	ds_load_b64 v[58:59], v1
	s_wait_loadcnt_dscnt 0x0
	v_pk_mul_f32 v[60:61], v[58:59], v[56:57] op_sel:[1,1] op_sel_hi:[0,1]
	s_delay_alu instid0(VALU_DEP_1) | instskip(SKIP_1) | instid1(VALU_DEP_2)
	v_pk_fma_f32 v[62:63], v[58:59], v[56:57], v[60:61] op_sel_hi:[1,0,1]
	v_pk_fma_f32 v[56:57], v[58:59], v[56:57], v[60:61] neg_lo:[0,0,1] neg_hi:[0,0,1]
	v_mov_b32_e32 v57, v63
	s_cbranch_execz .LBB25_189
	s_branch .LBB25_190
.LBB25_188:
                                        ; implicit-def: $vgpr56_vgpr57
.LBB25_189:
	ds_load_b64 v[56:57], v1
.LBB25_190:
	s_and_saveexec_b32 s9, s1
	s_cbranch_execz .LBB25_194
; %bb.191:
	v_add_nc_u32_e32 v58, -7, v0
	s_mov_b32 s1, 56
	s_movk_i32 s11, 0x108
	s_mov_b32 s10, 0
.LBB25_192:                             ; =>This Inner Loop Header: Depth=1
	scratch_load_b64 v[60:61], off, s1
	v_dual_mov_b32 v59, s11 :: v_dual_add_nc_u32 v58, -1, v58
	s_add_co_i32 s11, s11, 8
	s_wait_xcnt 0x0
	s_add_co_i32 s1, s1, 8
	ds_load_b64 v[62:63], v59
	v_cmp_eq_u32_e32 vcc_lo, 0, v58
	s_or_b32 s10, vcc_lo, s10
	s_wait_loadcnt_dscnt 0x0
	v_pk_mul_f32 v[64:65], v[62:63], v[60:61] op_sel:[1,1] op_sel_hi:[0,1]
	s_delay_alu instid0(VALU_DEP_1) | instskip(SKIP_1) | instid1(VALU_DEP_2)
	v_pk_fma_f32 v[66:67], v[62:63], v[60:61], v[64:65] op_sel_hi:[1,0,1]
	v_pk_fma_f32 v[60:61], v[62:63], v[60:61], v[64:65] neg_lo:[0,0,1] neg_hi:[0,0,1]
	v_mov_b32_e32 v61, v67
	s_delay_alu instid0(VALU_DEP_1)
	v_pk_add_f32 v[56:57], v[56:57], v[60:61]
	s_and_not1_b32 exec_lo, exec_lo, s10
	s_cbranch_execnz .LBB25_192
; %bb.193:
	s_or_b32 exec_lo, exec_lo, s10
.LBB25_194:
	s_delay_alu instid0(SALU_CYCLE_1) | instskip(SKIP_4) | instid1(VALU_DEP_1)
	s_or_b32 exec_lo, exec_lo, s9
	v_mov_b32_e32 v58, 0
	ds_load_b64 v[58:59], v58 offset:48
	s_wait_dscnt 0x0
	v_pk_mul_f32 v[60:61], v[56:57], v[58:59] op_sel:[1,1] op_sel_hi:[0,1]
	v_pk_fma_f32 v[62:63], v[56:57], v[58:59], v[60:61] op_sel_hi:[1,0,1]
	v_pk_fma_f32 v[56:57], v[56:57], v[58:59], v[60:61] neg_lo:[0,0,1] neg_hi:[0,0,1]
	s_delay_alu instid0(VALU_DEP_2)
	v_mov_b32_e32 v57, v63
	scratch_store_b64 off, v[56:57], off offset:48
.LBB25_195:
	s_wait_xcnt 0x0
	s_or_b32 exec_lo, exec_lo, s8
	scratch_load_b64 v[56:57], off, off offset:40
	v_cmp_lt_u32_e64 s1, 5, v0
	s_wait_loadcnt 0x0
	ds_store_b64 v1, v[56:57]
	s_wait_storecnt_dscnt 0x0
	s_barrier_signal -1
	s_barrier_wait -1
	s_wait_xcnt 0x0
	s_and_saveexec_b32 s8, s1
	s_cbranch_execz .LBB25_205
; %bb.196:
	s_and_not1_b32 vcc_lo, exec_lo, s3
	s_cbranch_vccnz .LBB25_198
; %bb.197:
	scratch_load_b64 v[56:57], v41, off
	ds_load_b64 v[58:59], v1
	s_wait_loadcnt_dscnt 0x0
	v_pk_mul_f32 v[60:61], v[58:59], v[56:57] op_sel:[1,1] op_sel_hi:[0,1]
	s_delay_alu instid0(VALU_DEP_1) | instskip(SKIP_1) | instid1(VALU_DEP_2)
	v_pk_fma_f32 v[62:63], v[58:59], v[56:57], v[60:61] op_sel_hi:[1,0,1]
	v_pk_fma_f32 v[56:57], v[58:59], v[56:57], v[60:61] neg_lo:[0,0,1] neg_hi:[0,0,1]
	v_mov_b32_e32 v57, v63
	s_cbranch_execz .LBB25_199
	s_branch .LBB25_200
.LBB25_198:
                                        ; implicit-def: $vgpr56_vgpr57
.LBB25_199:
	ds_load_b64 v[56:57], v1
.LBB25_200:
	s_and_saveexec_b32 s9, s0
	s_cbranch_execz .LBB25_204
; %bb.201:
	v_add_nc_u32_e32 v58, -6, v0
	s_movk_i32 s10, 0x100
	s_mov_b32 s0, 0
.LBB25_202:                             ; =>This Inner Loop Header: Depth=1
	scratch_load_b64 v[60:61], off, s2
	v_dual_mov_b32 v59, s10 :: v_dual_add_nc_u32 v58, -1, v58
	s_add_co_i32 s10, s10, 8
	s_wait_xcnt 0x0
	s_add_co_i32 s2, s2, 8
	ds_load_b64 v[62:63], v59
	v_cmp_eq_u32_e32 vcc_lo, 0, v58
	s_or_b32 s0, vcc_lo, s0
	s_wait_loadcnt_dscnt 0x0
	v_pk_mul_f32 v[64:65], v[62:63], v[60:61] op_sel:[1,1] op_sel_hi:[0,1]
	s_delay_alu instid0(VALU_DEP_1) | instskip(SKIP_1) | instid1(VALU_DEP_2)
	v_pk_fma_f32 v[66:67], v[62:63], v[60:61], v[64:65] op_sel_hi:[1,0,1]
	v_pk_fma_f32 v[60:61], v[62:63], v[60:61], v[64:65] neg_lo:[0,0,1] neg_hi:[0,0,1]
	v_mov_b32_e32 v61, v67
	s_delay_alu instid0(VALU_DEP_1)
	v_pk_add_f32 v[56:57], v[56:57], v[60:61]
	s_and_not1_b32 exec_lo, exec_lo, s0
	s_cbranch_execnz .LBB25_202
; %bb.203:
	s_or_b32 exec_lo, exec_lo, s0
.LBB25_204:
	s_delay_alu instid0(SALU_CYCLE_1) | instskip(SKIP_4) | instid1(VALU_DEP_1)
	s_or_b32 exec_lo, exec_lo, s9
	v_mov_b32_e32 v58, 0
	ds_load_b64 v[58:59], v58 offset:40
	s_wait_dscnt 0x0
	v_pk_mul_f32 v[60:61], v[56:57], v[58:59] op_sel:[1,1] op_sel_hi:[0,1]
	v_pk_fma_f32 v[62:63], v[56:57], v[58:59], v[60:61] op_sel_hi:[1,0,1]
	v_pk_fma_f32 v[56:57], v[56:57], v[58:59], v[60:61] neg_lo:[0,0,1] neg_hi:[0,0,1]
	s_delay_alu instid0(VALU_DEP_2)
	v_mov_b32_e32 v57, v63
	scratch_store_b64 off, v[56:57], off offset:40
.LBB25_205:
	s_wait_xcnt 0x0
	s_or_b32 exec_lo, exec_lo, s8
	scratch_load_b64 v[56:57], off, off offset:32
	v_cmp_lt_u32_e64 s0, 4, v0
	s_wait_loadcnt 0x0
	ds_store_b64 v1, v[56:57]
	s_wait_storecnt_dscnt 0x0
	s_barrier_signal -1
	s_barrier_wait -1
	s_wait_xcnt 0x0
	s_and_saveexec_b32 s2, s0
	s_cbranch_execz .LBB25_215
; %bb.206:
	s_and_not1_b32 vcc_lo, exec_lo, s3
	s_cbranch_vccnz .LBB25_208
; %bb.207:
	scratch_load_b64 v[56:57], v41, off
	ds_load_b64 v[58:59], v1
	s_wait_loadcnt_dscnt 0x0
	v_pk_mul_f32 v[60:61], v[58:59], v[56:57] op_sel:[1,1] op_sel_hi:[0,1]
	s_delay_alu instid0(VALU_DEP_1) | instskip(SKIP_1) | instid1(VALU_DEP_2)
	v_pk_fma_f32 v[62:63], v[58:59], v[56:57], v[60:61] op_sel_hi:[1,0,1]
	v_pk_fma_f32 v[56:57], v[58:59], v[56:57], v[60:61] neg_lo:[0,0,1] neg_hi:[0,0,1]
	v_mov_b32_e32 v57, v63
	s_cbranch_execz .LBB25_209
	s_branch .LBB25_210
.LBB25_208:
                                        ; implicit-def: $vgpr56_vgpr57
.LBB25_209:
	ds_load_b64 v[56:57], v1
.LBB25_210:
	s_and_saveexec_b32 s8, s1
	s_cbranch_execz .LBB25_214
; %bb.211:
	v_add_nc_u32_e32 v58, -5, v0
	s_mov_b32 s1, 40
	s_movk_i32 s10, 0xf8
	s_mov_b32 s9, 0
.LBB25_212:                             ; =>This Inner Loop Header: Depth=1
	scratch_load_b64 v[60:61], off, s1
	v_dual_mov_b32 v59, s10 :: v_dual_add_nc_u32 v58, -1, v58
	s_add_co_i32 s10, s10, 8
	s_wait_xcnt 0x0
	s_add_co_i32 s1, s1, 8
	ds_load_b64 v[62:63], v59
	v_cmp_eq_u32_e32 vcc_lo, 0, v58
	s_or_b32 s9, vcc_lo, s9
	s_wait_loadcnt_dscnt 0x0
	v_pk_mul_f32 v[64:65], v[62:63], v[60:61] op_sel:[1,1] op_sel_hi:[0,1]
	s_delay_alu instid0(VALU_DEP_1) | instskip(SKIP_1) | instid1(VALU_DEP_2)
	v_pk_fma_f32 v[66:67], v[62:63], v[60:61], v[64:65] op_sel_hi:[1,0,1]
	v_pk_fma_f32 v[60:61], v[62:63], v[60:61], v[64:65] neg_lo:[0,0,1] neg_hi:[0,0,1]
	v_mov_b32_e32 v61, v67
	s_delay_alu instid0(VALU_DEP_1)
	v_pk_add_f32 v[56:57], v[56:57], v[60:61]
	s_and_not1_b32 exec_lo, exec_lo, s9
	s_cbranch_execnz .LBB25_212
; %bb.213:
	s_or_b32 exec_lo, exec_lo, s9
.LBB25_214:
	s_delay_alu instid0(SALU_CYCLE_1) | instskip(SKIP_4) | instid1(VALU_DEP_1)
	s_or_b32 exec_lo, exec_lo, s8
	v_mov_b32_e32 v58, 0
	ds_load_b64 v[58:59], v58 offset:32
	s_wait_dscnt 0x0
	v_pk_mul_f32 v[60:61], v[56:57], v[58:59] op_sel:[1,1] op_sel_hi:[0,1]
	v_pk_fma_f32 v[62:63], v[56:57], v[58:59], v[60:61] op_sel_hi:[1,0,1]
	v_pk_fma_f32 v[56:57], v[56:57], v[58:59], v[60:61] neg_lo:[0,0,1] neg_hi:[0,0,1]
	s_delay_alu instid0(VALU_DEP_2)
	v_mov_b32_e32 v57, v63
	scratch_store_b64 off, v[56:57], off offset:32
.LBB25_215:
	s_wait_xcnt 0x0
	s_or_b32 exec_lo, exec_lo, s2
	scratch_load_b64 v[56:57], off, off offset:24
	v_cmp_lt_u32_e64 s2, 3, v0
	s_wait_loadcnt 0x0
	ds_store_b64 v1, v[56:57]
	s_wait_storecnt_dscnt 0x0
	s_barrier_signal -1
	s_barrier_wait -1
	s_wait_xcnt 0x0
	s_and_saveexec_b32 s1, s2
	s_cbranch_execz .LBB25_225
; %bb.216:
	s_and_not1_b32 vcc_lo, exec_lo, s3
	s_cbranch_vccnz .LBB25_218
; %bb.217:
	scratch_load_b64 v[56:57], v41, off
	ds_load_b64 v[58:59], v1
	s_wait_loadcnt_dscnt 0x0
	v_pk_mul_f32 v[60:61], v[58:59], v[56:57] op_sel:[1,1] op_sel_hi:[0,1]
	s_delay_alu instid0(VALU_DEP_1) | instskip(SKIP_1) | instid1(VALU_DEP_2)
	v_pk_fma_f32 v[62:63], v[58:59], v[56:57], v[60:61] op_sel_hi:[1,0,1]
	v_pk_fma_f32 v[56:57], v[58:59], v[56:57], v[60:61] neg_lo:[0,0,1] neg_hi:[0,0,1]
	v_mov_b32_e32 v57, v63
	s_cbranch_execz .LBB25_219
	s_branch .LBB25_220
.LBB25_218:
                                        ; implicit-def: $vgpr56_vgpr57
.LBB25_219:
	ds_load_b64 v[56:57], v1
.LBB25_220:
	s_and_saveexec_b32 s8, s0
	s_cbranch_execz .LBB25_224
; %bb.221:
	v_add_nc_u32_e32 v58, -4, v0
	s_movk_i32 s9, 0xf0
	s_mov_b32 s0, 0
.LBB25_222:                             ; =>This Inner Loop Header: Depth=1
	scratch_load_b64 v[60:61], off, s5
	v_dual_mov_b32 v59, s9 :: v_dual_add_nc_u32 v58, -1, v58
	s_add_co_i32 s9, s9, 8
	s_wait_xcnt 0x0
	s_add_co_i32 s5, s5, 8
	ds_load_b64 v[62:63], v59
	v_cmp_eq_u32_e32 vcc_lo, 0, v58
	s_or_b32 s0, vcc_lo, s0
	s_wait_loadcnt_dscnt 0x0
	v_pk_mul_f32 v[64:65], v[62:63], v[60:61] op_sel:[1,1] op_sel_hi:[0,1]
	s_delay_alu instid0(VALU_DEP_1) | instskip(SKIP_1) | instid1(VALU_DEP_2)
	v_pk_fma_f32 v[66:67], v[62:63], v[60:61], v[64:65] op_sel_hi:[1,0,1]
	v_pk_fma_f32 v[60:61], v[62:63], v[60:61], v[64:65] neg_lo:[0,0,1] neg_hi:[0,0,1]
	v_mov_b32_e32 v61, v67
	s_delay_alu instid0(VALU_DEP_1)
	v_pk_add_f32 v[56:57], v[56:57], v[60:61]
	s_and_not1_b32 exec_lo, exec_lo, s0
	s_cbranch_execnz .LBB25_222
; %bb.223:
	s_or_b32 exec_lo, exec_lo, s0
.LBB25_224:
	s_delay_alu instid0(SALU_CYCLE_1) | instskip(SKIP_4) | instid1(VALU_DEP_1)
	s_or_b32 exec_lo, exec_lo, s8
	v_mov_b32_e32 v58, 0
	ds_load_b64 v[58:59], v58 offset:24
	s_wait_dscnt 0x0
	v_pk_mul_f32 v[60:61], v[56:57], v[58:59] op_sel:[1,1] op_sel_hi:[0,1]
	v_pk_fma_f32 v[62:63], v[56:57], v[58:59], v[60:61] op_sel_hi:[1,0,1]
	v_pk_fma_f32 v[56:57], v[56:57], v[58:59], v[60:61] neg_lo:[0,0,1] neg_hi:[0,0,1]
	s_delay_alu instid0(VALU_DEP_2)
	v_mov_b32_e32 v57, v63
	scratch_store_b64 off, v[56:57], off offset:24
.LBB25_225:
	s_wait_xcnt 0x0
	s_or_b32 exec_lo, exec_lo, s1
	scratch_load_b64 v[56:57], off, off offset:16
	v_cmp_lt_u32_e64 s1, 2, v0
	s_wait_loadcnt 0x0
	ds_store_b64 v1, v[56:57]
	s_wait_storecnt_dscnt 0x0
	s_barrier_signal -1
	s_barrier_wait -1
	s_wait_xcnt 0x0
	s_and_saveexec_b32 s0, s1
	s_cbranch_execz .LBB25_235
; %bb.226:
	s_and_not1_b32 vcc_lo, exec_lo, s3
	s_cbranch_vccnz .LBB25_228
; %bb.227:
	scratch_load_b64 v[56:57], v41, off
	ds_load_b64 v[58:59], v1
	s_wait_loadcnt_dscnt 0x0
	v_pk_mul_f32 v[60:61], v[58:59], v[56:57] op_sel:[1,1] op_sel_hi:[0,1]
	s_delay_alu instid0(VALU_DEP_1) | instskip(SKIP_1) | instid1(VALU_DEP_2)
	v_pk_fma_f32 v[62:63], v[58:59], v[56:57], v[60:61] op_sel_hi:[1,0,1]
	v_pk_fma_f32 v[56:57], v[58:59], v[56:57], v[60:61] neg_lo:[0,0,1] neg_hi:[0,0,1]
	v_mov_b32_e32 v57, v63
	s_cbranch_execz .LBB25_229
	s_branch .LBB25_230
.LBB25_228:
                                        ; implicit-def: $vgpr56_vgpr57
.LBB25_229:
	ds_load_b64 v[56:57], v1
.LBB25_230:
	s_and_saveexec_b32 s5, s2
	s_cbranch_execz .LBB25_234
; %bb.231:
	v_add_nc_u32_e32 v58, -3, v0
	s_mov_b32 s2, 24
	s_movk_i32 s9, 0xe8
	s_mov_b32 s8, 0
.LBB25_232:                             ; =>This Inner Loop Header: Depth=1
	scratch_load_b64 v[60:61], off, s2
	v_dual_mov_b32 v59, s9 :: v_dual_add_nc_u32 v58, -1, v58
	s_add_co_i32 s9, s9, 8
	s_wait_xcnt 0x0
	s_add_co_i32 s2, s2, 8
	ds_load_b64 v[62:63], v59
	v_cmp_eq_u32_e32 vcc_lo, 0, v58
	s_or_b32 s8, vcc_lo, s8
	s_wait_loadcnt_dscnt 0x0
	v_pk_mul_f32 v[64:65], v[62:63], v[60:61] op_sel:[1,1] op_sel_hi:[0,1]
	s_delay_alu instid0(VALU_DEP_1) | instskip(SKIP_1) | instid1(VALU_DEP_2)
	v_pk_fma_f32 v[66:67], v[62:63], v[60:61], v[64:65] op_sel_hi:[1,0,1]
	v_pk_fma_f32 v[60:61], v[62:63], v[60:61], v[64:65] neg_lo:[0,0,1] neg_hi:[0,0,1]
	v_mov_b32_e32 v61, v67
	s_delay_alu instid0(VALU_DEP_1)
	v_pk_add_f32 v[56:57], v[56:57], v[60:61]
	s_and_not1_b32 exec_lo, exec_lo, s8
	s_cbranch_execnz .LBB25_232
; %bb.233:
	s_or_b32 exec_lo, exec_lo, s8
.LBB25_234:
	s_delay_alu instid0(SALU_CYCLE_1) | instskip(SKIP_4) | instid1(VALU_DEP_1)
	s_or_b32 exec_lo, exec_lo, s5
	v_mov_b32_e32 v58, 0
	ds_load_b64 v[58:59], v58 offset:16
	s_wait_dscnt 0x0
	v_pk_mul_f32 v[60:61], v[56:57], v[58:59] op_sel:[1,1] op_sel_hi:[0,1]
	v_pk_fma_f32 v[62:63], v[56:57], v[58:59], v[60:61] op_sel_hi:[1,0,1]
	v_pk_fma_f32 v[56:57], v[56:57], v[58:59], v[60:61] neg_lo:[0,0,1] neg_hi:[0,0,1]
	s_delay_alu instid0(VALU_DEP_2)
	v_mov_b32_e32 v57, v63
	scratch_store_b64 off, v[56:57], off offset:16
.LBB25_235:
	s_wait_xcnt 0x0
	s_or_b32 exec_lo, exec_lo, s0
	scratch_load_b64 v[56:57], off, off offset:8
	v_cmp_lt_u32_e64 s0, 1, v0
	s_wait_loadcnt 0x0
	ds_store_b64 v1, v[56:57]
	s_wait_storecnt_dscnt 0x0
	s_barrier_signal -1
	s_barrier_wait -1
	s_wait_xcnt 0x0
	s_and_saveexec_b32 s2, s0
	s_cbranch_execz .LBB25_245
; %bb.236:
	s_and_not1_b32 vcc_lo, exec_lo, s3
	s_cbranch_vccnz .LBB25_238
; %bb.237:
	scratch_load_b64 v[56:57], v41, off
	ds_load_b64 v[58:59], v1
	s_wait_loadcnt_dscnt 0x0
	v_pk_mul_f32 v[60:61], v[58:59], v[56:57] op_sel:[1,1] op_sel_hi:[0,1]
	s_delay_alu instid0(VALU_DEP_1) | instskip(SKIP_1) | instid1(VALU_DEP_2)
	v_pk_fma_f32 v[62:63], v[58:59], v[56:57], v[60:61] op_sel_hi:[1,0,1]
	v_pk_fma_f32 v[56:57], v[58:59], v[56:57], v[60:61] neg_lo:[0,0,1] neg_hi:[0,0,1]
	v_mov_b32_e32 v57, v63
	s_cbranch_execz .LBB25_239
	s_branch .LBB25_240
.LBB25_238:
                                        ; implicit-def: $vgpr56_vgpr57
.LBB25_239:
	ds_load_b64 v[56:57], v1
.LBB25_240:
	s_and_saveexec_b32 s5, s1
	s_cbranch_execz .LBB25_244
; %bb.241:
	v_add_nc_u32_e32 v58, -2, v0
	s_movk_i32 s8, 0xe0
	s_mov_b32 s1, 0
.LBB25_242:                             ; =>This Inner Loop Header: Depth=1
	scratch_load_b64 v[60:61], off, s4
	v_dual_mov_b32 v59, s8 :: v_dual_add_nc_u32 v58, -1, v58
	s_add_co_i32 s8, s8, 8
	s_wait_xcnt 0x0
	s_add_co_i32 s4, s4, 8
	ds_load_b64 v[62:63], v59
	v_cmp_eq_u32_e32 vcc_lo, 0, v58
	s_or_b32 s1, vcc_lo, s1
	s_wait_loadcnt_dscnt 0x0
	v_pk_mul_f32 v[64:65], v[62:63], v[60:61] op_sel:[1,1] op_sel_hi:[0,1]
	s_delay_alu instid0(VALU_DEP_1) | instskip(SKIP_1) | instid1(VALU_DEP_2)
	v_pk_fma_f32 v[66:67], v[62:63], v[60:61], v[64:65] op_sel_hi:[1,0,1]
	v_pk_fma_f32 v[60:61], v[62:63], v[60:61], v[64:65] neg_lo:[0,0,1] neg_hi:[0,0,1]
	v_mov_b32_e32 v61, v67
	s_delay_alu instid0(VALU_DEP_1)
	v_pk_add_f32 v[56:57], v[56:57], v[60:61]
	s_and_not1_b32 exec_lo, exec_lo, s1
	s_cbranch_execnz .LBB25_242
; %bb.243:
	s_or_b32 exec_lo, exec_lo, s1
.LBB25_244:
	s_delay_alu instid0(SALU_CYCLE_1) | instskip(SKIP_4) | instid1(VALU_DEP_1)
	s_or_b32 exec_lo, exec_lo, s5
	v_mov_b32_e32 v58, 0
	ds_load_b64 v[58:59], v58 offset:8
	s_wait_dscnt 0x0
	v_pk_mul_f32 v[60:61], v[56:57], v[58:59] op_sel:[1,1] op_sel_hi:[0,1]
	v_pk_fma_f32 v[62:63], v[56:57], v[58:59], v[60:61] op_sel_hi:[1,0,1]
	v_pk_fma_f32 v[56:57], v[56:57], v[58:59], v[60:61] neg_lo:[0,0,1] neg_hi:[0,0,1]
	s_delay_alu instid0(VALU_DEP_2)
	v_mov_b32_e32 v57, v63
	scratch_store_b64 off, v[56:57], off offset:8
.LBB25_245:
	s_wait_xcnt 0x0
	s_or_b32 exec_lo, exec_lo, s2
	scratch_load_b64 v[56:57], off, off
	s_mov_b32 s2, 0
	s_mov_b32 s1, 0
	s_mov_b32 s5, exec_lo
                                        ; implicit-def: $vgpr66
                                        ; implicit-def: $sgpr4
	s_wait_loadcnt 0x0
	ds_store_b64 v1, v[56:57]
	s_wait_storecnt_dscnt 0x0
	s_barrier_signal -1
	s_barrier_wait -1
	s_wait_xcnt 0x0
	v_cmpx_ne_u32_e32 0, v0
	s_cbranch_execz .LBB25_255
; %bb.246:
	s_and_not1_b32 vcc_lo, exec_lo, s3
	s_cbranch_vccnz .LBB25_248
; %bb.247:
	scratch_load_b64 v[58:59], v41, off
	ds_load_b64 v[60:61], v1
	s_wait_loadcnt_dscnt 0x0
	v_dual_mul_f32 v56, v61, v59 :: v_dual_mul_f32 v57, v60, v59
	s_delay_alu instid0(VALU_DEP_1)
	v_dual_fma_f32 v56, v60, v58, -v56 :: v_dual_fmac_f32 v57, v61, v58
	s_and_not1_b32 vcc_lo, exec_lo, s1
	s_cbranch_vccz .LBB25_249
	s_branch .LBB25_250
.LBB25_248:
                                        ; implicit-def: $vgpr56
.LBB25_249:
	ds_load_b64 v[56:57], v1
.LBB25_250:
	s_and_saveexec_b32 s1, s0
	s_cbranch_execz .LBB25_254
; %bb.251:
	v_add_nc_u32_e32 v58, -1, v0
	s_or_b32 s0, 0, 8
	s_movk_i32 s8, 0xd8
	s_mov_b32 s4, 0
.LBB25_252:                             ; =>This Inner Loop Header: Depth=1
	scratch_load_b64 v[60:61], off, s0
	v_mov_b32_e32 v59, s8
	s_add_co_i32 s8, s8, 8
	s_wait_xcnt 0x0
	s_add_co_i32 s0, s0, 8
	v_add_nc_u32_e32 v58, -1, v58
	ds_load_b64 v[62:63], v59
	v_cmp_eq_u32_e32 vcc_lo, 0, v58
	s_or_b32 s4, vcc_lo, s4
	s_wait_loadcnt_dscnt 0x0
	v_dual_mul_f32 v59, v63, v61 :: v_dual_mul_f32 v61, v62, v61
	s_delay_alu instid0(VALU_DEP_1) | instskip(NEXT) | instid1(VALU_DEP_1)
	v_dual_fma_f32 v59, v62, v60, -v59 :: v_dual_fmac_f32 v61, v63, v60
	v_dual_add_f32 v56, v56, v59 :: v_dual_add_f32 v57, v57, v61
	s_and_not1_b32 exec_lo, exec_lo, s4
	s_cbranch_execnz .LBB25_252
; %bb.253:
	s_or_b32 exec_lo, exec_lo, s4
.LBB25_254:
	s_delay_alu instid0(SALU_CYCLE_1)
	s_or_b32 exec_lo, exec_lo, s1
	v_mov_b32_e32 v58, 0
	s_mov_b32 s1, exec_lo
	s_or_b32 s4, 0, 4
	ds_load_b64 v[58:59], v58
	s_wait_dscnt 0x0
	v_dual_mul_f32 v60, v57, v59 :: v_dual_mul_f32 v66, v56, v59
	s_delay_alu instid0(VALU_DEP_1)
	v_dual_fma_f32 v56, v56, v58, -v60 :: v_dual_fmac_f32 v66, v57, v58
	scratch_store_b32 off, v56, off
.LBB25_255:
	s_wait_xcnt 0x0
	s_or_b32 exec_lo, exec_lo, s5
	s_delay_alu instid0(SALU_CYCLE_1)
	s_and_b32 vcc_lo, exec_lo, s2
	s_cbranch_vccz .LBB25_501
.LBB25_256:
	scratch_load_b64 v[56:57], off, off offset:8
	v_cmp_eq_u32_e64 s0, 0, v0
	s_wait_loadcnt 0x0
	ds_store_b64 v1, v[56:57]
	s_wait_storecnt_dscnt 0x0
	s_barrier_signal -1
	s_barrier_wait -1
	s_wait_xcnt 0x0
	s_and_saveexec_b32 s2, s0
	s_cbranch_execz .LBB25_262
; %bb.257:
	s_and_b32 vcc_lo, exec_lo, s3
	s_cbranch_vccz .LBB25_259
; %bb.258:
	scratch_load_b64 v[56:57], v41, off
	ds_load_b64 v[58:59], v1
	s_wait_loadcnt_dscnt 0x0
	v_pk_mul_f32 v[60:61], v[58:59], v[56:57] op_sel:[1,1] op_sel_hi:[0,1]
	v_pk_mul_f32 v[62:63], v[58:59], v[56:57] op_sel_hi:[1,0]
	s_delay_alu instid0(VALU_DEP_2) | instskip(NEXT) | instid1(VALU_DEP_2)
	v_pk_fma_f32 v[56:57], v[58:59], v[56:57], v[60:61] op_sel_hi:[1,0,1]
	v_sub_f32_e32 v56, v62, v60
	s_cbranch_execz .LBB25_260
	s_branch .LBB25_261
.LBB25_259:
                                        ; implicit-def: $vgpr57
.LBB25_260:
	ds_load_b64 v[56:57], v1
.LBB25_261:
	s_wait_dscnt 0x0
	v_dual_mov_b32 v58, 0 :: v_dual_mov_b32 v60, v57
	v_mov_b32_e32 v61, v56
	ds_load_b64 v[58:59], v58 offset:8
	s_wait_dscnt 0x0
	v_pk_mul_f32 v[60:61], v[60:61], v[58:59] op_sel:[0,1]
	s_delay_alu instid0(VALU_DEP_1) | instskip(SKIP_1) | instid1(VALU_DEP_2)
	v_pk_fma_f32 v[62:63], v[56:57], v[58:59], v[60:61] op_sel_hi:[1,0,1]
	v_pk_fma_f32 v[56:57], v[56:57], v[58:59], v[60:61] neg_lo:[0,0,1] neg_hi:[0,0,1]
	v_mov_b32_e32 v57, v63
	scratch_store_b64 off, v[56:57], off offset:8
.LBB25_262:
	s_wait_xcnt 0x0
	s_or_b32 exec_lo, exec_lo, s2
	scratch_load_b64 v[56:57], off, off offset:16
	v_cndmask_b32_e64 v58, 0, 1, s3
	s_mov_b32 s2, exec_lo
	s_wait_loadcnt 0x0
	ds_store_b64 v1, v[56:57]
	s_wait_storecnt_dscnt 0x0
	s_barrier_signal -1
	s_barrier_wait -1
	s_wait_xcnt 0x0
	v_cmpx_gt_u32_e32 2, v0
	s_cbranch_execz .LBB25_270
; %bb.263:
	s_and_not1_b32 vcc_lo, exec_lo, s3
	s_cbranch_vccnz .LBB25_265
; %bb.264:
	scratch_load_b64 v[56:57], v41, off
	ds_load_b64 v[60:61], v1
	s_wait_loadcnt_dscnt 0x0
	v_pk_mul_f32 v[62:63], v[60:61], v[56:57] op_sel:[1,1] op_sel_hi:[0,1]
	s_delay_alu instid0(VALU_DEP_1) | instskip(SKIP_1) | instid1(VALU_DEP_2)
	v_pk_fma_f32 v[64:65], v[60:61], v[56:57], v[62:63] op_sel_hi:[1,0,1]
	v_pk_fma_f32 v[56:57], v[60:61], v[56:57], v[62:63] neg_lo:[0,0,1] neg_hi:[0,0,1]
	v_mov_b32_e32 v57, v65
	s_cbranch_execz .LBB25_266
	s_branch .LBB25_267
.LBB25_265:
                                        ; implicit-def: $vgpr56_vgpr57
.LBB25_266:
	ds_load_b64 v[56:57], v1
.LBB25_267:
	s_and_saveexec_b32 s3, s0
	s_cbranch_execz .LBB25_269
; %bb.268:
	scratch_load_b64 v[60:61], off, off offset:8
	v_mov_b32_e32 v59, 0
	ds_load_b64 v[62:63], v59 offset:216
	s_wait_loadcnt_dscnt 0x0
	v_pk_mul_f32 v[64:65], v[62:63], v[60:61] op_sel:[1,1] op_sel_hi:[0,1]
	s_delay_alu instid0(VALU_DEP_1) | instskip(SKIP_1) | instid1(VALU_DEP_2)
	v_pk_fma_f32 v[66:67], v[62:63], v[60:61], v[64:65] op_sel_hi:[1,0,1]
	v_pk_fma_f32 v[60:61], v[62:63], v[60:61], v[64:65] neg_lo:[0,0,1] neg_hi:[0,0,1]
	v_mov_b32_e32 v61, v67
	s_delay_alu instid0(VALU_DEP_1)
	v_pk_add_f32 v[56:57], v[56:57], v[60:61]
.LBB25_269:
	s_or_b32 exec_lo, exec_lo, s3
	v_mov_b32_e32 v59, 0
	ds_load_b64 v[60:61], v59 offset:16
	s_wait_dscnt 0x0
	v_pk_mul_f32 v[62:63], v[56:57], v[60:61] op_sel:[1,1] op_sel_hi:[0,1]
	s_delay_alu instid0(VALU_DEP_1) | instskip(SKIP_1) | instid1(VALU_DEP_2)
	v_pk_fma_f32 v[64:65], v[56:57], v[60:61], v[62:63] op_sel_hi:[1,0,1]
	v_pk_fma_f32 v[56:57], v[56:57], v[60:61], v[62:63] neg_lo:[0,0,1] neg_hi:[0,0,1]
	v_mov_b32_e32 v57, v65
	scratch_store_b64 off, v[56:57], off offset:16
.LBB25_270:
	s_wait_xcnt 0x0
	s_or_b32 exec_lo, exec_lo, s2
	scratch_load_b64 v[56:57], off, off offset:24
	s_mov_b32 s2, exec_lo
	s_wait_loadcnt 0x0
	ds_store_b64 v1, v[56:57]
	s_wait_storecnt_dscnt 0x0
	s_barrier_signal -1
	s_barrier_wait -1
	s_wait_xcnt 0x0
	v_cmpx_gt_u32_e32 3, v0
	s_cbranch_execz .LBB25_280
; %bb.271:
	v_cmp_ne_u32_e32 vcc_lo, 1, v58
	s_cbranch_vccnz .LBB25_273
; %bb.272:
	scratch_load_b64 v[56:57], v41, off
	ds_load_b64 v[60:61], v1
	s_wait_loadcnt_dscnt 0x0
	v_pk_mul_f32 v[62:63], v[60:61], v[56:57] op_sel:[1,1] op_sel_hi:[0,1]
	s_delay_alu instid0(VALU_DEP_1) | instskip(SKIP_1) | instid1(VALU_DEP_2)
	v_pk_fma_f32 v[64:65], v[60:61], v[56:57], v[62:63] op_sel_hi:[1,0,1]
	v_pk_fma_f32 v[56:57], v[60:61], v[56:57], v[62:63] neg_lo:[0,0,1] neg_hi:[0,0,1]
	v_mov_b32_e32 v57, v65
	s_cbranch_execz .LBB25_274
	s_branch .LBB25_275
.LBB25_273:
                                        ; implicit-def: $vgpr56_vgpr57
.LBB25_274:
	ds_load_b64 v[56:57], v1
.LBB25_275:
	s_mov_b32 s3, exec_lo
	v_cmpx_ne_u32_e32 2, v0
	s_cbranch_execz .LBB25_279
; %bb.276:
	scratch_load_b64 v[60:61], v41, off offset:8
	ds_load_b64 v[62:63], v1 offset:8
	s_wait_loadcnt_dscnt 0x0
	v_pk_mul_f32 v[64:65], v[62:63], v[60:61] op_sel:[1,1] op_sel_hi:[0,1]
	s_delay_alu instid0(VALU_DEP_1) | instskip(SKIP_1) | instid1(VALU_DEP_2)
	v_pk_fma_f32 v[66:67], v[62:63], v[60:61], v[64:65] op_sel_hi:[1,0,1]
	v_pk_fma_f32 v[60:61], v[62:63], v[60:61], v[64:65] neg_lo:[0,0,1] neg_hi:[0,0,1]
	v_mov_b32_e32 v61, v67
	s_delay_alu instid0(VALU_DEP_1)
	v_pk_add_f32 v[56:57], v[56:57], v[60:61]
	s_and_saveexec_b32 s4, s0
	s_cbranch_execz .LBB25_278
; %bb.277:
	scratch_load_b64 v[60:61], off, off offset:16
	v_mov_b32_e32 v59, 0
	ds_load_b64 v[62:63], v59 offset:224
	s_wait_loadcnt_dscnt 0x0
	v_pk_mul_f32 v[64:65], v[62:63], v[60:61] op_sel:[1,1] op_sel_hi:[0,1]
	s_delay_alu instid0(VALU_DEP_1) | instskip(SKIP_1) | instid1(VALU_DEP_2)
	v_pk_fma_f32 v[66:67], v[62:63], v[60:61], v[64:65] op_sel_hi:[1,0,1]
	v_pk_fma_f32 v[60:61], v[62:63], v[60:61], v[64:65] neg_lo:[0,0,1] neg_hi:[0,0,1]
	v_mov_b32_e32 v61, v67
	s_delay_alu instid0(VALU_DEP_1)
	v_pk_add_f32 v[56:57], v[56:57], v[60:61]
.LBB25_278:
	s_or_b32 exec_lo, exec_lo, s4
.LBB25_279:
	s_delay_alu instid0(SALU_CYCLE_1) | instskip(SKIP_4) | instid1(VALU_DEP_1)
	s_or_b32 exec_lo, exec_lo, s3
	v_mov_b32_e32 v59, 0
	ds_load_b64 v[60:61], v59 offset:24
	s_wait_dscnt 0x0
	v_pk_mul_f32 v[62:63], v[56:57], v[60:61] op_sel:[1,1] op_sel_hi:[0,1]
	v_pk_fma_f32 v[64:65], v[56:57], v[60:61], v[62:63] op_sel_hi:[1,0,1]
	v_pk_fma_f32 v[56:57], v[56:57], v[60:61], v[62:63] neg_lo:[0,0,1] neg_hi:[0,0,1]
	s_delay_alu instid0(VALU_DEP_2)
	v_mov_b32_e32 v57, v65
	scratch_store_b64 off, v[56:57], off offset:24
.LBB25_280:
	s_wait_xcnt 0x0
	s_or_b32 exec_lo, exec_lo, s2
	scratch_load_b64 v[56:57], off, off offset:32
	s_mov_b32 s0, exec_lo
	s_wait_loadcnt 0x0
	ds_store_b64 v1, v[56:57]
	s_wait_storecnt_dscnt 0x0
	s_barrier_signal -1
	s_barrier_wait -1
	s_wait_xcnt 0x0
	v_cmpx_gt_u32_e32 4, v0
	s_cbranch_execz .LBB25_290
; %bb.281:
	v_cmp_ne_u32_e32 vcc_lo, 1, v58
	s_cbranch_vccnz .LBB25_283
; %bb.282:
	scratch_load_b64 v[56:57], v41, off
	ds_load_b64 v[60:61], v1
	s_wait_loadcnt_dscnt 0x0
	v_pk_mul_f32 v[62:63], v[60:61], v[56:57] op_sel:[1,1] op_sel_hi:[0,1]
	s_delay_alu instid0(VALU_DEP_1) | instskip(SKIP_1) | instid1(VALU_DEP_2)
	v_pk_fma_f32 v[64:65], v[60:61], v[56:57], v[62:63] op_sel_hi:[1,0,1]
	v_pk_fma_f32 v[56:57], v[60:61], v[56:57], v[62:63] neg_lo:[0,0,1] neg_hi:[0,0,1]
	v_mov_b32_e32 v57, v65
	s_cbranch_execz .LBB25_284
	s_branch .LBB25_285
.LBB25_283:
                                        ; implicit-def: $vgpr56_vgpr57
.LBB25_284:
	ds_load_b64 v[56:57], v1
.LBB25_285:
	s_mov_b32 s2, exec_lo
	v_cmpx_ne_u32_e32 3, v0
	s_cbranch_execz .LBB25_289
; %bb.286:
	v_add_nc_u32_e32 v59, 0xd8, v40
	v_add3_u32 v60, 0, v40, 8
	v_mov_b32_e32 v61, v0
	s_mov_b32 s3, 0
.LBB25_287:                             ; =>This Inner Loop Header: Depth=1
	scratch_load_b64 v[62:63], v60, off
	ds_load_b64 v[64:65], v59
	s_wait_xcnt 0x0
	v_dual_add_nc_u32 v59, 8, v59 :: v_dual_add_nc_u32 v60, 8, v60
	s_wait_loadcnt_dscnt 0x0
	v_pk_mul_f32 v[66:67], v[64:65], v[62:63] op_sel:[1,1] op_sel_hi:[0,1]
	s_delay_alu instid0(VALU_DEP_1) | instskip(SKIP_2) | instid1(VALU_DEP_3)
	v_pk_fma_f32 v[68:69], v[64:65], v[62:63], v[66:67] op_sel_hi:[1,0,1]
	v_add_nc_u32_e32 v61, 1, v61
	v_pk_fma_f32 v[62:63], v[64:65], v[62:63], v[66:67] neg_lo:[0,0,1] neg_hi:[0,0,1]
	v_mov_b32_e32 v63, v69
	s_delay_alu instid0(VALU_DEP_3) | instskip(NEXT) | instid1(VALU_DEP_2)
	v_cmp_lt_u32_e32 vcc_lo, 2, v61
	v_pk_add_f32 v[56:57], v[56:57], v[62:63]
	s_or_b32 s3, vcc_lo, s3
	s_delay_alu instid0(SALU_CYCLE_1)
	s_and_not1_b32 exec_lo, exec_lo, s3
	s_cbranch_execnz .LBB25_287
; %bb.288:
	s_or_b32 exec_lo, exec_lo, s3
.LBB25_289:
	s_delay_alu instid0(SALU_CYCLE_1) | instskip(SKIP_4) | instid1(VALU_DEP_1)
	s_or_b32 exec_lo, exec_lo, s2
	v_mov_b32_e32 v59, 0
	ds_load_b64 v[60:61], v59 offset:32
	s_wait_dscnt 0x0
	v_pk_mul_f32 v[62:63], v[56:57], v[60:61] op_sel:[1,1] op_sel_hi:[0,1]
	v_pk_fma_f32 v[64:65], v[56:57], v[60:61], v[62:63] op_sel_hi:[1,0,1]
	v_pk_fma_f32 v[56:57], v[56:57], v[60:61], v[62:63] neg_lo:[0,0,1] neg_hi:[0,0,1]
	s_delay_alu instid0(VALU_DEP_2)
	v_mov_b32_e32 v57, v65
	scratch_store_b64 off, v[56:57], off offset:32
.LBB25_290:
	s_wait_xcnt 0x0
	s_or_b32 exec_lo, exec_lo, s0
	scratch_load_b64 v[56:57], off, off offset:40
	s_mov_b32 s0, exec_lo
	s_wait_loadcnt 0x0
	ds_store_b64 v1, v[56:57]
	s_wait_storecnt_dscnt 0x0
	s_barrier_signal -1
	s_barrier_wait -1
	s_wait_xcnt 0x0
	v_cmpx_gt_u32_e32 5, v0
	s_cbranch_execz .LBB25_300
; %bb.291:
	v_cmp_ne_u32_e32 vcc_lo, 1, v58
	s_cbranch_vccnz .LBB25_293
; %bb.292:
	scratch_load_b64 v[56:57], v41, off
	ds_load_b64 v[60:61], v1
	s_wait_loadcnt_dscnt 0x0
	v_pk_mul_f32 v[62:63], v[60:61], v[56:57] op_sel:[1,1] op_sel_hi:[0,1]
	s_delay_alu instid0(VALU_DEP_1) | instskip(SKIP_1) | instid1(VALU_DEP_2)
	v_pk_fma_f32 v[64:65], v[60:61], v[56:57], v[62:63] op_sel_hi:[1,0,1]
	v_pk_fma_f32 v[56:57], v[60:61], v[56:57], v[62:63] neg_lo:[0,0,1] neg_hi:[0,0,1]
	v_mov_b32_e32 v57, v65
	s_cbranch_execz .LBB25_294
	s_branch .LBB25_295
.LBB25_293:
                                        ; implicit-def: $vgpr56_vgpr57
.LBB25_294:
	ds_load_b64 v[56:57], v1
.LBB25_295:
	s_mov_b32 s2, exec_lo
	v_cmpx_ne_u32_e32 4, v0
	s_cbranch_execz .LBB25_299
; %bb.296:
	v_add_nc_u32_e32 v59, 0xd8, v40
	v_add3_u32 v60, 0, v40, 8
	v_mov_b32_e32 v61, v0
	s_mov_b32 s3, 0
.LBB25_297:                             ; =>This Inner Loop Header: Depth=1
	scratch_load_b64 v[62:63], v60, off
	ds_load_b64 v[64:65], v59
	s_wait_xcnt 0x0
	v_dual_add_nc_u32 v59, 8, v59 :: v_dual_add_nc_u32 v60, 8, v60
	s_wait_loadcnt_dscnt 0x0
	v_pk_mul_f32 v[66:67], v[64:65], v[62:63] op_sel:[1,1] op_sel_hi:[0,1]
	s_delay_alu instid0(VALU_DEP_1) | instskip(SKIP_2) | instid1(VALU_DEP_3)
	v_pk_fma_f32 v[68:69], v[64:65], v[62:63], v[66:67] op_sel_hi:[1,0,1]
	v_add_nc_u32_e32 v61, 1, v61
	v_pk_fma_f32 v[62:63], v[64:65], v[62:63], v[66:67] neg_lo:[0,0,1] neg_hi:[0,0,1]
	v_mov_b32_e32 v63, v69
	s_delay_alu instid0(VALU_DEP_3) | instskip(NEXT) | instid1(VALU_DEP_2)
	v_cmp_lt_u32_e32 vcc_lo, 3, v61
	v_pk_add_f32 v[56:57], v[56:57], v[62:63]
	s_or_b32 s3, vcc_lo, s3
	s_delay_alu instid0(SALU_CYCLE_1)
	s_and_not1_b32 exec_lo, exec_lo, s3
	s_cbranch_execnz .LBB25_297
; %bb.298:
	s_or_b32 exec_lo, exec_lo, s3
.LBB25_299:
	s_delay_alu instid0(SALU_CYCLE_1) | instskip(SKIP_4) | instid1(VALU_DEP_1)
	s_or_b32 exec_lo, exec_lo, s2
	v_mov_b32_e32 v59, 0
	ds_load_b64 v[60:61], v59 offset:40
	s_wait_dscnt 0x0
	v_pk_mul_f32 v[62:63], v[56:57], v[60:61] op_sel:[1,1] op_sel_hi:[0,1]
	v_pk_fma_f32 v[64:65], v[56:57], v[60:61], v[62:63] op_sel_hi:[1,0,1]
	v_pk_fma_f32 v[56:57], v[56:57], v[60:61], v[62:63] neg_lo:[0,0,1] neg_hi:[0,0,1]
	s_delay_alu instid0(VALU_DEP_2)
	v_mov_b32_e32 v57, v65
	scratch_store_b64 off, v[56:57], off offset:40
.LBB25_300:
	s_wait_xcnt 0x0
	s_or_b32 exec_lo, exec_lo, s0
	scratch_load_b64 v[56:57], off, off offset:48
	s_mov_b32 s0, exec_lo
	s_wait_loadcnt 0x0
	ds_store_b64 v1, v[56:57]
	s_wait_storecnt_dscnt 0x0
	s_barrier_signal -1
	s_barrier_wait -1
	s_wait_xcnt 0x0
	v_cmpx_gt_u32_e32 6, v0
	s_cbranch_execz .LBB25_310
; %bb.301:
	v_cmp_ne_u32_e32 vcc_lo, 1, v58
	s_cbranch_vccnz .LBB25_303
; %bb.302:
	scratch_load_b64 v[56:57], v41, off
	ds_load_b64 v[60:61], v1
	s_wait_loadcnt_dscnt 0x0
	v_pk_mul_f32 v[62:63], v[60:61], v[56:57] op_sel:[1,1] op_sel_hi:[0,1]
	s_delay_alu instid0(VALU_DEP_1) | instskip(SKIP_1) | instid1(VALU_DEP_2)
	v_pk_fma_f32 v[64:65], v[60:61], v[56:57], v[62:63] op_sel_hi:[1,0,1]
	v_pk_fma_f32 v[56:57], v[60:61], v[56:57], v[62:63] neg_lo:[0,0,1] neg_hi:[0,0,1]
	v_mov_b32_e32 v57, v65
	s_cbranch_execz .LBB25_304
	s_branch .LBB25_305
.LBB25_303:
                                        ; implicit-def: $vgpr56_vgpr57
.LBB25_304:
	ds_load_b64 v[56:57], v1
.LBB25_305:
	s_mov_b32 s2, exec_lo
	v_cmpx_ne_u32_e32 5, v0
	s_cbranch_execz .LBB25_309
; %bb.306:
	v_add_nc_u32_e32 v59, 0xd8, v40
	v_add3_u32 v60, 0, v40, 8
	v_mov_b32_e32 v61, v0
	s_mov_b32 s3, 0
.LBB25_307:                             ; =>This Inner Loop Header: Depth=1
	scratch_load_b64 v[62:63], v60, off
	ds_load_b64 v[64:65], v59
	s_wait_xcnt 0x0
	v_dual_add_nc_u32 v59, 8, v59 :: v_dual_add_nc_u32 v60, 8, v60
	s_wait_loadcnt_dscnt 0x0
	v_pk_mul_f32 v[66:67], v[64:65], v[62:63] op_sel:[1,1] op_sel_hi:[0,1]
	s_delay_alu instid0(VALU_DEP_1) | instskip(SKIP_2) | instid1(VALU_DEP_3)
	v_pk_fma_f32 v[68:69], v[64:65], v[62:63], v[66:67] op_sel_hi:[1,0,1]
	v_add_nc_u32_e32 v61, 1, v61
	v_pk_fma_f32 v[62:63], v[64:65], v[62:63], v[66:67] neg_lo:[0,0,1] neg_hi:[0,0,1]
	v_mov_b32_e32 v63, v69
	s_delay_alu instid0(VALU_DEP_3) | instskip(NEXT) | instid1(VALU_DEP_2)
	v_cmp_lt_u32_e32 vcc_lo, 4, v61
	v_pk_add_f32 v[56:57], v[56:57], v[62:63]
	s_or_b32 s3, vcc_lo, s3
	s_delay_alu instid0(SALU_CYCLE_1)
	s_and_not1_b32 exec_lo, exec_lo, s3
	s_cbranch_execnz .LBB25_307
; %bb.308:
	s_or_b32 exec_lo, exec_lo, s3
.LBB25_309:
	s_delay_alu instid0(SALU_CYCLE_1) | instskip(SKIP_4) | instid1(VALU_DEP_1)
	s_or_b32 exec_lo, exec_lo, s2
	v_mov_b32_e32 v59, 0
	ds_load_b64 v[60:61], v59 offset:48
	s_wait_dscnt 0x0
	v_pk_mul_f32 v[62:63], v[56:57], v[60:61] op_sel:[1,1] op_sel_hi:[0,1]
	v_pk_fma_f32 v[64:65], v[56:57], v[60:61], v[62:63] op_sel_hi:[1,0,1]
	v_pk_fma_f32 v[56:57], v[56:57], v[60:61], v[62:63] neg_lo:[0,0,1] neg_hi:[0,0,1]
	s_delay_alu instid0(VALU_DEP_2)
	v_mov_b32_e32 v57, v65
	scratch_store_b64 off, v[56:57], off offset:48
.LBB25_310:
	s_wait_xcnt 0x0
	s_or_b32 exec_lo, exec_lo, s0
	scratch_load_b64 v[56:57], off, off offset:56
	s_mov_b32 s0, exec_lo
	s_wait_loadcnt 0x0
	ds_store_b64 v1, v[56:57]
	s_wait_storecnt_dscnt 0x0
	s_barrier_signal -1
	s_barrier_wait -1
	s_wait_xcnt 0x0
	v_cmpx_gt_u32_e32 7, v0
	s_cbranch_execz .LBB25_320
; %bb.311:
	v_cmp_ne_u32_e32 vcc_lo, 1, v58
	s_cbranch_vccnz .LBB25_313
; %bb.312:
	scratch_load_b64 v[56:57], v41, off
	ds_load_b64 v[60:61], v1
	s_wait_loadcnt_dscnt 0x0
	v_pk_mul_f32 v[62:63], v[60:61], v[56:57] op_sel:[1,1] op_sel_hi:[0,1]
	s_delay_alu instid0(VALU_DEP_1) | instskip(SKIP_1) | instid1(VALU_DEP_2)
	v_pk_fma_f32 v[64:65], v[60:61], v[56:57], v[62:63] op_sel_hi:[1,0,1]
	v_pk_fma_f32 v[56:57], v[60:61], v[56:57], v[62:63] neg_lo:[0,0,1] neg_hi:[0,0,1]
	v_mov_b32_e32 v57, v65
	s_cbranch_execz .LBB25_314
	s_branch .LBB25_315
.LBB25_313:
                                        ; implicit-def: $vgpr56_vgpr57
.LBB25_314:
	ds_load_b64 v[56:57], v1
.LBB25_315:
	s_mov_b32 s2, exec_lo
	v_cmpx_ne_u32_e32 6, v0
	s_cbranch_execz .LBB25_319
; %bb.316:
	v_add_nc_u32_e32 v59, 0xd8, v40
	v_add3_u32 v60, 0, v40, 8
	v_mov_b32_e32 v61, v0
	s_mov_b32 s3, 0
.LBB25_317:                             ; =>This Inner Loop Header: Depth=1
	scratch_load_b64 v[62:63], v60, off
	ds_load_b64 v[64:65], v59
	s_wait_xcnt 0x0
	v_dual_add_nc_u32 v59, 8, v59 :: v_dual_add_nc_u32 v60, 8, v60
	s_wait_loadcnt_dscnt 0x0
	v_pk_mul_f32 v[66:67], v[64:65], v[62:63] op_sel:[1,1] op_sel_hi:[0,1]
	s_delay_alu instid0(VALU_DEP_1) | instskip(SKIP_2) | instid1(VALU_DEP_3)
	v_pk_fma_f32 v[68:69], v[64:65], v[62:63], v[66:67] op_sel_hi:[1,0,1]
	v_add_nc_u32_e32 v61, 1, v61
	v_pk_fma_f32 v[62:63], v[64:65], v[62:63], v[66:67] neg_lo:[0,0,1] neg_hi:[0,0,1]
	v_mov_b32_e32 v63, v69
	s_delay_alu instid0(VALU_DEP_3) | instskip(NEXT) | instid1(VALU_DEP_2)
	v_cmp_lt_u32_e32 vcc_lo, 5, v61
	v_pk_add_f32 v[56:57], v[56:57], v[62:63]
	s_or_b32 s3, vcc_lo, s3
	s_delay_alu instid0(SALU_CYCLE_1)
	s_and_not1_b32 exec_lo, exec_lo, s3
	s_cbranch_execnz .LBB25_317
; %bb.318:
	s_or_b32 exec_lo, exec_lo, s3
.LBB25_319:
	s_delay_alu instid0(SALU_CYCLE_1) | instskip(SKIP_4) | instid1(VALU_DEP_1)
	s_or_b32 exec_lo, exec_lo, s2
	v_mov_b32_e32 v59, 0
	ds_load_b64 v[60:61], v59 offset:56
	s_wait_dscnt 0x0
	v_pk_mul_f32 v[62:63], v[56:57], v[60:61] op_sel:[1,1] op_sel_hi:[0,1]
	v_pk_fma_f32 v[64:65], v[56:57], v[60:61], v[62:63] op_sel_hi:[1,0,1]
	v_pk_fma_f32 v[56:57], v[56:57], v[60:61], v[62:63] neg_lo:[0,0,1] neg_hi:[0,0,1]
	s_delay_alu instid0(VALU_DEP_2)
	v_mov_b32_e32 v57, v65
	scratch_store_b64 off, v[56:57], off offset:56
.LBB25_320:
	s_wait_xcnt 0x0
	s_or_b32 exec_lo, exec_lo, s0
	scratch_load_b64 v[56:57], off, off offset:64
	s_mov_b32 s0, exec_lo
	s_wait_loadcnt 0x0
	ds_store_b64 v1, v[56:57]
	s_wait_storecnt_dscnt 0x0
	s_barrier_signal -1
	s_barrier_wait -1
	s_wait_xcnt 0x0
	v_cmpx_gt_u32_e32 8, v0
	s_cbranch_execz .LBB25_330
; %bb.321:
	v_cmp_ne_u32_e32 vcc_lo, 1, v58
	s_cbranch_vccnz .LBB25_323
; %bb.322:
	scratch_load_b64 v[56:57], v41, off
	ds_load_b64 v[60:61], v1
	s_wait_loadcnt_dscnt 0x0
	v_pk_mul_f32 v[62:63], v[60:61], v[56:57] op_sel:[1,1] op_sel_hi:[0,1]
	s_delay_alu instid0(VALU_DEP_1) | instskip(SKIP_1) | instid1(VALU_DEP_2)
	v_pk_fma_f32 v[64:65], v[60:61], v[56:57], v[62:63] op_sel_hi:[1,0,1]
	v_pk_fma_f32 v[56:57], v[60:61], v[56:57], v[62:63] neg_lo:[0,0,1] neg_hi:[0,0,1]
	v_mov_b32_e32 v57, v65
	s_cbranch_execz .LBB25_324
	s_branch .LBB25_325
.LBB25_323:
                                        ; implicit-def: $vgpr56_vgpr57
.LBB25_324:
	ds_load_b64 v[56:57], v1
.LBB25_325:
	s_mov_b32 s2, exec_lo
	v_cmpx_ne_u32_e32 7, v0
	s_cbranch_execz .LBB25_329
; %bb.326:
	v_add_nc_u32_e32 v59, 0xd8, v40
	v_add3_u32 v60, 0, v40, 8
	v_mov_b32_e32 v61, v0
	s_mov_b32 s3, 0
.LBB25_327:                             ; =>This Inner Loop Header: Depth=1
	scratch_load_b64 v[62:63], v60, off
	ds_load_b64 v[64:65], v59
	s_wait_xcnt 0x0
	v_dual_add_nc_u32 v59, 8, v59 :: v_dual_add_nc_u32 v60, 8, v60
	s_wait_loadcnt_dscnt 0x0
	v_pk_mul_f32 v[66:67], v[64:65], v[62:63] op_sel:[1,1] op_sel_hi:[0,1]
	s_delay_alu instid0(VALU_DEP_1) | instskip(SKIP_2) | instid1(VALU_DEP_3)
	v_pk_fma_f32 v[68:69], v[64:65], v[62:63], v[66:67] op_sel_hi:[1,0,1]
	v_add_nc_u32_e32 v61, 1, v61
	v_pk_fma_f32 v[62:63], v[64:65], v[62:63], v[66:67] neg_lo:[0,0,1] neg_hi:[0,0,1]
	v_mov_b32_e32 v63, v69
	s_delay_alu instid0(VALU_DEP_3) | instskip(NEXT) | instid1(VALU_DEP_2)
	v_cmp_lt_u32_e32 vcc_lo, 6, v61
	v_pk_add_f32 v[56:57], v[56:57], v[62:63]
	s_or_b32 s3, vcc_lo, s3
	s_delay_alu instid0(SALU_CYCLE_1)
	s_and_not1_b32 exec_lo, exec_lo, s3
	s_cbranch_execnz .LBB25_327
; %bb.328:
	s_or_b32 exec_lo, exec_lo, s3
.LBB25_329:
	s_delay_alu instid0(SALU_CYCLE_1) | instskip(SKIP_4) | instid1(VALU_DEP_1)
	s_or_b32 exec_lo, exec_lo, s2
	v_mov_b32_e32 v59, 0
	ds_load_b64 v[60:61], v59 offset:64
	s_wait_dscnt 0x0
	v_pk_mul_f32 v[62:63], v[56:57], v[60:61] op_sel:[1,1] op_sel_hi:[0,1]
	v_pk_fma_f32 v[64:65], v[56:57], v[60:61], v[62:63] op_sel_hi:[1,0,1]
	v_pk_fma_f32 v[56:57], v[56:57], v[60:61], v[62:63] neg_lo:[0,0,1] neg_hi:[0,0,1]
	s_delay_alu instid0(VALU_DEP_2)
	v_mov_b32_e32 v57, v65
	scratch_store_b64 off, v[56:57], off offset:64
.LBB25_330:
	s_wait_xcnt 0x0
	s_or_b32 exec_lo, exec_lo, s0
	scratch_load_b64 v[56:57], off, off offset:72
	s_mov_b32 s0, exec_lo
	s_wait_loadcnt 0x0
	ds_store_b64 v1, v[56:57]
	s_wait_storecnt_dscnt 0x0
	s_barrier_signal -1
	s_barrier_wait -1
	s_wait_xcnt 0x0
	v_cmpx_gt_u32_e32 9, v0
	s_cbranch_execz .LBB25_340
; %bb.331:
	v_cmp_ne_u32_e32 vcc_lo, 1, v58
	s_cbranch_vccnz .LBB25_333
; %bb.332:
	scratch_load_b64 v[56:57], v41, off
	ds_load_b64 v[60:61], v1
	s_wait_loadcnt_dscnt 0x0
	v_pk_mul_f32 v[62:63], v[60:61], v[56:57] op_sel:[1,1] op_sel_hi:[0,1]
	s_delay_alu instid0(VALU_DEP_1) | instskip(SKIP_1) | instid1(VALU_DEP_2)
	v_pk_fma_f32 v[64:65], v[60:61], v[56:57], v[62:63] op_sel_hi:[1,0,1]
	v_pk_fma_f32 v[56:57], v[60:61], v[56:57], v[62:63] neg_lo:[0,0,1] neg_hi:[0,0,1]
	v_mov_b32_e32 v57, v65
	s_cbranch_execz .LBB25_334
	s_branch .LBB25_335
.LBB25_333:
                                        ; implicit-def: $vgpr56_vgpr57
.LBB25_334:
	ds_load_b64 v[56:57], v1
.LBB25_335:
	s_mov_b32 s2, exec_lo
	v_cmpx_ne_u32_e32 8, v0
	s_cbranch_execz .LBB25_339
; %bb.336:
	v_add_nc_u32_e32 v59, 0xd8, v40
	v_add3_u32 v60, 0, v40, 8
	v_mov_b32_e32 v61, v0
	s_mov_b32 s3, 0
.LBB25_337:                             ; =>This Inner Loop Header: Depth=1
	scratch_load_b64 v[62:63], v60, off
	ds_load_b64 v[64:65], v59
	s_wait_xcnt 0x0
	v_dual_add_nc_u32 v59, 8, v59 :: v_dual_add_nc_u32 v60, 8, v60
	s_wait_loadcnt_dscnt 0x0
	v_pk_mul_f32 v[66:67], v[64:65], v[62:63] op_sel:[1,1] op_sel_hi:[0,1]
	s_delay_alu instid0(VALU_DEP_1) | instskip(SKIP_2) | instid1(VALU_DEP_3)
	v_pk_fma_f32 v[68:69], v[64:65], v[62:63], v[66:67] op_sel_hi:[1,0,1]
	v_add_nc_u32_e32 v61, 1, v61
	v_pk_fma_f32 v[62:63], v[64:65], v[62:63], v[66:67] neg_lo:[0,0,1] neg_hi:[0,0,1]
	v_mov_b32_e32 v63, v69
	s_delay_alu instid0(VALU_DEP_3) | instskip(NEXT) | instid1(VALU_DEP_2)
	v_cmp_lt_u32_e32 vcc_lo, 7, v61
	v_pk_add_f32 v[56:57], v[56:57], v[62:63]
	s_or_b32 s3, vcc_lo, s3
	s_delay_alu instid0(SALU_CYCLE_1)
	s_and_not1_b32 exec_lo, exec_lo, s3
	s_cbranch_execnz .LBB25_337
; %bb.338:
	s_or_b32 exec_lo, exec_lo, s3
.LBB25_339:
	s_delay_alu instid0(SALU_CYCLE_1) | instskip(SKIP_4) | instid1(VALU_DEP_1)
	s_or_b32 exec_lo, exec_lo, s2
	v_mov_b32_e32 v59, 0
	ds_load_b64 v[60:61], v59 offset:72
	s_wait_dscnt 0x0
	v_pk_mul_f32 v[62:63], v[56:57], v[60:61] op_sel:[1,1] op_sel_hi:[0,1]
	v_pk_fma_f32 v[64:65], v[56:57], v[60:61], v[62:63] op_sel_hi:[1,0,1]
	v_pk_fma_f32 v[56:57], v[56:57], v[60:61], v[62:63] neg_lo:[0,0,1] neg_hi:[0,0,1]
	s_delay_alu instid0(VALU_DEP_2)
	v_mov_b32_e32 v57, v65
	scratch_store_b64 off, v[56:57], off offset:72
.LBB25_340:
	s_wait_xcnt 0x0
	s_or_b32 exec_lo, exec_lo, s0
	scratch_load_b64 v[56:57], off, off offset:80
	s_mov_b32 s0, exec_lo
	s_wait_loadcnt 0x0
	ds_store_b64 v1, v[56:57]
	s_wait_storecnt_dscnt 0x0
	s_barrier_signal -1
	s_barrier_wait -1
	s_wait_xcnt 0x0
	v_cmpx_gt_u32_e32 10, v0
	s_cbranch_execz .LBB25_350
; %bb.341:
	v_cmp_ne_u32_e32 vcc_lo, 1, v58
	s_cbranch_vccnz .LBB25_343
; %bb.342:
	scratch_load_b64 v[56:57], v41, off
	ds_load_b64 v[60:61], v1
	s_wait_loadcnt_dscnt 0x0
	v_pk_mul_f32 v[62:63], v[60:61], v[56:57] op_sel:[1,1] op_sel_hi:[0,1]
	s_delay_alu instid0(VALU_DEP_1) | instskip(SKIP_1) | instid1(VALU_DEP_2)
	v_pk_fma_f32 v[64:65], v[60:61], v[56:57], v[62:63] op_sel_hi:[1,0,1]
	v_pk_fma_f32 v[56:57], v[60:61], v[56:57], v[62:63] neg_lo:[0,0,1] neg_hi:[0,0,1]
	v_mov_b32_e32 v57, v65
	s_cbranch_execz .LBB25_344
	s_branch .LBB25_345
.LBB25_343:
                                        ; implicit-def: $vgpr56_vgpr57
.LBB25_344:
	ds_load_b64 v[56:57], v1
.LBB25_345:
	s_mov_b32 s2, exec_lo
	v_cmpx_ne_u32_e32 9, v0
	s_cbranch_execz .LBB25_349
; %bb.346:
	v_add_nc_u32_e32 v59, 0xd8, v40
	v_add3_u32 v60, 0, v40, 8
	v_mov_b32_e32 v61, v0
	s_mov_b32 s3, 0
.LBB25_347:                             ; =>This Inner Loop Header: Depth=1
	scratch_load_b64 v[62:63], v60, off
	ds_load_b64 v[64:65], v59
	s_wait_xcnt 0x0
	v_dual_add_nc_u32 v59, 8, v59 :: v_dual_add_nc_u32 v60, 8, v60
	s_wait_loadcnt_dscnt 0x0
	v_pk_mul_f32 v[66:67], v[64:65], v[62:63] op_sel:[1,1] op_sel_hi:[0,1]
	s_delay_alu instid0(VALU_DEP_1) | instskip(SKIP_2) | instid1(VALU_DEP_3)
	v_pk_fma_f32 v[68:69], v[64:65], v[62:63], v[66:67] op_sel_hi:[1,0,1]
	v_add_nc_u32_e32 v61, 1, v61
	v_pk_fma_f32 v[62:63], v[64:65], v[62:63], v[66:67] neg_lo:[0,0,1] neg_hi:[0,0,1]
	v_mov_b32_e32 v63, v69
	s_delay_alu instid0(VALU_DEP_3) | instskip(NEXT) | instid1(VALU_DEP_2)
	v_cmp_lt_u32_e32 vcc_lo, 8, v61
	v_pk_add_f32 v[56:57], v[56:57], v[62:63]
	s_or_b32 s3, vcc_lo, s3
	s_delay_alu instid0(SALU_CYCLE_1)
	s_and_not1_b32 exec_lo, exec_lo, s3
	s_cbranch_execnz .LBB25_347
; %bb.348:
	s_or_b32 exec_lo, exec_lo, s3
.LBB25_349:
	s_delay_alu instid0(SALU_CYCLE_1) | instskip(SKIP_4) | instid1(VALU_DEP_1)
	s_or_b32 exec_lo, exec_lo, s2
	v_mov_b32_e32 v59, 0
	ds_load_b64 v[60:61], v59 offset:80
	s_wait_dscnt 0x0
	v_pk_mul_f32 v[62:63], v[56:57], v[60:61] op_sel:[1,1] op_sel_hi:[0,1]
	v_pk_fma_f32 v[64:65], v[56:57], v[60:61], v[62:63] op_sel_hi:[1,0,1]
	v_pk_fma_f32 v[56:57], v[56:57], v[60:61], v[62:63] neg_lo:[0,0,1] neg_hi:[0,0,1]
	s_delay_alu instid0(VALU_DEP_2)
	v_mov_b32_e32 v57, v65
	scratch_store_b64 off, v[56:57], off offset:80
.LBB25_350:
	s_wait_xcnt 0x0
	s_or_b32 exec_lo, exec_lo, s0
	scratch_load_b64 v[56:57], off, off offset:88
	s_mov_b32 s0, exec_lo
	s_wait_loadcnt 0x0
	ds_store_b64 v1, v[56:57]
	s_wait_storecnt_dscnt 0x0
	s_barrier_signal -1
	s_barrier_wait -1
	s_wait_xcnt 0x0
	v_cmpx_gt_u32_e32 11, v0
	s_cbranch_execz .LBB25_360
; %bb.351:
	v_cmp_ne_u32_e32 vcc_lo, 1, v58
	s_cbranch_vccnz .LBB25_353
; %bb.352:
	scratch_load_b64 v[56:57], v41, off
	ds_load_b64 v[60:61], v1
	s_wait_loadcnt_dscnt 0x0
	v_pk_mul_f32 v[62:63], v[60:61], v[56:57] op_sel:[1,1] op_sel_hi:[0,1]
	s_delay_alu instid0(VALU_DEP_1) | instskip(SKIP_1) | instid1(VALU_DEP_2)
	v_pk_fma_f32 v[64:65], v[60:61], v[56:57], v[62:63] op_sel_hi:[1,0,1]
	v_pk_fma_f32 v[56:57], v[60:61], v[56:57], v[62:63] neg_lo:[0,0,1] neg_hi:[0,0,1]
	v_mov_b32_e32 v57, v65
	s_cbranch_execz .LBB25_354
	s_branch .LBB25_355
.LBB25_353:
                                        ; implicit-def: $vgpr56_vgpr57
.LBB25_354:
	ds_load_b64 v[56:57], v1
.LBB25_355:
	s_mov_b32 s2, exec_lo
	v_cmpx_ne_u32_e32 10, v0
	s_cbranch_execz .LBB25_359
; %bb.356:
	v_add_nc_u32_e32 v59, 0xd8, v40
	v_add3_u32 v60, 0, v40, 8
	v_mov_b32_e32 v61, v0
	s_mov_b32 s3, 0
.LBB25_357:                             ; =>This Inner Loop Header: Depth=1
	scratch_load_b64 v[62:63], v60, off
	ds_load_b64 v[64:65], v59
	s_wait_xcnt 0x0
	v_dual_add_nc_u32 v59, 8, v59 :: v_dual_add_nc_u32 v60, 8, v60
	s_wait_loadcnt_dscnt 0x0
	v_pk_mul_f32 v[66:67], v[64:65], v[62:63] op_sel:[1,1] op_sel_hi:[0,1]
	s_delay_alu instid0(VALU_DEP_1) | instskip(SKIP_2) | instid1(VALU_DEP_3)
	v_pk_fma_f32 v[68:69], v[64:65], v[62:63], v[66:67] op_sel_hi:[1,0,1]
	v_add_nc_u32_e32 v61, 1, v61
	v_pk_fma_f32 v[62:63], v[64:65], v[62:63], v[66:67] neg_lo:[0,0,1] neg_hi:[0,0,1]
	v_mov_b32_e32 v63, v69
	s_delay_alu instid0(VALU_DEP_3) | instskip(NEXT) | instid1(VALU_DEP_2)
	v_cmp_lt_u32_e32 vcc_lo, 9, v61
	v_pk_add_f32 v[56:57], v[56:57], v[62:63]
	s_or_b32 s3, vcc_lo, s3
	s_delay_alu instid0(SALU_CYCLE_1)
	s_and_not1_b32 exec_lo, exec_lo, s3
	s_cbranch_execnz .LBB25_357
; %bb.358:
	s_or_b32 exec_lo, exec_lo, s3
.LBB25_359:
	s_delay_alu instid0(SALU_CYCLE_1) | instskip(SKIP_4) | instid1(VALU_DEP_1)
	s_or_b32 exec_lo, exec_lo, s2
	v_mov_b32_e32 v59, 0
	ds_load_b64 v[60:61], v59 offset:88
	s_wait_dscnt 0x0
	v_pk_mul_f32 v[62:63], v[56:57], v[60:61] op_sel:[1,1] op_sel_hi:[0,1]
	v_pk_fma_f32 v[64:65], v[56:57], v[60:61], v[62:63] op_sel_hi:[1,0,1]
	v_pk_fma_f32 v[56:57], v[56:57], v[60:61], v[62:63] neg_lo:[0,0,1] neg_hi:[0,0,1]
	s_delay_alu instid0(VALU_DEP_2)
	v_mov_b32_e32 v57, v65
	scratch_store_b64 off, v[56:57], off offset:88
.LBB25_360:
	s_wait_xcnt 0x0
	s_or_b32 exec_lo, exec_lo, s0
	scratch_load_b64 v[56:57], off, off offset:96
	s_mov_b32 s0, exec_lo
	s_wait_loadcnt 0x0
	ds_store_b64 v1, v[56:57]
	s_wait_storecnt_dscnt 0x0
	s_barrier_signal -1
	s_barrier_wait -1
	s_wait_xcnt 0x0
	v_cmpx_gt_u32_e32 12, v0
	s_cbranch_execz .LBB25_370
; %bb.361:
	v_cmp_ne_u32_e32 vcc_lo, 1, v58
	s_cbranch_vccnz .LBB25_363
; %bb.362:
	scratch_load_b64 v[56:57], v41, off
	ds_load_b64 v[60:61], v1
	s_wait_loadcnt_dscnt 0x0
	v_pk_mul_f32 v[62:63], v[60:61], v[56:57] op_sel:[1,1] op_sel_hi:[0,1]
	s_delay_alu instid0(VALU_DEP_1) | instskip(SKIP_1) | instid1(VALU_DEP_2)
	v_pk_fma_f32 v[64:65], v[60:61], v[56:57], v[62:63] op_sel_hi:[1,0,1]
	v_pk_fma_f32 v[56:57], v[60:61], v[56:57], v[62:63] neg_lo:[0,0,1] neg_hi:[0,0,1]
	v_mov_b32_e32 v57, v65
	s_cbranch_execz .LBB25_364
	s_branch .LBB25_365
.LBB25_363:
                                        ; implicit-def: $vgpr56_vgpr57
.LBB25_364:
	ds_load_b64 v[56:57], v1
.LBB25_365:
	s_mov_b32 s2, exec_lo
	v_cmpx_ne_u32_e32 11, v0
	s_cbranch_execz .LBB25_369
; %bb.366:
	v_add_nc_u32_e32 v59, 0xd8, v40
	v_add3_u32 v60, 0, v40, 8
	v_mov_b32_e32 v61, v0
	s_mov_b32 s3, 0
.LBB25_367:                             ; =>This Inner Loop Header: Depth=1
	scratch_load_b64 v[62:63], v60, off
	ds_load_b64 v[64:65], v59
	s_wait_xcnt 0x0
	v_dual_add_nc_u32 v59, 8, v59 :: v_dual_add_nc_u32 v60, 8, v60
	s_wait_loadcnt_dscnt 0x0
	v_pk_mul_f32 v[66:67], v[64:65], v[62:63] op_sel:[1,1] op_sel_hi:[0,1]
	s_delay_alu instid0(VALU_DEP_1) | instskip(SKIP_2) | instid1(VALU_DEP_3)
	v_pk_fma_f32 v[68:69], v[64:65], v[62:63], v[66:67] op_sel_hi:[1,0,1]
	v_add_nc_u32_e32 v61, 1, v61
	v_pk_fma_f32 v[62:63], v[64:65], v[62:63], v[66:67] neg_lo:[0,0,1] neg_hi:[0,0,1]
	v_mov_b32_e32 v63, v69
	s_delay_alu instid0(VALU_DEP_3) | instskip(NEXT) | instid1(VALU_DEP_2)
	v_cmp_lt_u32_e32 vcc_lo, 10, v61
	v_pk_add_f32 v[56:57], v[56:57], v[62:63]
	s_or_b32 s3, vcc_lo, s3
	s_delay_alu instid0(SALU_CYCLE_1)
	s_and_not1_b32 exec_lo, exec_lo, s3
	s_cbranch_execnz .LBB25_367
; %bb.368:
	s_or_b32 exec_lo, exec_lo, s3
.LBB25_369:
	s_delay_alu instid0(SALU_CYCLE_1) | instskip(SKIP_4) | instid1(VALU_DEP_1)
	s_or_b32 exec_lo, exec_lo, s2
	v_mov_b32_e32 v59, 0
	ds_load_b64 v[60:61], v59 offset:96
	s_wait_dscnt 0x0
	v_pk_mul_f32 v[62:63], v[56:57], v[60:61] op_sel:[1,1] op_sel_hi:[0,1]
	v_pk_fma_f32 v[64:65], v[56:57], v[60:61], v[62:63] op_sel_hi:[1,0,1]
	v_pk_fma_f32 v[56:57], v[56:57], v[60:61], v[62:63] neg_lo:[0,0,1] neg_hi:[0,0,1]
	s_delay_alu instid0(VALU_DEP_2)
	v_mov_b32_e32 v57, v65
	scratch_store_b64 off, v[56:57], off offset:96
.LBB25_370:
	s_wait_xcnt 0x0
	s_or_b32 exec_lo, exec_lo, s0
	scratch_load_b64 v[56:57], off, off offset:104
	s_mov_b32 s0, exec_lo
	s_wait_loadcnt 0x0
	ds_store_b64 v1, v[56:57]
	s_wait_storecnt_dscnt 0x0
	s_barrier_signal -1
	s_barrier_wait -1
	s_wait_xcnt 0x0
	v_cmpx_gt_u32_e32 13, v0
	s_cbranch_execz .LBB25_380
; %bb.371:
	v_cmp_ne_u32_e32 vcc_lo, 1, v58
	s_cbranch_vccnz .LBB25_373
; %bb.372:
	scratch_load_b64 v[56:57], v41, off
	ds_load_b64 v[60:61], v1
	s_wait_loadcnt_dscnt 0x0
	v_pk_mul_f32 v[62:63], v[60:61], v[56:57] op_sel:[1,1] op_sel_hi:[0,1]
	s_delay_alu instid0(VALU_DEP_1) | instskip(SKIP_1) | instid1(VALU_DEP_2)
	v_pk_fma_f32 v[64:65], v[60:61], v[56:57], v[62:63] op_sel_hi:[1,0,1]
	v_pk_fma_f32 v[56:57], v[60:61], v[56:57], v[62:63] neg_lo:[0,0,1] neg_hi:[0,0,1]
	v_mov_b32_e32 v57, v65
	s_cbranch_execz .LBB25_374
	s_branch .LBB25_375
.LBB25_373:
                                        ; implicit-def: $vgpr56_vgpr57
.LBB25_374:
	ds_load_b64 v[56:57], v1
.LBB25_375:
	s_mov_b32 s2, exec_lo
	v_cmpx_ne_u32_e32 12, v0
	s_cbranch_execz .LBB25_379
; %bb.376:
	v_add_nc_u32_e32 v59, 0xd8, v40
	v_add3_u32 v60, 0, v40, 8
	v_mov_b32_e32 v61, v0
	s_mov_b32 s3, 0
.LBB25_377:                             ; =>This Inner Loop Header: Depth=1
	scratch_load_b64 v[62:63], v60, off
	ds_load_b64 v[64:65], v59
	s_wait_xcnt 0x0
	v_dual_add_nc_u32 v59, 8, v59 :: v_dual_add_nc_u32 v60, 8, v60
	s_wait_loadcnt_dscnt 0x0
	v_pk_mul_f32 v[66:67], v[64:65], v[62:63] op_sel:[1,1] op_sel_hi:[0,1]
	s_delay_alu instid0(VALU_DEP_1) | instskip(SKIP_2) | instid1(VALU_DEP_3)
	v_pk_fma_f32 v[68:69], v[64:65], v[62:63], v[66:67] op_sel_hi:[1,0,1]
	v_add_nc_u32_e32 v61, 1, v61
	v_pk_fma_f32 v[62:63], v[64:65], v[62:63], v[66:67] neg_lo:[0,0,1] neg_hi:[0,0,1]
	v_mov_b32_e32 v63, v69
	s_delay_alu instid0(VALU_DEP_3) | instskip(NEXT) | instid1(VALU_DEP_2)
	v_cmp_lt_u32_e32 vcc_lo, 11, v61
	v_pk_add_f32 v[56:57], v[56:57], v[62:63]
	s_or_b32 s3, vcc_lo, s3
	s_delay_alu instid0(SALU_CYCLE_1)
	s_and_not1_b32 exec_lo, exec_lo, s3
	s_cbranch_execnz .LBB25_377
; %bb.378:
	s_or_b32 exec_lo, exec_lo, s3
.LBB25_379:
	s_delay_alu instid0(SALU_CYCLE_1) | instskip(SKIP_4) | instid1(VALU_DEP_1)
	s_or_b32 exec_lo, exec_lo, s2
	v_mov_b32_e32 v59, 0
	ds_load_b64 v[60:61], v59 offset:104
	s_wait_dscnt 0x0
	v_pk_mul_f32 v[62:63], v[56:57], v[60:61] op_sel:[1,1] op_sel_hi:[0,1]
	v_pk_fma_f32 v[64:65], v[56:57], v[60:61], v[62:63] op_sel_hi:[1,0,1]
	v_pk_fma_f32 v[56:57], v[56:57], v[60:61], v[62:63] neg_lo:[0,0,1] neg_hi:[0,0,1]
	s_delay_alu instid0(VALU_DEP_2)
	v_mov_b32_e32 v57, v65
	scratch_store_b64 off, v[56:57], off offset:104
.LBB25_380:
	s_wait_xcnt 0x0
	s_or_b32 exec_lo, exec_lo, s0
	scratch_load_b64 v[56:57], off, off offset:112
	s_mov_b32 s0, exec_lo
	s_wait_loadcnt 0x0
	ds_store_b64 v1, v[56:57]
	s_wait_storecnt_dscnt 0x0
	s_barrier_signal -1
	s_barrier_wait -1
	s_wait_xcnt 0x0
	v_cmpx_gt_u32_e32 14, v0
	s_cbranch_execz .LBB25_390
; %bb.381:
	v_cmp_ne_u32_e32 vcc_lo, 1, v58
	s_cbranch_vccnz .LBB25_383
; %bb.382:
	scratch_load_b64 v[56:57], v41, off
	ds_load_b64 v[60:61], v1
	s_wait_loadcnt_dscnt 0x0
	v_pk_mul_f32 v[62:63], v[60:61], v[56:57] op_sel:[1,1] op_sel_hi:[0,1]
	s_delay_alu instid0(VALU_DEP_1) | instskip(SKIP_1) | instid1(VALU_DEP_2)
	v_pk_fma_f32 v[64:65], v[60:61], v[56:57], v[62:63] op_sel_hi:[1,0,1]
	v_pk_fma_f32 v[56:57], v[60:61], v[56:57], v[62:63] neg_lo:[0,0,1] neg_hi:[0,0,1]
	v_mov_b32_e32 v57, v65
	s_cbranch_execz .LBB25_384
	s_branch .LBB25_385
.LBB25_383:
                                        ; implicit-def: $vgpr56_vgpr57
.LBB25_384:
	ds_load_b64 v[56:57], v1
.LBB25_385:
	s_mov_b32 s2, exec_lo
	v_cmpx_ne_u32_e32 13, v0
	s_cbranch_execz .LBB25_389
; %bb.386:
	v_add_nc_u32_e32 v59, 0xd8, v40
	v_add3_u32 v60, 0, v40, 8
	v_mov_b32_e32 v61, v0
	s_mov_b32 s3, 0
.LBB25_387:                             ; =>This Inner Loop Header: Depth=1
	scratch_load_b64 v[62:63], v60, off
	ds_load_b64 v[64:65], v59
	s_wait_xcnt 0x0
	v_dual_add_nc_u32 v59, 8, v59 :: v_dual_add_nc_u32 v60, 8, v60
	s_wait_loadcnt_dscnt 0x0
	v_pk_mul_f32 v[66:67], v[64:65], v[62:63] op_sel:[1,1] op_sel_hi:[0,1]
	s_delay_alu instid0(VALU_DEP_1) | instskip(SKIP_2) | instid1(VALU_DEP_3)
	v_pk_fma_f32 v[68:69], v[64:65], v[62:63], v[66:67] op_sel_hi:[1,0,1]
	v_add_nc_u32_e32 v61, 1, v61
	v_pk_fma_f32 v[62:63], v[64:65], v[62:63], v[66:67] neg_lo:[0,0,1] neg_hi:[0,0,1]
	v_mov_b32_e32 v63, v69
	s_delay_alu instid0(VALU_DEP_3) | instskip(NEXT) | instid1(VALU_DEP_2)
	v_cmp_lt_u32_e32 vcc_lo, 12, v61
	v_pk_add_f32 v[56:57], v[56:57], v[62:63]
	s_or_b32 s3, vcc_lo, s3
	s_delay_alu instid0(SALU_CYCLE_1)
	s_and_not1_b32 exec_lo, exec_lo, s3
	s_cbranch_execnz .LBB25_387
; %bb.388:
	s_or_b32 exec_lo, exec_lo, s3
.LBB25_389:
	s_delay_alu instid0(SALU_CYCLE_1) | instskip(SKIP_4) | instid1(VALU_DEP_1)
	s_or_b32 exec_lo, exec_lo, s2
	v_mov_b32_e32 v59, 0
	ds_load_b64 v[60:61], v59 offset:112
	s_wait_dscnt 0x0
	v_pk_mul_f32 v[62:63], v[56:57], v[60:61] op_sel:[1,1] op_sel_hi:[0,1]
	v_pk_fma_f32 v[64:65], v[56:57], v[60:61], v[62:63] op_sel_hi:[1,0,1]
	v_pk_fma_f32 v[56:57], v[56:57], v[60:61], v[62:63] neg_lo:[0,0,1] neg_hi:[0,0,1]
	s_delay_alu instid0(VALU_DEP_2)
	v_mov_b32_e32 v57, v65
	scratch_store_b64 off, v[56:57], off offset:112
.LBB25_390:
	s_wait_xcnt 0x0
	s_or_b32 exec_lo, exec_lo, s0
	scratch_load_b64 v[56:57], off, off offset:120
	s_mov_b32 s0, exec_lo
	s_wait_loadcnt 0x0
	ds_store_b64 v1, v[56:57]
	s_wait_storecnt_dscnt 0x0
	s_barrier_signal -1
	s_barrier_wait -1
	s_wait_xcnt 0x0
	v_cmpx_gt_u32_e32 15, v0
	s_cbranch_execz .LBB25_400
; %bb.391:
	v_cmp_ne_u32_e32 vcc_lo, 1, v58
	s_cbranch_vccnz .LBB25_393
; %bb.392:
	scratch_load_b64 v[56:57], v41, off
	ds_load_b64 v[60:61], v1
	s_wait_loadcnt_dscnt 0x0
	v_pk_mul_f32 v[62:63], v[60:61], v[56:57] op_sel:[1,1] op_sel_hi:[0,1]
	s_delay_alu instid0(VALU_DEP_1) | instskip(SKIP_1) | instid1(VALU_DEP_2)
	v_pk_fma_f32 v[64:65], v[60:61], v[56:57], v[62:63] op_sel_hi:[1,0,1]
	v_pk_fma_f32 v[56:57], v[60:61], v[56:57], v[62:63] neg_lo:[0,0,1] neg_hi:[0,0,1]
	v_mov_b32_e32 v57, v65
	s_cbranch_execz .LBB25_394
	s_branch .LBB25_395
.LBB25_393:
                                        ; implicit-def: $vgpr56_vgpr57
.LBB25_394:
	ds_load_b64 v[56:57], v1
.LBB25_395:
	s_mov_b32 s2, exec_lo
	v_cmpx_ne_u32_e32 14, v0
	s_cbranch_execz .LBB25_399
; %bb.396:
	v_add_nc_u32_e32 v59, 0xd8, v40
	v_add3_u32 v60, 0, v40, 8
	v_mov_b32_e32 v61, v0
	s_mov_b32 s3, 0
.LBB25_397:                             ; =>This Inner Loop Header: Depth=1
	scratch_load_b64 v[62:63], v60, off
	ds_load_b64 v[64:65], v59
	s_wait_xcnt 0x0
	v_dual_add_nc_u32 v59, 8, v59 :: v_dual_add_nc_u32 v60, 8, v60
	s_wait_loadcnt_dscnt 0x0
	v_pk_mul_f32 v[66:67], v[64:65], v[62:63] op_sel:[1,1] op_sel_hi:[0,1]
	s_delay_alu instid0(VALU_DEP_1) | instskip(SKIP_2) | instid1(VALU_DEP_3)
	v_pk_fma_f32 v[68:69], v[64:65], v[62:63], v[66:67] op_sel_hi:[1,0,1]
	v_add_nc_u32_e32 v61, 1, v61
	v_pk_fma_f32 v[62:63], v[64:65], v[62:63], v[66:67] neg_lo:[0,0,1] neg_hi:[0,0,1]
	v_mov_b32_e32 v63, v69
	s_delay_alu instid0(VALU_DEP_3) | instskip(NEXT) | instid1(VALU_DEP_2)
	v_cmp_lt_u32_e32 vcc_lo, 13, v61
	v_pk_add_f32 v[56:57], v[56:57], v[62:63]
	s_or_b32 s3, vcc_lo, s3
	s_delay_alu instid0(SALU_CYCLE_1)
	s_and_not1_b32 exec_lo, exec_lo, s3
	s_cbranch_execnz .LBB25_397
; %bb.398:
	s_or_b32 exec_lo, exec_lo, s3
.LBB25_399:
	s_delay_alu instid0(SALU_CYCLE_1) | instskip(SKIP_4) | instid1(VALU_DEP_1)
	s_or_b32 exec_lo, exec_lo, s2
	v_mov_b32_e32 v59, 0
	ds_load_b64 v[60:61], v59 offset:120
	s_wait_dscnt 0x0
	v_pk_mul_f32 v[62:63], v[56:57], v[60:61] op_sel:[1,1] op_sel_hi:[0,1]
	v_pk_fma_f32 v[64:65], v[56:57], v[60:61], v[62:63] op_sel_hi:[1,0,1]
	v_pk_fma_f32 v[56:57], v[56:57], v[60:61], v[62:63] neg_lo:[0,0,1] neg_hi:[0,0,1]
	s_delay_alu instid0(VALU_DEP_2)
	v_mov_b32_e32 v57, v65
	scratch_store_b64 off, v[56:57], off offset:120
.LBB25_400:
	s_wait_xcnt 0x0
	s_or_b32 exec_lo, exec_lo, s0
	scratch_load_b64 v[56:57], off, off offset:128
	s_mov_b32 s0, exec_lo
	s_wait_loadcnt 0x0
	ds_store_b64 v1, v[56:57]
	s_wait_storecnt_dscnt 0x0
	s_barrier_signal -1
	s_barrier_wait -1
	s_wait_xcnt 0x0
	v_cmpx_gt_u32_e32 16, v0
	s_cbranch_execz .LBB25_410
; %bb.401:
	v_cmp_ne_u32_e32 vcc_lo, 1, v58
	s_cbranch_vccnz .LBB25_403
; %bb.402:
	scratch_load_b64 v[56:57], v41, off
	ds_load_b64 v[60:61], v1
	s_wait_loadcnt_dscnt 0x0
	v_pk_mul_f32 v[62:63], v[60:61], v[56:57] op_sel:[1,1] op_sel_hi:[0,1]
	s_delay_alu instid0(VALU_DEP_1) | instskip(SKIP_1) | instid1(VALU_DEP_2)
	v_pk_fma_f32 v[64:65], v[60:61], v[56:57], v[62:63] op_sel_hi:[1,0,1]
	v_pk_fma_f32 v[56:57], v[60:61], v[56:57], v[62:63] neg_lo:[0,0,1] neg_hi:[0,0,1]
	v_mov_b32_e32 v57, v65
	s_cbranch_execz .LBB25_404
	s_branch .LBB25_405
.LBB25_403:
                                        ; implicit-def: $vgpr56_vgpr57
.LBB25_404:
	ds_load_b64 v[56:57], v1
.LBB25_405:
	s_mov_b32 s2, exec_lo
	v_cmpx_ne_u32_e32 15, v0
	s_cbranch_execz .LBB25_409
; %bb.406:
	v_add_nc_u32_e32 v59, 0xd8, v40
	v_add3_u32 v60, 0, v40, 8
	v_mov_b32_e32 v61, v0
	s_mov_b32 s3, 0
.LBB25_407:                             ; =>This Inner Loop Header: Depth=1
	scratch_load_b64 v[62:63], v60, off
	ds_load_b64 v[64:65], v59
	s_wait_xcnt 0x0
	v_dual_add_nc_u32 v59, 8, v59 :: v_dual_add_nc_u32 v60, 8, v60
	s_wait_loadcnt_dscnt 0x0
	v_pk_mul_f32 v[66:67], v[64:65], v[62:63] op_sel:[1,1] op_sel_hi:[0,1]
	s_delay_alu instid0(VALU_DEP_1) | instskip(SKIP_2) | instid1(VALU_DEP_3)
	v_pk_fma_f32 v[68:69], v[64:65], v[62:63], v[66:67] op_sel_hi:[1,0,1]
	v_add_nc_u32_e32 v61, 1, v61
	v_pk_fma_f32 v[62:63], v[64:65], v[62:63], v[66:67] neg_lo:[0,0,1] neg_hi:[0,0,1]
	v_mov_b32_e32 v63, v69
	s_delay_alu instid0(VALU_DEP_3) | instskip(NEXT) | instid1(VALU_DEP_2)
	v_cmp_lt_u32_e32 vcc_lo, 14, v61
	v_pk_add_f32 v[56:57], v[56:57], v[62:63]
	s_or_b32 s3, vcc_lo, s3
	s_delay_alu instid0(SALU_CYCLE_1)
	s_and_not1_b32 exec_lo, exec_lo, s3
	s_cbranch_execnz .LBB25_407
; %bb.408:
	s_or_b32 exec_lo, exec_lo, s3
.LBB25_409:
	s_delay_alu instid0(SALU_CYCLE_1) | instskip(SKIP_4) | instid1(VALU_DEP_1)
	s_or_b32 exec_lo, exec_lo, s2
	v_mov_b32_e32 v59, 0
	ds_load_b64 v[60:61], v59 offset:128
	s_wait_dscnt 0x0
	v_pk_mul_f32 v[62:63], v[56:57], v[60:61] op_sel:[1,1] op_sel_hi:[0,1]
	v_pk_fma_f32 v[64:65], v[56:57], v[60:61], v[62:63] op_sel_hi:[1,0,1]
	v_pk_fma_f32 v[56:57], v[56:57], v[60:61], v[62:63] neg_lo:[0,0,1] neg_hi:[0,0,1]
	s_delay_alu instid0(VALU_DEP_2)
	v_mov_b32_e32 v57, v65
	scratch_store_b64 off, v[56:57], off offset:128
.LBB25_410:
	s_wait_xcnt 0x0
	s_or_b32 exec_lo, exec_lo, s0
	scratch_load_b64 v[56:57], off, off offset:136
	s_mov_b32 s0, exec_lo
	s_wait_loadcnt 0x0
	ds_store_b64 v1, v[56:57]
	s_wait_storecnt_dscnt 0x0
	s_barrier_signal -1
	s_barrier_wait -1
	s_wait_xcnt 0x0
	v_cmpx_gt_u32_e32 17, v0
	s_cbranch_execz .LBB25_420
; %bb.411:
	v_cmp_ne_u32_e32 vcc_lo, 1, v58
	s_cbranch_vccnz .LBB25_413
; %bb.412:
	scratch_load_b64 v[56:57], v41, off
	ds_load_b64 v[60:61], v1
	s_wait_loadcnt_dscnt 0x0
	v_pk_mul_f32 v[62:63], v[60:61], v[56:57] op_sel:[1,1] op_sel_hi:[0,1]
	s_delay_alu instid0(VALU_DEP_1) | instskip(SKIP_1) | instid1(VALU_DEP_2)
	v_pk_fma_f32 v[64:65], v[60:61], v[56:57], v[62:63] op_sel_hi:[1,0,1]
	v_pk_fma_f32 v[56:57], v[60:61], v[56:57], v[62:63] neg_lo:[0,0,1] neg_hi:[0,0,1]
	v_mov_b32_e32 v57, v65
	s_cbranch_execz .LBB25_414
	s_branch .LBB25_415
.LBB25_413:
                                        ; implicit-def: $vgpr56_vgpr57
.LBB25_414:
	ds_load_b64 v[56:57], v1
.LBB25_415:
	s_mov_b32 s2, exec_lo
	v_cmpx_ne_u32_e32 16, v0
	s_cbranch_execz .LBB25_419
; %bb.416:
	v_add_nc_u32_e32 v59, 0xd8, v40
	v_add3_u32 v60, 0, v40, 8
	v_mov_b32_e32 v61, v0
	s_mov_b32 s3, 0
.LBB25_417:                             ; =>This Inner Loop Header: Depth=1
	scratch_load_b64 v[62:63], v60, off
	ds_load_b64 v[64:65], v59
	s_wait_xcnt 0x0
	v_dual_add_nc_u32 v59, 8, v59 :: v_dual_add_nc_u32 v60, 8, v60
	s_wait_loadcnt_dscnt 0x0
	v_pk_mul_f32 v[66:67], v[64:65], v[62:63] op_sel:[1,1] op_sel_hi:[0,1]
	s_delay_alu instid0(VALU_DEP_1) | instskip(SKIP_2) | instid1(VALU_DEP_3)
	v_pk_fma_f32 v[68:69], v[64:65], v[62:63], v[66:67] op_sel_hi:[1,0,1]
	v_add_nc_u32_e32 v61, 1, v61
	v_pk_fma_f32 v[62:63], v[64:65], v[62:63], v[66:67] neg_lo:[0,0,1] neg_hi:[0,0,1]
	v_mov_b32_e32 v63, v69
	s_delay_alu instid0(VALU_DEP_3) | instskip(NEXT) | instid1(VALU_DEP_2)
	v_cmp_lt_u32_e32 vcc_lo, 15, v61
	v_pk_add_f32 v[56:57], v[56:57], v[62:63]
	s_or_b32 s3, vcc_lo, s3
	s_delay_alu instid0(SALU_CYCLE_1)
	s_and_not1_b32 exec_lo, exec_lo, s3
	s_cbranch_execnz .LBB25_417
; %bb.418:
	s_or_b32 exec_lo, exec_lo, s3
.LBB25_419:
	s_delay_alu instid0(SALU_CYCLE_1) | instskip(SKIP_4) | instid1(VALU_DEP_1)
	s_or_b32 exec_lo, exec_lo, s2
	v_mov_b32_e32 v59, 0
	ds_load_b64 v[60:61], v59 offset:136
	s_wait_dscnt 0x0
	v_pk_mul_f32 v[62:63], v[56:57], v[60:61] op_sel:[1,1] op_sel_hi:[0,1]
	v_pk_fma_f32 v[64:65], v[56:57], v[60:61], v[62:63] op_sel_hi:[1,0,1]
	v_pk_fma_f32 v[56:57], v[56:57], v[60:61], v[62:63] neg_lo:[0,0,1] neg_hi:[0,0,1]
	s_delay_alu instid0(VALU_DEP_2)
	v_mov_b32_e32 v57, v65
	scratch_store_b64 off, v[56:57], off offset:136
.LBB25_420:
	s_wait_xcnt 0x0
	s_or_b32 exec_lo, exec_lo, s0
	scratch_load_b64 v[56:57], off, off offset:144
	s_mov_b32 s0, exec_lo
	s_wait_loadcnt 0x0
	ds_store_b64 v1, v[56:57]
	s_wait_storecnt_dscnt 0x0
	s_barrier_signal -1
	s_barrier_wait -1
	s_wait_xcnt 0x0
	v_cmpx_gt_u32_e32 18, v0
	s_cbranch_execz .LBB25_430
; %bb.421:
	v_cmp_ne_u32_e32 vcc_lo, 1, v58
	s_cbranch_vccnz .LBB25_423
; %bb.422:
	scratch_load_b64 v[56:57], v41, off
	ds_load_b64 v[60:61], v1
	s_wait_loadcnt_dscnt 0x0
	v_pk_mul_f32 v[62:63], v[60:61], v[56:57] op_sel:[1,1] op_sel_hi:[0,1]
	s_delay_alu instid0(VALU_DEP_1) | instskip(SKIP_1) | instid1(VALU_DEP_2)
	v_pk_fma_f32 v[64:65], v[60:61], v[56:57], v[62:63] op_sel_hi:[1,0,1]
	v_pk_fma_f32 v[56:57], v[60:61], v[56:57], v[62:63] neg_lo:[0,0,1] neg_hi:[0,0,1]
	v_mov_b32_e32 v57, v65
	s_cbranch_execz .LBB25_424
	s_branch .LBB25_425
.LBB25_423:
                                        ; implicit-def: $vgpr56_vgpr57
.LBB25_424:
	ds_load_b64 v[56:57], v1
.LBB25_425:
	s_mov_b32 s2, exec_lo
	v_cmpx_ne_u32_e32 17, v0
	s_cbranch_execz .LBB25_429
; %bb.426:
	v_add_nc_u32_e32 v59, 0xd8, v40
	v_add3_u32 v60, 0, v40, 8
	v_mov_b32_e32 v61, v0
	s_mov_b32 s3, 0
.LBB25_427:                             ; =>This Inner Loop Header: Depth=1
	scratch_load_b64 v[62:63], v60, off
	ds_load_b64 v[64:65], v59
	s_wait_xcnt 0x0
	v_dual_add_nc_u32 v59, 8, v59 :: v_dual_add_nc_u32 v60, 8, v60
	s_wait_loadcnt_dscnt 0x0
	v_pk_mul_f32 v[66:67], v[64:65], v[62:63] op_sel:[1,1] op_sel_hi:[0,1]
	s_delay_alu instid0(VALU_DEP_1) | instskip(SKIP_2) | instid1(VALU_DEP_3)
	v_pk_fma_f32 v[68:69], v[64:65], v[62:63], v[66:67] op_sel_hi:[1,0,1]
	v_add_nc_u32_e32 v61, 1, v61
	v_pk_fma_f32 v[62:63], v[64:65], v[62:63], v[66:67] neg_lo:[0,0,1] neg_hi:[0,0,1]
	v_mov_b32_e32 v63, v69
	s_delay_alu instid0(VALU_DEP_3) | instskip(NEXT) | instid1(VALU_DEP_2)
	v_cmp_lt_u32_e32 vcc_lo, 16, v61
	v_pk_add_f32 v[56:57], v[56:57], v[62:63]
	s_or_b32 s3, vcc_lo, s3
	s_delay_alu instid0(SALU_CYCLE_1)
	s_and_not1_b32 exec_lo, exec_lo, s3
	s_cbranch_execnz .LBB25_427
; %bb.428:
	s_or_b32 exec_lo, exec_lo, s3
.LBB25_429:
	s_delay_alu instid0(SALU_CYCLE_1) | instskip(SKIP_4) | instid1(VALU_DEP_1)
	s_or_b32 exec_lo, exec_lo, s2
	v_mov_b32_e32 v59, 0
	ds_load_b64 v[60:61], v59 offset:144
	s_wait_dscnt 0x0
	v_pk_mul_f32 v[62:63], v[56:57], v[60:61] op_sel:[1,1] op_sel_hi:[0,1]
	v_pk_fma_f32 v[64:65], v[56:57], v[60:61], v[62:63] op_sel_hi:[1,0,1]
	v_pk_fma_f32 v[56:57], v[56:57], v[60:61], v[62:63] neg_lo:[0,0,1] neg_hi:[0,0,1]
	s_delay_alu instid0(VALU_DEP_2)
	v_mov_b32_e32 v57, v65
	scratch_store_b64 off, v[56:57], off offset:144
.LBB25_430:
	s_wait_xcnt 0x0
	s_or_b32 exec_lo, exec_lo, s0
	scratch_load_b64 v[56:57], off, off offset:152
	s_mov_b32 s0, exec_lo
	s_wait_loadcnt 0x0
	ds_store_b64 v1, v[56:57]
	s_wait_storecnt_dscnt 0x0
	s_barrier_signal -1
	s_barrier_wait -1
	s_wait_xcnt 0x0
	v_cmpx_gt_u32_e32 19, v0
	s_cbranch_execz .LBB25_440
; %bb.431:
	v_cmp_ne_u32_e32 vcc_lo, 1, v58
	s_cbranch_vccnz .LBB25_433
; %bb.432:
	scratch_load_b64 v[56:57], v41, off
	ds_load_b64 v[60:61], v1
	s_wait_loadcnt_dscnt 0x0
	v_pk_mul_f32 v[62:63], v[60:61], v[56:57] op_sel:[1,1] op_sel_hi:[0,1]
	s_delay_alu instid0(VALU_DEP_1) | instskip(SKIP_1) | instid1(VALU_DEP_2)
	v_pk_fma_f32 v[64:65], v[60:61], v[56:57], v[62:63] op_sel_hi:[1,0,1]
	v_pk_fma_f32 v[56:57], v[60:61], v[56:57], v[62:63] neg_lo:[0,0,1] neg_hi:[0,0,1]
	v_mov_b32_e32 v57, v65
	s_cbranch_execz .LBB25_434
	s_branch .LBB25_435
.LBB25_433:
                                        ; implicit-def: $vgpr56_vgpr57
.LBB25_434:
	ds_load_b64 v[56:57], v1
.LBB25_435:
	s_mov_b32 s2, exec_lo
	v_cmpx_ne_u32_e32 18, v0
	s_cbranch_execz .LBB25_439
; %bb.436:
	v_add_nc_u32_e32 v59, 0xd8, v40
	v_add3_u32 v60, 0, v40, 8
	v_mov_b32_e32 v61, v0
	s_mov_b32 s3, 0
.LBB25_437:                             ; =>This Inner Loop Header: Depth=1
	scratch_load_b64 v[62:63], v60, off
	ds_load_b64 v[64:65], v59
	s_wait_xcnt 0x0
	v_dual_add_nc_u32 v59, 8, v59 :: v_dual_add_nc_u32 v60, 8, v60
	s_wait_loadcnt_dscnt 0x0
	v_pk_mul_f32 v[66:67], v[64:65], v[62:63] op_sel:[1,1] op_sel_hi:[0,1]
	s_delay_alu instid0(VALU_DEP_1) | instskip(SKIP_2) | instid1(VALU_DEP_3)
	v_pk_fma_f32 v[68:69], v[64:65], v[62:63], v[66:67] op_sel_hi:[1,0,1]
	v_add_nc_u32_e32 v61, 1, v61
	v_pk_fma_f32 v[62:63], v[64:65], v[62:63], v[66:67] neg_lo:[0,0,1] neg_hi:[0,0,1]
	v_mov_b32_e32 v63, v69
	s_delay_alu instid0(VALU_DEP_3) | instskip(NEXT) | instid1(VALU_DEP_2)
	v_cmp_lt_u32_e32 vcc_lo, 17, v61
	v_pk_add_f32 v[56:57], v[56:57], v[62:63]
	s_or_b32 s3, vcc_lo, s3
	s_delay_alu instid0(SALU_CYCLE_1)
	s_and_not1_b32 exec_lo, exec_lo, s3
	s_cbranch_execnz .LBB25_437
; %bb.438:
	s_or_b32 exec_lo, exec_lo, s3
.LBB25_439:
	s_delay_alu instid0(SALU_CYCLE_1) | instskip(SKIP_4) | instid1(VALU_DEP_1)
	s_or_b32 exec_lo, exec_lo, s2
	v_mov_b32_e32 v59, 0
	ds_load_b64 v[60:61], v59 offset:152
	s_wait_dscnt 0x0
	v_pk_mul_f32 v[62:63], v[56:57], v[60:61] op_sel:[1,1] op_sel_hi:[0,1]
	v_pk_fma_f32 v[64:65], v[56:57], v[60:61], v[62:63] op_sel_hi:[1,0,1]
	v_pk_fma_f32 v[56:57], v[56:57], v[60:61], v[62:63] neg_lo:[0,0,1] neg_hi:[0,0,1]
	s_delay_alu instid0(VALU_DEP_2)
	v_mov_b32_e32 v57, v65
	scratch_store_b64 off, v[56:57], off offset:152
.LBB25_440:
	s_wait_xcnt 0x0
	s_or_b32 exec_lo, exec_lo, s0
	scratch_load_b64 v[56:57], off, off offset:160
	s_mov_b32 s0, exec_lo
	s_wait_loadcnt 0x0
	ds_store_b64 v1, v[56:57]
	s_wait_storecnt_dscnt 0x0
	s_barrier_signal -1
	s_barrier_wait -1
	s_wait_xcnt 0x0
	v_cmpx_gt_u32_e32 20, v0
	s_cbranch_execz .LBB25_450
; %bb.441:
	v_cmp_ne_u32_e32 vcc_lo, 1, v58
	s_cbranch_vccnz .LBB25_443
; %bb.442:
	scratch_load_b64 v[56:57], v41, off
	ds_load_b64 v[60:61], v1
	s_wait_loadcnt_dscnt 0x0
	v_pk_mul_f32 v[62:63], v[60:61], v[56:57] op_sel:[1,1] op_sel_hi:[0,1]
	s_delay_alu instid0(VALU_DEP_1) | instskip(SKIP_1) | instid1(VALU_DEP_2)
	v_pk_fma_f32 v[64:65], v[60:61], v[56:57], v[62:63] op_sel_hi:[1,0,1]
	v_pk_fma_f32 v[56:57], v[60:61], v[56:57], v[62:63] neg_lo:[0,0,1] neg_hi:[0,0,1]
	v_mov_b32_e32 v57, v65
	s_cbranch_execz .LBB25_444
	s_branch .LBB25_445
.LBB25_443:
                                        ; implicit-def: $vgpr56_vgpr57
.LBB25_444:
	ds_load_b64 v[56:57], v1
.LBB25_445:
	s_mov_b32 s2, exec_lo
	v_cmpx_ne_u32_e32 19, v0
	s_cbranch_execz .LBB25_449
; %bb.446:
	v_add_nc_u32_e32 v59, 0xd8, v40
	v_add3_u32 v60, 0, v40, 8
	v_mov_b32_e32 v61, v0
	s_mov_b32 s3, 0
.LBB25_447:                             ; =>This Inner Loop Header: Depth=1
	scratch_load_b64 v[62:63], v60, off
	ds_load_b64 v[64:65], v59
	s_wait_xcnt 0x0
	v_dual_add_nc_u32 v59, 8, v59 :: v_dual_add_nc_u32 v60, 8, v60
	s_wait_loadcnt_dscnt 0x0
	v_pk_mul_f32 v[66:67], v[64:65], v[62:63] op_sel:[1,1] op_sel_hi:[0,1]
	s_delay_alu instid0(VALU_DEP_1) | instskip(SKIP_2) | instid1(VALU_DEP_3)
	v_pk_fma_f32 v[68:69], v[64:65], v[62:63], v[66:67] op_sel_hi:[1,0,1]
	v_add_nc_u32_e32 v61, 1, v61
	v_pk_fma_f32 v[62:63], v[64:65], v[62:63], v[66:67] neg_lo:[0,0,1] neg_hi:[0,0,1]
	v_mov_b32_e32 v63, v69
	s_delay_alu instid0(VALU_DEP_3) | instskip(NEXT) | instid1(VALU_DEP_2)
	v_cmp_lt_u32_e32 vcc_lo, 18, v61
	v_pk_add_f32 v[56:57], v[56:57], v[62:63]
	s_or_b32 s3, vcc_lo, s3
	s_delay_alu instid0(SALU_CYCLE_1)
	s_and_not1_b32 exec_lo, exec_lo, s3
	s_cbranch_execnz .LBB25_447
; %bb.448:
	s_or_b32 exec_lo, exec_lo, s3
.LBB25_449:
	s_delay_alu instid0(SALU_CYCLE_1) | instskip(SKIP_4) | instid1(VALU_DEP_1)
	s_or_b32 exec_lo, exec_lo, s2
	v_mov_b32_e32 v59, 0
	ds_load_b64 v[60:61], v59 offset:160
	s_wait_dscnt 0x0
	v_pk_mul_f32 v[62:63], v[56:57], v[60:61] op_sel:[1,1] op_sel_hi:[0,1]
	v_pk_fma_f32 v[64:65], v[56:57], v[60:61], v[62:63] op_sel_hi:[1,0,1]
	v_pk_fma_f32 v[56:57], v[56:57], v[60:61], v[62:63] neg_lo:[0,0,1] neg_hi:[0,0,1]
	s_delay_alu instid0(VALU_DEP_2)
	v_mov_b32_e32 v57, v65
	scratch_store_b64 off, v[56:57], off offset:160
.LBB25_450:
	s_wait_xcnt 0x0
	s_or_b32 exec_lo, exec_lo, s0
	scratch_load_b64 v[56:57], off, off offset:168
	s_mov_b32 s0, exec_lo
	s_wait_loadcnt 0x0
	ds_store_b64 v1, v[56:57]
	s_wait_storecnt_dscnt 0x0
	s_barrier_signal -1
	s_barrier_wait -1
	s_wait_xcnt 0x0
	v_cmpx_gt_u32_e32 21, v0
	s_cbranch_execz .LBB25_460
; %bb.451:
	v_cmp_ne_u32_e32 vcc_lo, 1, v58
	s_cbranch_vccnz .LBB25_453
; %bb.452:
	scratch_load_b64 v[56:57], v41, off
	ds_load_b64 v[60:61], v1
	s_wait_loadcnt_dscnt 0x0
	v_pk_mul_f32 v[62:63], v[60:61], v[56:57] op_sel:[1,1] op_sel_hi:[0,1]
	s_delay_alu instid0(VALU_DEP_1) | instskip(SKIP_1) | instid1(VALU_DEP_2)
	v_pk_fma_f32 v[64:65], v[60:61], v[56:57], v[62:63] op_sel_hi:[1,0,1]
	v_pk_fma_f32 v[56:57], v[60:61], v[56:57], v[62:63] neg_lo:[0,0,1] neg_hi:[0,0,1]
	v_mov_b32_e32 v57, v65
	s_cbranch_execz .LBB25_454
	s_branch .LBB25_455
.LBB25_453:
                                        ; implicit-def: $vgpr56_vgpr57
.LBB25_454:
	ds_load_b64 v[56:57], v1
.LBB25_455:
	s_mov_b32 s2, exec_lo
	v_cmpx_ne_u32_e32 20, v0
	s_cbranch_execz .LBB25_459
; %bb.456:
	v_add_nc_u32_e32 v59, 0xd8, v40
	v_add3_u32 v60, 0, v40, 8
	v_mov_b32_e32 v61, v0
	s_mov_b32 s3, 0
.LBB25_457:                             ; =>This Inner Loop Header: Depth=1
	scratch_load_b64 v[62:63], v60, off
	ds_load_b64 v[64:65], v59
	s_wait_xcnt 0x0
	v_dual_add_nc_u32 v59, 8, v59 :: v_dual_add_nc_u32 v60, 8, v60
	s_wait_loadcnt_dscnt 0x0
	v_pk_mul_f32 v[66:67], v[64:65], v[62:63] op_sel:[1,1] op_sel_hi:[0,1]
	s_delay_alu instid0(VALU_DEP_1) | instskip(SKIP_2) | instid1(VALU_DEP_3)
	v_pk_fma_f32 v[68:69], v[64:65], v[62:63], v[66:67] op_sel_hi:[1,0,1]
	v_add_nc_u32_e32 v61, 1, v61
	v_pk_fma_f32 v[62:63], v[64:65], v[62:63], v[66:67] neg_lo:[0,0,1] neg_hi:[0,0,1]
	v_mov_b32_e32 v63, v69
	s_delay_alu instid0(VALU_DEP_3) | instskip(NEXT) | instid1(VALU_DEP_2)
	v_cmp_lt_u32_e32 vcc_lo, 19, v61
	v_pk_add_f32 v[56:57], v[56:57], v[62:63]
	s_or_b32 s3, vcc_lo, s3
	s_delay_alu instid0(SALU_CYCLE_1)
	s_and_not1_b32 exec_lo, exec_lo, s3
	s_cbranch_execnz .LBB25_457
; %bb.458:
	s_or_b32 exec_lo, exec_lo, s3
.LBB25_459:
	s_delay_alu instid0(SALU_CYCLE_1) | instskip(SKIP_4) | instid1(VALU_DEP_1)
	s_or_b32 exec_lo, exec_lo, s2
	v_mov_b32_e32 v59, 0
	ds_load_b64 v[60:61], v59 offset:168
	s_wait_dscnt 0x0
	v_pk_mul_f32 v[62:63], v[56:57], v[60:61] op_sel:[1,1] op_sel_hi:[0,1]
	v_pk_fma_f32 v[64:65], v[56:57], v[60:61], v[62:63] op_sel_hi:[1,0,1]
	v_pk_fma_f32 v[56:57], v[56:57], v[60:61], v[62:63] neg_lo:[0,0,1] neg_hi:[0,0,1]
	s_delay_alu instid0(VALU_DEP_2)
	v_mov_b32_e32 v57, v65
	scratch_store_b64 off, v[56:57], off offset:168
.LBB25_460:
	s_wait_xcnt 0x0
	s_or_b32 exec_lo, exec_lo, s0
	scratch_load_b64 v[56:57], off, off offset:176
	s_mov_b32 s0, exec_lo
	s_wait_loadcnt 0x0
	ds_store_b64 v1, v[56:57]
	s_wait_storecnt_dscnt 0x0
	s_barrier_signal -1
	s_barrier_wait -1
	s_wait_xcnt 0x0
	v_cmpx_gt_u32_e32 22, v0
	s_cbranch_execz .LBB25_470
; %bb.461:
	v_cmp_ne_u32_e32 vcc_lo, 1, v58
	s_cbranch_vccnz .LBB25_463
; %bb.462:
	scratch_load_b64 v[56:57], v41, off
	ds_load_b64 v[60:61], v1
	s_wait_loadcnt_dscnt 0x0
	v_pk_mul_f32 v[62:63], v[60:61], v[56:57] op_sel:[1,1] op_sel_hi:[0,1]
	s_delay_alu instid0(VALU_DEP_1) | instskip(SKIP_1) | instid1(VALU_DEP_2)
	v_pk_fma_f32 v[64:65], v[60:61], v[56:57], v[62:63] op_sel_hi:[1,0,1]
	v_pk_fma_f32 v[56:57], v[60:61], v[56:57], v[62:63] neg_lo:[0,0,1] neg_hi:[0,0,1]
	v_mov_b32_e32 v57, v65
	s_cbranch_execz .LBB25_464
	s_branch .LBB25_465
.LBB25_463:
                                        ; implicit-def: $vgpr56_vgpr57
.LBB25_464:
	ds_load_b64 v[56:57], v1
.LBB25_465:
	s_mov_b32 s2, exec_lo
	v_cmpx_ne_u32_e32 21, v0
	s_cbranch_execz .LBB25_469
; %bb.466:
	v_add_nc_u32_e32 v59, 0xd8, v40
	v_add3_u32 v60, 0, v40, 8
	v_mov_b32_e32 v61, v0
	s_mov_b32 s3, 0
.LBB25_467:                             ; =>This Inner Loop Header: Depth=1
	scratch_load_b64 v[62:63], v60, off
	ds_load_b64 v[64:65], v59
	s_wait_xcnt 0x0
	v_dual_add_nc_u32 v59, 8, v59 :: v_dual_add_nc_u32 v60, 8, v60
	s_wait_loadcnt_dscnt 0x0
	v_pk_mul_f32 v[66:67], v[64:65], v[62:63] op_sel:[1,1] op_sel_hi:[0,1]
	s_delay_alu instid0(VALU_DEP_1) | instskip(SKIP_2) | instid1(VALU_DEP_3)
	v_pk_fma_f32 v[68:69], v[64:65], v[62:63], v[66:67] op_sel_hi:[1,0,1]
	v_add_nc_u32_e32 v61, 1, v61
	v_pk_fma_f32 v[62:63], v[64:65], v[62:63], v[66:67] neg_lo:[0,0,1] neg_hi:[0,0,1]
	v_mov_b32_e32 v63, v69
	s_delay_alu instid0(VALU_DEP_3) | instskip(NEXT) | instid1(VALU_DEP_2)
	v_cmp_lt_u32_e32 vcc_lo, 20, v61
	v_pk_add_f32 v[56:57], v[56:57], v[62:63]
	s_or_b32 s3, vcc_lo, s3
	s_delay_alu instid0(SALU_CYCLE_1)
	s_and_not1_b32 exec_lo, exec_lo, s3
	s_cbranch_execnz .LBB25_467
; %bb.468:
	s_or_b32 exec_lo, exec_lo, s3
.LBB25_469:
	s_delay_alu instid0(SALU_CYCLE_1) | instskip(SKIP_4) | instid1(VALU_DEP_1)
	s_or_b32 exec_lo, exec_lo, s2
	v_mov_b32_e32 v59, 0
	ds_load_b64 v[60:61], v59 offset:176
	s_wait_dscnt 0x0
	v_pk_mul_f32 v[62:63], v[56:57], v[60:61] op_sel:[1,1] op_sel_hi:[0,1]
	v_pk_fma_f32 v[64:65], v[56:57], v[60:61], v[62:63] op_sel_hi:[1,0,1]
	v_pk_fma_f32 v[56:57], v[56:57], v[60:61], v[62:63] neg_lo:[0,0,1] neg_hi:[0,0,1]
	s_delay_alu instid0(VALU_DEP_2)
	v_mov_b32_e32 v57, v65
	scratch_store_b64 off, v[56:57], off offset:176
.LBB25_470:
	s_wait_xcnt 0x0
	s_or_b32 exec_lo, exec_lo, s0
	scratch_load_b64 v[56:57], off, off offset:184
	s_mov_b32 s0, exec_lo
	s_wait_loadcnt 0x0
	ds_store_b64 v1, v[56:57]
	s_wait_storecnt_dscnt 0x0
	s_barrier_signal -1
	s_barrier_wait -1
	s_wait_xcnt 0x0
	v_cmpx_gt_u32_e32 23, v0
	s_cbranch_execz .LBB25_480
; %bb.471:
	v_cmp_ne_u32_e32 vcc_lo, 1, v58
	s_cbranch_vccnz .LBB25_473
; %bb.472:
	scratch_load_b64 v[56:57], v41, off
	ds_load_b64 v[60:61], v1
	s_wait_loadcnt_dscnt 0x0
	v_pk_mul_f32 v[62:63], v[60:61], v[56:57] op_sel:[1,1] op_sel_hi:[0,1]
	s_delay_alu instid0(VALU_DEP_1) | instskip(SKIP_1) | instid1(VALU_DEP_2)
	v_pk_fma_f32 v[64:65], v[60:61], v[56:57], v[62:63] op_sel_hi:[1,0,1]
	v_pk_fma_f32 v[56:57], v[60:61], v[56:57], v[62:63] neg_lo:[0,0,1] neg_hi:[0,0,1]
	v_mov_b32_e32 v57, v65
	s_cbranch_execz .LBB25_474
	s_branch .LBB25_475
.LBB25_473:
                                        ; implicit-def: $vgpr56_vgpr57
.LBB25_474:
	ds_load_b64 v[56:57], v1
.LBB25_475:
	s_mov_b32 s2, exec_lo
	v_cmpx_ne_u32_e32 22, v0
	s_cbranch_execz .LBB25_479
; %bb.476:
	v_add_nc_u32_e32 v59, 0xd8, v40
	v_add3_u32 v60, 0, v40, 8
	v_mov_b32_e32 v61, v0
	s_mov_b32 s3, 0
.LBB25_477:                             ; =>This Inner Loop Header: Depth=1
	scratch_load_b64 v[62:63], v60, off
	ds_load_b64 v[64:65], v59
	s_wait_xcnt 0x0
	v_dual_add_nc_u32 v59, 8, v59 :: v_dual_add_nc_u32 v60, 8, v60
	s_wait_loadcnt_dscnt 0x0
	v_pk_mul_f32 v[66:67], v[64:65], v[62:63] op_sel:[1,1] op_sel_hi:[0,1]
	s_delay_alu instid0(VALU_DEP_1) | instskip(SKIP_2) | instid1(VALU_DEP_3)
	v_pk_fma_f32 v[68:69], v[64:65], v[62:63], v[66:67] op_sel_hi:[1,0,1]
	v_add_nc_u32_e32 v61, 1, v61
	v_pk_fma_f32 v[62:63], v[64:65], v[62:63], v[66:67] neg_lo:[0,0,1] neg_hi:[0,0,1]
	v_mov_b32_e32 v63, v69
	s_delay_alu instid0(VALU_DEP_3) | instskip(NEXT) | instid1(VALU_DEP_2)
	v_cmp_lt_u32_e32 vcc_lo, 21, v61
	v_pk_add_f32 v[56:57], v[56:57], v[62:63]
	s_or_b32 s3, vcc_lo, s3
	s_delay_alu instid0(SALU_CYCLE_1)
	s_and_not1_b32 exec_lo, exec_lo, s3
	s_cbranch_execnz .LBB25_477
; %bb.478:
	s_or_b32 exec_lo, exec_lo, s3
.LBB25_479:
	s_delay_alu instid0(SALU_CYCLE_1) | instskip(SKIP_4) | instid1(VALU_DEP_1)
	s_or_b32 exec_lo, exec_lo, s2
	v_mov_b32_e32 v59, 0
	ds_load_b64 v[60:61], v59 offset:184
	s_wait_dscnt 0x0
	v_pk_mul_f32 v[62:63], v[56:57], v[60:61] op_sel:[1,1] op_sel_hi:[0,1]
	v_pk_fma_f32 v[64:65], v[56:57], v[60:61], v[62:63] op_sel_hi:[1,0,1]
	v_pk_fma_f32 v[56:57], v[56:57], v[60:61], v[62:63] neg_lo:[0,0,1] neg_hi:[0,0,1]
	s_delay_alu instid0(VALU_DEP_2)
	v_mov_b32_e32 v57, v65
	scratch_store_b64 off, v[56:57], off offset:184
.LBB25_480:
	s_wait_xcnt 0x0
	s_or_b32 exec_lo, exec_lo, s0
	scratch_load_b64 v[56:57], off, off offset:192
	v_cmp_gt_u32_e64 s0, 24, v0
	s_wait_loadcnt 0x0
	ds_store_b64 v1, v[56:57]
	s_wait_storecnt_dscnt 0x0
	s_barrier_signal -1
	s_barrier_wait -1
	s_wait_xcnt 0x0
	s_and_saveexec_b32 s2, s0
	s_cbranch_execz .LBB25_490
; %bb.481:
	v_cmp_ne_u32_e32 vcc_lo, 1, v58
	s_cbranch_vccnz .LBB25_483
; %bb.482:
	scratch_load_b64 v[56:57], v41, off
	ds_load_b64 v[60:61], v1
	s_wait_loadcnt_dscnt 0x0
	v_pk_mul_f32 v[62:63], v[60:61], v[56:57] op_sel:[1,1] op_sel_hi:[0,1]
	s_delay_alu instid0(VALU_DEP_1) | instskip(SKIP_1) | instid1(VALU_DEP_2)
	v_pk_fma_f32 v[64:65], v[60:61], v[56:57], v[62:63] op_sel_hi:[1,0,1]
	v_pk_fma_f32 v[56:57], v[60:61], v[56:57], v[62:63] neg_lo:[0,0,1] neg_hi:[0,0,1]
	v_mov_b32_e32 v57, v65
	s_cbranch_execz .LBB25_484
	s_branch .LBB25_485
.LBB25_483:
                                        ; implicit-def: $vgpr56_vgpr57
.LBB25_484:
	ds_load_b64 v[56:57], v1
.LBB25_485:
	s_mov_b32 s3, exec_lo
	v_cmpx_ne_u32_e32 23, v0
	s_cbranch_execz .LBB25_489
; %bb.486:
	v_add_nc_u32_e32 v59, 0xd8, v40
	v_add3_u32 v60, 0, v40, 8
	v_mov_b32_e32 v61, v0
	s_mov_b32 s4, 0
.LBB25_487:                             ; =>This Inner Loop Header: Depth=1
	scratch_load_b64 v[62:63], v60, off
	ds_load_b64 v[64:65], v59
	s_wait_xcnt 0x0
	v_dual_add_nc_u32 v59, 8, v59 :: v_dual_add_nc_u32 v60, 8, v60
	s_wait_loadcnt_dscnt 0x0
	v_pk_mul_f32 v[66:67], v[64:65], v[62:63] op_sel:[1,1] op_sel_hi:[0,1]
	s_delay_alu instid0(VALU_DEP_1) | instskip(SKIP_2) | instid1(VALU_DEP_3)
	v_pk_fma_f32 v[68:69], v[64:65], v[62:63], v[66:67] op_sel_hi:[1,0,1]
	v_add_nc_u32_e32 v61, 1, v61
	v_pk_fma_f32 v[62:63], v[64:65], v[62:63], v[66:67] neg_lo:[0,0,1] neg_hi:[0,0,1]
	v_mov_b32_e32 v63, v69
	s_delay_alu instid0(VALU_DEP_3) | instskip(NEXT) | instid1(VALU_DEP_2)
	v_cmp_lt_u32_e32 vcc_lo, 22, v61
	v_pk_add_f32 v[56:57], v[56:57], v[62:63]
	s_or_b32 s4, vcc_lo, s4
	s_delay_alu instid0(SALU_CYCLE_1)
	s_and_not1_b32 exec_lo, exec_lo, s4
	s_cbranch_execnz .LBB25_487
; %bb.488:
	s_or_b32 exec_lo, exec_lo, s4
.LBB25_489:
	s_delay_alu instid0(SALU_CYCLE_1) | instskip(SKIP_4) | instid1(VALU_DEP_1)
	s_or_b32 exec_lo, exec_lo, s3
	v_mov_b32_e32 v59, 0
	ds_load_b64 v[60:61], v59 offset:192
	s_wait_dscnt 0x0
	v_pk_mul_f32 v[62:63], v[56:57], v[60:61] op_sel:[1,1] op_sel_hi:[0,1]
	v_pk_fma_f32 v[64:65], v[56:57], v[60:61], v[62:63] op_sel_hi:[1,0,1]
	v_pk_fma_f32 v[56:57], v[56:57], v[60:61], v[62:63] neg_lo:[0,0,1] neg_hi:[0,0,1]
	s_delay_alu instid0(VALU_DEP_2)
	v_mov_b32_e32 v57, v65
	scratch_store_b64 off, v[56:57], off offset:192
.LBB25_490:
	s_wait_xcnt 0x0
	s_or_b32 exec_lo, exec_lo, s2
	scratch_load_b64 v[56:57], off, off offset:200
	s_mov_b32 s2, exec_lo
                                        ; implicit-def: $vgpr66
                                        ; implicit-def: $sgpr4
	s_wait_loadcnt 0x0
	ds_store_b64 v1, v[56:57]
	s_wait_storecnt_dscnt 0x0
	s_barrier_signal -1
	s_barrier_wait -1
	s_wait_xcnt 0x0
	v_cmpx_ne_u32_e32 25, v0
	s_cbranch_execz .LBB25_500
; %bb.491:
	v_cmp_ne_u32_e32 vcc_lo, 1, v58
	s_cbranch_vccnz .LBB25_493
; %bb.492:
	scratch_load_b64 v[58:59], v41, off
	ds_load_b64 v[60:61], v1
	s_wait_loadcnt_dscnt 0x0
	v_dual_mul_f32 v41, v61, v59 :: v_dual_mul_f32 v57, v60, v59
	s_delay_alu instid0(VALU_DEP_1) | instskip(NEXT) | instid1(VALU_DEP_2)
	v_fma_f32 v56, v60, v58, -v41
	v_fmac_f32_e32 v57, v61, v58
	s_cbranch_execz .LBB25_494
	s_branch .LBB25_495
.LBB25_493:
                                        ; implicit-def: $vgpr57
.LBB25_494:
	ds_load_b64 v[56:57], v1
.LBB25_495:
	s_and_saveexec_b32 s3, s0
	s_cbranch_execz .LBB25_499
; %bb.496:
	v_add_nc_u32_e32 v1, 0xd8, v40
	v_add3_u32 v40, 0, v40, 8
	s_mov_b32 s0, 0
.LBB25_497:                             ; =>This Inner Loop Header: Depth=1
	scratch_load_b64 v[58:59], v40, off
	ds_load_b64 v[60:61], v1
	s_wait_loadcnt_dscnt 0x0
	v_dual_add_nc_u32 v1, 8, v1 :: v_dual_mul_f32 v41, v61, v59
	v_dual_mul_f32 v59, v60, v59 :: v_dual_add_nc_u32 v0, 1, v0
	s_delay_alu instid0(VALU_DEP_1) | instskip(NEXT) | instid1(VALU_DEP_2)
	v_dual_fma_f32 v41, v60, v58, -v41 :: v_dual_fmac_f32 v59, v61, v58
	v_cmp_lt_u32_e32 vcc_lo, 23, v0
	s_delay_alu instid0(VALU_DEP_2) | instskip(NEXT) | instid1(VALU_DEP_3)
	v_dual_add_nc_u32 v40, 8, v40 :: v_dual_add_f32 v56, v56, v41
	v_add_f32_e32 v57, v57, v59
	s_or_b32 s0, vcc_lo, s0
	s_delay_alu instid0(SALU_CYCLE_1)
	s_and_not1_b32 exec_lo, exec_lo, s0
	s_cbranch_execnz .LBB25_497
; %bb.498:
	s_or_b32 exec_lo, exec_lo, s0
.LBB25_499:
	s_delay_alu instid0(SALU_CYCLE_1)
	s_or_b32 exec_lo, exec_lo, s3
	v_mov_b32_e32 v0, 0
	s_movk_i32 s4, 0xcc
	s_or_b32 s1, s1, exec_lo
	ds_load_b64 v[0:1], v0 offset:200
	s_wait_dscnt 0x0
	v_dual_mul_f32 v40, v57, v1 :: v_dual_mul_f32 v66, v56, v1
	s_delay_alu instid0(VALU_DEP_1)
	v_dual_fma_f32 v1, v56, v0, -v40 :: v_dual_fmac_f32 v66, v57, v0
	scratch_store_b32 off, v1, off offset:200
.LBB25_500:
	s_wait_xcnt 0x0
	s_or_b32 exec_lo, exec_lo, s2
.LBB25_501:
	v_lshl_add_u64 v[62:63], v[4:5], 3, s[6:7]
	v_lshl_add_u64 v[64:65], v[6:7], 3, s[6:7]
	;; [unrolled: 1-line block ×24, first 2 shown]
	s_and_saveexec_b32 s0, s1
	s_cbranch_execz .LBB25_503
; %bb.502:
	scratch_store_b32 off, v66, s4
.LBB25_503:
	s_wait_xcnt 0x0
	s_or_b32 exec_lo, exec_lo, s0
	s_clause 0x5
	scratch_load_b128 v[42:45], off, off
	scratch_load_b128 v[46:49], off, off offset:16
	scratch_load_b128 v[50:53], off, off offset:32
	;; [unrolled: 1-line block ×5, first 2 shown]
	s_wait_loadcnt 0x5
	s_clause 0x1
	global_store_b64 v[2:3], v[42:43], off
	global_store_b64 v[8:9], v[44:45], off
	s_clause 0x1
	scratch_load_b128 v[42:45], off, off offset:96
	scratch_load_b128 v[78:81], off, off offset:112
	s_wait_loadcnt 0x6
	s_clause 0x1
	global_store_b64 v[62:63], v[46:47], off
	global_store_b64 v[64:65], v[48:49], off
	s_clause 0x1
	scratch_load_b128 v[46:49], off, off offset:128
	scratch_load_b128 v[62:65], off, off offset:144
	;; [unrolled: 7-line block ×3, first 2 shown]
	s_wait_loadcnt 0x8
	s_clause 0x1
	global_store_b64 v[40:41], v[66:67], off
	global_store_b64 v[56:57], v[68:69], off
	scratch_load_b128 v[54:57], off, off offset:192
	s_wait_loadcnt 0x8
	s_clause 0x1
	global_store_b64 v[6:7], v[70:71], off
	global_store_b64 v[10:11], v[72:73], off
	s_wait_loadcnt 0x7
	s_clause 0x1
	global_store_b64 v[12:13], v[74:75], off
	global_store_b64 v[14:15], v[76:77], off
	;; [unrolled: 4-line block ×9, first 2 shown]
.LBB25_504:
	s_sendmsg sendmsg(MSG_DEALLOC_VGPRS)
	s_endpgm
	.section	.rodata,"a",@progbits
	.p2align	6, 0x0
	.amdhsa_kernel _ZN9rocsolver6v33100L18trti2_kernel_smallILi26E19rocblas_complex_numIfEPS3_EEv13rocblas_fill_17rocblas_diagonal_T1_iil
		.amdhsa_group_segment_fixed_size 416
		.amdhsa_private_segment_fixed_size 224
		.amdhsa_kernarg_size 32
		.amdhsa_user_sgpr_count 2
		.amdhsa_user_sgpr_dispatch_ptr 0
		.amdhsa_user_sgpr_queue_ptr 0
		.amdhsa_user_sgpr_kernarg_segment_ptr 1
		.amdhsa_user_sgpr_dispatch_id 0
		.amdhsa_user_sgpr_kernarg_preload_length 0
		.amdhsa_user_sgpr_kernarg_preload_offset 0
		.amdhsa_user_sgpr_private_segment_size 0
		.amdhsa_wavefront_size32 1
		.amdhsa_uses_dynamic_stack 0
		.amdhsa_enable_private_segment 1
		.amdhsa_system_sgpr_workgroup_id_x 1
		.amdhsa_system_sgpr_workgroup_id_y 0
		.amdhsa_system_sgpr_workgroup_id_z 0
		.amdhsa_system_sgpr_workgroup_info 0
		.amdhsa_system_vgpr_workitem_id 0
		.amdhsa_next_free_vgpr 82
		.amdhsa_next_free_sgpr 20
		.amdhsa_named_barrier_count 0
		.amdhsa_reserve_vcc 1
		.amdhsa_float_round_mode_32 0
		.amdhsa_float_round_mode_16_64 0
		.amdhsa_float_denorm_mode_32 3
		.amdhsa_float_denorm_mode_16_64 3
		.amdhsa_fp16_overflow 0
		.amdhsa_memory_ordered 1
		.amdhsa_forward_progress 1
		.amdhsa_inst_pref_size 153
		.amdhsa_round_robin_scheduling 0
		.amdhsa_exception_fp_ieee_invalid_op 0
		.amdhsa_exception_fp_denorm_src 0
		.amdhsa_exception_fp_ieee_div_zero 0
		.amdhsa_exception_fp_ieee_overflow 0
		.amdhsa_exception_fp_ieee_underflow 0
		.amdhsa_exception_fp_ieee_inexact 0
		.amdhsa_exception_int_div_zero 0
	.end_amdhsa_kernel
	.section	.text._ZN9rocsolver6v33100L18trti2_kernel_smallILi26E19rocblas_complex_numIfEPS3_EEv13rocblas_fill_17rocblas_diagonal_T1_iil,"axG",@progbits,_ZN9rocsolver6v33100L18trti2_kernel_smallILi26E19rocblas_complex_numIfEPS3_EEv13rocblas_fill_17rocblas_diagonal_T1_iil,comdat
.Lfunc_end25:
	.size	_ZN9rocsolver6v33100L18trti2_kernel_smallILi26E19rocblas_complex_numIfEPS3_EEv13rocblas_fill_17rocblas_diagonal_T1_iil, .Lfunc_end25-_ZN9rocsolver6v33100L18trti2_kernel_smallILi26E19rocblas_complex_numIfEPS3_EEv13rocblas_fill_17rocblas_diagonal_T1_iil
                                        ; -- End function
	.set _ZN9rocsolver6v33100L18trti2_kernel_smallILi26E19rocblas_complex_numIfEPS3_EEv13rocblas_fill_17rocblas_diagonal_T1_iil.num_vgpr, 82
	.set _ZN9rocsolver6v33100L18trti2_kernel_smallILi26E19rocblas_complex_numIfEPS3_EEv13rocblas_fill_17rocblas_diagonal_T1_iil.num_agpr, 0
	.set _ZN9rocsolver6v33100L18trti2_kernel_smallILi26E19rocblas_complex_numIfEPS3_EEv13rocblas_fill_17rocblas_diagonal_T1_iil.numbered_sgpr, 20
	.set _ZN9rocsolver6v33100L18trti2_kernel_smallILi26E19rocblas_complex_numIfEPS3_EEv13rocblas_fill_17rocblas_diagonal_T1_iil.num_named_barrier, 0
	.set _ZN9rocsolver6v33100L18trti2_kernel_smallILi26E19rocblas_complex_numIfEPS3_EEv13rocblas_fill_17rocblas_diagonal_T1_iil.private_seg_size, 224
	.set _ZN9rocsolver6v33100L18trti2_kernel_smallILi26E19rocblas_complex_numIfEPS3_EEv13rocblas_fill_17rocblas_diagonal_T1_iil.uses_vcc, 1
	.set _ZN9rocsolver6v33100L18trti2_kernel_smallILi26E19rocblas_complex_numIfEPS3_EEv13rocblas_fill_17rocblas_diagonal_T1_iil.uses_flat_scratch, 1
	.set _ZN9rocsolver6v33100L18trti2_kernel_smallILi26E19rocblas_complex_numIfEPS3_EEv13rocblas_fill_17rocblas_diagonal_T1_iil.has_dyn_sized_stack, 0
	.set _ZN9rocsolver6v33100L18trti2_kernel_smallILi26E19rocblas_complex_numIfEPS3_EEv13rocblas_fill_17rocblas_diagonal_T1_iil.has_recursion, 0
	.set _ZN9rocsolver6v33100L18trti2_kernel_smallILi26E19rocblas_complex_numIfEPS3_EEv13rocblas_fill_17rocblas_diagonal_T1_iil.has_indirect_call, 0
	.section	.AMDGPU.csdata,"",@progbits
; Kernel info:
; codeLenInByte = 19556
; TotalNumSgprs: 22
; NumVgprs: 82
; ScratchSize: 224
; MemoryBound: 0
; FloatMode: 240
; IeeeMode: 1
; LDSByteSize: 416 bytes/workgroup (compile time only)
; SGPRBlocks: 0
; VGPRBlocks: 5
; NumSGPRsForWavesPerEU: 22
; NumVGPRsForWavesPerEU: 82
; NamedBarCnt: 0
; Occupancy: 10
; WaveLimiterHint : 0
; COMPUTE_PGM_RSRC2:SCRATCH_EN: 1
; COMPUTE_PGM_RSRC2:USER_SGPR: 2
; COMPUTE_PGM_RSRC2:TRAP_HANDLER: 0
; COMPUTE_PGM_RSRC2:TGID_X_EN: 1
; COMPUTE_PGM_RSRC2:TGID_Y_EN: 0
; COMPUTE_PGM_RSRC2:TGID_Z_EN: 0
; COMPUTE_PGM_RSRC2:TIDIG_COMP_CNT: 0
	.section	.text._ZN9rocsolver6v33100L18trti2_kernel_smallILi27E19rocblas_complex_numIfEPS3_EEv13rocblas_fill_17rocblas_diagonal_T1_iil,"axG",@progbits,_ZN9rocsolver6v33100L18trti2_kernel_smallILi27E19rocblas_complex_numIfEPS3_EEv13rocblas_fill_17rocblas_diagonal_T1_iil,comdat
	.globl	_ZN9rocsolver6v33100L18trti2_kernel_smallILi27E19rocblas_complex_numIfEPS3_EEv13rocblas_fill_17rocblas_diagonal_T1_iil ; -- Begin function _ZN9rocsolver6v33100L18trti2_kernel_smallILi27E19rocblas_complex_numIfEPS3_EEv13rocblas_fill_17rocblas_diagonal_T1_iil
	.p2align	8
	.type	_ZN9rocsolver6v33100L18trti2_kernel_smallILi27E19rocblas_complex_numIfEPS3_EEv13rocblas_fill_17rocblas_diagonal_T1_iil,@function
_ZN9rocsolver6v33100L18trti2_kernel_smallILi27E19rocblas_complex_numIfEPS3_EEv13rocblas_fill_17rocblas_diagonal_T1_iil: ; @_ZN9rocsolver6v33100L18trti2_kernel_smallILi27E19rocblas_complex_numIfEPS3_EEv13rocblas_fill_17rocblas_diagonal_T1_iil
; %bb.0:
	s_mov_b32 s2, exec_lo
	v_cmpx_gt_u32_e32 27, v0
	s_cbranch_execz .LBB26_524
; %bb.1:
	s_load_b256 s[4:11], s[0:1], 0x0
	s_wait_xcnt 0x0
	s_bfe_u32 s0, ttmp6, 0x4000c
	s_and_b32 s1, ttmp6, 15
	s_add_co_i32 s0, s0, 1
	s_getreg_b32 s2, hwreg(HW_REG_IB_STS2, 6, 4)
	s_mul_i32 s0, ttmp9, s0
	v_lshlrev_b32_e32 v38, 3, v0
	s_add_co_i32 s0, s1, s0
	v_mov_b32_e32 v39, 0
	s_wait_kmcnt 0x0
	v_add3_u32 v6, s9, s9, v0
	s_ashr_i32 s1, s8, 31
	s_cmp_eq_u32 s2, 0
	s_cselect_b32 s2, ttmp9, s0
	s_delay_alu instid0(VALU_DEP_1)
	v_add_nc_u32_e32 v8, s9, v6
	s_ashr_i32 s3, s2, 31
	s_mov_b32 s0, s8
	s_mul_u64 s[2:3], s[10:11], s[2:3]
	s_lshl_b64 s[0:1], s[0:1], 3
	v_add_nc_u32_e32 v10, s9, v8
	s_lshl_b64 s[2:3], s[2:3], 3
	s_delay_alu instid0(SALU_CYCLE_1) | instskip(NEXT) | instid1(SALU_CYCLE_1)
	s_add_nc_u64 s[2:3], s[6:7], s[2:3]
	s_add_nc_u64 s[6:7], s[2:3], s[0:1]
	s_delay_alu instid0(VALU_DEP_1)
	v_add_nc_u32_e32 v12, s9, v10
	v_add_nc_u64_e32 v[2:3], s[6:7], v[38:39]
	s_mov_b32 s0, s9
	s_ashr_i32 s1, s9, 31
	s_cmp_lg_u32 s5, 0x84
	v_add_nc_u32_e32 v14, s9, v12
	s_cselect_b32 s3, -1, 0
	s_delay_alu instid0(VALU_DEP_2) | instskip(SKIP_1) | instid1(VALU_DEP_2)
	v_lshl_add_u64 v[4:5], s[0:1], 3, v[2:3]
	s_mov_b32 s0, -1
	v_add_nc_u32_e32 v16, s9, v14
	s_and_b32 vcc_lo, exec_lo, s3
	s_delay_alu instid0(VALU_DEP_1)
	v_add_nc_u32_e32 v18, s9, v16
	s_clause 0x5
	global_load_b64 v[40:41], v10, s[6:7] scale_offset
	global_load_b64 v[42:43], v12, s[6:7] scale_offset
	;; [unrolled: 1-line block ×3, first 2 shown]
	global_load_b64 v[46:47], v[4:5], off
	global_load_b64 v[48:49], v6, s[6:7] scale_offset
	global_load_b64 v[50:51], v8, s[6:7] scale_offset
	v_add_nc_u32_e32 v20, s9, v18
	s_delay_alu instid0(VALU_DEP_1) | instskip(SKIP_4) | instid1(VALU_DEP_1)
	v_add_nc_u32_e32 v22, s9, v20
	s_clause 0x1
	global_load_b64 v[52:53], v14, s[6:7] scale_offset
	global_load_b64 v[54:55], v16, s[6:7] scale_offset
	v_add_nc_u32_e32 v24, s9, v22
	v_add_nc_u32_e32 v26, s9, v24
	s_delay_alu instid0(VALU_DEP_1) | instskip(NEXT) | instid1(VALU_DEP_1)
	v_add_nc_u32_e32 v28, s9, v26
	v_add_nc_u32_e32 v30, s9, v28
	s_clause 0x3
	global_load_b64 v[56:57], v18, s[6:7] scale_offset
	global_load_b64 v[58:59], v20, s[6:7] scale_offset
	;; [unrolled: 1-line block ×4, first 2 shown]
	v_add_nc_u32_e32 v32, s9, v30
	s_delay_alu instid0(VALU_DEP_1)
	v_add_nc_u32_e32 v34, s9, v32
	s_clause 0x3
	global_load_b64 v[64:65], v26, s[6:7] scale_offset
	global_load_b64 v[66:67], v28, s[6:7] scale_offset
	;; [unrolled: 1-line block ×4, first 2 shown]
	v_add_nc_u32_e32 v36, s9, v34
	s_clause 0x1
	global_load_b64 v[72:73], v34, s[6:7] scale_offset
	global_load_b64 v[74:75], v36, s[6:7] scale_offset
	s_wait_loadcnt 0x10
	scratch_store_b128 off, v[40:43], off offset:32
	s_wait_xcnt 0x0
	v_add_nc_u32_e32 v40, s9, v36
	s_wait_loadcnt 0xe
	scratch_store_b128 off, v[44:47], off
	s_wait_loadcnt 0xc
	scratch_store_b128 off, v[48:51], off offset:16
	v_add_nc_u32_e32 v42, s9, v40
	s_wait_loadcnt 0xa
	scratch_store_b128 off, v[52:55], off offset:48
	s_wait_xcnt 0x2
	v_add_nc_u32_e32 v44, s9, v42
	s_delay_alu instid0(VALU_DEP_1) | instskip(SKIP_1) | instid1(VALU_DEP_1)
	v_add_nc_u32_e32 v46, s9, v44
	s_wait_xcnt 0x1
	v_add_nc_u32_e32 v48, s9, v46
	s_delay_alu instid0(VALU_DEP_1)
	v_add_nc_u32_e32 v50, s9, v48
	s_wait_loadcnt 0x8
	scratch_store_b128 off, v[56:59], off offset:64
	s_clause 0x1
	global_load_b64 v[76:77], v40, s[6:7] scale_offset
	global_load_b64 v[78:79], v42, s[6:7] scale_offset
	s_wait_loadcnt 0x8
	scratch_store_b128 off, v[60:63], off offset:80
	s_wait_xcnt 0x4
	v_add_nc_u32_e32 v52, s9, v50
	s_wait_loadcnt 0x6
	scratch_store_b128 off, v[64:67], off offset:96
	s_wait_loadcnt 0x4
	scratch_store_b128 off, v[68:71], off offset:112
	v_add_nc_u32_e32 v54, s9, v52
	s_wait_xcnt 0x5
	s_delay_alu instid0(VALU_DEP_1)
	v_add_nc_u32_e32 v56, s9, v54
	s_clause 0x3
	global_load_b64 v[58:59], v44, s[6:7] scale_offset
	global_load_b64 v[60:61], v46, s[6:7] scale_offset
	;; [unrolled: 1-line block ×4, first 2 shown]
	s_wait_loadcnt 0x6
	scratch_store_b128 off, v[72:75], off offset:128
	s_clause 0x2
	global_load_b64 v[66:67], v52, s[6:7] scale_offset
	global_load_b64 v[68:69], v54, s[6:7] scale_offset
	;; [unrolled: 1-line block ×3, first 2 shown]
	s_wait_loadcnt 0x7
	scratch_store_b128 off, v[76:79], off offset:144
	s_wait_loadcnt 0x5
	scratch_store_b128 off, v[58:61], off offset:160
	;; [unrolled: 2-line block ×4, first 2 shown]
	s_wait_loadcnt 0x0
	scratch_store_b64 off, v[70:71], off offset:208
	s_cbranch_vccz .LBB26_7
; %bb.2:
	scratch_load_b64 v[58:59], v0, off scale_offset
                                        ; implicit-def: $vgpr63
                                        ; implicit-def: $vgpr60
	s_wait_loadcnt 0x0
	v_cmp_ngt_f32_e64 s0, |v58|, |v59|
	s_wait_xcnt 0x0
	s_and_saveexec_b32 s1, s0
	s_delay_alu instid0(SALU_CYCLE_1)
	s_xor_b32 s0, exec_lo, s1
	s_cbranch_execz .LBB26_4
; %bb.3:
	v_div_scale_f32 v1, null, v59, v59, v58
	v_div_scale_f32 v11, vcc_lo, v58, v59, v58
	s_delay_alu instid0(VALU_DEP_2) | instskip(SKIP_1) | instid1(TRANS32_DEP_1)
	v_rcp_f32_e32 v7, v1
	v_nop
	v_fma_f32 v9, -v1, v7, 1.0
	s_delay_alu instid0(VALU_DEP_1) | instskip(NEXT) | instid1(VALU_DEP_1)
	v_fmac_f32_e32 v7, v9, v7
	v_mul_f32_e32 v9, v11, v7
	s_delay_alu instid0(VALU_DEP_1) | instskip(NEXT) | instid1(VALU_DEP_1)
	v_fma_f32 v13, -v1, v9, v11
	v_fmac_f32_e32 v9, v13, v7
	s_delay_alu instid0(VALU_DEP_1) | instskip(NEXT) | instid1(VALU_DEP_1)
	v_fma_f32 v1, -v1, v9, v11
	v_div_fmas_f32 v1, v1, v7, v9
	s_delay_alu instid0(VALU_DEP_1) | instskip(NEXT) | instid1(VALU_DEP_1)
	v_div_fixup_f32 v1, v1, v59, v58
	v_fmac_f32_e32 v59, v58, v1
	s_delay_alu instid0(VALU_DEP_1) | instskip(NEXT) | instid1(VALU_DEP_1)
	v_div_scale_f32 v7, null, v59, v59, -1.0
	v_rcp_f32_e32 v9, v7
	v_nop
	s_delay_alu instid0(TRANS32_DEP_1) | instskip(NEXT) | instid1(VALU_DEP_1)
	v_fma_f32 v11, -v7, v9, 1.0
	v_fmac_f32_e32 v9, v11, v9
	v_div_scale_f32 v11, vcc_lo, -1.0, v59, -1.0
	s_delay_alu instid0(VALU_DEP_1) | instskip(NEXT) | instid1(VALU_DEP_1)
	v_mul_f32_e32 v13, v11, v9
	v_fma_f32 v15, -v7, v13, v11
	s_delay_alu instid0(VALU_DEP_1) | instskip(NEXT) | instid1(VALU_DEP_1)
	v_fmac_f32_e32 v13, v15, v9
	v_fma_f32 v7, -v7, v13, v11
	s_delay_alu instid0(VALU_DEP_1) | instskip(NEXT) | instid1(VALU_DEP_1)
	v_div_fmas_f32 v7, v7, v9, v13
	v_div_fixup_f32 v63, v7, v59, -1.0
                                        ; implicit-def: $vgpr58_vgpr59
	s_delay_alu instid0(VALU_DEP_1) | instskip(NEXT) | instid1(VALU_DEP_1)
	v_mul_f32_e32 v60, v1, v63
	v_xor_b32_e32 v62, 0x80000000, v60
.LBB26_4:
	s_or_saveexec_b32 s0, s0
	v_lshl_add_u32 v1, v0, 3, 0
	s_xor_b32 exec_lo, exec_lo, s0
	s_cbranch_execz .LBB26_6
; %bb.5:
	v_div_scale_f32 v7, null, v58, v58, v59
	v_div_scale_f32 v13, vcc_lo, v59, v58, v59
	s_delay_alu instid0(VALU_DEP_2) | instskip(SKIP_1) | instid1(TRANS32_DEP_1)
	v_rcp_f32_e32 v9, v7
	v_nop
	v_fma_f32 v11, -v7, v9, 1.0
	s_delay_alu instid0(VALU_DEP_1) | instskip(NEXT) | instid1(VALU_DEP_1)
	v_fmac_f32_e32 v9, v11, v9
	v_mul_f32_e32 v11, v13, v9
	s_delay_alu instid0(VALU_DEP_1) | instskip(NEXT) | instid1(VALU_DEP_1)
	v_fma_f32 v15, -v7, v11, v13
	v_fmac_f32_e32 v11, v15, v9
	s_delay_alu instid0(VALU_DEP_1) | instskip(NEXT) | instid1(VALU_DEP_1)
	v_fma_f32 v7, -v7, v11, v13
	v_div_fmas_f32 v7, v7, v9, v11
	s_delay_alu instid0(VALU_DEP_1) | instskip(NEXT) | instid1(VALU_DEP_1)
	v_div_fixup_f32 v7, v7, v58, v59
	v_fmac_f32_e32 v58, v59, v7
	s_delay_alu instid0(VALU_DEP_1) | instskip(SKIP_1) | instid1(VALU_DEP_2)
	v_div_scale_f32 v9, null, v58, v58, 1.0
	v_div_scale_f32 v15, vcc_lo, 1.0, v58, 1.0
	v_rcp_f32_e32 v11, v9
	v_nop
	s_delay_alu instid0(TRANS32_DEP_1) | instskip(NEXT) | instid1(VALU_DEP_1)
	v_fma_f32 v13, -v9, v11, 1.0
	v_fmac_f32_e32 v11, v13, v11
	s_delay_alu instid0(VALU_DEP_1) | instskip(NEXT) | instid1(VALU_DEP_1)
	v_mul_f32_e32 v13, v15, v11
	v_fma_f32 v17, -v9, v13, v15
	s_delay_alu instid0(VALU_DEP_1) | instskip(NEXT) | instid1(VALU_DEP_1)
	v_fmac_f32_e32 v13, v17, v11
	v_fma_f32 v9, -v9, v13, v15
	s_delay_alu instid0(VALU_DEP_1) | instskip(NEXT) | instid1(VALU_DEP_1)
	v_div_fmas_f32 v9, v9, v11, v13
	v_div_fixup_f32 v62, v9, v58, 1.0
	s_delay_alu instid0(VALU_DEP_1)
	v_xor_b32_e32 v60, 0x80000000, v62
	v_mul_f32_e64 v63, v7, -v62
.LBB26_6:
	s_or_b32 exec_lo, exec_lo, s0
	s_delay_alu instid0(VALU_DEP_1)
	v_xor_b32_e32 v61, 0x80000000, v63
	s_mov_b32 s0, 0
	scratch_store_b64 v1, v[62:63], off
	ds_store_b64 v38, v[60:61]
.LBB26_7:
	s_and_b32 vcc_lo, exec_lo, s0
	s_cbranch_vccz .LBB26_9
; %bb.8:
	s_mov_b64 s[0:1], 0xbf800000
	s_wait_xcnt 0x3
	v_mov_b64_e32 v[58:59], s[0:1]
	ds_store_b64 v38, v[58:59]
.LBB26_9:
	v_dual_ashrrev_i32 v7, 31, v6 :: v_dual_ashrrev_i32 v9, 31, v8
	v_dual_ashrrev_i32 v11, 31, v10 :: v_dual_ashrrev_i32 v13, 31, v12
	;; [unrolled: 1-line block ×12, first 2 shown]
	v_dual_ashrrev_i32 v57, 31, v56 :: v_dual_mov_b32 v39, v38
	s_wait_xcnt 0x0
	v_add_nc_u32_e32 v1, 0xe0, v38
	s_cmp_eq_u32 s4, 0x79
	s_cbranch_scc1 .LBB26_13
; %bb.10:
	scratch_load_b64 v[58:59], off, off offset:200
	v_cmp_eq_u32_e64 s0, 26, v0
	s_movk_i32 s1, 0x50
	s_movk_i32 s2, 0x60
	;; [unrolled: 1-line block ×8, first 2 shown]
	s_wait_loadcnt 0x0
	ds_store_b64 v1, v[58:59]
	s_wait_storecnt_dscnt 0x0
	s_barrier_signal -1
	s_barrier_wait -1
	s_wait_xcnt 0x0
	s_and_saveexec_b32 s4, s0
	s_cbranch_execz .LBB26_17
; %bb.11:
	s_and_b32 vcc_lo, exec_lo, s3
	s_cbranch_vccz .LBB26_14
; %bb.12:
	scratch_load_b64 v[58:59], v39, off
	ds_load_b64 v[60:61], v1
	s_wait_loadcnt_dscnt 0x0
	v_pk_mul_f32 v[62:63], v[60:61], v[58:59] op_sel:[1,1] op_sel_hi:[0,1]
	v_pk_mul_f32 v[64:65], v[60:61], v[58:59] op_sel_hi:[1,0]
	s_delay_alu instid0(VALU_DEP_2) | instskip(NEXT) | instid1(VALU_DEP_2)
	v_pk_fma_f32 v[58:59], v[60:61], v[58:59], v[62:63] op_sel_hi:[1,0,1]
	v_sub_f32_e32 v58, v64, v62
	s_cbranch_execz .LBB26_15
	s_branch .LBB26_16
.LBB26_13:
	s_mov_b32 s1, 0
                                        ; implicit-def: $vgpr70
                                        ; implicit-def: $sgpr4
	s_cbranch_execnz .LBB26_266
	s_branch .LBB26_521
.LBB26_14:
                                        ; implicit-def: $vgpr59
.LBB26_15:
	ds_load_b64 v[58:59], v1
.LBB26_16:
	s_wait_dscnt 0x0
	v_dual_mov_b32 v60, 0 :: v_dual_mov_b32 v62, v59
	v_mov_b32_e32 v63, v58
	ds_load_b64 v[60:61], v60 offset:200
	s_wait_dscnt 0x0
	v_pk_mul_f32 v[62:63], v[62:63], v[60:61] op_sel:[0,1]
	s_delay_alu instid0(VALU_DEP_1) | instskip(SKIP_1) | instid1(VALU_DEP_2)
	v_pk_fma_f32 v[64:65], v[58:59], v[60:61], v[62:63] op_sel_hi:[1,0,1]
	v_pk_fma_f32 v[58:59], v[58:59], v[60:61], v[62:63] neg_lo:[0,0,1] neg_hi:[0,0,1]
	v_mov_b32_e32 v59, v65
	scratch_store_b64 off, v[58:59], off offset:200
.LBB26_17:
	s_wait_xcnt 0x0
	s_or_b32 exec_lo, exec_lo, s4
	scratch_load_b64 v[58:59], off, off offset:192
	s_mov_b32 s11, s2
	v_cmp_lt_u32_e64 s2, 24, v0
	s_mov_b32 s4, 16
	s_mov_b32 s5, 32
	;; [unrolled: 1-line block ×5, first 2 shown]
	s_wait_loadcnt 0x0
	ds_store_b64 v1, v[58:59]
	s_wait_storecnt_dscnt 0x0
	s_barrier_signal -1
	s_barrier_wait -1
	s_wait_xcnt 0x0
	s_and_saveexec_b32 s1, s2
	s_cbranch_execz .LBB26_25
; %bb.18:
	s_and_not1_b32 vcc_lo, exec_lo, s3
	s_cbranch_vccnz .LBB26_20
; %bb.19:
	scratch_load_b64 v[58:59], v39, off
	ds_load_b64 v[60:61], v1
	s_wait_loadcnt_dscnt 0x0
	v_pk_mul_f32 v[62:63], v[60:61], v[58:59] op_sel:[1,1] op_sel_hi:[0,1]
	s_delay_alu instid0(VALU_DEP_1) | instskip(SKIP_1) | instid1(VALU_DEP_2)
	v_pk_fma_f32 v[64:65], v[60:61], v[58:59], v[62:63] op_sel_hi:[1,0,1]
	v_pk_fma_f32 v[58:59], v[60:61], v[58:59], v[62:63] neg_lo:[0,0,1] neg_hi:[0,0,1]
	v_mov_b32_e32 v59, v65
	s_cbranch_execz .LBB26_21
	s_branch .LBB26_22
.LBB26_20:
                                        ; implicit-def: $vgpr58_vgpr59
.LBB26_21:
	ds_load_b64 v[58:59], v1
.LBB26_22:
	s_and_saveexec_b32 s18, s0
	s_cbranch_execz .LBB26_24
; %bb.23:
	scratch_load_b64 v[60:61], off, off offset:200
	v_mov_b32_e32 v62, 0
	ds_load_b64 v[62:63], v62 offset:424
	s_wait_loadcnt_dscnt 0x0
	v_pk_mul_f32 v[64:65], v[62:63], v[60:61] op_sel:[1,1] op_sel_hi:[0,1]
	s_delay_alu instid0(VALU_DEP_1) | instskip(SKIP_1) | instid1(VALU_DEP_2)
	v_pk_fma_f32 v[66:67], v[62:63], v[60:61], v[64:65] op_sel_hi:[1,0,1]
	v_pk_fma_f32 v[60:61], v[62:63], v[60:61], v[64:65] neg_lo:[0,0,1] neg_hi:[0,0,1]
	v_mov_b32_e32 v61, v67
	s_delay_alu instid0(VALU_DEP_1)
	v_pk_add_f32 v[58:59], v[58:59], v[60:61]
.LBB26_24:
	s_or_b32 exec_lo, exec_lo, s18
	v_mov_b32_e32 v60, 0
	ds_load_b64 v[60:61], v60 offset:192
	s_wait_dscnt 0x0
	v_pk_mul_f32 v[62:63], v[58:59], v[60:61] op_sel:[1,1] op_sel_hi:[0,1]
	s_delay_alu instid0(VALU_DEP_1) | instskip(SKIP_1) | instid1(VALU_DEP_2)
	v_pk_fma_f32 v[64:65], v[58:59], v[60:61], v[62:63] op_sel_hi:[1,0,1]
	v_pk_fma_f32 v[58:59], v[58:59], v[60:61], v[62:63] neg_lo:[0,0,1] neg_hi:[0,0,1]
	v_mov_b32_e32 v59, v65
	scratch_store_b64 off, v[58:59], off offset:192
.LBB26_25:
	s_wait_xcnt 0x0
	s_or_b32 exec_lo, exec_lo, s1
	scratch_load_b64 v[58:59], off, off offset:184
	v_cmp_lt_u32_e64 s1, 23, v0
	s_wait_loadcnt 0x0
	ds_store_b64 v1, v[58:59]
	s_wait_storecnt_dscnt 0x0
	s_barrier_signal -1
	s_barrier_wait -1
	s_wait_xcnt 0x0
	s_and_saveexec_b32 s0, s1
	s_cbranch_execz .LBB26_35
; %bb.26:
	s_and_not1_b32 vcc_lo, exec_lo, s3
	s_cbranch_vccnz .LBB26_28
; %bb.27:
	scratch_load_b64 v[58:59], v39, off
	ds_load_b64 v[60:61], v1
	s_wait_loadcnt_dscnt 0x0
	v_pk_mul_f32 v[62:63], v[60:61], v[58:59] op_sel:[1,1] op_sel_hi:[0,1]
	s_delay_alu instid0(VALU_DEP_1) | instskip(SKIP_1) | instid1(VALU_DEP_2)
	v_pk_fma_f32 v[64:65], v[60:61], v[58:59], v[62:63] op_sel_hi:[1,0,1]
	v_pk_fma_f32 v[58:59], v[60:61], v[58:59], v[62:63] neg_lo:[0,0,1] neg_hi:[0,0,1]
	v_mov_b32_e32 v59, v65
	s_cbranch_execz .LBB26_29
	s_branch .LBB26_30
.LBB26_28:
                                        ; implicit-def: $vgpr58_vgpr59
.LBB26_29:
	ds_load_b64 v[58:59], v1
.LBB26_30:
	s_and_saveexec_b32 s18, s2
	s_cbranch_execz .LBB26_34
; %bb.31:
	v_subrev_nc_u32_e32 v60, 24, v0
	s_movk_i32 s19, 0x1a0
	s_mov_b32 s2, 0
.LBB26_32:                              ; =>This Inner Loop Header: Depth=1
	scratch_load_b64 v[62:63], off, s17
	v_dual_mov_b32 v61, s19 :: v_dual_add_nc_u32 v60, -1, v60
	s_add_co_i32 s19, s19, 8
	s_wait_xcnt 0x0
	s_add_co_i32 s17, s17, 8
	ds_load_b64 v[64:65], v61
	v_cmp_eq_u32_e32 vcc_lo, 0, v60
	s_or_b32 s2, vcc_lo, s2
	s_wait_loadcnt_dscnt 0x0
	v_pk_mul_f32 v[66:67], v[64:65], v[62:63] op_sel:[1,1] op_sel_hi:[0,1]
	s_delay_alu instid0(VALU_DEP_1) | instskip(SKIP_1) | instid1(VALU_DEP_2)
	v_pk_fma_f32 v[68:69], v[64:65], v[62:63], v[66:67] op_sel_hi:[1,0,1]
	v_pk_fma_f32 v[62:63], v[64:65], v[62:63], v[66:67] neg_lo:[0,0,1] neg_hi:[0,0,1]
	v_mov_b32_e32 v63, v69
	s_delay_alu instid0(VALU_DEP_1)
	v_pk_add_f32 v[58:59], v[58:59], v[62:63]
	s_and_not1_b32 exec_lo, exec_lo, s2
	s_cbranch_execnz .LBB26_32
; %bb.33:
	s_or_b32 exec_lo, exec_lo, s2
.LBB26_34:
	s_delay_alu instid0(SALU_CYCLE_1) | instskip(SKIP_4) | instid1(VALU_DEP_1)
	s_or_b32 exec_lo, exec_lo, s18
	v_mov_b32_e32 v60, 0
	ds_load_b64 v[60:61], v60 offset:184
	s_wait_dscnt 0x0
	v_pk_mul_f32 v[62:63], v[58:59], v[60:61] op_sel:[1,1] op_sel_hi:[0,1]
	v_pk_fma_f32 v[64:65], v[58:59], v[60:61], v[62:63] op_sel_hi:[1,0,1]
	v_pk_fma_f32 v[58:59], v[58:59], v[60:61], v[62:63] neg_lo:[0,0,1] neg_hi:[0,0,1]
	s_delay_alu instid0(VALU_DEP_2)
	v_mov_b32_e32 v59, v65
	scratch_store_b64 off, v[58:59], off offset:184
.LBB26_35:
	s_wait_xcnt 0x0
	s_or_b32 exec_lo, exec_lo, s0
	scratch_load_b64 v[58:59], off, off offset:176
	v_cmp_lt_u32_e64 s0, 22, v0
	s_wait_loadcnt 0x0
	ds_store_b64 v1, v[58:59]
	s_wait_storecnt_dscnt 0x0
	s_barrier_signal -1
	s_barrier_wait -1
	s_wait_xcnt 0x0
	s_and_saveexec_b32 s2, s0
	s_cbranch_execz .LBB26_45
; %bb.36:
	s_and_not1_b32 vcc_lo, exec_lo, s3
	s_cbranch_vccnz .LBB26_38
; %bb.37:
	scratch_load_b64 v[58:59], v39, off
	ds_load_b64 v[60:61], v1
	s_wait_loadcnt_dscnt 0x0
	v_pk_mul_f32 v[62:63], v[60:61], v[58:59] op_sel:[1,1] op_sel_hi:[0,1]
	s_delay_alu instid0(VALU_DEP_1) | instskip(SKIP_1) | instid1(VALU_DEP_2)
	v_pk_fma_f32 v[64:65], v[60:61], v[58:59], v[62:63] op_sel_hi:[1,0,1]
	v_pk_fma_f32 v[58:59], v[60:61], v[58:59], v[62:63] neg_lo:[0,0,1] neg_hi:[0,0,1]
	v_mov_b32_e32 v59, v65
	s_cbranch_execz .LBB26_39
	s_branch .LBB26_40
.LBB26_38:
                                        ; implicit-def: $vgpr58_vgpr59
.LBB26_39:
	ds_load_b64 v[58:59], v1
.LBB26_40:
	s_and_saveexec_b32 s17, s1
	s_cbranch_execz .LBB26_44
; %bb.41:
	v_subrev_nc_u32_e32 v60, 23, v0
	s_movk_i32 s1, 0xb8
	s_movk_i32 s19, 0x198
	s_mov_b32 s18, 0
.LBB26_42:                              ; =>This Inner Loop Header: Depth=1
	scratch_load_b64 v[62:63], off, s1
	v_dual_mov_b32 v61, s19 :: v_dual_add_nc_u32 v60, -1, v60
	s_add_co_i32 s19, s19, 8
	s_wait_xcnt 0x0
	s_add_co_i32 s1, s1, 8
	ds_load_b64 v[64:65], v61
	v_cmp_eq_u32_e32 vcc_lo, 0, v60
	s_or_b32 s18, vcc_lo, s18
	s_wait_loadcnt_dscnt 0x0
	v_pk_mul_f32 v[66:67], v[64:65], v[62:63] op_sel:[1,1] op_sel_hi:[0,1]
	s_delay_alu instid0(VALU_DEP_1) | instskip(SKIP_1) | instid1(VALU_DEP_2)
	v_pk_fma_f32 v[68:69], v[64:65], v[62:63], v[66:67] op_sel_hi:[1,0,1]
	v_pk_fma_f32 v[62:63], v[64:65], v[62:63], v[66:67] neg_lo:[0,0,1] neg_hi:[0,0,1]
	v_mov_b32_e32 v63, v69
	s_delay_alu instid0(VALU_DEP_1)
	v_pk_add_f32 v[58:59], v[58:59], v[62:63]
	s_and_not1_b32 exec_lo, exec_lo, s18
	s_cbranch_execnz .LBB26_42
; %bb.43:
	s_or_b32 exec_lo, exec_lo, s18
.LBB26_44:
	s_delay_alu instid0(SALU_CYCLE_1) | instskip(SKIP_4) | instid1(VALU_DEP_1)
	s_or_b32 exec_lo, exec_lo, s17
	v_mov_b32_e32 v60, 0
	ds_load_b64 v[60:61], v60 offset:176
	s_wait_dscnt 0x0
	v_pk_mul_f32 v[62:63], v[58:59], v[60:61] op_sel:[1,1] op_sel_hi:[0,1]
	v_pk_fma_f32 v[64:65], v[58:59], v[60:61], v[62:63] op_sel_hi:[1,0,1]
	v_pk_fma_f32 v[58:59], v[58:59], v[60:61], v[62:63] neg_lo:[0,0,1] neg_hi:[0,0,1]
	s_delay_alu instid0(VALU_DEP_2)
	v_mov_b32_e32 v59, v65
	scratch_store_b64 off, v[58:59], off offset:176
.LBB26_45:
	s_wait_xcnt 0x0
	s_or_b32 exec_lo, exec_lo, s2
	scratch_load_b64 v[58:59], off, off offset:168
	v_cmp_lt_u32_e64 s1, 21, v0
	s_wait_loadcnt 0x0
	ds_store_b64 v1, v[58:59]
	s_wait_storecnt_dscnt 0x0
	s_barrier_signal -1
	s_barrier_wait -1
	s_wait_xcnt 0x0
	s_and_saveexec_b32 s2, s1
	s_cbranch_execz .LBB26_55
; %bb.46:
	s_and_not1_b32 vcc_lo, exec_lo, s3
	s_cbranch_vccnz .LBB26_48
; %bb.47:
	scratch_load_b64 v[58:59], v39, off
	ds_load_b64 v[60:61], v1
	s_wait_loadcnt_dscnt 0x0
	v_pk_mul_f32 v[62:63], v[60:61], v[58:59] op_sel:[1,1] op_sel_hi:[0,1]
	s_delay_alu instid0(VALU_DEP_1) | instskip(SKIP_1) | instid1(VALU_DEP_2)
	v_pk_fma_f32 v[64:65], v[60:61], v[58:59], v[62:63] op_sel_hi:[1,0,1]
	v_pk_fma_f32 v[58:59], v[60:61], v[58:59], v[62:63] neg_lo:[0,0,1] neg_hi:[0,0,1]
	v_mov_b32_e32 v59, v65
	s_cbranch_execz .LBB26_49
	s_branch .LBB26_50
.LBB26_48:
                                        ; implicit-def: $vgpr58_vgpr59
.LBB26_49:
	ds_load_b64 v[58:59], v1
.LBB26_50:
	s_and_saveexec_b32 s17, s0
	s_cbranch_execz .LBB26_54
; %bb.51:
	v_subrev_nc_u32_e32 v60, 22, v0
	s_movk_i32 s18, 0x190
	s_mov_b32 s0, 0
.LBB26_52:                              ; =>This Inner Loop Header: Depth=1
	scratch_load_b64 v[62:63], off, s16
	v_dual_mov_b32 v61, s18 :: v_dual_add_nc_u32 v60, -1, v60
	s_add_co_i32 s18, s18, 8
	s_wait_xcnt 0x0
	s_add_co_i32 s16, s16, 8
	ds_load_b64 v[64:65], v61
	v_cmp_eq_u32_e32 vcc_lo, 0, v60
	s_or_b32 s0, vcc_lo, s0
	s_wait_loadcnt_dscnt 0x0
	v_pk_mul_f32 v[66:67], v[64:65], v[62:63] op_sel:[1,1] op_sel_hi:[0,1]
	s_delay_alu instid0(VALU_DEP_1) | instskip(SKIP_1) | instid1(VALU_DEP_2)
	v_pk_fma_f32 v[68:69], v[64:65], v[62:63], v[66:67] op_sel_hi:[1,0,1]
	v_pk_fma_f32 v[62:63], v[64:65], v[62:63], v[66:67] neg_lo:[0,0,1] neg_hi:[0,0,1]
	v_mov_b32_e32 v63, v69
	s_delay_alu instid0(VALU_DEP_1)
	v_pk_add_f32 v[58:59], v[58:59], v[62:63]
	s_and_not1_b32 exec_lo, exec_lo, s0
	s_cbranch_execnz .LBB26_52
; %bb.53:
	s_or_b32 exec_lo, exec_lo, s0
.LBB26_54:
	s_delay_alu instid0(SALU_CYCLE_1) | instskip(SKIP_4) | instid1(VALU_DEP_1)
	s_or_b32 exec_lo, exec_lo, s17
	v_mov_b32_e32 v60, 0
	ds_load_b64 v[60:61], v60 offset:168
	s_wait_dscnt 0x0
	v_pk_mul_f32 v[62:63], v[58:59], v[60:61] op_sel:[1,1] op_sel_hi:[0,1]
	v_pk_fma_f32 v[64:65], v[58:59], v[60:61], v[62:63] op_sel_hi:[1,0,1]
	v_pk_fma_f32 v[58:59], v[58:59], v[60:61], v[62:63] neg_lo:[0,0,1] neg_hi:[0,0,1]
	s_delay_alu instid0(VALU_DEP_2)
	v_mov_b32_e32 v59, v65
	scratch_store_b64 off, v[58:59], off offset:168
.LBB26_55:
	s_wait_xcnt 0x0
	s_or_b32 exec_lo, exec_lo, s2
	scratch_load_b64 v[58:59], off, off offset:160
	v_cmp_lt_u32_e64 s0, 20, v0
	s_wait_loadcnt 0x0
	ds_store_b64 v1, v[58:59]
	s_wait_storecnt_dscnt 0x0
	s_barrier_signal -1
	s_barrier_wait -1
	s_wait_xcnt 0x0
	s_and_saveexec_b32 s2, s0
	s_cbranch_execz .LBB26_65
; %bb.56:
	s_and_not1_b32 vcc_lo, exec_lo, s3
	s_cbranch_vccnz .LBB26_58
; %bb.57:
	scratch_load_b64 v[58:59], v39, off
	ds_load_b64 v[60:61], v1
	s_wait_loadcnt_dscnt 0x0
	v_pk_mul_f32 v[62:63], v[60:61], v[58:59] op_sel:[1,1] op_sel_hi:[0,1]
	s_delay_alu instid0(VALU_DEP_1) | instskip(SKIP_1) | instid1(VALU_DEP_2)
	v_pk_fma_f32 v[64:65], v[60:61], v[58:59], v[62:63] op_sel_hi:[1,0,1]
	v_pk_fma_f32 v[58:59], v[60:61], v[58:59], v[62:63] neg_lo:[0,0,1] neg_hi:[0,0,1]
	v_mov_b32_e32 v59, v65
	s_cbranch_execz .LBB26_59
	s_branch .LBB26_60
.LBB26_58:
                                        ; implicit-def: $vgpr58_vgpr59
.LBB26_59:
	ds_load_b64 v[58:59], v1
.LBB26_60:
	s_and_saveexec_b32 s16, s1
	s_cbranch_execz .LBB26_64
; %bb.61:
	v_subrev_nc_u32_e32 v60, 21, v0
	s_movk_i32 s1, 0xa8
	s_movk_i32 s18, 0x188
	s_mov_b32 s17, 0
.LBB26_62:                              ; =>This Inner Loop Header: Depth=1
	scratch_load_b64 v[62:63], off, s1
	v_dual_mov_b32 v61, s18 :: v_dual_add_nc_u32 v60, -1, v60
	s_add_co_i32 s18, s18, 8
	s_wait_xcnt 0x0
	s_add_co_i32 s1, s1, 8
	ds_load_b64 v[64:65], v61
	v_cmp_eq_u32_e32 vcc_lo, 0, v60
	s_or_b32 s17, vcc_lo, s17
	s_wait_loadcnt_dscnt 0x0
	v_pk_mul_f32 v[66:67], v[64:65], v[62:63] op_sel:[1,1] op_sel_hi:[0,1]
	s_delay_alu instid0(VALU_DEP_1) | instskip(SKIP_1) | instid1(VALU_DEP_2)
	v_pk_fma_f32 v[68:69], v[64:65], v[62:63], v[66:67] op_sel_hi:[1,0,1]
	v_pk_fma_f32 v[62:63], v[64:65], v[62:63], v[66:67] neg_lo:[0,0,1] neg_hi:[0,0,1]
	v_mov_b32_e32 v63, v69
	s_delay_alu instid0(VALU_DEP_1)
	v_pk_add_f32 v[58:59], v[58:59], v[62:63]
	s_and_not1_b32 exec_lo, exec_lo, s17
	s_cbranch_execnz .LBB26_62
; %bb.63:
	s_or_b32 exec_lo, exec_lo, s17
.LBB26_64:
	s_delay_alu instid0(SALU_CYCLE_1) | instskip(SKIP_4) | instid1(VALU_DEP_1)
	s_or_b32 exec_lo, exec_lo, s16
	v_mov_b32_e32 v60, 0
	ds_load_b64 v[60:61], v60 offset:160
	s_wait_dscnt 0x0
	v_pk_mul_f32 v[62:63], v[58:59], v[60:61] op_sel:[1,1] op_sel_hi:[0,1]
	v_pk_fma_f32 v[64:65], v[58:59], v[60:61], v[62:63] op_sel_hi:[1,0,1]
	v_pk_fma_f32 v[58:59], v[58:59], v[60:61], v[62:63] neg_lo:[0,0,1] neg_hi:[0,0,1]
	s_delay_alu instid0(VALU_DEP_2)
	v_mov_b32_e32 v59, v65
	scratch_store_b64 off, v[58:59], off offset:160
.LBB26_65:
	s_wait_xcnt 0x0
	s_or_b32 exec_lo, exec_lo, s2
	scratch_load_b64 v[58:59], off, off offset:152
	v_cmp_lt_u32_e64 s1, 19, v0
	s_wait_loadcnt 0x0
	ds_store_b64 v1, v[58:59]
	s_wait_storecnt_dscnt 0x0
	s_barrier_signal -1
	s_barrier_wait -1
	s_wait_xcnt 0x0
	s_and_saveexec_b32 s2, s1
	s_cbranch_execz .LBB26_75
; %bb.66:
	s_and_not1_b32 vcc_lo, exec_lo, s3
	s_cbranch_vccnz .LBB26_68
; %bb.67:
	scratch_load_b64 v[58:59], v39, off
	ds_load_b64 v[60:61], v1
	s_wait_loadcnt_dscnt 0x0
	v_pk_mul_f32 v[62:63], v[60:61], v[58:59] op_sel:[1,1] op_sel_hi:[0,1]
	s_delay_alu instid0(VALU_DEP_1) | instskip(SKIP_1) | instid1(VALU_DEP_2)
	v_pk_fma_f32 v[64:65], v[60:61], v[58:59], v[62:63] op_sel_hi:[1,0,1]
	v_pk_fma_f32 v[58:59], v[60:61], v[58:59], v[62:63] neg_lo:[0,0,1] neg_hi:[0,0,1]
	v_mov_b32_e32 v59, v65
	s_cbranch_execz .LBB26_69
	s_branch .LBB26_70
.LBB26_68:
                                        ; implicit-def: $vgpr58_vgpr59
.LBB26_69:
	ds_load_b64 v[58:59], v1
.LBB26_70:
	s_and_saveexec_b32 s16, s0
	s_cbranch_execz .LBB26_74
; %bb.71:
	v_subrev_nc_u32_e32 v60, 20, v0
	s_movk_i32 s17, 0x180
	s_mov_b32 s0, 0
.LBB26_72:                              ; =>This Inner Loop Header: Depth=1
	scratch_load_b64 v[62:63], off, s15
	v_dual_mov_b32 v61, s17 :: v_dual_add_nc_u32 v60, -1, v60
	s_add_co_i32 s17, s17, 8
	s_wait_xcnt 0x0
	s_add_co_i32 s15, s15, 8
	ds_load_b64 v[64:65], v61
	v_cmp_eq_u32_e32 vcc_lo, 0, v60
	s_or_b32 s0, vcc_lo, s0
	s_wait_loadcnt_dscnt 0x0
	v_pk_mul_f32 v[66:67], v[64:65], v[62:63] op_sel:[1,1] op_sel_hi:[0,1]
	s_delay_alu instid0(VALU_DEP_1) | instskip(SKIP_1) | instid1(VALU_DEP_2)
	v_pk_fma_f32 v[68:69], v[64:65], v[62:63], v[66:67] op_sel_hi:[1,0,1]
	v_pk_fma_f32 v[62:63], v[64:65], v[62:63], v[66:67] neg_lo:[0,0,1] neg_hi:[0,0,1]
	v_mov_b32_e32 v63, v69
	s_delay_alu instid0(VALU_DEP_1)
	v_pk_add_f32 v[58:59], v[58:59], v[62:63]
	s_and_not1_b32 exec_lo, exec_lo, s0
	s_cbranch_execnz .LBB26_72
; %bb.73:
	s_or_b32 exec_lo, exec_lo, s0
.LBB26_74:
	s_delay_alu instid0(SALU_CYCLE_1) | instskip(SKIP_4) | instid1(VALU_DEP_1)
	s_or_b32 exec_lo, exec_lo, s16
	v_mov_b32_e32 v60, 0
	ds_load_b64 v[60:61], v60 offset:152
	s_wait_dscnt 0x0
	v_pk_mul_f32 v[62:63], v[58:59], v[60:61] op_sel:[1,1] op_sel_hi:[0,1]
	v_pk_fma_f32 v[64:65], v[58:59], v[60:61], v[62:63] op_sel_hi:[1,0,1]
	v_pk_fma_f32 v[58:59], v[58:59], v[60:61], v[62:63] neg_lo:[0,0,1] neg_hi:[0,0,1]
	s_delay_alu instid0(VALU_DEP_2)
	v_mov_b32_e32 v59, v65
	scratch_store_b64 off, v[58:59], off offset:152
.LBB26_75:
	s_wait_xcnt 0x0
	s_or_b32 exec_lo, exec_lo, s2
	scratch_load_b64 v[58:59], off, off offset:144
	v_cmp_lt_u32_e64 s0, 18, v0
	s_wait_loadcnt 0x0
	ds_store_b64 v1, v[58:59]
	s_wait_storecnt_dscnt 0x0
	s_barrier_signal -1
	s_barrier_wait -1
	s_wait_xcnt 0x0
	s_and_saveexec_b32 s2, s0
	s_cbranch_execz .LBB26_85
; %bb.76:
	s_and_not1_b32 vcc_lo, exec_lo, s3
	s_cbranch_vccnz .LBB26_78
; %bb.77:
	scratch_load_b64 v[58:59], v39, off
	ds_load_b64 v[60:61], v1
	s_wait_loadcnt_dscnt 0x0
	v_pk_mul_f32 v[62:63], v[60:61], v[58:59] op_sel:[1,1] op_sel_hi:[0,1]
	s_delay_alu instid0(VALU_DEP_1) | instskip(SKIP_1) | instid1(VALU_DEP_2)
	v_pk_fma_f32 v[64:65], v[60:61], v[58:59], v[62:63] op_sel_hi:[1,0,1]
	v_pk_fma_f32 v[58:59], v[60:61], v[58:59], v[62:63] neg_lo:[0,0,1] neg_hi:[0,0,1]
	v_mov_b32_e32 v59, v65
	s_cbranch_execz .LBB26_79
	s_branch .LBB26_80
.LBB26_78:
                                        ; implicit-def: $vgpr58_vgpr59
.LBB26_79:
	ds_load_b64 v[58:59], v1
.LBB26_80:
	s_and_saveexec_b32 s15, s1
	s_cbranch_execz .LBB26_84
; %bb.81:
	v_subrev_nc_u32_e32 v60, 19, v0
	s_movk_i32 s1, 0x98
	s_movk_i32 s17, 0x178
	s_mov_b32 s16, 0
.LBB26_82:                              ; =>This Inner Loop Header: Depth=1
	scratch_load_b64 v[62:63], off, s1
	v_dual_mov_b32 v61, s17 :: v_dual_add_nc_u32 v60, -1, v60
	s_add_co_i32 s17, s17, 8
	s_wait_xcnt 0x0
	s_add_co_i32 s1, s1, 8
	ds_load_b64 v[64:65], v61
	v_cmp_eq_u32_e32 vcc_lo, 0, v60
	s_or_b32 s16, vcc_lo, s16
	s_wait_loadcnt_dscnt 0x0
	v_pk_mul_f32 v[66:67], v[64:65], v[62:63] op_sel:[1,1] op_sel_hi:[0,1]
	s_delay_alu instid0(VALU_DEP_1) | instskip(SKIP_1) | instid1(VALU_DEP_2)
	v_pk_fma_f32 v[68:69], v[64:65], v[62:63], v[66:67] op_sel_hi:[1,0,1]
	v_pk_fma_f32 v[62:63], v[64:65], v[62:63], v[66:67] neg_lo:[0,0,1] neg_hi:[0,0,1]
	v_mov_b32_e32 v63, v69
	s_delay_alu instid0(VALU_DEP_1)
	v_pk_add_f32 v[58:59], v[58:59], v[62:63]
	s_and_not1_b32 exec_lo, exec_lo, s16
	s_cbranch_execnz .LBB26_82
; %bb.83:
	s_or_b32 exec_lo, exec_lo, s16
.LBB26_84:
	s_delay_alu instid0(SALU_CYCLE_1) | instskip(SKIP_4) | instid1(VALU_DEP_1)
	s_or_b32 exec_lo, exec_lo, s15
	v_mov_b32_e32 v60, 0
	ds_load_b64 v[60:61], v60 offset:144
	s_wait_dscnt 0x0
	v_pk_mul_f32 v[62:63], v[58:59], v[60:61] op_sel:[1,1] op_sel_hi:[0,1]
	v_pk_fma_f32 v[64:65], v[58:59], v[60:61], v[62:63] op_sel_hi:[1,0,1]
	v_pk_fma_f32 v[58:59], v[58:59], v[60:61], v[62:63] neg_lo:[0,0,1] neg_hi:[0,0,1]
	s_delay_alu instid0(VALU_DEP_2)
	v_mov_b32_e32 v59, v65
	scratch_store_b64 off, v[58:59], off offset:144
.LBB26_85:
	s_wait_xcnt 0x0
	s_or_b32 exec_lo, exec_lo, s2
	scratch_load_b64 v[58:59], off, off offset:136
	v_cmp_lt_u32_e64 s1, 17, v0
	s_wait_loadcnt 0x0
	ds_store_b64 v1, v[58:59]
	s_wait_storecnt_dscnt 0x0
	s_barrier_signal -1
	s_barrier_wait -1
	s_wait_xcnt 0x0
	s_and_saveexec_b32 s2, s1
	s_cbranch_execz .LBB26_95
; %bb.86:
	s_and_not1_b32 vcc_lo, exec_lo, s3
	s_cbranch_vccnz .LBB26_88
; %bb.87:
	scratch_load_b64 v[58:59], v39, off
	ds_load_b64 v[60:61], v1
	s_wait_loadcnt_dscnt 0x0
	v_pk_mul_f32 v[62:63], v[60:61], v[58:59] op_sel:[1,1] op_sel_hi:[0,1]
	s_delay_alu instid0(VALU_DEP_1) | instskip(SKIP_1) | instid1(VALU_DEP_2)
	v_pk_fma_f32 v[64:65], v[60:61], v[58:59], v[62:63] op_sel_hi:[1,0,1]
	v_pk_fma_f32 v[58:59], v[60:61], v[58:59], v[62:63] neg_lo:[0,0,1] neg_hi:[0,0,1]
	v_mov_b32_e32 v59, v65
	s_cbranch_execz .LBB26_89
	s_branch .LBB26_90
.LBB26_88:
                                        ; implicit-def: $vgpr58_vgpr59
.LBB26_89:
	ds_load_b64 v[58:59], v1
.LBB26_90:
	s_and_saveexec_b32 s15, s0
	s_cbranch_execz .LBB26_94
; %bb.91:
	v_subrev_nc_u32_e32 v60, 18, v0
	s_movk_i32 s16, 0x170
	s_mov_b32 s0, 0
.LBB26_92:                              ; =>This Inner Loop Header: Depth=1
	scratch_load_b64 v[62:63], off, s14
	v_dual_mov_b32 v61, s16 :: v_dual_add_nc_u32 v60, -1, v60
	s_add_co_i32 s16, s16, 8
	s_wait_xcnt 0x0
	s_add_co_i32 s14, s14, 8
	ds_load_b64 v[64:65], v61
	v_cmp_eq_u32_e32 vcc_lo, 0, v60
	s_or_b32 s0, vcc_lo, s0
	s_wait_loadcnt_dscnt 0x0
	v_pk_mul_f32 v[66:67], v[64:65], v[62:63] op_sel:[1,1] op_sel_hi:[0,1]
	s_delay_alu instid0(VALU_DEP_1) | instskip(SKIP_1) | instid1(VALU_DEP_2)
	v_pk_fma_f32 v[68:69], v[64:65], v[62:63], v[66:67] op_sel_hi:[1,0,1]
	v_pk_fma_f32 v[62:63], v[64:65], v[62:63], v[66:67] neg_lo:[0,0,1] neg_hi:[0,0,1]
	v_mov_b32_e32 v63, v69
	s_delay_alu instid0(VALU_DEP_1)
	v_pk_add_f32 v[58:59], v[58:59], v[62:63]
	s_and_not1_b32 exec_lo, exec_lo, s0
	s_cbranch_execnz .LBB26_92
; %bb.93:
	s_or_b32 exec_lo, exec_lo, s0
.LBB26_94:
	s_delay_alu instid0(SALU_CYCLE_1) | instskip(SKIP_4) | instid1(VALU_DEP_1)
	s_or_b32 exec_lo, exec_lo, s15
	v_mov_b32_e32 v60, 0
	ds_load_b64 v[60:61], v60 offset:136
	s_wait_dscnt 0x0
	v_pk_mul_f32 v[62:63], v[58:59], v[60:61] op_sel:[1,1] op_sel_hi:[0,1]
	v_pk_fma_f32 v[64:65], v[58:59], v[60:61], v[62:63] op_sel_hi:[1,0,1]
	v_pk_fma_f32 v[58:59], v[58:59], v[60:61], v[62:63] neg_lo:[0,0,1] neg_hi:[0,0,1]
	s_delay_alu instid0(VALU_DEP_2)
	v_mov_b32_e32 v59, v65
	scratch_store_b64 off, v[58:59], off offset:136
.LBB26_95:
	s_wait_xcnt 0x0
	s_or_b32 exec_lo, exec_lo, s2
	scratch_load_b64 v[58:59], off, off offset:128
	v_cmp_lt_u32_e64 s0, 16, v0
	s_wait_loadcnt 0x0
	ds_store_b64 v1, v[58:59]
	s_wait_storecnt_dscnt 0x0
	s_barrier_signal -1
	s_barrier_wait -1
	s_wait_xcnt 0x0
	s_and_saveexec_b32 s2, s0
	s_cbranch_execz .LBB26_105
; %bb.96:
	s_and_not1_b32 vcc_lo, exec_lo, s3
	s_cbranch_vccnz .LBB26_98
; %bb.97:
	scratch_load_b64 v[58:59], v39, off
	ds_load_b64 v[60:61], v1
	s_wait_loadcnt_dscnt 0x0
	v_pk_mul_f32 v[62:63], v[60:61], v[58:59] op_sel:[1,1] op_sel_hi:[0,1]
	s_delay_alu instid0(VALU_DEP_1) | instskip(SKIP_1) | instid1(VALU_DEP_2)
	v_pk_fma_f32 v[64:65], v[60:61], v[58:59], v[62:63] op_sel_hi:[1,0,1]
	v_pk_fma_f32 v[58:59], v[60:61], v[58:59], v[62:63] neg_lo:[0,0,1] neg_hi:[0,0,1]
	v_mov_b32_e32 v59, v65
	s_cbranch_execz .LBB26_99
	s_branch .LBB26_100
.LBB26_98:
                                        ; implicit-def: $vgpr58_vgpr59
.LBB26_99:
	ds_load_b64 v[58:59], v1
.LBB26_100:
	s_and_saveexec_b32 s14, s1
	s_cbranch_execz .LBB26_104
; %bb.101:
	v_subrev_nc_u32_e32 v60, 17, v0
	s_movk_i32 s1, 0x88
	s_movk_i32 s16, 0x168
	s_mov_b32 s15, 0
.LBB26_102:                             ; =>This Inner Loop Header: Depth=1
	scratch_load_b64 v[62:63], off, s1
	v_dual_mov_b32 v61, s16 :: v_dual_add_nc_u32 v60, -1, v60
	s_add_co_i32 s16, s16, 8
	s_wait_xcnt 0x0
	s_add_co_i32 s1, s1, 8
	ds_load_b64 v[64:65], v61
	v_cmp_eq_u32_e32 vcc_lo, 0, v60
	s_or_b32 s15, vcc_lo, s15
	s_wait_loadcnt_dscnt 0x0
	v_pk_mul_f32 v[66:67], v[64:65], v[62:63] op_sel:[1,1] op_sel_hi:[0,1]
	s_delay_alu instid0(VALU_DEP_1) | instskip(SKIP_1) | instid1(VALU_DEP_2)
	v_pk_fma_f32 v[68:69], v[64:65], v[62:63], v[66:67] op_sel_hi:[1,0,1]
	v_pk_fma_f32 v[62:63], v[64:65], v[62:63], v[66:67] neg_lo:[0,0,1] neg_hi:[0,0,1]
	v_mov_b32_e32 v63, v69
	s_delay_alu instid0(VALU_DEP_1)
	v_pk_add_f32 v[58:59], v[58:59], v[62:63]
	s_and_not1_b32 exec_lo, exec_lo, s15
	s_cbranch_execnz .LBB26_102
; %bb.103:
	s_or_b32 exec_lo, exec_lo, s15
.LBB26_104:
	s_delay_alu instid0(SALU_CYCLE_1) | instskip(SKIP_4) | instid1(VALU_DEP_1)
	s_or_b32 exec_lo, exec_lo, s14
	v_mov_b32_e32 v60, 0
	ds_load_b64 v[60:61], v60 offset:128
	s_wait_dscnt 0x0
	v_pk_mul_f32 v[62:63], v[58:59], v[60:61] op_sel:[1,1] op_sel_hi:[0,1]
	v_pk_fma_f32 v[64:65], v[58:59], v[60:61], v[62:63] op_sel_hi:[1,0,1]
	v_pk_fma_f32 v[58:59], v[58:59], v[60:61], v[62:63] neg_lo:[0,0,1] neg_hi:[0,0,1]
	s_delay_alu instid0(VALU_DEP_2)
	v_mov_b32_e32 v59, v65
	scratch_store_b64 off, v[58:59], off offset:128
.LBB26_105:
	s_wait_xcnt 0x0
	s_or_b32 exec_lo, exec_lo, s2
	scratch_load_b64 v[58:59], off, off offset:120
	v_cmp_lt_u32_e64 s1, 15, v0
	s_wait_loadcnt 0x0
	ds_store_b64 v1, v[58:59]
	s_wait_storecnt_dscnt 0x0
	s_barrier_signal -1
	s_barrier_wait -1
	s_wait_xcnt 0x0
	s_and_saveexec_b32 s2, s1
	s_cbranch_execz .LBB26_115
; %bb.106:
	s_and_not1_b32 vcc_lo, exec_lo, s3
	s_cbranch_vccnz .LBB26_108
; %bb.107:
	scratch_load_b64 v[58:59], v39, off
	ds_load_b64 v[60:61], v1
	s_wait_loadcnt_dscnt 0x0
	v_pk_mul_f32 v[62:63], v[60:61], v[58:59] op_sel:[1,1] op_sel_hi:[0,1]
	s_delay_alu instid0(VALU_DEP_1) | instskip(SKIP_1) | instid1(VALU_DEP_2)
	v_pk_fma_f32 v[64:65], v[60:61], v[58:59], v[62:63] op_sel_hi:[1,0,1]
	v_pk_fma_f32 v[58:59], v[60:61], v[58:59], v[62:63] neg_lo:[0,0,1] neg_hi:[0,0,1]
	v_mov_b32_e32 v59, v65
	s_cbranch_execz .LBB26_109
	s_branch .LBB26_110
.LBB26_108:
                                        ; implicit-def: $vgpr58_vgpr59
.LBB26_109:
	ds_load_b64 v[58:59], v1
.LBB26_110:
	s_and_saveexec_b32 s14, s0
	s_cbranch_execz .LBB26_114
; %bb.111:
	v_add_nc_u32_e32 v60, -16, v0
	s_movk_i32 s15, 0x160
	s_mov_b32 s0, 0
.LBB26_112:                             ; =>This Inner Loop Header: Depth=1
	scratch_load_b64 v[62:63], off, s13
	v_dual_mov_b32 v61, s15 :: v_dual_add_nc_u32 v60, -1, v60
	s_add_co_i32 s15, s15, 8
	s_wait_xcnt 0x0
	s_add_co_i32 s13, s13, 8
	ds_load_b64 v[64:65], v61
	v_cmp_eq_u32_e32 vcc_lo, 0, v60
	s_or_b32 s0, vcc_lo, s0
	s_wait_loadcnt_dscnt 0x0
	v_pk_mul_f32 v[66:67], v[64:65], v[62:63] op_sel:[1,1] op_sel_hi:[0,1]
	s_delay_alu instid0(VALU_DEP_1) | instskip(SKIP_1) | instid1(VALU_DEP_2)
	v_pk_fma_f32 v[68:69], v[64:65], v[62:63], v[66:67] op_sel_hi:[1,0,1]
	v_pk_fma_f32 v[62:63], v[64:65], v[62:63], v[66:67] neg_lo:[0,0,1] neg_hi:[0,0,1]
	v_mov_b32_e32 v63, v69
	s_delay_alu instid0(VALU_DEP_1)
	v_pk_add_f32 v[58:59], v[58:59], v[62:63]
	s_and_not1_b32 exec_lo, exec_lo, s0
	s_cbranch_execnz .LBB26_112
; %bb.113:
	s_or_b32 exec_lo, exec_lo, s0
.LBB26_114:
	s_delay_alu instid0(SALU_CYCLE_1) | instskip(SKIP_4) | instid1(VALU_DEP_1)
	s_or_b32 exec_lo, exec_lo, s14
	v_mov_b32_e32 v60, 0
	ds_load_b64 v[60:61], v60 offset:120
	s_wait_dscnt 0x0
	v_pk_mul_f32 v[62:63], v[58:59], v[60:61] op_sel:[1,1] op_sel_hi:[0,1]
	v_pk_fma_f32 v[64:65], v[58:59], v[60:61], v[62:63] op_sel_hi:[1,0,1]
	v_pk_fma_f32 v[58:59], v[58:59], v[60:61], v[62:63] neg_lo:[0,0,1] neg_hi:[0,0,1]
	s_delay_alu instid0(VALU_DEP_2)
	v_mov_b32_e32 v59, v65
	scratch_store_b64 off, v[58:59], off offset:120
.LBB26_115:
	s_wait_xcnt 0x0
	s_or_b32 exec_lo, exec_lo, s2
	scratch_load_b64 v[58:59], off, off offset:112
	v_cmp_lt_u32_e64 s0, 14, v0
	s_wait_loadcnt 0x0
	ds_store_b64 v1, v[58:59]
	s_wait_storecnt_dscnt 0x0
	s_barrier_signal -1
	s_barrier_wait -1
	s_wait_xcnt 0x0
	s_and_saveexec_b32 s2, s0
	s_cbranch_execz .LBB26_125
; %bb.116:
	s_and_not1_b32 vcc_lo, exec_lo, s3
	s_cbranch_vccnz .LBB26_118
; %bb.117:
	scratch_load_b64 v[58:59], v39, off
	ds_load_b64 v[60:61], v1
	s_wait_loadcnt_dscnt 0x0
	v_pk_mul_f32 v[62:63], v[60:61], v[58:59] op_sel:[1,1] op_sel_hi:[0,1]
	s_delay_alu instid0(VALU_DEP_1) | instskip(SKIP_1) | instid1(VALU_DEP_2)
	v_pk_fma_f32 v[64:65], v[60:61], v[58:59], v[62:63] op_sel_hi:[1,0,1]
	v_pk_fma_f32 v[58:59], v[60:61], v[58:59], v[62:63] neg_lo:[0,0,1] neg_hi:[0,0,1]
	v_mov_b32_e32 v59, v65
	s_cbranch_execz .LBB26_119
	s_branch .LBB26_120
.LBB26_118:
                                        ; implicit-def: $vgpr58_vgpr59
.LBB26_119:
	ds_load_b64 v[58:59], v1
.LBB26_120:
	s_and_saveexec_b32 s13, s1
	s_cbranch_execz .LBB26_124
; %bb.121:
	v_add_nc_u32_e32 v60, -15, v0
	s_movk_i32 s1, 0x78
	s_movk_i32 s15, 0x158
	s_mov_b32 s14, 0
.LBB26_122:                             ; =>This Inner Loop Header: Depth=1
	scratch_load_b64 v[62:63], off, s1
	v_dual_mov_b32 v61, s15 :: v_dual_add_nc_u32 v60, -1, v60
	s_add_co_i32 s15, s15, 8
	s_wait_xcnt 0x0
	s_add_co_i32 s1, s1, 8
	ds_load_b64 v[64:65], v61
	v_cmp_eq_u32_e32 vcc_lo, 0, v60
	s_or_b32 s14, vcc_lo, s14
	s_wait_loadcnt_dscnt 0x0
	v_pk_mul_f32 v[66:67], v[64:65], v[62:63] op_sel:[1,1] op_sel_hi:[0,1]
	s_delay_alu instid0(VALU_DEP_1) | instskip(SKIP_1) | instid1(VALU_DEP_2)
	v_pk_fma_f32 v[68:69], v[64:65], v[62:63], v[66:67] op_sel_hi:[1,0,1]
	v_pk_fma_f32 v[62:63], v[64:65], v[62:63], v[66:67] neg_lo:[0,0,1] neg_hi:[0,0,1]
	v_mov_b32_e32 v63, v69
	s_delay_alu instid0(VALU_DEP_1)
	v_pk_add_f32 v[58:59], v[58:59], v[62:63]
	s_and_not1_b32 exec_lo, exec_lo, s14
	s_cbranch_execnz .LBB26_122
; %bb.123:
	s_or_b32 exec_lo, exec_lo, s14
.LBB26_124:
	s_delay_alu instid0(SALU_CYCLE_1) | instskip(SKIP_4) | instid1(VALU_DEP_1)
	s_or_b32 exec_lo, exec_lo, s13
	v_mov_b32_e32 v60, 0
	ds_load_b64 v[60:61], v60 offset:112
	s_wait_dscnt 0x0
	v_pk_mul_f32 v[62:63], v[58:59], v[60:61] op_sel:[1,1] op_sel_hi:[0,1]
	v_pk_fma_f32 v[64:65], v[58:59], v[60:61], v[62:63] op_sel_hi:[1,0,1]
	v_pk_fma_f32 v[58:59], v[58:59], v[60:61], v[62:63] neg_lo:[0,0,1] neg_hi:[0,0,1]
	s_delay_alu instid0(VALU_DEP_2)
	v_mov_b32_e32 v59, v65
	scratch_store_b64 off, v[58:59], off offset:112
.LBB26_125:
	s_wait_xcnt 0x0
	s_or_b32 exec_lo, exec_lo, s2
	scratch_load_b64 v[58:59], off, off offset:104
	v_cmp_lt_u32_e64 s1, 13, v0
	s_wait_loadcnt 0x0
	ds_store_b64 v1, v[58:59]
	s_wait_storecnt_dscnt 0x0
	s_barrier_signal -1
	s_barrier_wait -1
	s_wait_xcnt 0x0
	s_and_saveexec_b32 s2, s1
	s_cbranch_execz .LBB26_135
; %bb.126:
	s_and_not1_b32 vcc_lo, exec_lo, s3
	s_cbranch_vccnz .LBB26_128
; %bb.127:
	scratch_load_b64 v[58:59], v39, off
	ds_load_b64 v[60:61], v1
	s_wait_loadcnt_dscnt 0x0
	v_pk_mul_f32 v[62:63], v[60:61], v[58:59] op_sel:[1,1] op_sel_hi:[0,1]
	s_delay_alu instid0(VALU_DEP_1) | instskip(SKIP_1) | instid1(VALU_DEP_2)
	v_pk_fma_f32 v[64:65], v[60:61], v[58:59], v[62:63] op_sel_hi:[1,0,1]
	v_pk_fma_f32 v[58:59], v[60:61], v[58:59], v[62:63] neg_lo:[0,0,1] neg_hi:[0,0,1]
	v_mov_b32_e32 v59, v65
	s_cbranch_execz .LBB26_129
	s_branch .LBB26_130
.LBB26_128:
                                        ; implicit-def: $vgpr58_vgpr59
.LBB26_129:
	ds_load_b64 v[58:59], v1
.LBB26_130:
	s_and_saveexec_b32 s13, s0
	s_cbranch_execz .LBB26_134
; %bb.131:
	v_add_nc_u32_e32 v60, -14, v0
	s_movk_i32 s14, 0x150
	s_mov_b32 s0, 0
.LBB26_132:                             ; =>This Inner Loop Header: Depth=1
	scratch_load_b64 v[62:63], off, s12
	v_dual_mov_b32 v61, s14 :: v_dual_add_nc_u32 v60, -1, v60
	s_add_co_i32 s14, s14, 8
	s_wait_xcnt 0x0
	s_add_co_i32 s12, s12, 8
	ds_load_b64 v[64:65], v61
	v_cmp_eq_u32_e32 vcc_lo, 0, v60
	s_or_b32 s0, vcc_lo, s0
	s_wait_loadcnt_dscnt 0x0
	v_pk_mul_f32 v[66:67], v[64:65], v[62:63] op_sel:[1,1] op_sel_hi:[0,1]
	s_delay_alu instid0(VALU_DEP_1) | instskip(SKIP_1) | instid1(VALU_DEP_2)
	v_pk_fma_f32 v[68:69], v[64:65], v[62:63], v[66:67] op_sel_hi:[1,0,1]
	v_pk_fma_f32 v[62:63], v[64:65], v[62:63], v[66:67] neg_lo:[0,0,1] neg_hi:[0,0,1]
	v_mov_b32_e32 v63, v69
	s_delay_alu instid0(VALU_DEP_1)
	v_pk_add_f32 v[58:59], v[58:59], v[62:63]
	s_and_not1_b32 exec_lo, exec_lo, s0
	s_cbranch_execnz .LBB26_132
; %bb.133:
	s_or_b32 exec_lo, exec_lo, s0
.LBB26_134:
	s_delay_alu instid0(SALU_CYCLE_1) | instskip(SKIP_4) | instid1(VALU_DEP_1)
	s_or_b32 exec_lo, exec_lo, s13
	v_mov_b32_e32 v60, 0
	ds_load_b64 v[60:61], v60 offset:104
	s_wait_dscnt 0x0
	v_pk_mul_f32 v[62:63], v[58:59], v[60:61] op_sel:[1,1] op_sel_hi:[0,1]
	v_pk_fma_f32 v[64:65], v[58:59], v[60:61], v[62:63] op_sel_hi:[1,0,1]
	v_pk_fma_f32 v[58:59], v[58:59], v[60:61], v[62:63] neg_lo:[0,0,1] neg_hi:[0,0,1]
	s_delay_alu instid0(VALU_DEP_2)
	v_mov_b32_e32 v59, v65
	scratch_store_b64 off, v[58:59], off offset:104
.LBB26_135:
	s_wait_xcnt 0x0
	s_or_b32 exec_lo, exec_lo, s2
	scratch_load_b64 v[58:59], off, off offset:96
	v_cmp_lt_u32_e64 s0, 12, v0
	s_wait_loadcnt 0x0
	ds_store_b64 v1, v[58:59]
	s_wait_storecnt_dscnt 0x0
	s_barrier_signal -1
	s_barrier_wait -1
	s_wait_xcnt 0x0
	s_and_saveexec_b32 s2, s0
	s_cbranch_execz .LBB26_145
; %bb.136:
	s_and_not1_b32 vcc_lo, exec_lo, s3
	s_cbranch_vccnz .LBB26_138
; %bb.137:
	scratch_load_b64 v[58:59], v39, off
	ds_load_b64 v[60:61], v1
	s_wait_loadcnt_dscnt 0x0
	v_pk_mul_f32 v[62:63], v[60:61], v[58:59] op_sel:[1,1] op_sel_hi:[0,1]
	s_delay_alu instid0(VALU_DEP_1) | instskip(SKIP_1) | instid1(VALU_DEP_2)
	v_pk_fma_f32 v[64:65], v[60:61], v[58:59], v[62:63] op_sel_hi:[1,0,1]
	v_pk_fma_f32 v[58:59], v[60:61], v[58:59], v[62:63] neg_lo:[0,0,1] neg_hi:[0,0,1]
	v_mov_b32_e32 v59, v65
	s_cbranch_execz .LBB26_139
	s_branch .LBB26_140
.LBB26_138:
                                        ; implicit-def: $vgpr58_vgpr59
.LBB26_139:
	ds_load_b64 v[58:59], v1
.LBB26_140:
	s_and_saveexec_b32 s12, s1
	s_cbranch_execz .LBB26_144
; %bb.141:
	v_add_nc_u32_e32 v60, -13, v0
	s_movk_i32 s1, 0x68
	s_movk_i32 s14, 0x148
	s_mov_b32 s13, 0
.LBB26_142:                             ; =>This Inner Loop Header: Depth=1
	scratch_load_b64 v[62:63], off, s1
	v_dual_mov_b32 v61, s14 :: v_dual_add_nc_u32 v60, -1, v60
	s_add_co_i32 s14, s14, 8
	s_wait_xcnt 0x0
	s_add_co_i32 s1, s1, 8
	ds_load_b64 v[64:65], v61
	v_cmp_eq_u32_e32 vcc_lo, 0, v60
	s_or_b32 s13, vcc_lo, s13
	s_wait_loadcnt_dscnt 0x0
	v_pk_mul_f32 v[66:67], v[64:65], v[62:63] op_sel:[1,1] op_sel_hi:[0,1]
	s_delay_alu instid0(VALU_DEP_1) | instskip(SKIP_1) | instid1(VALU_DEP_2)
	v_pk_fma_f32 v[68:69], v[64:65], v[62:63], v[66:67] op_sel_hi:[1,0,1]
	v_pk_fma_f32 v[62:63], v[64:65], v[62:63], v[66:67] neg_lo:[0,0,1] neg_hi:[0,0,1]
	v_mov_b32_e32 v63, v69
	s_delay_alu instid0(VALU_DEP_1)
	v_pk_add_f32 v[58:59], v[58:59], v[62:63]
	s_and_not1_b32 exec_lo, exec_lo, s13
	s_cbranch_execnz .LBB26_142
; %bb.143:
	s_or_b32 exec_lo, exec_lo, s13
.LBB26_144:
	s_delay_alu instid0(SALU_CYCLE_1) | instskip(SKIP_4) | instid1(VALU_DEP_1)
	s_or_b32 exec_lo, exec_lo, s12
	v_mov_b32_e32 v60, 0
	ds_load_b64 v[60:61], v60 offset:96
	s_wait_dscnt 0x0
	v_pk_mul_f32 v[62:63], v[58:59], v[60:61] op_sel:[1,1] op_sel_hi:[0,1]
	v_pk_fma_f32 v[64:65], v[58:59], v[60:61], v[62:63] op_sel_hi:[1,0,1]
	v_pk_fma_f32 v[58:59], v[58:59], v[60:61], v[62:63] neg_lo:[0,0,1] neg_hi:[0,0,1]
	s_delay_alu instid0(VALU_DEP_2)
	v_mov_b32_e32 v59, v65
	scratch_store_b64 off, v[58:59], off offset:96
.LBB26_145:
	s_wait_xcnt 0x0
	s_or_b32 exec_lo, exec_lo, s2
	scratch_load_b64 v[58:59], off, off offset:88
	v_cmp_lt_u32_e64 s1, 11, v0
	s_wait_loadcnt 0x0
	ds_store_b64 v1, v[58:59]
	s_wait_storecnt_dscnt 0x0
	s_barrier_signal -1
	s_barrier_wait -1
	s_wait_xcnt 0x0
	s_and_saveexec_b32 s2, s1
	s_cbranch_execz .LBB26_155
; %bb.146:
	s_and_not1_b32 vcc_lo, exec_lo, s3
	s_cbranch_vccnz .LBB26_148
; %bb.147:
	scratch_load_b64 v[58:59], v39, off
	ds_load_b64 v[60:61], v1
	s_wait_loadcnt_dscnt 0x0
	v_pk_mul_f32 v[62:63], v[60:61], v[58:59] op_sel:[1,1] op_sel_hi:[0,1]
	s_delay_alu instid0(VALU_DEP_1) | instskip(SKIP_1) | instid1(VALU_DEP_2)
	v_pk_fma_f32 v[64:65], v[60:61], v[58:59], v[62:63] op_sel_hi:[1,0,1]
	v_pk_fma_f32 v[58:59], v[60:61], v[58:59], v[62:63] neg_lo:[0,0,1] neg_hi:[0,0,1]
	v_mov_b32_e32 v59, v65
	s_cbranch_execz .LBB26_149
	s_branch .LBB26_150
.LBB26_148:
                                        ; implicit-def: $vgpr58_vgpr59
.LBB26_149:
	ds_load_b64 v[58:59], v1
.LBB26_150:
	s_and_saveexec_b32 s12, s0
	s_cbranch_execz .LBB26_154
; %bb.151:
	v_add_nc_u32_e32 v60, -12, v0
	s_movk_i32 s13, 0x140
	s_mov_b32 s0, 0
.LBB26_152:                             ; =>This Inner Loop Header: Depth=1
	scratch_load_b64 v[62:63], off, s11
	v_dual_mov_b32 v61, s13 :: v_dual_add_nc_u32 v60, -1, v60
	s_add_co_i32 s13, s13, 8
	s_wait_xcnt 0x0
	s_add_co_i32 s11, s11, 8
	ds_load_b64 v[64:65], v61
	v_cmp_eq_u32_e32 vcc_lo, 0, v60
	s_or_b32 s0, vcc_lo, s0
	s_wait_loadcnt_dscnt 0x0
	v_pk_mul_f32 v[66:67], v[64:65], v[62:63] op_sel:[1,1] op_sel_hi:[0,1]
	s_delay_alu instid0(VALU_DEP_1) | instskip(SKIP_1) | instid1(VALU_DEP_2)
	v_pk_fma_f32 v[68:69], v[64:65], v[62:63], v[66:67] op_sel_hi:[1,0,1]
	v_pk_fma_f32 v[62:63], v[64:65], v[62:63], v[66:67] neg_lo:[0,0,1] neg_hi:[0,0,1]
	v_mov_b32_e32 v63, v69
	s_delay_alu instid0(VALU_DEP_1)
	v_pk_add_f32 v[58:59], v[58:59], v[62:63]
	s_and_not1_b32 exec_lo, exec_lo, s0
	s_cbranch_execnz .LBB26_152
; %bb.153:
	s_or_b32 exec_lo, exec_lo, s0
.LBB26_154:
	s_delay_alu instid0(SALU_CYCLE_1) | instskip(SKIP_4) | instid1(VALU_DEP_1)
	s_or_b32 exec_lo, exec_lo, s12
	v_mov_b32_e32 v60, 0
	ds_load_b64 v[60:61], v60 offset:88
	s_wait_dscnt 0x0
	v_pk_mul_f32 v[62:63], v[58:59], v[60:61] op_sel:[1,1] op_sel_hi:[0,1]
	v_pk_fma_f32 v[64:65], v[58:59], v[60:61], v[62:63] op_sel_hi:[1,0,1]
	v_pk_fma_f32 v[58:59], v[58:59], v[60:61], v[62:63] neg_lo:[0,0,1] neg_hi:[0,0,1]
	s_delay_alu instid0(VALU_DEP_2)
	v_mov_b32_e32 v59, v65
	scratch_store_b64 off, v[58:59], off offset:88
.LBB26_155:
	s_wait_xcnt 0x0
	s_or_b32 exec_lo, exec_lo, s2
	scratch_load_b64 v[58:59], off, off offset:80
	v_cmp_lt_u32_e64 s0, 10, v0
	s_wait_loadcnt 0x0
	ds_store_b64 v1, v[58:59]
	s_wait_storecnt_dscnt 0x0
	s_barrier_signal -1
	s_barrier_wait -1
	s_wait_xcnt 0x0
	s_and_saveexec_b32 s2, s0
	s_cbranch_execz .LBB26_165
; %bb.156:
	s_and_not1_b32 vcc_lo, exec_lo, s3
	s_cbranch_vccnz .LBB26_158
; %bb.157:
	scratch_load_b64 v[58:59], v39, off
	ds_load_b64 v[60:61], v1
	s_wait_loadcnt_dscnt 0x0
	v_pk_mul_f32 v[62:63], v[60:61], v[58:59] op_sel:[1,1] op_sel_hi:[0,1]
	s_delay_alu instid0(VALU_DEP_1) | instskip(SKIP_1) | instid1(VALU_DEP_2)
	v_pk_fma_f32 v[64:65], v[60:61], v[58:59], v[62:63] op_sel_hi:[1,0,1]
	v_pk_fma_f32 v[58:59], v[60:61], v[58:59], v[62:63] neg_lo:[0,0,1] neg_hi:[0,0,1]
	v_mov_b32_e32 v59, v65
	s_cbranch_execz .LBB26_159
	s_branch .LBB26_160
.LBB26_158:
                                        ; implicit-def: $vgpr58_vgpr59
.LBB26_159:
	ds_load_b64 v[58:59], v1
.LBB26_160:
	s_and_saveexec_b32 s11, s1
	s_cbranch_execz .LBB26_164
; %bb.161:
	v_add_nc_u32_e32 v60, -11, v0
	s_movk_i32 s1, 0x58
	s_movk_i32 s13, 0x138
	s_mov_b32 s12, 0
.LBB26_162:                             ; =>This Inner Loop Header: Depth=1
	scratch_load_b64 v[62:63], off, s1
	v_dual_mov_b32 v61, s13 :: v_dual_add_nc_u32 v60, -1, v60
	s_add_co_i32 s13, s13, 8
	s_wait_xcnt 0x0
	s_add_co_i32 s1, s1, 8
	ds_load_b64 v[64:65], v61
	v_cmp_eq_u32_e32 vcc_lo, 0, v60
	s_or_b32 s12, vcc_lo, s12
	s_wait_loadcnt_dscnt 0x0
	v_pk_mul_f32 v[66:67], v[64:65], v[62:63] op_sel:[1,1] op_sel_hi:[0,1]
	s_delay_alu instid0(VALU_DEP_1) | instskip(SKIP_1) | instid1(VALU_DEP_2)
	v_pk_fma_f32 v[68:69], v[64:65], v[62:63], v[66:67] op_sel_hi:[1,0,1]
	v_pk_fma_f32 v[62:63], v[64:65], v[62:63], v[66:67] neg_lo:[0,0,1] neg_hi:[0,0,1]
	v_mov_b32_e32 v63, v69
	s_delay_alu instid0(VALU_DEP_1)
	v_pk_add_f32 v[58:59], v[58:59], v[62:63]
	s_and_not1_b32 exec_lo, exec_lo, s12
	s_cbranch_execnz .LBB26_162
; %bb.163:
	s_or_b32 exec_lo, exec_lo, s12
.LBB26_164:
	s_delay_alu instid0(SALU_CYCLE_1) | instskip(SKIP_4) | instid1(VALU_DEP_1)
	s_or_b32 exec_lo, exec_lo, s11
	v_mov_b32_e32 v60, 0
	ds_load_b64 v[60:61], v60 offset:80
	s_wait_dscnt 0x0
	v_pk_mul_f32 v[62:63], v[58:59], v[60:61] op_sel:[1,1] op_sel_hi:[0,1]
	v_pk_fma_f32 v[64:65], v[58:59], v[60:61], v[62:63] op_sel_hi:[1,0,1]
	v_pk_fma_f32 v[58:59], v[58:59], v[60:61], v[62:63] neg_lo:[0,0,1] neg_hi:[0,0,1]
	s_delay_alu instid0(VALU_DEP_2)
	v_mov_b32_e32 v59, v65
	scratch_store_b64 off, v[58:59], off offset:80
.LBB26_165:
	s_wait_xcnt 0x0
	s_or_b32 exec_lo, exec_lo, s2
	scratch_load_b64 v[58:59], off, off offset:72
	v_cmp_lt_u32_e64 s1, 9, v0
	s_wait_loadcnt 0x0
	ds_store_b64 v1, v[58:59]
	s_wait_storecnt_dscnt 0x0
	s_barrier_signal -1
	s_barrier_wait -1
	s_wait_xcnt 0x0
	s_and_saveexec_b32 s2, s1
	s_cbranch_execz .LBB26_175
; %bb.166:
	s_and_not1_b32 vcc_lo, exec_lo, s3
	s_cbranch_vccnz .LBB26_168
; %bb.167:
	scratch_load_b64 v[58:59], v39, off
	ds_load_b64 v[60:61], v1
	s_wait_loadcnt_dscnt 0x0
	v_pk_mul_f32 v[62:63], v[60:61], v[58:59] op_sel:[1,1] op_sel_hi:[0,1]
	s_delay_alu instid0(VALU_DEP_1) | instskip(SKIP_1) | instid1(VALU_DEP_2)
	v_pk_fma_f32 v[64:65], v[60:61], v[58:59], v[62:63] op_sel_hi:[1,0,1]
	v_pk_fma_f32 v[58:59], v[60:61], v[58:59], v[62:63] neg_lo:[0,0,1] neg_hi:[0,0,1]
	v_mov_b32_e32 v59, v65
	s_cbranch_execz .LBB26_169
	s_branch .LBB26_170
.LBB26_168:
                                        ; implicit-def: $vgpr58_vgpr59
.LBB26_169:
	ds_load_b64 v[58:59], v1
.LBB26_170:
	s_and_saveexec_b32 s11, s0
	s_cbranch_execz .LBB26_174
; %bb.171:
	v_add_nc_u32_e32 v60, -10, v0
	s_movk_i32 s12, 0x130
	s_mov_b32 s0, 0
.LBB26_172:                             ; =>This Inner Loop Header: Depth=1
	scratch_load_b64 v[62:63], off, s10
	v_dual_mov_b32 v61, s12 :: v_dual_add_nc_u32 v60, -1, v60
	s_add_co_i32 s12, s12, 8
	s_wait_xcnt 0x0
	s_add_co_i32 s10, s10, 8
	ds_load_b64 v[64:65], v61
	v_cmp_eq_u32_e32 vcc_lo, 0, v60
	s_or_b32 s0, vcc_lo, s0
	s_wait_loadcnt_dscnt 0x0
	v_pk_mul_f32 v[66:67], v[64:65], v[62:63] op_sel:[1,1] op_sel_hi:[0,1]
	s_delay_alu instid0(VALU_DEP_1) | instskip(SKIP_1) | instid1(VALU_DEP_2)
	v_pk_fma_f32 v[68:69], v[64:65], v[62:63], v[66:67] op_sel_hi:[1,0,1]
	v_pk_fma_f32 v[62:63], v[64:65], v[62:63], v[66:67] neg_lo:[0,0,1] neg_hi:[0,0,1]
	v_mov_b32_e32 v63, v69
	s_delay_alu instid0(VALU_DEP_1)
	v_pk_add_f32 v[58:59], v[58:59], v[62:63]
	s_and_not1_b32 exec_lo, exec_lo, s0
	s_cbranch_execnz .LBB26_172
; %bb.173:
	s_or_b32 exec_lo, exec_lo, s0
.LBB26_174:
	s_delay_alu instid0(SALU_CYCLE_1) | instskip(SKIP_4) | instid1(VALU_DEP_1)
	s_or_b32 exec_lo, exec_lo, s11
	v_mov_b32_e32 v60, 0
	ds_load_b64 v[60:61], v60 offset:72
	s_wait_dscnt 0x0
	v_pk_mul_f32 v[62:63], v[58:59], v[60:61] op_sel:[1,1] op_sel_hi:[0,1]
	v_pk_fma_f32 v[64:65], v[58:59], v[60:61], v[62:63] op_sel_hi:[1,0,1]
	v_pk_fma_f32 v[58:59], v[58:59], v[60:61], v[62:63] neg_lo:[0,0,1] neg_hi:[0,0,1]
	s_delay_alu instid0(VALU_DEP_2)
	v_mov_b32_e32 v59, v65
	scratch_store_b64 off, v[58:59], off offset:72
.LBB26_175:
	s_wait_xcnt 0x0
	s_or_b32 exec_lo, exec_lo, s2
	scratch_load_b64 v[58:59], off, off offset:64
	v_cmp_lt_u32_e64 s0, 8, v0
	s_wait_loadcnt 0x0
	ds_store_b64 v1, v[58:59]
	s_wait_storecnt_dscnt 0x0
	s_barrier_signal -1
	s_barrier_wait -1
	s_wait_xcnt 0x0
	s_and_saveexec_b32 s2, s0
	s_cbranch_execz .LBB26_185
; %bb.176:
	s_and_not1_b32 vcc_lo, exec_lo, s3
	s_cbranch_vccnz .LBB26_178
; %bb.177:
	scratch_load_b64 v[58:59], v39, off
	ds_load_b64 v[60:61], v1
	s_wait_loadcnt_dscnt 0x0
	v_pk_mul_f32 v[62:63], v[60:61], v[58:59] op_sel:[1,1] op_sel_hi:[0,1]
	s_delay_alu instid0(VALU_DEP_1) | instskip(SKIP_1) | instid1(VALU_DEP_2)
	v_pk_fma_f32 v[64:65], v[60:61], v[58:59], v[62:63] op_sel_hi:[1,0,1]
	v_pk_fma_f32 v[58:59], v[60:61], v[58:59], v[62:63] neg_lo:[0,0,1] neg_hi:[0,0,1]
	v_mov_b32_e32 v59, v65
	s_cbranch_execz .LBB26_179
	s_branch .LBB26_180
.LBB26_178:
                                        ; implicit-def: $vgpr58_vgpr59
.LBB26_179:
	ds_load_b64 v[58:59], v1
.LBB26_180:
	s_and_saveexec_b32 s10, s1
	s_cbranch_execz .LBB26_184
; %bb.181:
	v_add_nc_u32_e32 v60, -9, v0
	s_movk_i32 s1, 0x48
	s_movk_i32 s12, 0x128
	s_mov_b32 s11, 0
.LBB26_182:                             ; =>This Inner Loop Header: Depth=1
	scratch_load_b64 v[62:63], off, s1
	v_dual_mov_b32 v61, s12 :: v_dual_add_nc_u32 v60, -1, v60
	s_add_co_i32 s12, s12, 8
	s_wait_xcnt 0x0
	s_add_co_i32 s1, s1, 8
	ds_load_b64 v[64:65], v61
	v_cmp_eq_u32_e32 vcc_lo, 0, v60
	s_or_b32 s11, vcc_lo, s11
	s_wait_loadcnt_dscnt 0x0
	v_pk_mul_f32 v[66:67], v[64:65], v[62:63] op_sel:[1,1] op_sel_hi:[0,1]
	s_delay_alu instid0(VALU_DEP_1) | instskip(SKIP_1) | instid1(VALU_DEP_2)
	v_pk_fma_f32 v[68:69], v[64:65], v[62:63], v[66:67] op_sel_hi:[1,0,1]
	v_pk_fma_f32 v[62:63], v[64:65], v[62:63], v[66:67] neg_lo:[0,0,1] neg_hi:[0,0,1]
	v_mov_b32_e32 v63, v69
	s_delay_alu instid0(VALU_DEP_1)
	v_pk_add_f32 v[58:59], v[58:59], v[62:63]
	s_and_not1_b32 exec_lo, exec_lo, s11
	s_cbranch_execnz .LBB26_182
; %bb.183:
	s_or_b32 exec_lo, exec_lo, s11
.LBB26_184:
	s_delay_alu instid0(SALU_CYCLE_1) | instskip(SKIP_4) | instid1(VALU_DEP_1)
	s_or_b32 exec_lo, exec_lo, s10
	v_mov_b32_e32 v60, 0
	ds_load_b64 v[60:61], v60 offset:64
	s_wait_dscnt 0x0
	v_pk_mul_f32 v[62:63], v[58:59], v[60:61] op_sel:[1,1] op_sel_hi:[0,1]
	v_pk_fma_f32 v[64:65], v[58:59], v[60:61], v[62:63] op_sel_hi:[1,0,1]
	v_pk_fma_f32 v[58:59], v[58:59], v[60:61], v[62:63] neg_lo:[0,0,1] neg_hi:[0,0,1]
	s_delay_alu instid0(VALU_DEP_2)
	v_mov_b32_e32 v59, v65
	scratch_store_b64 off, v[58:59], off offset:64
.LBB26_185:
	s_wait_xcnt 0x0
	s_or_b32 exec_lo, exec_lo, s2
	scratch_load_b64 v[58:59], off, off offset:56
	v_cmp_lt_u32_e64 s1, 7, v0
	s_wait_loadcnt 0x0
	ds_store_b64 v1, v[58:59]
	s_wait_storecnt_dscnt 0x0
	s_barrier_signal -1
	s_barrier_wait -1
	s_wait_xcnt 0x0
	s_and_saveexec_b32 s2, s1
	s_cbranch_execz .LBB26_195
; %bb.186:
	s_and_not1_b32 vcc_lo, exec_lo, s3
	s_cbranch_vccnz .LBB26_188
; %bb.187:
	scratch_load_b64 v[58:59], v39, off
	ds_load_b64 v[60:61], v1
	s_wait_loadcnt_dscnt 0x0
	v_pk_mul_f32 v[62:63], v[60:61], v[58:59] op_sel:[1,1] op_sel_hi:[0,1]
	s_delay_alu instid0(VALU_DEP_1) | instskip(SKIP_1) | instid1(VALU_DEP_2)
	v_pk_fma_f32 v[64:65], v[60:61], v[58:59], v[62:63] op_sel_hi:[1,0,1]
	v_pk_fma_f32 v[58:59], v[60:61], v[58:59], v[62:63] neg_lo:[0,0,1] neg_hi:[0,0,1]
	v_mov_b32_e32 v59, v65
	s_cbranch_execz .LBB26_189
	s_branch .LBB26_190
.LBB26_188:
                                        ; implicit-def: $vgpr58_vgpr59
.LBB26_189:
	ds_load_b64 v[58:59], v1
.LBB26_190:
	s_and_saveexec_b32 s10, s0
	s_cbranch_execz .LBB26_194
; %bb.191:
	v_add_nc_u32_e32 v60, -8, v0
	s_movk_i32 s11, 0x120
	s_mov_b32 s0, 0
.LBB26_192:                             ; =>This Inner Loop Header: Depth=1
	scratch_load_b64 v[62:63], off, s9
	v_dual_mov_b32 v61, s11 :: v_dual_add_nc_u32 v60, -1, v60
	s_add_co_i32 s11, s11, 8
	s_wait_xcnt 0x0
	s_add_co_i32 s9, s9, 8
	ds_load_b64 v[64:65], v61
	v_cmp_eq_u32_e32 vcc_lo, 0, v60
	s_or_b32 s0, vcc_lo, s0
	s_wait_loadcnt_dscnt 0x0
	v_pk_mul_f32 v[66:67], v[64:65], v[62:63] op_sel:[1,1] op_sel_hi:[0,1]
	s_delay_alu instid0(VALU_DEP_1) | instskip(SKIP_1) | instid1(VALU_DEP_2)
	v_pk_fma_f32 v[68:69], v[64:65], v[62:63], v[66:67] op_sel_hi:[1,0,1]
	v_pk_fma_f32 v[62:63], v[64:65], v[62:63], v[66:67] neg_lo:[0,0,1] neg_hi:[0,0,1]
	v_mov_b32_e32 v63, v69
	s_delay_alu instid0(VALU_DEP_1)
	v_pk_add_f32 v[58:59], v[58:59], v[62:63]
	s_and_not1_b32 exec_lo, exec_lo, s0
	s_cbranch_execnz .LBB26_192
; %bb.193:
	s_or_b32 exec_lo, exec_lo, s0
.LBB26_194:
	s_delay_alu instid0(SALU_CYCLE_1) | instskip(SKIP_4) | instid1(VALU_DEP_1)
	s_or_b32 exec_lo, exec_lo, s10
	v_mov_b32_e32 v60, 0
	ds_load_b64 v[60:61], v60 offset:56
	s_wait_dscnt 0x0
	v_pk_mul_f32 v[62:63], v[58:59], v[60:61] op_sel:[1,1] op_sel_hi:[0,1]
	v_pk_fma_f32 v[64:65], v[58:59], v[60:61], v[62:63] op_sel_hi:[1,0,1]
	v_pk_fma_f32 v[58:59], v[58:59], v[60:61], v[62:63] neg_lo:[0,0,1] neg_hi:[0,0,1]
	s_delay_alu instid0(VALU_DEP_2)
	v_mov_b32_e32 v59, v65
	scratch_store_b64 off, v[58:59], off offset:56
.LBB26_195:
	s_wait_xcnt 0x0
	s_or_b32 exec_lo, exec_lo, s2
	scratch_load_b64 v[58:59], off, off offset:48
	v_cmp_lt_u32_e64 s0, 6, v0
	s_wait_loadcnt 0x0
	ds_store_b64 v1, v[58:59]
	s_wait_storecnt_dscnt 0x0
	s_barrier_signal -1
	s_barrier_wait -1
	s_wait_xcnt 0x0
	s_and_saveexec_b32 s2, s0
	s_cbranch_execz .LBB26_205
; %bb.196:
	s_and_not1_b32 vcc_lo, exec_lo, s3
	s_cbranch_vccnz .LBB26_198
; %bb.197:
	scratch_load_b64 v[58:59], v39, off
	ds_load_b64 v[60:61], v1
	s_wait_loadcnt_dscnt 0x0
	v_pk_mul_f32 v[62:63], v[60:61], v[58:59] op_sel:[1,1] op_sel_hi:[0,1]
	s_delay_alu instid0(VALU_DEP_1) | instskip(SKIP_1) | instid1(VALU_DEP_2)
	v_pk_fma_f32 v[64:65], v[60:61], v[58:59], v[62:63] op_sel_hi:[1,0,1]
	v_pk_fma_f32 v[58:59], v[60:61], v[58:59], v[62:63] neg_lo:[0,0,1] neg_hi:[0,0,1]
	v_mov_b32_e32 v59, v65
	s_cbranch_execz .LBB26_199
	s_branch .LBB26_200
.LBB26_198:
                                        ; implicit-def: $vgpr58_vgpr59
.LBB26_199:
	ds_load_b64 v[58:59], v1
.LBB26_200:
	s_and_saveexec_b32 s9, s1
	s_cbranch_execz .LBB26_204
; %bb.201:
	v_add_nc_u32_e32 v60, -7, v0
	s_mov_b32 s1, 56
	s_movk_i32 s11, 0x118
	s_mov_b32 s10, 0
.LBB26_202:                             ; =>This Inner Loop Header: Depth=1
	scratch_load_b64 v[62:63], off, s1
	v_dual_mov_b32 v61, s11 :: v_dual_add_nc_u32 v60, -1, v60
	s_add_co_i32 s11, s11, 8
	s_wait_xcnt 0x0
	s_add_co_i32 s1, s1, 8
	ds_load_b64 v[64:65], v61
	v_cmp_eq_u32_e32 vcc_lo, 0, v60
	s_or_b32 s10, vcc_lo, s10
	s_wait_loadcnt_dscnt 0x0
	v_pk_mul_f32 v[66:67], v[64:65], v[62:63] op_sel:[1,1] op_sel_hi:[0,1]
	s_delay_alu instid0(VALU_DEP_1) | instskip(SKIP_1) | instid1(VALU_DEP_2)
	v_pk_fma_f32 v[68:69], v[64:65], v[62:63], v[66:67] op_sel_hi:[1,0,1]
	v_pk_fma_f32 v[62:63], v[64:65], v[62:63], v[66:67] neg_lo:[0,0,1] neg_hi:[0,0,1]
	v_mov_b32_e32 v63, v69
	s_delay_alu instid0(VALU_DEP_1)
	v_pk_add_f32 v[58:59], v[58:59], v[62:63]
	s_and_not1_b32 exec_lo, exec_lo, s10
	s_cbranch_execnz .LBB26_202
; %bb.203:
	s_or_b32 exec_lo, exec_lo, s10
.LBB26_204:
	s_delay_alu instid0(SALU_CYCLE_1) | instskip(SKIP_4) | instid1(VALU_DEP_1)
	s_or_b32 exec_lo, exec_lo, s9
	v_mov_b32_e32 v60, 0
	ds_load_b64 v[60:61], v60 offset:48
	s_wait_dscnt 0x0
	v_pk_mul_f32 v[62:63], v[58:59], v[60:61] op_sel:[1,1] op_sel_hi:[0,1]
	v_pk_fma_f32 v[64:65], v[58:59], v[60:61], v[62:63] op_sel_hi:[1,0,1]
	v_pk_fma_f32 v[58:59], v[58:59], v[60:61], v[62:63] neg_lo:[0,0,1] neg_hi:[0,0,1]
	s_delay_alu instid0(VALU_DEP_2)
	v_mov_b32_e32 v59, v65
	scratch_store_b64 off, v[58:59], off offset:48
.LBB26_205:
	s_wait_xcnt 0x0
	s_or_b32 exec_lo, exec_lo, s2
	scratch_load_b64 v[58:59], off, off offset:40
	v_cmp_lt_u32_e64 s1, 5, v0
	s_wait_loadcnt 0x0
	ds_store_b64 v1, v[58:59]
	s_wait_storecnt_dscnt 0x0
	s_barrier_signal -1
	s_barrier_wait -1
	s_wait_xcnt 0x0
	s_and_saveexec_b32 s2, s1
	s_cbranch_execz .LBB26_215
; %bb.206:
	s_and_not1_b32 vcc_lo, exec_lo, s3
	s_cbranch_vccnz .LBB26_208
; %bb.207:
	scratch_load_b64 v[58:59], v39, off
	ds_load_b64 v[60:61], v1
	s_wait_loadcnt_dscnt 0x0
	v_pk_mul_f32 v[62:63], v[60:61], v[58:59] op_sel:[1,1] op_sel_hi:[0,1]
	s_delay_alu instid0(VALU_DEP_1) | instskip(SKIP_1) | instid1(VALU_DEP_2)
	v_pk_fma_f32 v[64:65], v[60:61], v[58:59], v[62:63] op_sel_hi:[1,0,1]
	v_pk_fma_f32 v[58:59], v[60:61], v[58:59], v[62:63] neg_lo:[0,0,1] neg_hi:[0,0,1]
	v_mov_b32_e32 v59, v65
	s_cbranch_execz .LBB26_209
	s_branch .LBB26_210
.LBB26_208:
                                        ; implicit-def: $vgpr58_vgpr59
.LBB26_209:
	ds_load_b64 v[58:59], v1
.LBB26_210:
	s_and_saveexec_b32 s9, s0
	s_cbranch_execz .LBB26_214
; %bb.211:
	v_add_nc_u32_e32 v60, -6, v0
	s_movk_i32 s10, 0x110
	s_mov_b32 s0, 0
.LBB26_212:                             ; =>This Inner Loop Header: Depth=1
	scratch_load_b64 v[62:63], off, s8
	v_dual_mov_b32 v61, s10 :: v_dual_add_nc_u32 v60, -1, v60
	s_add_co_i32 s10, s10, 8
	s_wait_xcnt 0x0
	s_add_co_i32 s8, s8, 8
	ds_load_b64 v[64:65], v61
	v_cmp_eq_u32_e32 vcc_lo, 0, v60
	s_or_b32 s0, vcc_lo, s0
	s_wait_loadcnt_dscnt 0x0
	v_pk_mul_f32 v[66:67], v[64:65], v[62:63] op_sel:[1,1] op_sel_hi:[0,1]
	s_delay_alu instid0(VALU_DEP_1) | instskip(SKIP_1) | instid1(VALU_DEP_2)
	v_pk_fma_f32 v[68:69], v[64:65], v[62:63], v[66:67] op_sel_hi:[1,0,1]
	v_pk_fma_f32 v[62:63], v[64:65], v[62:63], v[66:67] neg_lo:[0,0,1] neg_hi:[0,0,1]
	v_mov_b32_e32 v63, v69
	s_delay_alu instid0(VALU_DEP_1)
	v_pk_add_f32 v[58:59], v[58:59], v[62:63]
	s_and_not1_b32 exec_lo, exec_lo, s0
	s_cbranch_execnz .LBB26_212
; %bb.213:
	s_or_b32 exec_lo, exec_lo, s0
.LBB26_214:
	s_delay_alu instid0(SALU_CYCLE_1) | instskip(SKIP_4) | instid1(VALU_DEP_1)
	s_or_b32 exec_lo, exec_lo, s9
	v_mov_b32_e32 v60, 0
	ds_load_b64 v[60:61], v60 offset:40
	s_wait_dscnt 0x0
	v_pk_mul_f32 v[62:63], v[58:59], v[60:61] op_sel:[1,1] op_sel_hi:[0,1]
	v_pk_fma_f32 v[64:65], v[58:59], v[60:61], v[62:63] op_sel_hi:[1,0,1]
	v_pk_fma_f32 v[58:59], v[58:59], v[60:61], v[62:63] neg_lo:[0,0,1] neg_hi:[0,0,1]
	s_delay_alu instid0(VALU_DEP_2)
	v_mov_b32_e32 v59, v65
	scratch_store_b64 off, v[58:59], off offset:40
.LBB26_215:
	s_wait_xcnt 0x0
	s_or_b32 exec_lo, exec_lo, s2
	scratch_load_b64 v[58:59], off, off offset:32
	v_cmp_lt_u32_e64 s0, 4, v0
	s_wait_loadcnt 0x0
	ds_store_b64 v1, v[58:59]
	s_wait_storecnt_dscnt 0x0
	s_barrier_signal -1
	s_barrier_wait -1
	s_wait_xcnt 0x0
	s_and_saveexec_b32 s2, s0
	s_cbranch_execz .LBB26_225
; %bb.216:
	s_and_not1_b32 vcc_lo, exec_lo, s3
	s_cbranch_vccnz .LBB26_218
; %bb.217:
	scratch_load_b64 v[58:59], v39, off
	ds_load_b64 v[60:61], v1
	s_wait_loadcnt_dscnt 0x0
	v_pk_mul_f32 v[62:63], v[60:61], v[58:59] op_sel:[1,1] op_sel_hi:[0,1]
	s_delay_alu instid0(VALU_DEP_1) | instskip(SKIP_1) | instid1(VALU_DEP_2)
	v_pk_fma_f32 v[64:65], v[60:61], v[58:59], v[62:63] op_sel_hi:[1,0,1]
	v_pk_fma_f32 v[58:59], v[60:61], v[58:59], v[62:63] neg_lo:[0,0,1] neg_hi:[0,0,1]
	v_mov_b32_e32 v59, v65
	s_cbranch_execz .LBB26_219
	s_branch .LBB26_220
.LBB26_218:
                                        ; implicit-def: $vgpr58_vgpr59
.LBB26_219:
	ds_load_b64 v[58:59], v1
.LBB26_220:
	s_and_saveexec_b32 s8, s1
	s_cbranch_execz .LBB26_224
; %bb.221:
	v_add_nc_u32_e32 v60, -5, v0
	s_mov_b32 s1, 40
	s_movk_i32 s10, 0x108
	s_mov_b32 s9, 0
.LBB26_222:                             ; =>This Inner Loop Header: Depth=1
	scratch_load_b64 v[62:63], off, s1
	v_dual_mov_b32 v61, s10 :: v_dual_add_nc_u32 v60, -1, v60
	s_add_co_i32 s10, s10, 8
	s_wait_xcnt 0x0
	s_add_co_i32 s1, s1, 8
	ds_load_b64 v[64:65], v61
	v_cmp_eq_u32_e32 vcc_lo, 0, v60
	s_or_b32 s9, vcc_lo, s9
	s_wait_loadcnt_dscnt 0x0
	v_pk_mul_f32 v[66:67], v[64:65], v[62:63] op_sel:[1,1] op_sel_hi:[0,1]
	s_delay_alu instid0(VALU_DEP_1) | instskip(SKIP_1) | instid1(VALU_DEP_2)
	v_pk_fma_f32 v[68:69], v[64:65], v[62:63], v[66:67] op_sel_hi:[1,0,1]
	v_pk_fma_f32 v[62:63], v[64:65], v[62:63], v[66:67] neg_lo:[0,0,1] neg_hi:[0,0,1]
	v_mov_b32_e32 v63, v69
	s_delay_alu instid0(VALU_DEP_1)
	v_pk_add_f32 v[58:59], v[58:59], v[62:63]
	s_and_not1_b32 exec_lo, exec_lo, s9
	s_cbranch_execnz .LBB26_222
; %bb.223:
	s_or_b32 exec_lo, exec_lo, s9
.LBB26_224:
	s_delay_alu instid0(SALU_CYCLE_1) | instskip(SKIP_4) | instid1(VALU_DEP_1)
	s_or_b32 exec_lo, exec_lo, s8
	v_mov_b32_e32 v60, 0
	ds_load_b64 v[60:61], v60 offset:32
	s_wait_dscnt 0x0
	v_pk_mul_f32 v[62:63], v[58:59], v[60:61] op_sel:[1,1] op_sel_hi:[0,1]
	v_pk_fma_f32 v[64:65], v[58:59], v[60:61], v[62:63] op_sel_hi:[1,0,1]
	v_pk_fma_f32 v[58:59], v[58:59], v[60:61], v[62:63] neg_lo:[0,0,1] neg_hi:[0,0,1]
	s_delay_alu instid0(VALU_DEP_2)
	v_mov_b32_e32 v59, v65
	scratch_store_b64 off, v[58:59], off offset:32
.LBB26_225:
	s_wait_xcnt 0x0
	s_or_b32 exec_lo, exec_lo, s2
	scratch_load_b64 v[58:59], off, off offset:24
	v_cmp_lt_u32_e64 s2, 3, v0
	s_wait_loadcnt 0x0
	ds_store_b64 v1, v[58:59]
	s_wait_storecnt_dscnt 0x0
	s_barrier_signal -1
	s_barrier_wait -1
	s_wait_xcnt 0x0
	s_and_saveexec_b32 s1, s2
	s_cbranch_execz .LBB26_235
; %bb.226:
	s_and_not1_b32 vcc_lo, exec_lo, s3
	s_cbranch_vccnz .LBB26_228
; %bb.227:
	scratch_load_b64 v[58:59], v39, off
	ds_load_b64 v[60:61], v1
	s_wait_loadcnt_dscnt 0x0
	v_pk_mul_f32 v[62:63], v[60:61], v[58:59] op_sel:[1,1] op_sel_hi:[0,1]
	s_delay_alu instid0(VALU_DEP_1) | instskip(SKIP_1) | instid1(VALU_DEP_2)
	v_pk_fma_f32 v[64:65], v[60:61], v[58:59], v[62:63] op_sel_hi:[1,0,1]
	v_pk_fma_f32 v[58:59], v[60:61], v[58:59], v[62:63] neg_lo:[0,0,1] neg_hi:[0,0,1]
	v_mov_b32_e32 v59, v65
	s_cbranch_execz .LBB26_229
	s_branch .LBB26_230
.LBB26_228:
                                        ; implicit-def: $vgpr58_vgpr59
.LBB26_229:
	ds_load_b64 v[58:59], v1
.LBB26_230:
	s_and_saveexec_b32 s8, s0
	s_cbranch_execz .LBB26_234
; %bb.231:
	v_add_nc_u32_e32 v60, -4, v0
	s_movk_i32 s9, 0x100
	s_mov_b32 s0, 0
.LBB26_232:                             ; =>This Inner Loop Header: Depth=1
	scratch_load_b64 v[62:63], off, s5
	v_dual_mov_b32 v61, s9 :: v_dual_add_nc_u32 v60, -1, v60
	s_add_co_i32 s9, s9, 8
	s_wait_xcnt 0x0
	s_add_co_i32 s5, s5, 8
	ds_load_b64 v[64:65], v61
	v_cmp_eq_u32_e32 vcc_lo, 0, v60
	s_or_b32 s0, vcc_lo, s0
	s_wait_loadcnt_dscnt 0x0
	v_pk_mul_f32 v[66:67], v[64:65], v[62:63] op_sel:[1,1] op_sel_hi:[0,1]
	s_delay_alu instid0(VALU_DEP_1) | instskip(SKIP_1) | instid1(VALU_DEP_2)
	v_pk_fma_f32 v[68:69], v[64:65], v[62:63], v[66:67] op_sel_hi:[1,0,1]
	v_pk_fma_f32 v[62:63], v[64:65], v[62:63], v[66:67] neg_lo:[0,0,1] neg_hi:[0,0,1]
	v_mov_b32_e32 v63, v69
	s_delay_alu instid0(VALU_DEP_1)
	v_pk_add_f32 v[58:59], v[58:59], v[62:63]
	s_and_not1_b32 exec_lo, exec_lo, s0
	s_cbranch_execnz .LBB26_232
; %bb.233:
	s_or_b32 exec_lo, exec_lo, s0
.LBB26_234:
	s_delay_alu instid0(SALU_CYCLE_1) | instskip(SKIP_4) | instid1(VALU_DEP_1)
	s_or_b32 exec_lo, exec_lo, s8
	v_mov_b32_e32 v60, 0
	ds_load_b64 v[60:61], v60 offset:24
	s_wait_dscnt 0x0
	v_pk_mul_f32 v[62:63], v[58:59], v[60:61] op_sel:[1,1] op_sel_hi:[0,1]
	v_pk_fma_f32 v[64:65], v[58:59], v[60:61], v[62:63] op_sel_hi:[1,0,1]
	v_pk_fma_f32 v[58:59], v[58:59], v[60:61], v[62:63] neg_lo:[0,0,1] neg_hi:[0,0,1]
	s_delay_alu instid0(VALU_DEP_2)
	v_mov_b32_e32 v59, v65
	scratch_store_b64 off, v[58:59], off offset:24
.LBB26_235:
	s_wait_xcnt 0x0
	s_or_b32 exec_lo, exec_lo, s1
	scratch_load_b64 v[58:59], off, off offset:16
	v_cmp_lt_u32_e64 s1, 2, v0
	s_wait_loadcnt 0x0
	ds_store_b64 v1, v[58:59]
	s_wait_storecnt_dscnt 0x0
	s_barrier_signal -1
	s_barrier_wait -1
	s_wait_xcnt 0x0
	s_and_saveexec_b32 s0, s1
	s_cbranch_execz .LBB26_245
; %bb.236:
	s_and_not1_b32 vcc_lo, exec_lo, s3
	s_cbranch_vccnz .LBB26_238
; %bb.237:
	scratch_load_b64 v[58:59], v39, off
	ds_load_b64 v[60:61], v1
	s_wait_loadcnt_dscnt 0x0
	v_pk_mul_f32 v[62:63], v[60:61], v[58:59] op_sel:[1,1] op_sel_hi:[0,1]
	s_delay_alu instid0(VALU_DEP_1) | instskip(SKIP_1) | instid1(VALU_DEP_2)
	v_pk_fma_f32 v[64:65], v[60:61], v[58:59], v[62:63] op_sel_hi:[1,0,1]
	v_pk_fma_f32 v[58:59], v[60:61], v[58:59], v[62:63] neg_lo:[0,0,1] neg_hi:[0,0,1]
	v_mov_b32_e32 v59, v65
	s_cbranch_execz .LBB26_239
	s_branch .LBB26_240
.LBB26_238:
                                        ; implicit-def: $vgpr58_vgpr59
.LBB26_239:
	ds_load_b64 v[58:59], v1
.LBB26_240:
	s_and_saveexec_b32 s5, s2
	s_cbranch_execz .LBB26_244
; %bb.241:
	v_add_nc_u32_e32 v60, -3, v0
	s_mov_b32 s2, 24
	s_movk_i32 s9, 0xf8
	s_mov_b32 s8, 0
.LBB26_242:                             ; =>This Inner Loop Header: Depth=1
	scratch_load_b64 v[62:63], off, s2
	v_dual_mov_b32 v61, s9 :: v_dual_add_nc_u32 v60, -1, v60
	s_add_co_i32 s9, s9, 8
	s_wait_xcnt 0x0
	s_add_co_i32 s2, s2, 8
	ds_load_b64 v[64:65], v61
	v_cmp_eq_u32_e32 vcc_lo, 0, v60
	s_or_b32 s8, vcc_lo, s8
	s_wait_loadcnt_dscnt 0x0
	v_pk_mul_f32 v[66:67], v[64:65], v[62:63] op_sel:[1,1] op_sel_hi:[0,1]
	s_delay_alu instid0(VALU_DEP_1) | instskip(SKIP_1) | instid1(VALU_DEP_2)
	v_pk_fma_f32 v[68:69], v[64:65], v[62:63], v[66:67] op_sel_hi:[1,0,1]
	v_pk_fma_f32 v[62:63], v[64:65], v[62:63], v[66:67] neg_lo:[0,0,1] neg_hi:[0,0,1]
	v_mov_b32_e32 v63, v69
	s_delay_alu instid0(VALU_DEP_1)
	v_pk_add_f32 v[58:59], v[58:59], v[62:63]
	s_and_not1_b32 exec_lo, exec_lo, s8
	s_cbranch_execnz .LBB26_242
; %bb.243:
	s_or_b32 exec_lo, exec_lo, s8
.LBB26_244:
	s_delay_alu instid0(SALU_CYCLE_1) | instskip(SKIP_4) | instid1(VALU_DEP_1)
	s_or_b32 exec_lo, exec_lo, s5
	v_mov_b32_e32 v60, 0
	ds_load_b64 v[60:61], v60 offset:16
	s_wait_dscnt 0x0
	v_pk_mul_f32 v[62:63], v[58:59], v[60:61] op_sel:[1,1] op_sel_hi:[0,1]
	v_pk_fma_f32 v[64:65], v[58:59], v[60:61], v[62:63] op_sel_hi:[1,0,1]
	v_pk_fma_f32 v[58:59], v[58:59], v[60:61], v[62:63] neg_lo:[0,0,1] neg_hi:[0,0,1]
	s_delay_alu instid0(VALU_DEP_2)
	v_mov_b32_e32 v59, v65
	scratch_store_b64 off, v[58:59], off offset:16
.LBB26_245:
	s_wait_xcnt 0x0
	s_or_b32 exec_lo, exec_lo, s0
	scratch_load_b64 v[58:59], off, off offset:8
	v_cmp_lt_u32_e64 s0, 1, v0
	s_wait_loadcnt 0x0
	ds_store_b64 v1, v[58:59]
	s_wait_storecnt_dscnt 0x0
	s_barrier_signal -1
	s_barrier_wait -1
	s_wait_xcnt 0x0
	s_and_saveexec_b32 s2, s0
	s_cbranch_execz .LBB26_255
; %bb.246:
	s_and_not1_b32 vcc_lo, exec_lo, s3
	s_cbranch_vccnz .LBB26_248
; %bb.247:
	scratch_load_b64 v[58:59], v39, off
	ds_load_b64 v[60:61], v1
	s_wait_loadcnt_dscnt 0x0
	v_pk_mul_f32 v[62:63], v[60:61], v[58:59] op_sel:[1,1] op_sel_hi:[0,1]
	s_delay_alu instid0(VALU_DEP_1) | instskip(SKIP_1) | instid1(VALU_DEP_2)
	v_pk_fma_f32 v[64:65], v[60:61], v[58:59], v[62:63] op_sel_hi:[1,0,1]
	v_pk_fma_f32 v[58:59], v[60:61], v[58:59], v[62:63] neg_lo:[0,0,1] neg_hi:[0,0,1]
	v_mov_b32_e32 v59, v65
	s_cbranch_execz .LBB26_249
	s_branch .LBB26_250
.LBB26_248:
                                        ; implicit-def: $vgpr58_vgpr59
.LBB26_249:
	ds_load_b64 v[58:59], v1
.LBB26_250:
	s_and_saveexec_b32 s5, s1
	s_cbranch_execz .LBB26_254
; %bb.251:
	v_add_nc_u32_e32 v60, -2, v0
	s_movk_i32 s8, 0xf0
	s_mov_b32 s1, 0
.LBB26_252:                             ; =>This Inner Loop Header: Depth=1
	scratch_load_b64 v[62:63], off, s4
	v_dual_mov_b32 v61, s8 :: v_dual_add_nc_u32 v60, -1, v60
	s_add_co_i32 s8, s8, 8
	s_wait_xcnt 0x0
	s_add_co_i32 s4, s4, 8
	ds_load_b64 v[64:65], v61
	v_cmp_eq_u32_e32 vcc_lo, 0, v60
	s_or_b32 s1, vcc_lo, s1
	s_wait_loadcnt_dscnt 0x0
	v_pk_mul_f32 v[66:67], v[64:65], v[62:63] op_sel:[1,1] op_sel_hi:[0,1]
	s_delay_alu instid0(VALU_DEP_1) | instskip(SKIP_1) | instid1(VALU_DEP_2)
	v_pk_fma_f32 v[68:69], v[64:65], v[62:63], v[66:67] op_sel_hi:[1,0,1]
	v_pk_fma_f32 v[62:63], v[64:65], v[62:63], v[66:67] neg_lo:[0,0,1] neg_hi:[0,0,1]
	v_mov_b32_e32 v63, v69
	s_delay_alu instid0(VALU_DEP_1)
	v_pk_add_f32 v[58:59], v[58:59], v[62:63]
	s_and_not1_b32 exec_lo, exec_lo, s1
	s_cbranch_execnz .LBB26_252
; %bb.253:
	s_or_b32 exec_lo, exec_lo, s1
.LBB26_254:
	s_delay_alu instid0(SALU_CYCLE_1) | instskip(SKIP_4) | instid1(VALU_DEP_1)
	s_or_b32 exec_lo, exec_lo, s5
	v_mov_b32_e32 v60, 0
	ds_load_b64 v[60:61], v60 offset:8
	s_wait_dscnt 0x0
	v_pk_mul_f32 v[62:63], v[58:59], v[60:61] op_sel:[1,1] op_sel_hi:[0,1]
	v_pk_fma_f32 v[64:65], v[58:59], v[60:61], v[62:63] op_sel_hi:[1,0,1]
	v_pk_fma_f32 v[58:59], v[58:59], v[60:61], v[62:63] neg_lo:[0,0,1] neg_hi:[0,0,1]
	s_delay_alu instid0(VALU_DEP_2)
	v_mov_b32_e32 v59, v65
	scratch_store_b64 off, v[58:59], off offset:8
.LBB26_255:
	s_wait_xcnt 0x0
	s_or_b32 exec_lo, exec_lo, s2
	scratch_load_b64 v[58:59], off, off
	s_mov_b32 s2, 0
	s_mov_b32 s1, 0
	s_mov_b32 s5, exec_lo
                                        ; implicit-def: $vgpr70
                                        ; implicit-def: $sgpr4
	s_wait_loadcnt 0x0
	ds_store_b64 v1, v[58:59]
	s_wait_storecnt_dscnt 0x0
	s_barrier_signal -1
	s_barrier_wait -1
	s_wait_xcnt 0x0
	v_cmpx_ne_u32_e32 0, v0
	s_cbranch_execz .LBB26_265
; %bb.256:
	s_and_not1_b32 vcc_lo, exec_lo, s3
	s_cbranch_vccnz .LBB26_258
; %bb.257:
	scratch_load_b64 v[60:61], v39, off
	ds_load_b64 v[62:63], v1
	s_wait_loadcnt_dscnt 0x0
	v_dual_mul_f32 v58, v63, v61 :: v_dual_mul_f32 v59, v62, v61
	s_delay_alu instid0(VALU_DEP_1)
	v_dual_fma_f32 v58, v62, v60, -v58 :: v_dual_fmac_f32 v59, v63, v60
	s_and_not1_b32 vcc_lo, exec_lo, s1
	s_cbranch_vccz .LBB26_259
	s_branch .LBB26_260
.LBB26_258:
                                        ; implicit-def: $vgpr58
.LBB26_259:
	ds_load_b64 v[58:59], v1
.LBB26_260:
	s_and_saveexec_b32 s1, s0
	s_cbranch_execz .LBB26_264
; %bb.261:
	v_add_nc_u32_e32 v60, -1, v0
	s_or_b32 s0, 0, 8
	s_movk_i32 s8, 0xe8
	s_mov_b32 s4, 0
.LBB26_262:                             ; =>This Inner Loop Header: Depth=1
	scratch_load_b64 v[62:63], off, s0
	v_mov_b32_e32 v61, s8
	s_add_co_i32 s8, s8, 8
	s_wait_xcnt 0x0
	s_add_co_i32 s0, s0, 8
	v_add_nc_u32_e32 v60, -1, v60
	ds_load_b64 v[64:65], v61
	v_cmp_eq_u32_e32 vcc_lo, 0, v60
	s_or_b32 s4, vcc_lo, s4
	s_wait_loadcnt_dscnt 0x0
	v_dual_mul_f32 v61, v65, v63 :: v_dual_mul_f32 v63, v64, v63
	s_delay_alu instid0(VALU_DEP_1) | instskip(NEXT) | instid1(VALU_DEP_1)
	v_dual_fma_f32 v61, v64, v62, -v61 :: v_dual_fmac_f32 v63, v65, v62
	v_dual_add_f32 v58, v58, v61 :: v_dual_add_f32 v59, v59, v63
	s_and_not1_b32 exec_lo, exec_lo, s4
	s_cbranch_execnz .LBB26_262
; %bb.263:
	s_or_b32 exec_lo, exec_lo, s4
.LBB26_264:
	s_delay_alu instid0(SALU_CYCLE_1)
	s_or_b32 exec_lo, exec_lo, s1
	v_mov_b32_e32 v60, 0
	s_mov_b32 s1, exec_lo
	s_or_b32 s4, 0, 4
	ds_load_b64 v[60:61], v60
	s_wait_dscnt 0x0
	v_dual_mul_f32 v62, v59, v61 :: v_dual_mul_f32 v70, v58, v61
	s_delay_alu instid0(VALU_DEP_1) | instskip(NEXT) | instid1(VALU_DEP_2)
	v_fma_f32 v58, v58, v60, -v62
	v_fmac_f32_e32 v70, v59, v60
	scratch_store_b32 off, v58, off
.LBB26_265:
	s_wait_xcnt 0x0
	s_or_b32 exec_lo, exec_lo, s5
	s_delay_alu instid0(SALU_CYCLE_1)
	s_and_b32 vcc_lo, exec_lo, s2
	s_cbranch_vccz .LBB26_521
.LBB26_266:
	scratch_load_b64 v[58:59], off, off offset:8
	v_cmp_eq_u32_e64 s0, 0, v0
	s_wait_loadcnt 0x0
	ds_store_b64 v1, v[58:59]
	s_wait_storecnt_dscnt 0x0
	s_barrier_signal -1
	s_barrier_wait -1
	s_wait_xcnt 0x0
	s_and_saveexec_b32 s2, s0
	s_cbranch_execz .LBB26_272
; %bb.267:
	s_and_b32 vcc_lo, exec_lo, s3
	s_cbranch_vccz .LBB26_269
; %bb.268:
	scratch_load_b64 v[58:59], v39, off
	ds_load_b64 v[60:61], v1
	s_wait_loadcnt_dscnt 0x0
	v_pk_mul_f32 v[62:63], v[60:61], v[58:59] op_sel:[1,1] op_sel_hi:[0,1]
	v_pk_mul_f32 v[64:65], v[60:61], v[58:59] op_sel_hi:[1,0]
	s_delay_alu instid0(VALU_DEP_2) | instskip(NEXT) | instid1(VALU_DEP_2)
	v_pk_fma_f32 v[58:59], v[60:61], v[58:59], v[62:63] op_sel_hi:[1,0,1]
	v_sub_f32_e32 v58, v64, v62
	s_cbranch_execz .LBB26_270
	s_branch .LBB26_271
.LBB26_269:
                                        ; implicit-def: $vgpr59
.LBB26_270:
	ds_load_b64 v[58:59], v1
.LBB26_271:
	s_wait_dscnt 0x0
	v_dual_mov_b32 v60, 0 :: v_dual_mov_b32 v62, v59
	v_mov_b32_e32 v63, v58
	ds_load_b64 v[60:61], v60 offset:8
	s_wait_dscnt 0x0
	v_pk_mul_f32 v[62:63], v[62:63], v[60:61] op_sel:[0,1]
	s_delay_alu instid0(VALU_DEP_1) | instskip(SKIP_1) | instid1(VALU_DEP_2)
	v_pk_fma_f32 v[64:65], v[58:59], v[60:61], v[62:63] op_sel_hi:[1,0,1]
	v_pk_fma_f32 v[58:59], v[58:59], v[60:61], v[62:63] neg_lo:[0,0,1] neg_hi:[0,0,1]
	v_mov_b32_e32 v59, v65
	scratch_store_b64 off, v[58:59], off offset:8
.LBB26_272:
	s_wait_xcnt 0x0
	s_or_b32 exec_lo, exec_lo, s2
	scratch_load_b64 v[58:59], off, off offset:16
	v_cndmask_b32_e64 v60, 0, 1, s3
	s_mov_b32 s2, exec_lo
	s_wait_loadcnt 0x0
	ds_store_b64 v1, v[58:59]
	s_wait_storecnt_dscnt 0x0
	s_barrier_signal -1
	s_barrier_wait -1
	s_wait_xcnt 0x0
	v_cmpx_gt_u32_e32 2, v0
	s_cbranch_execz .LBB26_280
; %bb.273:
	s_and_not1_b32 vcc_lo, exec_lo, s3
	s_cbranch_vccnz .LBB26_275
; %bb.274:
	scratch_load_b64 v[58:59], v39, off
	ds_load_b64 v[62:63], v1
	s_wait_loadcnt_dscnt 0x0
	v_pk_mul_f32 v[64:65], v[62:63], v[58:59] op_sel:[1,1] op_sel_hi:[0,1]
	s_delay_alu instid0(VALU_DEP_1) | instskip(SKIP_1) | instid1(VALU_DEP_2)
	v_pk_fma_f32 v[66:67], v[62:63], v[58:59], v[64:65] op_sel_hi:[1,0,1]
	v_pk_fma_f32 v[58:59], v[62:63], v[58:59], v[64:65] neg_lo:[0,0,1] neg_hi:[0,0,1]
	v_mov_b32_e32 v59, v67
	s_cbranch_execz .LBB26_276
	s_branch .LBB26_277
.LBB26_275:
                                        ; implicit-def: $vgpr58_vgpr59
.LBB26_276:
	ds_load_b64 v[58:59], v1
.LBB26_277:
	s_and_saveexec_b32 s3, s0
	s_cbranch_execz .LBB26_279
; %bb.278:
	scratch_load_b64 v[62:63], off, off offset:8
	v_mov_b32_e32 v61, 0
	ds_load_b64 v[64:65], v61 offset:232
	s_wait_loadcnt_dscnt 0x0
	v_pk_mul_f32 v[66:67], v[64:65], v[62:63] op_sel:[1,1] op_sel_hi:[0,1]
	s_delay_alu instid0(VALU_DEP_1) | instskip(SKIP_1) | instid1(VALU_DEP_2)
	v_pk_fma_f32 v[68:69], v[64:65], v[62:63], v[66:67] op_sel_hi:[1,0,1]
	v_pk_fma_f32 v[62:63], v[64:65], v[62:63], v[66:67] neg_lo:[0,0,1] neg_hi:[0,0,1]
	v_mov_b32_e32 v63, v69
	s_delay_alu instid0(VALU_DEP_1)
	v_pk_add_f32 v[58:59], v[58:59], v[62:63]
.LBB26_279:
	s_or_b32 exec_lo, exec_lo, s3
	v_mov_b32_e32 v61, 0
	ds_load_b64 v[62:63], v61 offset:16
	s_wait_dscnt 0x0
	v_pk_mul_f32 v[64:65], v[58:59], v[62:63] op_sel:[1,1] op_sel_hi:[0,1]
	s_delay_alu instid0(VALU_DEP_1) | instskip(SKIP_1) | instid1(VALU_DEP_2)
	v_pk_fma_f32 v[66:67], v[58:59], v[62:63], v[64:65] op_sel_hi:[1,0,1]
	v_pk_fma_f32 v[58:59], v[58:59], v[62:63], v[64:65] neg_lo:[0,0,1] neg_hi:[0,0,1]
	v_mov_b32_e32 v59, v67
	scratch_store_b64 off, v[58:59], off offset:16
.LBB26_280:
	s_wait_xcnt 0x0
	s_or_b32 exec_lo, exec_lo, s2
	scratch_load_b64 v[58:59], off, off offset:24
	s_mov_b32 s2, exec_lo
	s_wait_loadcnt 0x0
	ds_store_b64 v1, v[58:59]
	s_wait_storecnt_dscnt 0x0
	s_barrier_signal -1
	s_barrier_wait -1
	s_wait_xcnt 0x0
	v_cmpx_gt_u32_e32 3, v0
	s_cbranch_execz .LBB26_290
; %bb.281:
	v_cmp_ne_u32_e32 vcc_lo, 1, v60
	s_cbranch_vccnz .LBB26_283
; %bb.282:
	scratch_load_b64 v[58:59], v39, off
	ds_load_b64 v[62:63], v1
	s_wait_loadcnt_dscnt 0x0
	v_pk_mul_f32 v[64:65], v[62:63], v[58:59] op_sel:[1,1] op_sel_hi:[0,1]
	s_delay_alu instid0(VALU_DEP_1) | instskip(SKIP_1) | instid1(VALU_DEP_2)
	v_pk_fma_f32 v[66:67], v[62:63], v[58:59], v[64:65] op_sel_hi:[1,0,1]
	v_pk_fma_f32 v[58:59], v[62:63], v[58:59], v[64:65] neg_lo:[0,0,1] neg_hi:[0,0,1]
	v_mov_b32_e32 v59, v67
	s_cbranch_execz .LBB26_284
	s_branch .LBB26_285
.LBB26_283:
                                        ; implicit-def: $vgpr58_vgpr59
.LBB26_284:
	ds_load_b64 v[58:59], v1
.LBB26_285:
	s_mov_b32 s3, exec_lo
	v_cmpx_ne_u32_e32 2, v0
	s_cbranch_execz .LBB26_289
; %bb.286:
	scratch_load_b64 v[62:63], v39, off offset:8
	ds_load_b64 v[64:65], v1 offset:8
	s_wait_loadcnt_dscnt 0x0
	v_pk_mul_f32 v[66:67], v[64:65], v[62:63] op_sel:[1,1] op_sel_hi:[0,1]
	s_delay_alu instid0(VALU_DEP_1) | instskip(SKIP_1) | instid1(VALU_DEP_2)
	v_pk_fma_f32 v[68:69], v[64:65], v[62:63], v[66:67] op_sel_hi:[1,0,1]
	v_pk_fma_f32 v[62:63], v[64:65], v[62:63], v[66:67] neg_lo:[0,0,1] neg_hi:[0,0,1]
	v_mov_b32_e32 v63, v69
	s_delay_alu instid0(VALU_DEP_1)
	v_pk_add_f32 v[58:59], v[58:59], v[62:63]
	s_and_saveexec_b32 s4, s0
	s_cbranch_execz .LBB26_288
; %bb.287:
	scratch_load_b64 v[62:63], off, off offset:16
	v_mov_b32_e32 v61, 0
	ds_load_b64 v[64:65], v61 offset:240
	s_wait_loadcnt_dscnt 0x0
	v_pk_mul_f32 v[66:67], v[64:65], v[62:63] op_sel:[1,1] op_sel_hi:[0,1]
	s_delay_alu instid0(VALU_DEP_1) | instskip(SKIP_1) | instid1(VALU_DEP_2)
	v_pk_fma_f32 v[68:69], v[64:65], v[62:63], v[66:67] op_sel_hi:[1,0,1]
	v_pk_fma_f32 v[62:63], v[64:65], v[62:63], v[66:67] neg_lo:[0,0,1] neg_hi:[0,0,1]
	v_mov_b32_e32 v63, v69
	s_delay_alu instid0(VALU_DEP_1)
	v_pk_add_f32 v[58:59], v[58:59], v[62:63]
.LBB26_288:
	s_or_b32 exec_lo, exec_lo, s4
.LBB26_289:
	s_delay_alu instid0(SALU_CYCLE_1) | instskip(SKIP_4) | instid1(VALU_DEP_1)
	s_or_b32 exec_lo, exec_lo, s3
	v_mov_b32_e32 v61, 0
	ds_load_b64 v[62:63], v61 offset:24
	s_wait_dscnt 0x0
	v_pk_mul_f32 v[64:65], v[58:59], v[62:63] op_sel:[1,1] op_sel_hi:[0,1]
	v_pk_fma_f32 v[66:67], v[58:59], v[62:63], v[64:65] op_sel_hi:[1,0,1]
	v_pk_fma_f32 v[58:59], v[58:59], v[62:63], v[64:65] neg_lo:[0,0,1] neg_hi:[0,0,1]
	s_delay_alu instid0(VALU_DEP_2)
	v_mov_b32_e32 v59, v67
	scratch_store_b64 off, v[58:59], off offset:24
.LBB26_290:
	s_wait_xcnt 0x0
	s_or_b32 exec_lo, exec_lo, s2
	scratch_load_b64 v[58:59], off, off offset:32
	s_mov_b32 s0, exec_lo
	s_wait_loadcnt 0x0
	ds_store_b64 v1, v[58:59]
	s_wait_storecnt_dscnt 0x0
	s_barrier_signal -1
	s_barrier_wait -1
	s_wait_xcnt 0x0
	v_cmpx_gt_u32_e32 4, v0
	s_cbranch_execz .LBB26_300
; %bb.291:
	v_cmp_ne_u32_e32 vcc_lo, 1, v60
	s_cbranch_vccnz .LBB26_293
; %bb.292:
	scratch_load_b64 v[58:59], v39, off
	ds_load_b64 v[62:63], v1
	s_wait_loadcnt_dscnt 0x0
	v_pk_mul_f32 v[64:65], v[62:63], v[58:59] op_sel:[1,1] op_sel_hi:[0,1]
	s_delay_alu instid0(VALU_DEP_1) | instskip(SKIP_1) | instid1(VALU_DEP_2)
	v_pk_fma_f32 v[66:67], v[62:63], v[58:59], v[64:65] op_sel_hi:[1,0,1]
	v_pk_fma_f32 v[58:59], v[62:63], v[58:59], v[64:65] neg_lo:[0,0,1] neg_hi:[0,0,1]
	v_mov_b32_e32 v59, v67
	s_cbranch_execz .LBB26_294
	s_branch .LBB26_295
.LBB26_293:
                                        ; implicit-def: $vgpr58_vgpr59
.LBB26_294:
	ds_load_b64 v[58:59], v1
.LBB26_295:
	s_mov_b32 s2, exec_lo
	v_cmpx_ne_u32_e32 3, v0
	s_cbranch_execz .LBB26_299
; %bb.296:
	v_add_nc_u32_e32 v61, 0xe8, v38
	v_add3_u32 v62, 0, v38, 8
	v_mov_b32_e32 v63, v0
	s_mov_b32 s3, 0
.LBB26_297:                             ; =>This Inner Loop Header: Depth=1
	scratch_load_b64 v[64:65], v62, off
	ds_load_b64 v[66:67], v61
	s_wait_xcnt 0x0
	v_dual_add_nc_u32 v61, 8, v61 :: v_dual_add_nc_u32 v62, 8, v62
	s_wait_loadcnt_dscnt 0x0
	v_pk_mul_f32 v[68:69], v[66:67], v[64:65] op_sel:[1,1] op_sel_hi:[0,1]
	s_delay_alu instid0(VALU_DEP_1) | instskip(SKIP_2) | instid1(VALU_DEP_3)
	v_pk_fma_f32 v[70:71], v[66:67], v[64:65], v[68:69] op_sel_hi:[1,0,1]
	v_add_nc_u32_e32 v63, 1, v63
	v_pk_fma_f32 v[64:65], v[66:67], v[64:65], v[68:69] neg_lo:[0,0,1] neg_hi:[0,0,1]
	v_mov_b32_e32 v65, v71
	s_delay_alu instid0(VALU_DEP_3) | instskip(NEXT) | instid1(VALU_DEP_2)
	v_cmp_lt_u32_e32 vcc_lo, 2, v63
	v_pk_add_f32 v[58:59], v[58:59], v[64:65]
	s_or_b32 s3, vcc_lo, s3
	s_delay_alu instid0(SALU_CYCLE_1)
	s_and_not1_b32 exec_lo, exec_lo, s3
	s_cbranch_execnz .LBB26_297
; %bb.298:
	s_or_b32 exec_lo, exec_lo, s3
.LBB26_299:
	s_delay_alu instid0(SALU_CYCLE_1) | instskip(SKIP_4) | instid1(VALU_DEP_1)
	s_or_b32 exec_lo, exec_lo, s2
	v_mov_b32_e32 v61, 0
	ds_load_b64 v[62:63], v61 offset:32
	s_wait_dscnt 0x0
	v_pk_mul_f32 v[64:65], v[58:59], v[62:63] op_sel:[1,1] op_sel_hi:[0,1]
	v_pk_fma_f32 v[66:67], v[58:59], v[62:63], v[64:65] op_sel_hi:[1,0,1]
	v_pk_fma_f32 v[58:59], v[58:59], v[62:63], v[64:65] neg_lo:[0,0,1] neg_hi:[0,0,1]
	s_delay_alu instid0(VALU_DEP_2)
	v_mov_b32_e32 v59, v67
	scratch_store_b64 off, v[58:59], off offset:32
.LBB26_300:
	s_wait_xcnt 0x0
	s_or_b32 exec_lo, exec_lo, s0
	scratch_load_b64 v[58:59], off, off offset:40
	s_mov_b32 s0, exec_lo
	s_wait_loadcnt 0x0
	ds_store_b64 v1, v[58:59]
	s_wait_storecnt_dscnt 0x0
	s_barrier_signal -1
	s_barrier_wait -1
	s_wait_xcnt 0x0
	v_cmpx_gt_u32_e32 5, v0
	s_cbranch_execz .LBB26_310
; %bb.301:
	v_cmp_ne_u32_e32 vcc_lo, 1, v60
	s_cbranch_vccnz .LBB26_303
; %bb.302:
	scratch_load_b64 v[58:59], v39, off
	ds_load_b64 v[62:63], v1
	s_wait_loadcnt_dscnt 0x0
	v_pk_mul_f32 v[64:65], v[62:63], v[58:59] op_sel:[1,1] op_sel_hi:[0,1]
	s_delay_alu instid0(VALU_DEP_1) | instskip(SKIP_1) | instid1(VALU_DEP_2)
	v_pk_fma_f32 v[66:67], v[62:63], v[58:59], v[64:65] op_sel_hi:[1,0,1]
	v_pk_fma_f32 v[58:59], v[62:63], v[58:59], v[64:65] neg_lo:[0,0,1] neg_hi:[0,0,1]
	v_mov_b32_e32 v59, v67
	s_cbranch_execz .LBB26_304
	s_branch .LBB26_305
.LBB26_303:
                                        ; implicit-def: $vgpr58_vgpr59
.LBB26_304:
	ds_load_b64 v[58:59], v1
.LBB26_305:
	s_mov_b32 s2, exec_lo
	v_cmpx_ne_u32_e32 4, v0
	s_cbranch_execz .LBB26_309
; %bb.306:
	v_add_nc_u32_e32 v61, 0xe8, v38
	v_add3_u32 v62, 0, v38, 8
	v_mov_b32_e32 v63, v0
	s_mov_b32 s3, 0
.LBB26_307:                             ; =>This Inner Loop Header: Depth=1
	scratch_load_b64 v[64:65], v62, off
	ds_load_b64 v[66:67], v61
	s_wait_xcnt 0x0
	v_dual_add_nc_u32 v61, 8, v61 :: v_dual_add_nc_u32 v62, 8, v62
	s_wait_loadcnt_dscnt 0x0
	v_pk_mul_f32 v[68:69], v[66:67], v[64:65] op_sel:[1,1] op_sel_hi:[0,1]
	s_delay_alu instid0(VALU_DEP_1) | instskip(SKIP_2) | instid1(VALU_DEP_3)
	v_pk_fma_f32 v[70:71], v[66:67], v[64:65], v[68:69] op_sel_hi:[1,0,1]
	v_add_nc_u32_e32 v63, 1, v63
	v_pk_fma_f32 v[64:65], v[66:67], v[64:65], v[68:69] neg_lo:[0,0,1] neg_hi:[0,0,1]
	v_mov_b32_e32 v65, v71
	s_delay_alu instid0(VALU_DEP_3) | instskip(NEXT) | instid1(VALU_DEP_2)
	v_cmp_lt_u32_e32 vcc_lo, 3, v63
	v_pk_add_f32 v[58:59], v[58:59], v[64:65]
	s_or_b32 s3, vcc_lo, s3
	s_delay_alu instid0(SALU_CYCLE_1)
	s_and_not1_b32 exec_lo, exec_lo, s3
	s_cbranch_execnz .LBB26_307
; %bb.308:
	s_or_b32 exec_lo, exec_lo, s3
.LBB26_309:
	s_delay_alu instid0(SALU_CYCLE_1) | instskip(SKIP_4) | instid1(VALU_DEP_1)
	s_or_b32 exec_lo, exec_lo, s2
	v_mov_b32_e32 v61, 0
	ds_load_b64 v[62:63], v61 offset:40
	s_wait_dscnt 0x0
	v_pk_mul_f32 v[64:65], v[58:59], v[62:63] op_sel:[1,1] op_sel_hi:[0,1]
	v_pk_fma_f32 v[66:67], v[58:59], v[62:63], v[64:65] op_sel_hi:[1,0,1]
	v_pk_fma_f32 v[58:59], v[58:59], v[62:63], v[64:65] neg_lo:[0,0,1] neg_hi:[0,0,1]
	s_delay_alu instid0(VALU_DEP_2)
	v_mov_b32_e32 v59, v67
	scratch_store_b64 off, v[58:59], off offset:40
.LBB26_310:
	s_wait_xcnt 0x0
	s_or_b32 exec_lo, exec_lo, s0
	scratch_load_b64 v[58:59], off, off offset:48
	s_mov_b32 s0, exec_lo
	s_wait_loadcnt 0x0
	ds_store_b64 v1, v[58:59]
	s_wait_storecnt_dscnt 0x0
	s_barrier_signal -1
	s_barrier_wait -1
	s_wait_xcnt 0x0
	v_cmpx_gt_u32_e32 6, v0
	s_cbranch_execz .LBB26_320
; %bb.311:
	v_cmp_ne_u32_e32 vcc_lo, 1, v60
	s_cbranch_vccnz .LBB26_313
; %bb.312:
	scratch_load_b64 v[58:59], v39, off
	ds_load_b64 v[62:63], v1
	s_wait_loadcnt_dscnt 0x0
	v_pk_mul_f32 v[64:65], v[62:63], v[58:59] op_sel:[1,1] op_sel_hi:[0,1]
	s_delay_alu instid0(VALU_DEP_1) | instskip(SKIP_1) | instid1(VALU_DEP_2)
	v_pk_fma_f32 v[66:67], v[62:63], v[58:59], v[64:65] op_sel_hi:[1,0,1]
	v_pk_fma_f32 v[58:59], v[62:63], v[58:59], v[64:65] neg_lo:[0,0,1] neg_hi:[0,0,1]
	v_mov_b32_e32 v59, v67
	s_cbranch_execz .LBB26_314
	s_branch .LBB26_315
.LBB26_313:
                                        ; implicit-def: $vgpr58_vgpr59
.LBB26_314:
	ds_load_b64 v[58:59], v1
.LBB26_315:
	s_mov_b32 s2, exec_lo
	v_cmpx_ne_u32_e32 5, v0
	s_cbranch_execz .LBB26_319
; %bb.316:
	v_add_nc_u32_e32 v61, 0xe8, v38
	v_add3_u32 v62, 0, v38, 8
	v_mov_b32_e32 v63, v0
	s_mov_b32 s3, 0
.LBB26_317:                             ; =>This Inner Loop Header: Depth=1
	scratch_load_b64 v[64:65], v62, off
	ds_load_b64 v[66:67], v61
	s_wait_xcnt 0x0
	v_dual_add_nc_u32 v61, 8, v61 :: v_dual_add_nc_u32 v62, 8, v62
	s_wait_loadcnt_dscnt 0x0
	v_pk_mul_f32 v[68:69], v[66:67], v[64:65] op_sel:[1,1] op_sel_hi:[0,1]
	s_delay_alu instid0(VALU_DEP_1) | instskip(SKIP_2) | instid1(VALU_DEP_3)
	v_pk_fma_f32 v[70:71], v[66:67], v[64:65], v[68:69] op_sel_hi:[1,0,1]
	v_add_nc_u32_e32 v63, 1, v63
	v_pk_fma_f32 v[64:65], v[66:67], v[64:65], v[68:69] neg_lo:[0,0,1] neg_hi:[0,0,1]
	v_mov_b32_e32 v65, v71
	s_delay_alu instid0(VALU_DEP_3) | instskip(NEXT) | instid1(VALU_DEP_2)
	v_cmp_lt_u32_e32 vcc_lo, 4, v63
	v_pk_add_f32 v[58:59], v[58:59], v[64:65]
	s_or_b32 s3, vcc_lo, s3
	s_delay_alu instid0(SALU_CYCLE_1)
	s_and_not1_b32 exec_lo, exec_lo, s3
	s_cbranch_execnz .LBB26_317
; %bb.318:
	s_or_b32 exec_lo, exec_lo, s3
.LBB26_319:
	s_delay_alu instid0(SALU_CYCLE_1) | instskip(SKIP_4) | instid1(VALU_DEP_1)
	s_or_b32 exec_lo, exec_lo, s2
	v_mov_b32_e32 v61, 0
	ds_load_b64 v[62:63], v61 offset:48
	s_wait_dscnt 0x0
	v_pk_mul_f32 v[64:65], v[58:59], v[62:63] op_sel:[1,1] op_sel_hi:[0,1]
	v_pk_fma_f32 v[66:67], v[58:59], v[62:63], v[64:65] op_sel_hi:[1,0,1]
	v_pk_fma_f32 v[58:59], v[58:59], v[62:63], v[64:65] neg_lo:[0,0,1] neg_hi:[0,0,1]
	s_delay_alu instid0(VALU_DEP_2)
	v_mov_b32_e32 v59, v67
	scratch_store_b64 off, v[58:59], off offset:48
.LBB26_320:
	s_wait_xcnt 0x0
	s_or_b32 exec_lo, exec_lo, s0
	scratch_load_b64 v[58:59], off, off offset:56
	s_mov_b32 s0, exec_lo
	s_wait_loadcnt 0x0
	ds_store_b64 v1, v[58:59]
	s_wait_storecnt_dscnt 0x0
	s_barrier_signal -1
	s_barrier_wait -1
	s_wait_xcnt 0x0
	v_cmpx_gt_u32_e32 7, v0
	s_cbranch_execz .LBB26_330
; %bb.321:
	v_cmp_ne_u32_e32 vcc_lo, 1, v60
	s_cbranch_vccnz .LBB26_323
; %bb.322:
	scratch_load_b64 v[58:59], v39, off
	ds_load_b64 v[62:63], v1
	s_wait_loadcnt_dscnt 0x0
	v_pk_mul_f32 v[64:65], v[62:63], v[58:59] op_sel:[1,1] op_sel_hi:[0,1]
	s_delay_alu instid0(VALU_DEP_1) | instskip(SKIP_1) | instid1(VALU_DEP_2)
	v_pk_fma_f32 v[66:67], v[62:63], v[58:59], v[64:65] op_sel_hi:[1,0,1]
	v_pk_fma_f32 v[58:59], v[62:63], v[58:59], v[64:65] neg_lo:[0,0,1] neg_hi:[0,0,1]
	v_mov_b32_e32 v59, v67
	s_cbranch_execz .LBB26_324
	s_branch .LBB26_325
.LBB26_323:
                                        ; implicit-def: $vgpr58_vgpr59
.LBB26_324:
	ds_load_b64 v[58:59], v1
.LBB26_325:
	s_mov_b32 s2, exec_lo
	v_cmpx_ne_u32_e32 6, v0
	s_cbranch_execz .LBB26_329
; %bb.326:
	v_add_nc_u32_e32 v61, 0xe8, v38
	v_add3_u32 v62, 0, v38, 8
	v_mov_b32_e32 v63, v0
	s_mov_b32 s3, 0
.LBB26_327:                             ; =>This Inner Loop Header: Depth=1
	scratch_load_b64 v[64:65], v62, off
	ds_load_b64 v[66:67], v61
	s_wait_xcnt 0x0
	v_dual_add_nc_u32 v61, 8, v61 :: v_dual_add_nc_u32 v62, 8, v62
	s_wait_loadcnt_dscnt 0x0
	v_pk_mul_f32 v[68:69], v[66:67], v[64:65] op_sel:[1,1] op_sel_hi:[0,1]
	s_delay_alu instid0(VALU_DEP_1) | instskip(SKIP_2) | instid1(VALU_DEP_3)
	v_pk_fma_f32 v[70:71], v[66:67], v[64:65], v[68:69] op_sel_hi:[1,0,1]
	v_add_nc_u32_e32 v63, 1, v63
	v_pk_fma_f32 v[64:65], v[66:67], v[64:65], v[68:69] neg_lo:[0,0,1] neg_hi:[0,0,1]
	v_mov_b32_e32 v65, v71
	s_delay_alu instid0(VALU_DEP_3) | instskip(NEXT) | instid1(VALU_DEP_2)
	v_cmp_lt_u32_e32 vcc_lo, 5, v63
	v_pk_add_f32 v[58:59], v[58:59], v[64:65]
	s_or_b32 s3, vcc_lo, s3
	s_delay_alu instid0(SALU_CYCLE_1)
	s_and_not1_b32 exec_lo, exec_lo, s3
	s_cbranch_execnz .LBB26_327
; %bb.328:
	s_or_b32 exec_lo, exec_lo, s3
.LBB26_329:
	s_delay_alu instid0(SALU_CYCLE_1) | instskip(SKIP_4) | instid1(VALU_DEP_1)
	s_or_b32 exec_lo, exec_lo, s2
	v_mov_b32_e32 v61, 0
	ds_load_b64 v[62:63], v61 offset:56
	s_wait_dscnt 0x0
	v_pk_mul_f32 v[64:65], v[58:59], v[62:63] op_sel:[1,1] op_sel_hi:[0,1]
	v_pk_fma_f32 v[66:67], v[58:59], v[62:63], v[64:65] op_sel_hi:[1,0,1]
	v_pk_fma_f32 v[58:59], v[58:59], v[62:63], v[64:65] neg_lo:[0,0,1] neg_hi:[0,0,1]
	s_delay_alu instid0(VALU_DEP_2)
	v_mov_b32_e32 v59, v67
	scratch_store_b64 off, v[58:59], off offset:56
.LBB26_330:
	s_wait_xcnt 0x0
	s_or_b32 exec_lo, exec_lo, s0
	scratch_load_b64 v[58:59], off, off offset:64
	s_mov_b32 s0, exec_lo
	s_wait_loadcnt 0x0
	ds_store_b64 v1, v[58:59]
	s_wait_storecnt_dscnt 0x0
	s_barrier_signal -1
	s_barrier_wait -1
	s_wait_xcnt 0x0
	v_cmpx_gt_u32_e32 8, v0
	s_cbranch_execz .LBB26_340
; %bb.331:
	v_cmp_ne_u32_e32 vcc_lo, 1, v60
	s_cbranch_vccnz .LBB26_333
; %bb.332:
	scratch_load_b64 v[58:59], v39, off
	ds_load_b64 v[62:63], v1
	s_wait_loadcnt_dscnt 0x0
	v_pk_mul_f32 v[64:65], v[62:63], v[58:59] op_sel:[1,1] op_sel_hi:[0,1]
	s_delay_alu instid0(VALU_DEP_1) | instskip(SKIP_1) | instid1(VALU_DEP_2)
	v_pk_fma_f32 v[66:67], v[62:63], v[58:59], v[64:65] op_sel_hi:[1,0,1]
	v_pk_fma_f32 v[58:59], v[62:63], v[58:59], v[64:65] neg_lo:[0,0,1] neg_hi:[0,0,1]
	v_mov_b32_e32 v59, v67
	s_cbranch_execz .LBB26_334
	s_branch .LBB26_335
.LBB26_333:
                                        ; implicit-def: $vgpr58_vgpr59
.LBB26_334:
	ds_load_b64 v[58:59], v1
.LBB26_335:
	s_mov_b32 s2, exec_lo
	v_cmpx_ne_u32_e32 7, v0
	s_cbranch_execz .LBB26_339
; %bb.336:
	v_add_nc_u32_e32 v61, 0xe8, v38
	v_add3_u32 v62, 0, v38, 8
	v_mov_b32_e32 v63, v0
	s_mov_b32 s3, 0
.LBB26_337:                             ; =>This Inner Loop Header: Depth=1
	scratch_load_b64 v[64:65], v62, off
	ds_load_b64 v[66:67], v61
	s_wait_xcnt 0x0
	v_dual_add_nc_u32 v61, 8, v61 :: v_dual_add_nc_u32 v62, 8, v62
	s_wait_loadcnt_dscnt 0x0
	v_pk_mul_f32 v[68:69], v[66:67], v[64:65] op_sel:[1,1] op_sel_hi:[0,1]
	s_delay_alu instid0(VALU_DEP_1) | instskip(SKIP_2) | instid1(VALU_DEP_3)
	v_pk_fma_f32 v[70:71], v[66:67], v[64:65], v[68:69] op_sel_hi:[1,0,1]
	v_add_nc_u32_e32 v63, 1, v63
	v_pk_fma_f32 v[64:65], v[66:67], v[64:65], v[68:69] neg_lo:[0,0,1] neg_hi:[0,0,1]
	v_mov_b32_e32 v65, v71
	s_delay_alu instid0(VALU_DEP_3) | instskip(NEXT) | instid1(VALU_DEP_2)
	v_cmp_lt_u32_e32 vcc_lo, 6, v63
	v_pk_add_f32 v[58:59], v[58:59], v[64:65]
	s_or_b32 s3, vcc_lo, s3
	s_delay_alu instid0(SALU_CYCLE_1)
	s_and_not1_b32 exec_lo, exec_lo, s3
	s_cbranch_execnz .LBB26_337
; %bb.338:
	s_or_b32 exec_lo, exec_lo, s3
.LBB26_339:
	s_delay_alu instid0(SALU_CYCLE_1) | instskip(SKIP_4) | instid1(VALU_DEP_1)
	s_or_b32 exec_lo, exec_lo, s2
	v_mov_b32_e32 v61, 0
	ds_load_b64 v[62:63], v61 offset:64
	s_wait_dscnt 0x0
	v_pk_mul_f32 v[64:65], v[58:59], v[62:63] op_sel:[1,1] op_sel_hi:[0,1]
	v_pk_fma_f32 v[66:67], v[58:59], v[62:63], v[64:65] op_sel_hi:[1,0,1]
	v_pk_fma_f32 v[58:59], v[58:59], v[62:63], v[64:65] neg_lo:[0,0,1] neg_hi:[0,0,1]
	s_delay_alu instid0(VALU_DEP_2)
	v_mov_b32_e32 v59, v67
	scratch_store_b64 off, v[58:59], off offset:64
.LBB26_340:
	s_wait_xcnt 0x0
	s_or_b32 exec_lo, exec_lo, s0
	scratch_load_b64 v[58:59], off, off offset:72
	s_mov_b32 s0, exec_lo
	s_wait_loadcnt 0x0
	ds_store_b64 v1, v[58:59]
	s_wait_storecnt_dscnt 0x0
	s_barrier_signal -1
	s_barrier_wait -1
	s_wait_xcnt 0x0
	v_cmpx_gt_u32_e32 9, v0
	s_cbranch_execz .LBB26_350
; %bb.341:
	v_cmp_ne_u32_e32 vcc_lo, 1, v60
	s_cbranch_vccnz .LBB26_343
; %bb.342:
	scratch_load_b64 v[58:59], v39, off
	ds_load_b64 v[62:63], v1
	s_wait_loadcnt_dscnt 0x0
	v_pk_mul_f32 v[64:65], v[62:63], v[58:59] op_sel:[1,1] op_sel_hi:[0,1]
	s_delay_alu instid0(VALU_DEP_1) | instskip(SKIP_1) | instid1(VALU_DEP_2)
	v_pk_fma_f32 v[66:67], v[62:63], v[58:59], v[64:65] op_sel_hi:[1,0,1]
	v_pk_fma_f32 v[58:59], v[62:63], v[58:59], v[64:65] neg_lo:[0,0,1] neg_hi:[0,0,1]
	v_mov_b32_e32 v59, v67
	s_cbranch_execz .LBB26_344
	s_branch .LBB26_345
.LBB26_343:
                                        ; implicit-def: $vgpr58_vgpr59
.LBB26_344:
	ds_load_b64 v[58:59], v1
.LBB26_345:
	s_mov_b32 s2, exec_lo
	v_cmpx_ne_u32_e32 8, v0
	s_cbranch_execz .LBB26_349
; %bb.346:
	v_add_nc_u32_e32 v61, 0xe8, v38
	v_add3_u32 v62, 0, v38, 8
	v_mov_b32_e32 v63, v0
	s_mov_b32 s3, 0
.LBB26_347:                             ; =>This Inner Loop Header: Depth=1
	scratch_load_b64 v[64:65], v62, off
	ds_load_b64 v[66:67], v61
	s_wait_xcnt 0x0
	v_dual_add_nc_u32 v61, 8, v61 :: v_dual_add_nc_u32 v62, 8, v62
	s_wait_loadcnt_dscnt 0x0
	v_pk_mul_f32 v[68:69], v[66:67], v[64:65] op_sel:[1,1] op_sel_hi:[0,1]
	s_delay_alu instid0(VALU_DEP_1) | instskip(SKIP_2) | instid1(VALU_DEP_3)
	v_pk_fma_f32 v[70:71], v[66:67], v[64:65], v[68:69] op_sel_hi:[1,0,1]
	v_add_nc_u32_e32 v63, 1, v63
	v_pk_fma_f32 v[64:65], v[66:67], v[64:65], v[68:69] neg_lo:[0,0,1] neg_hi:[0,0,1]
	v_mov_b32_e32 v65, v71
	s_delay_alu instid0(VALU_DEP_3) | instskip(NEXT) | instid1(VALU_DEP_2)
	v_cmp_lt_u32_e32 vcc_lo, 7, v63
	v_pk_add_f32 v[58:59], v[58:59], v[64:65]
	s_or_b32 s3, vcc_lo, s3
	s_delay_alu instid0(SALU_CYCLE_1)
	s_and_not1_b32 exec_lo, exec_lo, s3
	s_cbranch_execnz .LBB26_347
; %bb.348:
	s_or_b32 exec_lo, exec_lo, s3
.LBB26_349:
	s_delay_alu instid0(SALU_CYCLE_1) | instskip(SKIP_4) | instid1(VALU_DEP_1)
	s_or_b32 exec_lo, exec_lo, s2
	v_mov_b32_e32 v61, 0
	ds_load_b64 v[62:63], v61 offset:72
	s_wait_dscnt 0x0
	v_pk_mul_f32 v[64:65], v[58:59], v[62:63] op_sel:[1,1] op_sel_hi:[0,1]
	v_pk_fma_f32 v[66:67], v[58:59], v[62:63], v[64:65] op_sel_hi:[1,0,1]
	v_pk_fma_f32 v[58:59], v[58:59], v[62:63], v[64:65] neg_lo:[0,0,1] neg_hi:[0,0,1]
	s_delay_alu instid0(VALU_DEP_2)
	v_mov_b32_e32 v59, v67
	scratch_store_b64 off, v[58:59], off offset:72
.LBB26_350:
	s_wait_xcnt 0x0
	s_or_b32 exec_lo, exec_lo, s0
	scratch_load_b64 v[58:59], off, off offset:80
	s_mov_b32 s0, exec_lo
	s_wait_loadcnt 0x0
	ds_store_b64 v1, v[58:59]
	s_wait_storecnt_dscnt 0x0
	s_barrier_signal -1
	s_barrier_wait -1
	s_wait_xcnt 0x0
	v_cmpx_gt_u32_e32 10, v0
	s_cbranch_execz .LBB26_360
; %bb.351:
	v_cmp_ne_u32_e32 vcc_lo, 1, v60
	s_cbranch_vccnz .LBB26_353
; %bb.352:
	scratch_load_b64 v[58:59], v39, off
	ds_load_b64 v[62:63], v1
	s_wait_loadcnt_dscnt 0x0
	v_pk_mul_f32 v[64:65], v[62:63], v[58:59] op_sel:[1,1] op_sel_hi:[0,1]
	s_delay_alu instid0(VALU_DEP_1) | instskip(SKIP_1) | instid1(VALU_DEP_2)
	v_pk_fma_f32 v[66:67], v[62:63], v[58:59], v[64:65] op_sel_hi:[1,0,1]
	v_pk_fma_f32 v[58:59], v[62:63], v[58:59], v[64:65] neg_lo:[0,0,1] neg_hi:[0,0,1]
	v_mov_b32_e32 v59, v67
	s_cbranch_execz .LBB26_354
	s_branch .LBB26_355
.LBB26_353:
                                        ; implicit-def: $vgpr58_vgpr59
.LBB26_354:
	ds_load_b64 v[58:59], v1
.LBB26_355:
	s_mov_b32 s2, exec_lo
	v_cmpx_ne_u32_e32 9, v0
	s_cbranch_execz .LBB26_359
; %bb.356:
	v_add_nc_u32_e32 v61, 0xe8, v38
	v_add3_u32 v62, 0, v38, 8
	v_mov_b32_e32 v63, v0
	s_mov_b32 s3, 0
.LBB26_357:                             ; =>This Inner Loop Header: Depth=1
	scratch_load_b64 v[64:65], v62, off
	ds_load_b64 v[66:67], v61
	s_wait_xcnt 0x0
	v_dual_add_nc_u32 v61, 8, v61 :: v_dual_add_nc_u32 v62, 8, v62
	s_wait_loadcnt_dscnt 0x0
	v_pk_mul_f32 v[68:69], v[66:67], v[64:65] op_sel:[1,1] op_sel_hi:[0,1]
	s_delay_alu instid0(VALU_DEP_1) | instskip(SKIP_2) | instid1(VALU_DEP_3)
	v_pk_fma_f32 v[70:71], v[66:67], v[64:65], v[68:69] op_sel_hi:[1,0,1]
	v_add_nc_u32_e32 v63, 1, v63
	v_pk_fma_f32 v[64:65], v[66:67], v[64:65], v[68:69] neg_lo:[0,0,1] neg_hi:[0,0,1]
	v_mov_b32_e32 v65, v71
	s_delay_alu instid0(VALU_DEP_3) | instskip(NEXT) | instid1(VALU_DEP_2)
	v_cmp_lt_u32_e32 vcc_lo, 8, v63
	v_pk_add_f32 v[58:59], v[58:59], v[64:65]
	s_or_b32 s3, vcc_lo, s3
	s_delay_alu instid0(SALU_CYCLE_1)
	s_and_not1_b32 exec_lo, exec_lo, s3
	s_cbranch_execnz .LBB26_357
; %bb.358:
	s_or_b32 exec_lo, exec_lo, s3
.LBB26_359:
	s_delay_alu instid0(SALU_CYCLE_1) | instskip(SKIP_4) | instid1(VALU_DEP_1)
	s_or_b32 exec_lo, exec_lo, s2
	v_mov_b32_e32 v61, 0
	ds_load_b64 v[62:63], v61 offset:80
	s_wait_dscnt 0x0
	v_pk_mul_f32 v[64:65], v[58:59], v[62:63] op_sel:[1,1] op_sel_hi:[0,1]
	v_pk_fma_f32 v[66:67], v[58:59], v[62:63], v[64:65] op_sel_hi:[1,0,1]
	v_pk_fma_f32 v[58:59], v[58:59], v[62:63], v[64:65] neg_lo:[0,0,1] neg_hi:[0,0,1]
	s_delay_alu instid0(VALU_DEP_2)
	v_mov_b32_e32 v59, v67
	scratch_store_b64 off, v[58:59], off offset:80
.LBB26_360:
	s_wait_xcnt 0x0
	s_or_b32 exec_lo, exec_lo, s0
	scratch_load_b64 v[58:59], off, off offset:88
	s_mov_b32 s0, exec_lo
	s_wait_loadcnt 0x0
	ds_store_b64 v1, v[58:59]
	s_wait_storecnt_dscnt 0x0
	s_barrier_signal -1
	s_barrier_wait -1
	s_wait_xcnt 0x0
	v_cmpx_gt_u32_e32 11, v0
	s_cbranch_execz .LBB26_370
; %bb.361:
	v_cmp_ne_u32_e32 vcc_lo, 1, v60
	s_cbranch_vccnz .LBB26_363
; %bb.362:
	scratch_load_b64 v[58:59], v39, off
	ds_load_b64 v[62:63], v1
	s_wait_loadcnt_dscnt 0x0
	v_pk_mul_f32 v[64:65], v[62:63], v[58:59] op_sel:[1,1] op_sel_hi:[0,1]
	s_delay_alu instid0(VALU_DEP_1) | instskip(SKIP_1) | instid1(VALU_DEP_2)
	v_pk_fma_f32 v[66:67], v[62:63], v[58:59], v[64:65] op_sel_hi:[1,0,1]
	v_pk_fma_f32 v[58:59], v[62:63], v[58:59], v[64:65] neg_lo:[0,0,1] neg_hi:[0,0,1]
	v_mov_b32_e32 v59, v67
	s_cbranch_execz .LBB26_364
	s_branch .LBB26_365
.LBB26_363:
                                        ; implicit-def: $vgpr58_vgpr59
.LBB26_364:
	ds_load_b64 v[58:59], v1
.LBB26_365:
	s_mov_b32 s2, exec_lo
	v_cmpx_ne_u32_e32 10, v0
	s_cbranch_execz .LBB26_369
; %bb.366:
	v_add_nc_u32_e32 v61, 0xe8, v38
	v_add3_u32 v62, 0, v38, 8
	v_mov_b32_e32 v63, v0
	s_mov_b32 s3, 0
.LBB26_367:                             ; =>This Inner Loop Header: Depth=1
	scratch_load_b64 v[64:65], v62, off
	ds_load_b64 v[66:67], v61
	s_wait_xcnt 0x0
	v_dual_add_nc_u32 v61, 8, v61 :: v_dual_add_nc_u32 v62, 8, v62
	s_wait_loadcnt_dscnt 0x0
	v_pk_mul_f32 v[68:69], v[66:67], v[64:65] op_sel:[1,1] op_sel_hi:[0,1]
	s_delay_alu instid0(VALU_DEP_1) | instskip(SKIP_2) | instid1(VALU_DEP_3)
	v_pk_fma_f32 v[70:71], v[66:67], v[64:65], v[68:69] op_sel_hi:[1,0,1]
	v_add_nc_u32_e32 v63, 1, v63
	v_pk_fma_f32 v[64:65], v[66:67], v[64:65], v[68:69] neg_lo:[0,0,1] neg_hi:[0,0,1]
	v_mov_b32_e32 v65, v71
	s_delay_alu instid0(VALU_DEP_3) | instskip(NEXT) | instid1(VALU_DEP_2)
	v_cmp_lt_u32_e32 vcc_lo, 9, v63
	v_pk_add_f32 v[58:59], v[58:59], v[64:65]
	s_or_b32 s3, vcc_lo, s3
	s_delay_alu instid0(SALU_CYCLE_1)
	s_and_not1_b32 exec_lo, exec_lo, s3
	s_cbranch_execnz .LBB26_367
; %bb.368:
	s_or_b32 exec_lo, exec_lo, s3
.LBB26_369:
	s_delay_alu instid0(SALU_CYCLE_1) | instskip(SKIP_4) | instid1(VALU_DEP_1)
	s_or_b32 exec_lo, exec_lo, s2
	v_mov_b32_e32 v61, 0
	ds_load_b64 v[62:63], v61 offset:88
	s_wait_dscnt 0x0
	v_pk_mul_f32 v[64:65], v[58:59], v[62:63] op_sel:[1,1] op_sel_hi:[0,1]
	v_pk_fma_f32 v[66:67], v[58:59], v[62:63], v[64:65] op_sel_hi:[1,0,1]
	v_pk_fma_f32 v[58:59], v[58:59], v[62:63], v[64:65] neg_lo:[0,0,1] neg_hi:[0,0,1]
	s_delay_alu instid0(VALU_DEP_2)
	v_mov_b32_e32 v59, v67
	scratch_store_b64 off, v[58:59], off offset:88
.LBB26_370:
	s_wait_xcnt 0x0
	s_or_b32 exec_lo, exec_lo, s0
	scratch_load_b64 v[58:59], off, off offset:96
	s_mov_b32 s0, exec_lo
	s_wait_loadcnt 0x0
	ds_store_b64 v1, v[58:59]
	s_wait_storecnt_dscnt 0x0
	s_barrier_signal -1
	s_barrier_wait -1
	s_wait_xcnt 0x0
	v_cmpx_gt_u32_e32 12, v0
	s_cbranch_execz .LBB26_380
; %bb.371:
	v_cmp_ne_u32_e32 vcc_lo, 1, v60
	s_cbranch_vccnz .LBB26_373
; %bb.372:
	scratch_load_b64 v[58:59], v39, off
	ds_load_b64 v[62:63], v1
	s_wait_loadcnt_dscnt 0x0
	v_pk_mul_f32 v[64:65], v[62:63], v[58:59] op_sel:[1,1] op_sel_hi:[0,1]
	s_delay_alu instid0(VALU_DEP_1) | instskip(SKIP_1) | instid1(VALU_DEP_2)
	v_pk_fma_f32 v[66:67], v[62:63], v[58:59], v[64:65] op_sel_hi:[1,0,1]
	v_pk_fma_f32 v[58:59], v[62:63], v[58:59], v[64:65] neg_lo:[0,0,1] neg_hi:[0,0,1]
	v_mov_b32_e32 v59, v67
	s_cbranch_execz .LBB26_374
	s_branch .LBB26_375
.LBB26_373:
                                        ; implicit-def: $vgpr58_vgpr59
.LBB26_374:
	ds_load_b64 v[58:59], v1
.LBB26_375:
	s_mov_b32 s2, exec_lo
	v_cmpx_ne_u32_e32 11, v0
	s_cbranch_execz .LBB26_379
; %bb.376:
	v_add_nc_u32_e32 v61, 0xe8, v38
	v_add3_u32 v62, 0, v38, 8
	v_mov_b32_e32 v63, v0
	s_mov_b32 s3, 0
.LBB26_377:                             ; =>This Inner Loop Header: Depth=1
	scratch_load_b64 v[64:65], v62, off
	ds_load_b64 v[66:67], v61
	s_wait_xcnt 0x0
	v_dual_add_nc_u32 v61, 8, v61 :: v_dual_add_nc_u32 v62, 8, v62
	s_wait_loadcnt_dscnt 0x0
	v_pk_mul_f32 v[68:69], v[66:67], v[64:65] op_sel:[1,1] op_sel_hi:[0,1]
	s_delay_alu instid0(VALU_DEP_1) | instskip(SKIP_2) | instid1(VALU_DEP_3)
	v_pk_fma_f32 v[70:71], v[66:67], v[64:65], v[68:69] op_sel_hi:[1,0,1]
	v_add_nc_u32_e32 v63, 1, v63
	v_pk_fma_f32 v[64:65], v[66:67], v[64:65], v[68:69] neg_lo:[0,0,1] neg_hi:[0,0,1]
	v_mov_b32_e32 v65, v71
	s_delay_alu instid0(VALU_DEP_3) | instskip(NEXT) | instid1(VALU_DEP_2)
	v_cmp_lt_u32_e32 vcc_lo, 10, v63
	v_pk_add_f32 v[58:59], v[58:59], v[64:65]
	s_or_b32 s3, vcc_lo, s3
	s_delay_alu instid0(SALU_CYCLE_1)
	s_and_not1_b32 exec_lo, exec_lo, s3
	s_cbranch_execnz .LBB26_377
; %bb.378:
	s_or_b32 exec_lo, exec_lo, s3
.LBB26_379:
	s_delay_alu instid0(SALU_CYCLE_1) | instskip(SKIP_4) | instid1(VALU_DEP_1)
	s_or_b32 exec_lo, exec_lo, s2
	v_mov_b32_e32 v61, 0
	ds_load_b64 v[62:63], v61 offset:96
	s_wait_dscnt 0x0
	v_pk_mul_f32 v[64:65], v[58:59], v[62:63] op_sel:[1,1] op_sel_hi:[0,1]
	v_pk_fma_f32 v[66:67], v[58:59], v[62:63], v[64:65] op_sel_hi:[1,0,1]
	v_pk_fma_f32 v[58:59], v[58:59], v[62:63], v[64:65] neg_lo:[0,0,1] neg_hi:[0,0,1]
	s_delay_alu instid0(VALU_DEP_2)
	v_mov_b32_e32 v59, v67
	scratch_store_b64 off, v[58:59], off offset:96
.LBB26_380:
	s_wait_xcnt 0x0
	s_or_b32 exec_lo, exec_lo, s0
	scratch_load_b64 v[58:59], off, off offset:104
	s_mov_b32 s0, exec_lo
	s_wait_loadcnt 0x0
	ds_store_b64 v1, v[58:59]
	s_wait_storecnt_dscnt 0x0
	s_barrier_signal -1
	s_barrier_wait -1
	s_wait_xcnt 0x0
	v_cmpx_gt_u32_e32 13, v0
	s_cbranch_execz .LBB26_390
; %bb.381:
	v_cmp_ne_u32_e32 vcc_lo, 1, v60
	s_cbranch_vccnz .LBB26_383
; %bb.382:
	scratch_load_b64 v[58:59], v39, off
	ds_load_b64 v[62:63], v1
	s_wait_loadcnt_dscnt 0x0
	v_pk_mul_f32 v[64:65], v[62:63], v[58:59] op_sel:[1,1] op_sel_hi:[0,1]
	s_delay_alu instid0(VALU_DEP_1) | instskip(SKIP_1) | instid1(VALU_DEP_2)
	v_pk_fma_f32 v[66:67], v[62:63], v[58:59], v[64:65] op_sel_hi:[1,0,1]
	v_pk_fma_f32 v[58:59], v[62:63], v[58:59], v[64:65] neg_lo:[0,0,1] neg_hi:[0,0,1]
	v_mov_b32_e32 v59, v67
	s_cbranch_execz .LBB26_384
	s_branch .LBB26_385
.LBB26_383:
                                        ; implicit-def: $vgpr58_vgpr59
.LBB26_384:
	ds_load_b64 v[58:59], v1
.LBB26_385:
	s_mov_b32 s2, exec_lo
	v_cmpx_ne_u32_e32 12, v0
	s_cbranch_execz .LBB26_389
; %bb.386:
	v_add_nc_u32_e32 v61, 0xe8, v38
	v_add3_u32 v62, 0, v38, 8
	v_mov_b32_e32 v63, v0
	s_mov_b32 s3, 0
.LBB26_387:                             ; =>This Inner Loop Header: Depth=1
	scratch_load_b64 v[64:65], v62, off
	ds_load_b64 v[66:67], v61
	s_wait_xcnt 0x0
	v_dual_add_nc_u32 v61, 8, v61 :: v_dual_add_nc_u32 v62, 8, v62
	s_wait_loadcnt_dscnt 0x0
	v_pk_mul_f32 v[68:69], v[66:67], v[64:65] op_sel:[1,1] op_sel_hi:[0,1]
	s_delay_alu instid0(VALU_DEP_1) | instskip(SKIP_2) | instid1(VALU_DEP_3)
	v_pk_fma_f32 v[70:71], v[66:67], v[64:65], v[68:69] op_sel_hi:[1,0,1]
	v_add_nc_u32_e32 v63, 1, v63
	v_pk_fma_f32 v[64:65], v[66:67], v[64:65], v[68:69] neg_lo:[0,0,1] neg_hi:[0,0,1]
	v_mov_b32_e32 v65, v71
	s_delay_alu instid0(VALU_DEP_3) | instskip(NEXT) | instid1(VALU_DEP_2)
	v_cmp_lt_u32_e32 vcc_lo, 11, v63
	v_pk_add_f32 v[58:59], v[58:59], v[64:65]
	s_or_b32 s3, vcc_lo, s3
	s_delay_alu instid0(SALU_CYCLE_1)
	s_and_not1_b32 exec_lo, exec_lo, s3
	s_cbranch_execnz .LBB26_387
; %bb.388:
	s_or_b32 exec_lo, exec_lo, s3
.LBB26_389:
	s_delay_alu instid0(SALU_CYCLE_1) | instskip(SKIP_4) | instid1(VALU_DEP_1)
	s_or_b32 exec_lo, exec_lo, s2
	v_mov_b32_e32 v61, 0
	ds_load_b64 v[62:63], v61 offset:104
	s_wait_dscnt 0x0
	v_pk_mul_f32 v[64:65], v[58:59], v[62:63] op_sel:[1,1] op_sel_hi:[0,1]
	v_pk_fma_f32 v[66:67], v[58:59], v[62:63], v[64:65] op_sel_hi:[1,0,1]
	v_pk_fma_f32 v[58:59], v[58:59], v[62:63], v[64:65] neg_lo:[0,0,1] neg_hi:[0,0,1]
	s_delay_alu instid0(VALU_DEP_2)
	v_mov_b32_e32 v59, v67
	scratch_store_b64 off, v[58:59], off offset:104
.LBB26_390:
	s_wait_xcnt 0x0
	s_or_b32 exec_lo, exec_lo, s0
	scratch_load_b64 v[58:59], off, off offset:112
	s_mov_b32 s0, exec_lo
	s_wait_loadcnt 0x0
	ds_store_b64 v1, v[58:59]
	s_wait_storecnt_dscnt 0x0
	s_barrier_signal -1
	s_barrier_wait -1
	s_wait_xcnt 0x0
	v_cmpx_gt_u32_e32 14, v0
	s_cbranch_execz .LBB26_400
; %bb.391:
	v_cmp_ne_u32_e32 vcc_lo, 1, v60
	s_cbranch_vccnz .LBB26_393
; %bb.392:
	scratch_load_b64 v[58:59], v39, off
	ds_load_b64 v[62:63], v1
	s_wait_loadcnt_dscnt 0x0
	v_pk_mul_f32 v[64:65], v[62:63], v[58:59] op_sel:[1,1] op_sel_hi:[0,1]
	s_delay_alu instid0(VALU_DEP_1) | instskip(SKIP_1) | instid1(VALU_DEP_2)
	v_pk_fma_f32 v[66:67], v[62:63], v[58:59], v[64:65] op_sel_hi:[1,0,1]
	v_pk_fma_f32 v[58:59], v[62:63], v[58:59], v[64:65] neg_lo:[0,0,1] neg_hi:[0,0,1]
	v_mov_b32_e32 v59, v67
	s_cbranch_execz .LBB26_394
	s_branch .LBB26_395
.LBB26_393:
                                        ; implicit-def: $vgpr58_vgpr59
.LBB26_394:
	ds_load_b64 v[58:59], v1
.LBB26_395:
	s_mov_b32 s2, exec_lo
	v_cmpx_ne_u32_e32 13, v0
	s_cbranch_execz .LBB26_399
; %bb.396:
	v_add_nc_u32_e32 v61, 0xe8, v38
	v_add3_u32 v62, 0, v38, 8
	v_mov_b32_e32 v63, v0
	s_mov_b32 s3, 0
.LBB26_397:                             ; =>This Inner Loop Header: Depth=1
	scratch_load_b64 v[64:65], v62, off
	ds_load_b64 v[66:67], v61
	s_wait_xcnt 0x0
	v_dual_add_nc_u32 v61, 8, v61 :: v_dual_add_nc_u32 v62, 8, v62
	s_wait_loadcnt_dscnt 0x0
	v_pk_mul_f32 v[68:69], v[66:67], v[64:65] op_sel:[1,1] op_sel_hi:[0,1]
	s_delay_alu instid0(VALU_DEP_1) | instskip(SKIP_2) | instid1(VALU_DEP_3)
	v_pk_fma_f32 v[70:71], v[66:67], v[64:65], v[68:69] op_sel_hi:[1,0,1]
	v_add_nc_u32_e32 v63, 1, v63
	v_pk_fma_f32 v[64:65], v[66:67], v[64:65], v[68:69] neg_lo:[0,0,1] neg_hi:[0,0,1]
	v_mov_b32_e32 v65, v71
	s_delay_alu instid0(VALU_DEP_3) | instskip(NEXT) | instid1(VALU_DEP_2)
	v_cmp_lt_u32_e32 vcc_lo, 12, v63
	v_pk_add_f32 v[58:59], v[58:59], v[64:65]
	s_or_b32 s3, vcc_lo, s3
	s_delay_alu instid0(SALU_CYCLE_1)
	s_and_not1_b32 exec_lo, exec_lo, s3
	s_cbranch_execnz .LBB26_397
; %bb.398:
	s_or_b32 exec_lo, exec_lo, s3
.LBB26_399:
	s_delay_alu instid0(SALU_CYCLE_1) | instskip(SKIP_4) | instid1(VALU_DEP_1)
	s_or_b32 exec_lo, exec_lo, s2
	v_mov_b32_e32 v61, 0
	ds_load_b64 v[62:63], v61 offset:112
	s_wait_dscnt 0x0
	v_pk_mul_f32 v[64:65], v[58:59], v[62:63] op_sel:[1,1] op_sel_hi:[0,1]
	v_pk_fma_f32 v[66:67], v[58:59], v[62:63], v[64:65] op_sel_hi:[1,0,1]
	v_pk_fma_f32 v[58:59], v[58:59], v[62:63], v[64:65] neg_lo:[0,0,1] neg_hi:[0,0,1]
	s_delay_alu instid0(VALU_DEP_2)
	v_mov_b32_e32 v59, v67
	scratch_store_b64 off, v[58:59], off offset:112
.LBB26_400:
	s_wait_xcnt 0x0
	s_or_b32 exec_lo, exec_lo, s0
	scratch_load_b64 v[58:59], off, off offset:120
	s_mov_b32 s0, exec_lo
	s_wait_loadcnt 0x0
	ds_store_b64 v1, v[58:59]
	s_wait_storecnt_dscnt 0x0
	s_barrier_signal -1
	s_barrier_wait -1
	s_wait_xcnt 0x0
	v_cmpx_gt_u32_e32 15, v0
	s_cbranch_execz .LBB26_410
; %bb.401:
	v_cmp_ne_u32_e32 vcc_lo, 1, v60
	s_cbranch_vccnz .LBB26_403
; %bb.402:
	scratch_load_b64 v[58:59], v39, off
	ds_load_b64 v[62:63], v1
	s_wait_loadcnt_dscnt 0x0
	v_pk_mul_f32 v[64:65], v[62:63], v[58:59] op_sel:[1,1] op_sel_hi:[0,1]
	s_delay_alu instid0(VALU_DEP_1) | instskip(SKIP_1) | instid1(VALU_DEP_2)
	v_pk_fma_f32 v[66:67], v[62:63], v[58:59], v[64:65] op_sel_hi:[1,0,1]
	v_pk_fma_f32 v[58:59], v[62:63], v[58:59], v[64:65] neg_lo:[0,0,1] neg_hi:[0,0,1]
	v_mov_b32_e32 v59, v67
	s_cbranch_execz .LBB26_404
	s_branch .LBB26_405
.LBB26_403:
                                        ; implicit-def: $vgpr58_vgpr59
.LBB26_404:
	ds_load_b64 v[58:59], v1
.LBB26_405:
	s_mov_b32 s2, exec_lo
	v_cmpx_ne_u32_e32 14, v0
	s_cbranch_execz .LBB26_409
; %bb.406:
	v_add_nc_u32_e32 v61, 0xe8, v38
	v_add3_u32 v62, 0, v38, 8
	v_mov_b32_e32 v63, v0
	s_mov_b32 s3, 0
.LBB26_407:                             ; =>This Inner Loop Header: Depth=1
	scratch_load_b64 v[64:65], v62, off
	ds_load_b64 v[66:67], v61
	s_wait_xcnt 0x0
	v_dual_add_nc_u32 v61, 8, v61 :: v_dual_add_nc_u32 v62, 8, v62
	s_wait_loadcnt_dscnt 0x0
	v_pk_mul_f32 v[68:69], v[66:67], v[64:65] op_sel:[1,1] op_sel_hi:[0,1]
	s_delay_alu instid0(VALU_DEP_1) | instskip(SKIP_2) | instid1(VALU_DEP_3)
	v_pk_fma_f32 v[70:71], v[66:67], v[64:65], v[68:69] op_sel_hi:[1,0,1]
	v_add_nc_u32_e32 v63, 1, v63
	v_pk_fma_f32 v[64:65], v[66:67], v[64:65], v[68:69] neg_lo:[0,0,1] neg_hi:[0,0,1]
	v_mov_b32_e32 v65, v71
	s_delay_alu instid0(VALU_DEP_3) | instskip(NEXT) | instid1(VALU_DEP_2)
	v_cmp_lt_u32_e32 vcc_lo, 13, v63
	v_pk_add_f32 v[58:59], v[58:59], v[64:65]
	s_or_b32 s3, vcc_lo, s3
	s_delay_alu instid0(SALU_CYCLE_1)
	s_and_not1_b32 exec_lo, exec_lo, s3
	s_cbranch_execnz .LBB26_407
; %bb.408:
	s_or_b32 exec_lo, exec_lo, s3
.LBB26_409:
	s_delay_alu instid0(SALU_CYCLE_1) | instskip(SKIP_4) | instid1(VALU_DEP_1)
	s_or_b32 exec_lo, exec_lo, s2
	v_mov_b32_e32 v61, 0
	ds_load_b64 v[62:63], v61 offset:120
	s_wait_dscnt 0x0
	v_pk_mul_f32 v[64:65], v[58:59], v[62:63] op_sel:[1,1] op_sel_hi:[0,1]
	v_pk_fma_f32 v[66:67], v[58:59], v[62:63], v[64:65] op_sel_hi:[1,0,1]
	v_pk_fma_f32 v[58:59], v[58:59], v[62:63], v[64:65] neg_lo:[0,0,1] neg_hi:[0,0,1]
	s_delay_alu instid0(VALU_DEP_2)
	v_mov_b32_e32 v59, v67
	scratch_store_b64 off, v[58:59], off offset:120
.LBB26_410:
	s_wait_xcnt 0x0
	s_or_b32 exec_lo, exec_lo, s0
	scratch_load_b64 v[58:59], off, off offset:128
	s_mov_b32 s0, exec_lo
	s_wait_loadcnt 0x0
	ds_store_b64 v1, v[58:59]
	s_wait_storecnt_dscnt 0x0
	s_barrier_signal -1
	s_barrier_wait -1
	s_wait_xcnt 0x0
	v_cmpx_gt_u32_e32 16, v0
	s_cbranch_execz .LBB26_420
; %bb.411:
	v_cmp_ne_u32_e32 vcc_lo, 1, v60
	s_cbranch_vccnz .LBB26_413
; %bb.412:
	scratch_load_b64 v[58:59], v39, off
	ds_load_b64 v[62:63], v1
	s_wait_loadcnt_dscnt 0x0
	v_pk_mul_f32 v[64:65], v[62:63], v[58:59] op_sel:[1,1] op_sel_hi:[0,1]
	s_delay_alu instid0(VALU_DEP_1) | instskip(SKIP_1) | instid1(VALU_DEP_2)
	v_pk_fma_f32 v[66:67], v[62:63], v[58:59], v[64:65] op_sel_hi:[1,0,1]
	v_pk_fma_f32 v[58:59], v[62:63], v[58:59], v[64:65] neg_lo:[0,0,1] neg_hi:[0,0,1]
	v_mov_b32_e32 v59, v67
	s_cbranch_execz .LBB26_414
	s_branch .LBB26_415
.LBB26_413:
                                        ; implicit-def: $vgpr58_vgpr59
.LBB26_414:
	ds_load_b64 v[58:59], v1
.LBB26_415:
	s_mov_b32 s2, exec_lo
	v_cmpx_ne_u32_e32 15, v0
	s_cbranch_execz .LBB26_419
; %bb.416:
	v_add_nc_u32_e32 v61, 0xe8, v38
	v_add3_u32 v62, 0, v38, 8
	v_mov_b32_e32 v63, v0
	s_mov_b32 s3, 0
.LBB26_417:                             ; =>This Inner Loop Header: Depth=1
	scratch_load_b64 v[64:65], v62, off
	ds_load_b64 v[66:67], v61
	s_wait_xcnt 0x0
	v_dual_add_nc_u32 v61, 8, v61 :: v_dual_add_nc_u32 v62, 8, v62
	s_wait_loadcnt_dscnt 0x0
	v_pk_mul_f32 v[68:69], v[66:67], v[64:65] op_sel:[1,1] op_sel_hi:[0,1]
	s_delay_alu instid0(VALU_DEP_1) | instskip(SKIP_2) | instid1(VALU_DEP_3)
	v_pk_fma_f32 v[70:71], v[66:67], v[64:65], v[68:69] op_sel_hi:[1,0,1]
	v_add_nc_u32_e32 v63, 1, v63
	v_pk_fma_f32 v[64:65], v[66:67], v[64:65], v[68:69] neg_lo:[0,0,1] neg_hi:[0,0,1]
	v_mov_b32_e32 v65, v71
	s_delay_alu instid0(VALU_DEP_3) | instskip(NEXT) | instid1(VALU_DEP_2)
	v_cmp_lt_u32_e32 vcc_lo, 14, v63
	v_pk_add_f32 v[58:59], v[58:59], v[64:65]
	s_or_b32 s3, vcc_lo, s3
	s_delay_alu instid0(SALU_CYCLE_1)
	s_and_not1_b32 exec_lo, exec_lo, s3
	s_cbranch_execnz .LBB26_417
; %bb.418:
	s_or_b32 exec_lo, exec_lo, s3
.LBB26_419:
	s_delay_alu instid0(SALU_CYCLE_1) | instskip(SKIP_4) | instid1(VALU_DEP_1)
	s_or_b32 exec_lo, exec_lo, s2
	v_mov_b32_e32 v61, 0
	ds_load_b64 v[62:63], v61 offset:128
	s_wait_dscnt 0x0
	v_pk_mul_f32 v[64:65], v[58:59], v[62:63] op_sel:[1,1] op_sel_hi:[0,1]
	v_pk_fma_f32 v[66:67], v[58:59], v[62:63], v[64:65] op_sel_hi:[1,0,1]
	v_pk_fma_f32 v[58:59], v[58:59], v[62:63], v[64:65] neg_lo:[0,0,1] neg_hi:[0,0,1]
	s_delay_alu instid0(VALU_DEP_2)
	v_mov_b32_e32 v59, v67
	scratch_store_b64 off, v[58:59], off offset:128
.LBB26_420:
	s_wait_xcnt 0x0
	s_or_b32 exec_lo, exec_lo, s0
	scratch_load_b64 v[58:59], off, off offset:136
	s_mov_b32 s0, exec_lo
	s_wait_loadcnt 0x0
	ds_store_b64 v1, v[58:59]
	s_wait_storecnt_dscnt 0x0
	s_barrier_signal -1
	s_barrier_wait -1
	s_wait_xcnt 0x0
	v_cmpx_gt_u32_e32 17, v0
	s_cbranch_execz .LBB26_430
; %bb.421:
	v_cmp_ne_u32_e32 vcc_lo, 1, v60
	s_cbranch_vccnz .LBB26_423
; %bb.422:
	scratch_load_b64 v[58:59], v39, off
	ds_load_b64 v[62:63], v1
	s_wait_loadcnt_dscnt 0x0
	v_pk_mul_f32 v[64:65], v[62:63], v[58:59] op_sel:[1,1] op_sel_hi:[0,1]
	s_delay_alu instid0(VALU_DEP_1) | instskip(SKIP_1) | instid1(VALU_DEP_2)
	v_pk_fma_f32 v[66:67], v[62:63], v[58:59], v[64:65] op_sel_hi:[1,0,1]
	v_pk_fma_f32 v[58:59], v[62:63], v[58:59], v[64:65] neg_lo:[0,0,1] neg_hi:[0,0,1]
	v_mov_b32_e32 v59, v67
	s_cbranch_execz .LBB26_424
	s_branch .LBB26_425
.LBB26_423:
                                        ; implicit-def: $vgpr58_vgpr59
.LBB26_424:
	ds_load_b64 v[58:59], v1
.LBB26_425:
	s_mov_b32 s2, exec_lo
	v_cmpx_ne_u32_e32 16, v0
	s_cbranch_execz .LBB26_429
; %bb.426:
	v_add_nc_u32_e32 v61, 0xe8, v38
	v_add3_u32 v62, 0, v38, 8
	v_mov_b32_e32 v63, v0
	s_mov_b32 s3, 0
.LBB26_427:                             ; =>This Inner Loop Header: Depth=1
	scratch_load_b64 v[64:65], v62, off
	ds_load_b64 v[66:67], v61
	s_wait_xcnt 0x0
	v_dual_add_nc_u32 v61, 8, v61 :: v_dual_add_nc_u32 v62, 8, v62
	s_wait_loadcnt_dscnt 0x0
	v_pk_mul_f32 v[68:69], v[66:67], v[64:65] op_sel:[1,1] op_sel_hi:[0,1]
	s_delay_alu instid0(VALU_DEP_1) | instskip(SKIP_2) | instid1(VALU_DEP_3)
	v_pk_fma_f32 v[70:71], v[66:67], v[64:65], v[68:69] op_sel_hi:[1,0,1]
	v_add_nc_u32_e32 v63, 1, v63
	v_pk_fma_f32 v[64:65], v[66:67], v[64:65], v[68:69] neg_lo:[0,0,1] neg_hi:[0,0,1]
	v_mov_b32_e32 v65, v71
	s_delay_alu instid0(VALU_DEP_3) | instskip(NEXT) | instid1(VALU_DEP_2)
	v_cmp_lt_u32_e32 vcc_lo, 15, v63
	v_pk_add_f32 v[58:59], v[58:59], v[64:65]
	s_or_b32 s3, vcc_lo, s3
	s_delay_alu instid0(SALU_CYCLE_1)
	s_and_not1_b32 exec_lo, exec_lo, s3
	s_cbranch_execnz .LBB26_427
; %bb.428:
	s_or_b32 exec_lo, exec_lo, s3
.LBB26_429:
	s_delay_alu instid0(SALU_CYCLE_1) | instskip(SKIP_4) | instid1(VALU_DEP_1)
	s_or_b32 exec_lo, exec_lo, s2
	v_mov_b32_e32 v61, 0
	ds_load_b64 v[62:63], v61 offset:136
	s_wait_dscnt 0x0
	v_pk_mul_f32 v[64:65], v[58:59], v[62:63] op_sel:[1,1] op_sel_hi:[0,1]
	v_pk_fma_f32 v[66:67], v[58:59], v[62:63], v[64:65] op_sel_hi:[1,0,1]
	v_pk_fma_f32 v[58:59], v[58:59], v[62:63], v[64:65] neg_lo:[0,0,1] neg_hi:[0,0,1]
	s_delay_alu instid0(VALU_DEP_2)
	v_mov_b32_e32 v59, v67
	scratch_store_b64 off, v[58:59], off offset:136
.LBB26_430:
	s_wait_xcnt 0x0
	s_or_b32 exec_lo, exec_lo, s0
	scratch_load_b64 v[58:59], off, off offset:144
	s_mov_b32 s0, exec_lo
	s_wait_loadcnt 0x0
	ds_store_b64 v1, v[58:59]
	s_wait_storecnt_dscnt 0x0
	s_barrier_signal -1
	s_barrier_wait -1
	s_wait_xcnt 0x0
	v_cmpx_gt_u32_e32 18, v0
	s_cbranch_execz .LBB26_440
; %bb.431:
	v_cmp_ne_u32_e32 vcc_lo, 1, v60
	s_cbranch_vccnz .LBB26_433
; %bb.432:
	scratch_load_b64 v[58:59], v39, off
	ds_load_b64 v[62:63], v1
	s_wait_loadcnt_dscnt 0x0
	v_pk_mul_f32 v[64:65], v[62:63], v[58:59] op_sel:[1,1] op_sel_hi:[0,1]
	s_delay_alu instid0(VALU_DEP_1) | instskip(SKIP_1) | instid1(VALU_DEP_2)
	v_pk_fma_f32 v[66:67], v[62:63], v[58:59], v[64:65] op_sel_hi:[1,0,1]
	v_pk_fma_f32 v[58:59], v[62:63], v[58:59], v[64:65] neg_lo:[0,0,1] neg_hi:[0,0,1]
	v_mov_b32_e32 v59, v67
	s_cbranch_execz .LBB26_434
	s_branch .LBB26_435
.LBB26_433:
                                        ; implicit-def: $vgpr58_vgpr59
.LBB26_434:
	ds_load_b64 v[58:59], v1
.LBB26_435:
	s_mov_b32 s2, exec_lo
	v_cmpx_ne_u32_e32 17, v0
	s_cbranch_execz .LBB26_439
; %bb.436:
	v_add_nc_u32_e32 v61, 0xe8, v38
	v_add3_u32 v62, 0, v38, 8
	v_mov_b32_e32 v63, v0
	s_mov_b32 s3, 0
.LBB26_437:                             ; =>This Inner Loop Header: Depth=1
	scratch_load_b64 v[64:65], v62, off
	ds_load_b64 v[66:67], v61
	s_wait_xcnt 0x0
	v_dual_add_nc_u32 v61, 8, v61 :: v_dual_add_nc_u32 v62, 8, v62
	s_wait_loadcnt_dscnt 0x0
	v_pk_mul_f32 v[68:69], v[66:67], v[64:65] op_sel:[1,1] op_sel_hi:[0,1]
	s_delay_alu instid0(VALU_DEP_1) | instskip(SKIP_2) | instid1(VALU_DEP_3)
	v_pk_fma_f32 v[70:71], v[66:67], v[64:65], v[68:69] op_sel_hi:[1,0,1]
	v_add_nc_u32_e32 v63, 1, v63
	v_pk_fma_f32 v[64:65], v[66:67], v[64:65], v[68:69] neg_lo:[0,0,1] neg_hi:[0,0,1]
	v_mov_b32_e32 v65, v71
	s_delay_alu instid0(VALU_DEP_3) | instskip(NEXT) | instid1(VALU_DEP_2)
	v_cmp_lt_u32_e32 vcc_lo, 16, v63
	v_pk_add_f32 v[58:59], v[58:59], v[64:65]
	s_or_b32 s3, vcc_lo, s3
	s_delay_alu instid0(SALU_CYCLE_1)
	s_and_not1_b32 exec_lo, exec_lo, s3
	s_cbranch_execnz .LBB26_437
; %bb.438:
	s_or_b32 exec_lo, exec_lo, s3
.LBB26_439:
	s_delay_alu instid0(SALU_CYCLE_1) | instskip(SKIP_4) | instid1(VALU_DEP_1)
	s_or_b32 exec_lo, exec_lo, s2
	v_mov_b32_e32 v61, 0
	ds_load_b64 v[62:63], v61 offset:144
	s_wait_dscnt 0x0
	v_pk_mul_f32 v[64:65], v[58:59], v[62:63] op_sel:[1,1] op_sel_hi:[0,1]
	v_pk_fma_f32 v[66:67], v[58:59], v[62:63], v[64:65] op_sel_hi:[1,0,1]
	v_pk_fma_f32 v[58:59], v[58:59], v[62:63], v[64:65] neg_lo:[0,0,1] neg_hi:[0,0,1]
	s_delay_alu instid0(VALU_DEP_2)
	v_mov_b32_e32 v59, v67
	scratch_store_b64 off, v[58:59], off offset:144
.LBB26_440:
	s_wait_xcnt 0x0
	s_or_b32 exec_lo, exec_lo, s0
	scratch_load_b64 v[58:59], off, off offset:152
	s_mov_b32 s0, exec_lo
	s_wait_loadcnt 0x0
	ds_store_b64 v1, v[58:59]
	s_wait_storecnt_dscnt 0x0
	s_barrier_signal -1
	s_barrier_wait -1
	s_wait_xcnt 0x0
	v_cmpx_gt_u32_e32 19, v0
	s_cbranch_execz .LBB26_450
; %bb.441:
	v_cmp_ne_u32_e32 vcc_lo, 1, v60
	s_cbranch_vccnz .LBB26_443
; %bb.442:
	scratch_load_b64 v[58:59], v39, off
	ds_load_b64 v[62:63], v1
	s_wait_loadcnt_dscnt 0x0
	v_pk_mul_f32 v[64:65], v[62:63], v[58:59] op_sel:[1,1] op_sel_hi:[0,1]
	s_delay_alu instid0(VALU_DEP_1) | instskip(SKIP_1) | instid1(VALU_DEP_2)
	v_pk_fma_f32 v[66:67], v[62:63], v[58:59], v[64:65] op_sel_hi:[1,0,1]
	v_pk_fma_f32 v[58:59], v[62:63], v[58:59], v[64:65] neg_lo:[0,0,1] neg_hi:[0,0,1]
	v_mov_b32_e32 v59, v67
	s_cbranch_execz .LBB26_444
	s_branch .LBB26_445
.LBB26_443:
                                        ; implicit-def: $vgpr58_vgpr59
.LBB26_444:
	ds_load_b64 v[58:59], v1
.LBB26_445:
	s_mov_b32 s2, exec_lo
	v_cmpx_ne_u32_e32 18, v0
	s_cbranch_execz .LBB26_449
; %bb.446:
	v_add_nc_u32_e32 v61, 0xe8, v38
	v_add3_u32 v62, 0, v38, 8
	v_mov_b32_e32 v63, v0
	s_mov_b32 s3, 0
.LBB26_447:                             ; =>This Inner Loop Header: Depth=1
	scratch_load_b64 v[64:65], v62, off
	ds_load_b64 v[66:67], v61
	s_wait_xcnt 0x0
	v_dual_add_nc_u32 v61, 8, v61 :: v_dual_add_nc_u32 v62, 8, v62
	s_wait_loadcnt_dscnt 0x0
	v_pk_mul_f32 v[68:69], v[66:67], v[64:65] op_sel:[1,1] op_sel_hi:[0,1]
	s_delay_alu instid0(VALU_DEP_1) | instskip(SKIP_2) | instid1(VALU_DEP_3)
	v_pk_fma_f32 v[70:71], v[66:67], v[64:65], v[68:69] op_sel_hi:[1,0,1]
	v_add_nc_u32_e32 v63, 1, v63
	v_pk_fma_f32 v[64:65], v[66:67], v[64:65], v[68:69] neg_lo:[0,0,1] neg_hi:[0,0,1]
	v_mov_b32_e32 v65, v71
	s_delay_alu instid0(VALU_DEP_3) | instskip(NEXT) | instid1(VALU_DEP_2)
	v_cmp_lt_u32_e32 vcc_lo, 17, v63
	v_pk_add_f32 v[58:59], v[58:59], v[64:65]
	s_or_b32 s3, vcc_lo, s3
	s_delay_alu instid0(SALU_CYCLE_1)
	s_and_not1_b32 exec_lo, exec_lo, s3
	s_cbranch_execnz .LBB26_447
; %bb.448:
	s_or_b32 exec_lo, exec_lo, s3
.LBB26_449:
	s_delay_alu instid0(SALU_CYCLE_1) | instskip(SKIP_4) | instid1(VALU_DEP_1)
	s_or_b32 exec_lo, exec_lo, s2
	v_mov_b32_e32 v61, 0
	ds_load_b64 v[62:63], v61 offset:152
	s_wait_dscnt 0x0
	v_pk_mul_f32 v[64:65], v[58:59], v[62:63] op_sel:[1,1] op_sel_hi:[0,1]
	v_pk_fma_f32 v[66:67], v[58:59], v[62:63], v[64:65] op_sel_hi:[1,0,1]
	v_pk_fma_f32 v[58:59], v[58:59], v[62:63], v[64:65] neg_lo:[0,0,1] neg_hi:[0,0,1]
	s_delay_alu instid0(VALU_DEP_2)
	v_mov_b32_e32 v59, v67
	scratch_store_b64 off, v[58:59], off offset:152
.LBB26_450:
	s_wait_xcnt 0x0
	s_or_b32 exec_lo, exec_lo, s0
	scratch_load_b64 v[58:59], off, off offset:160
	s_mov_b32 s0, exec_lo
	s_wait_loadcnt 0x0
	ds_store_b64 v1, v[58:59]
	s_wait_storecnt_dscnt 0x0
	s_barrier_signal -1
	s_barrier_wait -1
	s_wait_xcnt 0x0
	v_cmpx_gt_u32_e32 20, v0
	s_cbranch_execz .LBB26_460
; %bb.451:
	v_cmp_ne_u32_e32 vcc_lo, 1, v60
	s_cbranch_vccnz .LBB26_453
; %bb.452:
	scratch_load_b64 v[58:59], v39, off
	ds_load_b64 v[62:63], v1
	s_wait_loadcnt_dscnt 0x0
	v_pk_mul_f32 v[64:65], v[62:63], v[58:59] op_sel:[1,1] op_sel_hi:[0,1]
	s_delay_alu instid0(VALU_DEP_1) | instskip(SKIP_1) | instid1(VALU_DEP_2)
	v_pk_fma_f32 v[66:67], v[62:63], v[58:59], v[64:65] op_sel_hi:[1,0,1]
	v_pk_fma_f32 v[58:59], v[62:63], v[58:59], v[64:65] neg_lo:[0,0,1] neg_hi:[0,0,1]
	v_mov_b32_e32 v59, v67
	s_cbranch_execz .LBB26_454
	s_branch .LBB26_455
.LBB26_453:
                                        ; implicit-def: $vgpr58_vgpr59
.LBB26_454:
	ds_load_b64 v[58:59], v1
.LBB26_455:
	s_mov_b32 s2, exec_lo
	v_cmpx_ne_u32_e32 19, v0
	s_cbranch_execz .LBB26_459
; %bb.456:
	v_add_nc_u32_e32 v61, 0xe8, v38
	v_add3_u32 v62, 0, v38, 8
	v_mov_b32_e32 v63, v0
	s_mov_b32 s3, 0
.LBB26_457:                             ; =>This Inner Loop Header: Depth=1
	scratch_load_b64 v[64:65], v62, off
	ds_load_b64 v[66:67], v61
	s_wait_xcnt 0x0
	v_dual_add_nc_u32 v61, 8, v61 :: v_dual_add_nc_u32 v62, 8, v62
	s_wait_loadcnt_dscnt 0x0
	v_pk_mul_f32 v[68:69], v[66:67], v[64:65] op_sel:[1,1] op_sel_hi:[0,1]
	s_delay_alu instid0(VALU_DEP_1) | instskip(SKIP_2) | instid1(VALU_DEP_3)
	v_pk_fma_f32 v[70:71], v[66:67], v[64:65], v[68:69] op_sel_hi:[1,0,1]
	v_add_nc_u32_e32 v63, 1, v63
	v_pk_fma_f32 v[64:65], v[66:67], v[64:65], v[68:69] neg_lo:[0,0,1] neg_hi:[0,0,1]
	v_mov_b32_e32 v65, v71
	s_delay_alu instid0(VALU_DEP_3) | instskip(NEXT) | instid1(VALU_DEP_2)
	v_cmp_lt_u32_e32 vcc_lo, 18, v63
	v_pk_add_f32 v[58:59], v[58:59], v[64:65]
	s_or_b32 s3, vcc_lo, s3
	s_delay_alu instid0(SALU_CYCLE_1)
	s_and_not1_b32 exec_lo, exec_lo, s3
	s_cbranch_execnz .LBB26_457
; %bb.458:
	s_or_b32 exec_lo, exec_lo, s3
.LBB26_459:
	s_delay_alu instid0(SALU_CYCLE_1) | instskip(SKIP_4) | instid1(VALU_DEP_1)
	s_or_b32 exec_lo, exec_lo, s2
	v_mov_b32_e32 v61, 0
	ds_load_b64 v[62:63], v61 offset:160
	s_wait_dscnt 0x0
	v_pk_mul_f32 v[64:65], v[58:59], v[62:63] op_sel:[1,1] op_sel_hi:[0,1]
	v_pk_fma_f32 v[66:67], v[58:59], v[62:63], v[64:65] op_sel_hi:[1,0,1]
	v_pk_fma_f32 v[58:59], v[58:59], v[62:63], v[64:65] neg_lo:[0,0,1] neg_hi:[0,0,1]
	s_delay_alu instid0(VALU_DEP_2)
	v_mov_b32_e32 v59, v67
	scratch_store_b64 off, v[58:59], off offset:160
.LBB26_460:
	s_wait_xcnt 0x0
	s_or_b32 exec_lo, exec_lo, s0
	scratch_load_b64 v[58:59], off, off offset:168
	s_mov_b32 s0, exec_lo
	s_wait_loadcnt 0x0
	ds_store_b64 v1, v[58:59]
	s_wait_storecnt_dscnt 0x0
	s_barrier_signal -1
	s_barrier_wait -1
	s_wait_xcnt 0x0
	v_cmpx_gt_u32_e32 21, v0
	s_cbranch_execz .LBB26_470
; %bb.461:
	v_cmp_ne_u32_e32 vcc_lo, 1, v60
	s_cbranch_vccnz .LBB26_463
; %bb.462:
	scratch_load_b64 v[58:59], v39, off
	ds_load_b64 v[62:63], v1
	s_wait_loadcnt_dscnt 0x0
	v_pk_mul_f32 v[64:65], v[62:63], v[58:59] op_sel:[1,1] op_sel_hi:[0,1]
	s_delay_alu instid0(VALU_DEP_1) | instskip(SKIP_1) | instid1(VALU_DEP_2)
	v_pk_fma_f32 v[66:67], v[62:63], v[58:59], v[64:65] op_sel_hi:[1,0,1]
	v_pk_fma_f32 v[58:59], v[62:63], v[58:59], v[64:65] neg_lo:[0,0,1] neg_hi:[0,0,1]
	v_mov_b32_e32 v59, v67
	s_cbranch_execz .LBB26_464
	s_branch .LBB26_465
.LBB26_463:
                                        ; implicit-def: $vgpr58_vgpr59
.LBB26_464:
	ds_load_b64 v[58:59], v1
.LBB26_465:
	s_mov_b32 s2, exec_lo
	v_cmpx_ne_u32_e32 20, v0
	s_cbranch_execz .LBB26_469
; %bb.466:
	v_add_nc_u32_e32 v61, 0xe8, v38
	v_add3_u32 v62, 0, v38, 8
	v_mov_b32_e32 v63, v0
	s_mov_b32 s3, 0
.LBB26_467:                             ; =>This Inner Loop Header: Depth=1
	scratch_load_b64 v[64:65], v62, off
	ds_load_b64 v[66:67], v61
	s_wait_xcnt 0x0
	v_dual_add_nc_u32 v61, 8, v61 :: v_dual_add_nc_u32 v62, 8, v62
	s_wait_loadcnt_dscnt 0x0
	v_pk_mul_f32 v[68:69], v[66:67], v[64:65] op_sel:[1,1] op_sel_hi:[0,1]
	s_delay_alu instid0(VALU_DEP_1) | instskip(SKIP_2) | instid1(VALU_DEP_3)
	v_pk_fma_f32 v[70:71], v[66:67], v[64:65], v[68:69] op_sel_hi:[1,0,1]
	v_add_nc_u32_e32 v63, 1, v63
	v_pk_fma_f32 v[64:65], v[66:67], v[64:65], v[68:69] neg_lo:[0,0,1] neg_hi:[0,0,1]
	v_mov_b32_e32 v65, v71
	s_delay_alu instid0(VALU_DEP_3) | instskip(NEXT) | instid1(VALU_DEP_2)
	v_cmp_lt_u32_e32 vcc_lo, 19, v63
	v_pk_add_f32 v[58:59], v[58:59], v[64:65]
	s_or_b32 s3, vcc_lo, s3
	s_delay_alu instid0(SALU_CYCLE_1)
	s_and_not1_b32 exec_lo, exec_lo, s3
	s_cbranch_execnz .LBB26_467
; %bb.468:
	s_or_b32 exec_lo, exec_lo, s3
.LBB26_469:
	s_delay_alu instid0(SALU_CYCLE_1) | instskip(SKIP_4) | instid1(VALU_DEP_1)
	s_or_b32 exec_lo, exec_lo, s2
	v_mov_b32_e32 v61, 0
	ds_load_b64 v[62:63], v61 offset:168
	s_wait_dscnt 0x0
	v_pk_mul_f32 v[64:65], v[58:59], v[62:63] op_sel:[1,1] op_sel_hi:[0,1]
	v_pk_fma_f32 v[66:67], v[58:59], v[62:63], v[64:65] op_sel_hi:[1,0,1]
	v_pk_fma_f32 v[58:59], v[58:59], v[62:63], v[64:65] neg_lo:[0,0,1] neg_hi:[0,0,1]
	s_delay_alu instid0(VALU_DEP_2)
	v_mov_b32_e32 v59, v67
	scratch_store_b64 off, v[58:59], off offset:168
.LBB26_470:
	s_wait_xcnt 0x0
	s_or_b32 exec_lo, exec_lo, s0
	scratch_load_b64 v[58:59], off, off offset:176
	s_mov_b32 s0, exec_lo
	s_wait_loadcnt 0x0
	ds_store_b64 v1, v[58:59]
	s_wait_storecnt_dscnt 0x0
	s_barrier_signal -1
	s_barrier_wait -1
	s_wait_xcnt 0x0
	v_cmpx_gt_u32_e32 22, v0
	s_cbranch_execz .LBB26_480
; %bb.471:
	v_cmp_ne_u32_e32 vcc_lo, 1, v60
	s_cbranch_vccnz .LBB26_473
; %bb.472:
	scratch_load_b64 v[58:59], v39, off
	ds_load_b64 v[62:63], v1
	s_wait_loadcnt_dscnt 0x0
	v_pk_mul_f32 v[64:65], v[62:63], v[58:59] op_sel:[1,1] op_sel_hi:[0,1]
	s_delay_alu instid0(VALU_DEP_1) | instskip(SKIP_1) | instid1(VALU_DEP_2)
	v_pk_fma_f32 v[66:67], v[62:63], v[58:59], v[64:65] op_sel_hi:[1,0,1]
	v_pk_fma_f32 v[58:59], v[62:63], v[58:59], v[64:65] neg_lo:[0,0,1] neg_hi:[0,0,1]
	v_mov_b32_e32 v59, v67
	s_cbranch_execz .LBB26_474
	s_branch .LBB26_475
.LBB26_473:
                                        ; implicit-def: $vgpr58_vgpr59
.LBB26_474:
	ds_load_b64 v[58:59], v1
.LBB26_475:
	s_mov_b32 s2, exec_lo
	v_cmpx_ne_u32_e32 21, v0
	s_cbranch_execz .LBB26_479
; %bb.476:
	v_add_nc_u32_e32 v61, 0xe8, v38
	v_add3_u32 v62, 0, v38, 8
	v_mov_b32_e32 v63, v0
	s_mov_b32 s3, 0
.LBB26_477:                             ; =>This Inner Loop Header: Depth=1
	scratch_load_b64 v[64:65], v62, off
	ds_load_b64 v[66:67], v61
	s_wait_xcnt 0x0
	v_dual_add_nc_u32 v61, 8, v61 :: v_dual_add_nc_u32 v62, 8, v62
	s_wait_loadcnt_dscnt 0x0
	v_pk_mul_f32 v[68:69], v[66:67], v[64:65] op_sel:[1,1] op_sel_hi:[0,1]
	s_delay_alu instid0(VALU_DEP_1) | instskip(SKIP_2) | instid1(VALU_DEP_3)
	v_pk_fma_f32 v[70:71], v[66:67], v[64:65], v[68:69] op_sel_hi:[1,0,1]
	v_add_nc_u32_e32 v63, 1, v63
	v_pk_fma_f32 v[64:65], v[66:67], v[64:65], v[68:69] neg_lo:[0,0,1] neg_hi:[0,0,1]
	v_mov_b32_e32 v65, v71
	s_delay_alu instid0(VALU_DEP_3) | instskip(NEXT) | instid1(VALU_DEP_2)
	v_cmp_lt_u32_e32 vcc_lo, 20, v63
	v_pk_add_f32 v[58:59], v[58:59], v[64:65]
	s_or_b32 s3, vcc_lo, s3
	s_delay_alu instid0(SALU_CYCLE_1)
	s_and_not1_b32 exec_lo, exec_lo, s3
	s_cbranch_execnz .LBB26_477
; %bb.478:
	s_or_b32 exec_lo, exec_lo, s3
.LBB26_479:
	s_delay_alu instid0(SALU_CYCLE_1) | instskip(SKIP_4) | instid1(VALU_DEP_1)
	s_or_b32 exec_lo, exec_lo, s2
	v_mov_b32_e32 v61, 0
	ds_load_b64 v[62:63], v61 offset:176
	s_wait_dscnt 0x0
	v_pk_mul_f32 v[64:65], v[58:59], v[62:63] op_sel:[1,1] op_sel_hi:[0,1]
	v_pk_fma_f32 v[66:67], v[58:59], v[62:63], v[64:65] op_sel_hi:[1,0,1]
	v_pk_fma_f32 v[58:59], v[58:59], v[62:63], v[64:65] neg_lo:[0,0,1] neg_hi:[0,0,1]
	s_delay_alu instid0(VALU_DEP_2)
	v_mov_b32_e32 v59, v67
	scratch_store_b64 off, v[58:59], off offset:176
.LBB26_480:
	s_wait_xcnt 0x0
	s_or_b32 exec_lo, exec_lo, s0
	scratch_load_b64 v[58:59], off, off offset:184
	s_mov_b32 s0, exec_lo
	s_wait_loadcnt 0x0
	ds_store_b64 v1, v[58:59]
	s_wait_storecnt_dscnt 0x0
	s_barrier_signal -1
	s_barrier_wait -1
	s_wait_xcnt 0x0
	v_cmpx_gt_u32_e32 23, v0
	s_cbranch_execz .LBB26_490
; %bb.481:
	v_cmp_ne_u32_e32 vcc_lo, 1, v60
	s_cbranch_vccnz .LBB26_483
; %bb.482:
	scratch_load_b64 v[58:59], v39, off
	ds_load_b64 v[62:63], v1
	s_wait_loadcnt_dscnt 0x0
	v_pk_mul_f32 v[64:65], v[62:63], v[58:59] op_sel:[1,1] op_sel_hi:[0,1]
	s_delay_alu instid0(VALU_DEP_1) | instskip(SKIP_1) | instid1(VALU_DEP_2)
	v_pk_fma_f32 v[66:67], v[62:63], v[58:59], v[64:65] op_sel_hi:[1,0,1]
	v_pk_fma_f32 v[58:59], v[62:63], v[58:59], v[64:65] neg_lo:[0,0,1] neg_hi:[0,0,1]
	v_mov_b32_e32 v59, v67
	s_cbranch_execz .LBB26_484
	s_branch .LBB26_485
.LBB26_483:
                                        ; implicit-def: $vgpr58_vgpr59
.LBB26_484:
	ds_load_b64 v[58:59], v1
.LBB26_485:
	s_mov_b32 s2, exec_lo
	v_cmpx_ne_u32_e32 22, v0
	s_cbranch_execz .LBB26_489
; %bb.486:
	v_add_nc_u32_e32 v61, 0xe8, v38
	v_add3_u32 v62, 0, v38, 8
	v_mov_b32_e32 v63, v0
	s_mov_b32 s3, 0
.LBB26_487:                             ; =>This Inner Loop Header: Depth=1
	scratch_load_b64 v[64:65], v62, off
	ds_load_b64 v[66:67], v61
	s_wait_xcnt 0x0
	v_dual_add_nc_u32 v61, 8, v61 :: v_dual_add_nc_u32 v62, 8, v62
	s_wait_loadcnt_dscnt 0x0
	v_pk_mul_f32 v[68:69], v[66:67], v[64:65] op_sel:[1,1] op_sel_hi:[0,1]
	s_delay_alu instid0(VALU_DEP_1) | instskip(SKIP_2) | instid1(VALU_DEP_3)
	v_pk_fma_f32 v[70:71], v[66:67], v[64:65], v[68:69] op_sel_hi:[1,0,1]
	v_add_nc_u32_e32 v63, 1, v63
	v_pk_fma_f32 v[64:65], v[66:67], v[64:65], v[68:69] neg_lo:[0,0,1] neg_hi:[0,0,1]
	v_mov_b32_e32 v65, v71
	s_delay_alu instid0(VALU_DEP_3) | instskip(NEXT) | instid1(VALU_DEP_2)
	v_cmp_lt_u32_e32 vcc_lo, 21, v63
	v_pk_add_f32 v[58:59], v[58:59], v[64:65]
	s_or_b32 s3, vcc_lo, s3
	s_delay_alu instid0(SALU_CYCLE_1)
	s_and_not1_b32 exec_lo, exec_lo, s3
	s_cbranch_execnz .LBB26_487
; %bb.488:
	s_or_b32 exec_lo, exec_lo, s3
.LBB26_489:
	s_delay_alu instid0(SALU_CYCLE_1) | instskip(SKIP_4) | instid1(VALU_DEP_1)
	s_or_b32 exec_lo, exec_lo, s2
	v_mov_b32_e32 v61, 0
	ds_load_b64 v[62:63], v61 offset:184
	s_wait_dscnt 0x0
	v_pk_mul_f32 v[64:65], v[58:59], v[62:63] op_sel:[1,1] op_sel_hi:[0,1]
	v_pk_fma_f32 v[66:67], v[58:59], v[62:63], v[64:65] op_sel_hi:[1,0,1]
	v_pk_fma_f32 v[58:59], v[58:59], v[62:63], v[64:65] neg_lo:[0,0,1] neg_hi:[0,0,1]
	s_delay_alu instid0(VALU_DEP_2)
	v_mov_b32_e32 v59, v67
	scratch_store_b64 off, v[58:59], off offset:184
.LBB26_490:
	s_wait_xcnt 0x0
	s_or_b32 exec_lo, exec_lo, s0
	scratch_load_b64 v[58:59], off, off offset:192
	s_mov_b32 s0, exec_lo
	s_wait_loadcnt 0x0
	ds_store_b64 v1, v[58:59]
	s_wait_storecnt_dscnt 0x0
	s_barrier_signal -1
	s_barrier_wait -1
	s_wait_xcnt 0x0
	v_cmpx_gt_u32_e32 24, v0
	s_cbranch_execz .LBB26_500
; %bb.491:
	v_cmp_ne_u32_e32 vcc_lo, 1, v60
	s_cbranch_vccnz .LBB26_493
; %bb.492:
	scratch_load_b64 v[58:59], v39, off
	ds_load_b64 v[62:63], v1
	s_wait_loadcnt_dscnt 0x0
	v_pk_mul_f32 v[64:65], v[62:63], v[58:59] op_sel:[1,1] op_sel_hi:[0,1]
	s_delay_alu instid0(VALU_DEP_1) | instskip(SKIP_1) | instid1(VALU_DEP_2)
	v_pk_fma_f32 v[66:67], v[62:63], v[58:59], v[64:65] op_sel_hi:[1,0,1]
	v_pk_fma_f32 v[58:59], v[62:63], v[58:59], v[64:65] neg_lo:[0,0,1] neg_hi:[0,0,1]
	v_mov_b32_e32 v59, v67
	s_cbranch_execz .LBB26_494
	s_branch .LBB26_495
.LBB26_493:
                                        ; implicit-def: $vgpr58_vgpr59
.LBB26_494:
	ds_load_b64 v[58:59], v1
.LBB26_495:
	s_mov_b32 s2, exec_lo
	v_cmpx_ne_u32_e32 23, v0
	s_cbranch_execz .LBB26_499
; %bb.496:
	v_add_nc_u32_e32 v61, 0xe8, v38
	v_add3_u32 v62, 0, v38, 8
	v_mov_b32_e32 v63, v0
	s_mov_b32 s3, 0
.LBB26_497:                             ; =>This Inner Loop Header: Depth=1
	scratch_load_b64 v[64:65], v62, off
	ds_load_b64 v[66:67], v61
	s_wait_xcnt 0x0
	v_dual_add_nc_u32 v61, 8, v61 :: v_dual_add_nc_u32 v62, 8, v62
	s_wait_loadcnt_dscnt 0x0
	v_pk_mul_f32 v[68:69], v[66:67], v[64:65] op_sel:[1,1] op_sel_hi:[0,1]
	s_delay_alu instid0(VALU_DEP_1) | instskip(SKIP_2) | instid1(VALU_DEP_3)
	v_pk_fma_f32 v[70:71], v[66:67], v[64:65], v[68:69] op_sel_hi:[1,0,1]
	v_add_nc_u32_e32 v63, 1, v63
	v_pk_fma_f32 v[64:65], v[66:67], v[64:65], v[68:69] neg_lo:[0,0,1] neg_hi:[0,0,1]
	v_mov_b32_e32 v65, v71
	s_delay_alu instid0(VALU_DEP_3) | instskip(NEXT) | instid1(VALU_DEP_2)
	v_cmp_lt_u32_e32 vcc_lo, 22, v63
	v_pk_add_f32 v[58:59], v[58:59], v[64:65]
	s_or_b32 s3, vcc_lo, s3
	s_delay_alu instid0(SALU_CYCLE_1)
	s_and_not1_b32 exec_lo, exec_lo, s3
	s_cbranch_execnz .LBB26_497
; %bb.498:
	s_or_b32 exec_lo, exec_lo, s3
.LBB26_499:
	s_delay_alu instid0(SALU_CYCLE_1) | instskip(SKIP_4) | instid1(VALU_DEP_1)
	s_or_b32 exec_lo, exec_lo, s2
	v_mov_b32_e32 v61, 0
	ds_load_b64 v[62:63], v61 offset:192
	s_wait_dscnt 0x0
	v_pk_mul_f32 v[64:65], v[58:59], v[62:63] op_sel:[1,1] op_sel_hi:[0,1]
	v_pk_fma_f32 v[66:67], v[58:59], v[62:63], v[64:65] op_sel_hi:[1,0,1]
	v_pk_fma_f32 v[58:59], v[58:59], v[62:63], v[64:65] neg_lo:[0,0,1] neg_hi:[0,0,1]
	s_delay_alu instid0(VALU_DEP_2)
	v_mov_b32_e32 v59, v67
	scratch_store_b64 off, v[58:59], off offset:192
.LBB26_500:
	s_wait_xcnt 0x0
	s_or_b32 exec_lo, exec_lo, s0
	scratch_load_b64 v[58:59], off, off offset:200
	v_cmp_gt_u32_e64 s0, 25, v0
	s_wait_loadcnt 0x0
	ds_store_b64 v1, v[58:59]
	s_wait_storecnt_dscnt 0x0
	s_barrier_signal -1
	s_barrier_wait -1
	s_wait_xcnt 0x0
	s_and_saveexec_b32 s2, s0
	s_cbranch_execz .LBB26_510
; %bb.501:
	v_cmp_ne_u32_e32 vcc_lo, 1, v60
	s_cbranch_vccnz .LBB26_503
; %bb.502:
	scratch_load_b64 v[58:59], v39, off
	ds_load_b64 v[62:63], v1
	s_wait_loadcnt_dscnt 0x0
	v_pk_mul_f32 v[64:65], v[62:63], v[58:59] op_sel:[1,1] op_sel_hi:[0,1]
	s_delay_alu instid0(VALU_DEP_1) | instskip(SKIP_1) | instid1(VALU_DEP_2)
	v_pk_fma_f32 v[66:67], v[62:63], v[58:59], v[64:65] op_sel_hi:[1,0,1]
	v_pk_fma_f32 v[58:59], v[62:63], v[58:59], v[64:65] neg_lo:[0,0,1] neg_hi:[0,0,1]
	v_mov_b32_e32 v59, v67
	s_cbranch_execz .LBB26_504
	s_branch .LBB26_505
.LBB26_503:
                                        ; implicit-def: $vgpr58_vgpr59
.LBB26_504:
	ds_load_b64 v[58:59], v1
.LBB26_505:
	s_mov_b32 s3, exec_lo
	v_cmpx_ne_u32_e32 24, v0
	s_cbranch_execz .LBB26_509
; %bb.506:
	v_add_nc_u32_e32 v61, 0xe8, v38
	v_add3_u32 v62, 0, v38, 8
	v_mov_b32_e32 v63, v0
	s_mov_b32 s4, 0
.LBB26_507:                             ; =>This Inner Loop Header: Depth=1
	scratch_load_b64 v[64:65], v62, off
	ds_load_b64 v[66:67], v61
	s_wait_xcnt 0x0
	v_dual_add_nc_u32 v61, 8, v61 :: v_dual_add_nc_u32 v62, 8, v62
	s_wait_loadcnt_dscnt 0x0
	v_pk_mul_f32 v[68:69], v[66:67], v[64:65] op_sel:[1,1] op_sel_hi:[0,1]
	s_delay_alu instid0(VALU_DEP_1) | instskip(SKIP_2) | instid1(VALU_DEP_3)
	v_pk_fma_f32 v[70:71], v[66:67], v[64:65], v[68:69] op_sel_hi:[1,0,1]
	v_add_nc_u32_e32 v63, 1, v63
	v_pk_fma_f32 v[64:65], v[66:67], v[64:65], v[68:69] neg_lo:[0,0,1] neg_hi:[0,0,1]
	v_mov_b32_e32 v65, v71
	s_delay_alu instid0(VALU_DEP_3) | instskip(NEXT) | instid1(VALU_DEP_2)
	v_cmp_lt_u32_e32 vcc_lo, 23, v63
	v_pk_add_f32 v[58:59], v[58:59], v[64:65]
	s_or_b32 s4, vcc_lo, s4
	s_delay_alu instid0(SALU_CYCLE_1)
	s_and_not1_b32 exec_lo, exec_lo, s4
	s_cbranch_execnz .LBB26_507
; %bb.508:
	s_or_b32 exec_lo, exec_lo, s4
.LBB26_509:
	s_delay_alu instid0(SALU_CYCLE_1) | instskip(SKIP_4) | instid1(VALU_DEP_1)
	s_or_b32 exec_lo, exec_lo, s3
	v_mov_b32_e32 v61, 0
	ds_load_b64 v[62:63], v61 offset:200
	s_wait_dscnt 0x0
	v_pk_mul_f32 v[64:65], v[58:59], v[62:63] op_sel:[1,1] op_sel_hi:[0,1]
	v_pk_fma_f32 v[66:67], v[58:59], v[62:63], v[64:65] op_sel_hi:[1,0,1]
	v_pk_fma_f32 v[58:59], v[58:59], v[62:63], v[64:65] neg_lo:[0,0,1] neg_hi:[0,0,1]
	s_delay_alu instid0(VALU_DEP_2)
	v_mov_b32_e32 v59, v67
	scratch_store_b64 off, v[58:59], off offset:200
.LBB26_510:
	s_wait_xcnt 0x0
	s_or_b32 exec_lo, exec_lo, s2
	scratch_load_b64 v[58:59], off, off offset:208
	s_mov_b32 s2, exec_lo
                                        ; implicit-def: $vgpr70
                                        ; implicit-def: $sgpr4
	s_wait_loadcnt 0x0
	ds_store_b64 v1, v[58:59]
	s_wait_storecnt_dscnt 0x0
	s_barrier_signal -1
	s_barrier_wait -1
	s_wait_xcnt 0x0
	v_cmpx_ne_u32_e32 26, v0
	s_cbranch_execz .LBB26_520
; %bb.511:
	v_cmp_ne_u32_e32 vcc_lo, 1, v60
	s_cbranch_vccnz .LBB26_513
; %bb.512:
	scratch_load_b64 v[60:61], v39, off
	ds_load_b64 v[62:63], v1
	s_wait_loadcnt_dscnt 0x0
	v_dual_mul_f32 v39, v63, v61 :: v_dual_mul_f32 v59, v62, v61
	s_delay_alu instid0(VALU_DEP_1) | instskip(NEXT) | instid1(VALU_DEP_2)
	v_fma_f32 v58, v62, v60, -v39
	v_fmac_f32_e32 v59, v63, v60
	s_cbranch_execz .LBB26_514
	s_branch .LBB26_515
.LBB26_513:
                                        ; implicit-def: $vgpr59
.LBB26_514:
	ds_load_b64 v[58:59], v1
.LBB26_515:
	s_and_saveexec_b32 s3, s0
	s_cbranch_execz .LBB26_519
; %bb.516:
	v_add_nc_u32_e32 v1, 0xe8, v38
	v_add3_u32 v38, 0, v38, 8
	s_mov_b32 s0, 0
.LBB26_517:                             ; =>This Inner Loop Header: Depth=1
	scratch_load_b64 v[60:61], v38, off
	ds_load_b64 v[62:63], v1
	v_dual_add_nc_u32 v0, 1, v0 :: v_dual_add_nc_u32 v1, 8, v1
	s_delay_alu instid0(VALU_DEP_1) | instskip(SKIP_3) | instid1(VALU_DEP_1)
	v_cmp_lt_u32_e32 vcc_lo, 24, v0
	s_or_b32 s0, vcc_lo, s0
	s_wait_loadcnt_dscnt 0x0
	v_dual_mul_f32 v39, v63, v61 :: v_dual_mul_f32 v61, v62, v61
	v_dual_fma_f32 v39, v62, v60, -v39 :: v_dual_fmac_f32 v61, v63, v60
	s_delay_alu instid0(VALU_DEP_1) | instskip(NEXT) | instid1(VALU_DEP_2)
	v_dual_add_nc_u32 v38, 8, v38 :: v_dual_add_f32 v58, v58, v39
	v_add_f32_e32 v59, v59, v61
	s_and_not1_b32 exec_lo, exec_lo, s0
	s_cbranch_execnz .LBB26_517
; %bb.518:
	s_or_b32 exec_lo, exec_lo, s0
.LBB26_519:
	s_delay_alu instid0(SALU_CYCLE_1)
	s_or_b32 exec_lo, exec_lo, s3
	v_mov_b32_e32 v0, 0
	s_movk_i32 s4, 0xd4
	s_or_b32 s1, s1, exec_lo
	ds_load_b64 v[0:1], v0 offset:208
	s_wait_dscnt 0x0
	v_dual_mul_f32 v38, v59, v1 :: v_dual_mul_f32 v70, v58, v1
	s_delay_alu instid0(VALU_DEP_1) | instskip(NEXT) | instid1(VALU_DEP_2)
	v_fma_f32 v1, v58, v0, -v38
	v_fmac_f32_e32 v70, v59, v0
	scratch_store_b32 off, v1, off offset:208
.LBB26_520:
	s_wait_xcnt 0x0
	s_or_b32 exec_lo, exec_lo, s2
.LBB26_521:
	v_lshl_add_u64 v[68:69], v[6:7], 3, s[6:7]
	v_lshl_add_u64 v[66:67], v[8:9], 3, s[6:7]
	;; [unrolled: 1-line block ×25, first 2 shown]
	s_and_saveexec_b32 s0, s1
	s_cbranch_execz .LBB26_523
; %bb.522:
	scratch_store_b32 off, v70, s4
.LBB26_523:
	s_wait_xcnt 0x0
	s_or_b32 exec_lo, exec_lo, s0
	s_clause 0x5
	scratch_load_b128 v[42:45], off, off
	scratch_load_b128 v[46:49], off, off offset:16
	scratch_load_b128 v[50:53], off, off offset:32
	;; [unrolled: 1-line block ×5, first 2 shown]
	s_wait_loadcnt 0x5
	s_clause 0x1
	global_store_b64 v[2:3], v[42:43], off
	global_store_b64 v[4:5], v[44:45], off
	s_wait_loadcnt 0x4
	s_clause 0x1
	global_store_b64 v[68:69], v[46:47], off
	global_store_b64 v[66:67], v[48:49], off
	;; [unrolled: 4-line block ×4, first 2 shown]
	s_clause 0x7
	scratch_load_b128 v[2:5], off, off offset:96
	scratch_load_b128 v[42:45], off, off offset:112
	;; [unrolled: 1-line block ×7, first 2 shown]
	scratch_load_b64 v[58:59], off, off offset:208
	s_wait_loadcnt 0x9
	s_clause 0x1
	global_store_b64 v[0:1], v[70:71], off
	global_store_b64 v[6:7], v[72:73], off
	s_wait_loadcnt 0x8
	s_clause 0x1
	global_store_b64 v[8:9], v[74:75], off
	global_store_b64 v[10:11], v[76:77], off
	;; [unrolled: 4-line block ×9, first 2 shown]
	s_wait_loadcnt 0x0
	global_store_b64 v[40:41], v[58:59], off
.LBB26_524:
	s_sendmsg sendmsg(MSG_DEALLOC_VGPRS)
	s_endpgm
	.section	.rodata,"a",@progbits
	.p2align	6, 0x0
	.amdhsa_kernel _ZN9rocsolver6v33100L18trti2_kernel_smallILi27E19rocblas_complex_numIfEPS3_EEv13rocblas_fill_17rocblas_diagonal_T1_iil
		.amdhsa_group_segment_fixed_size 440
		.amdhsa_private_segment_fixed_size 224
		.amdhsa_kernarg_size 32
		.amdhsa_user_sgpr_count 2
		.amdhsa_user_sgpr_dispatch_ptr 0
		.amdhsa_user_sgpr_queue_ptr 0
		.amdhsa_user_sgpr_kernarg_segment_ptr 1
		.amdhsa_user_sgpr_dispatch_id 0
		.amdhsa_user_sgpr_kernarg_preload_length 0
		.amdhsa_user_sgpr_kernarg_preload_offset 0
		.amdhsa_user_sgpr_private_segment_size 0
		.amdhsa_wavefront_size32 1
		.amdhsa_uses_dynamic_stack 0
		.amdhsa_enable_private_segment 1
		.amdhsa_system_sgpr_workgroup_id_x 1
		.amdhsa_system_sgpr_workgroup_id_y 0
		.amdhsa_system_sgpr_workgroup_id_z 0
		.amdhsa_system_sgpr_workgroup_info 0
		.amdhsa_system_vgpr_workitem_id 0
		.amdhsa_next_free_vgpr 80
		.amdhsa_next_free_sgpr 20
		.amdhsa_named_barrier_count 0
		.amdhsa_reserve_vcc 1
		.amdhsa_float_round_mode_32 0
		.amdhsa_float_round_mode_16_64 0
		.amdhsa_float_denorm_mode_32 3
		.amdhsa_float_denorm_mode_16_64 3
		.amdhsa_fp16_overflow 0
		.amdhsa_memory_ordered 1
		.amdhsa_forward_progress 1
		.amdhsa_inst_pref_size 159
		.amdhsa_round_robin_scheduling 0
		.amdhsa_exception_fp_ieee_invalid_op 0
		.amdhsa_exception_fp_denorm_src 0
		.amdhsa_exception_fp_ieee_div_zero 0
		.amdhsa_exception_fp_ieee_overflow 0
		.amdhsa_exception_fp_ieee_underflow 0
		.amdhsa_exception_fp_ieee_inexact 0
		.amdhsa_exception_int_div_zero 0
	.end_amdhsa_kernel
	.section	.text._ZN9rocsolver6v33100L18trti2_kernel_smallILi27E19rocblas_complex_numIfEPS3_EEv13rocblas_fill_17rocblas_diagonal_T1_iil,"axG",@progbits,_ZN9rocsolver6v33100L18trti2_kernel_smallILi27E19rocblas_complex_numIfEPS3_EEv13rocblas_fill_17rocblas_diagonal_T1_iil,comdat
.Lfunc_end26:
	.size	_ZN9rocsolver6v33100L18trti2_kernel_smallILi27E19rocblas_complex_numIfEPS3_EEv13rocblas_fill_17rocblas_diagonal_T1_iil, .Lfunc_end26-_ZN9rocsolver6v33100L18trti2_kernel_smallILi27E19rocblas_complex_numIfEPS3_EEv13rocblas_fill_17rocblas_diagonal_T1_iil
                                        ; -- End function
	.set _ZN9rocsolver6v33100L18trti2_kernel_smallILi27E19rocblas_complex_numIfEPS3_EEv13rocblas_fill_17rocblas_diagonal_T1_iil.num_vgpr, 80
	.set _ZN9rocsolver6v33100L18trti2_kernel_smallILi27E19rocblas_complex_numIfEPS3_EEv13rocblas_fill_17rocblas_diagonal_T1_iil.num_agpr, 0
	.set _ZN9rocsolver6v33100L18trti2_kernel_smallILi27E19rocblas_complex_numIfEPS3_EEv13rocblas_fill_17rocblas_diagonal_T1_iil.numbered_sgpr, 20
	.set _ZN9rocsolver6v33100L18trti2_kernel_smallILi27E19rocblas_complex_numIfEPS3_EEv13rocblas_fill_17rocblas_diagonal_T1_iil.num_named_barrier, 0
	.set _ZN9rocsolver6v33100L18trti2_kernel_smallILi27E19rocblas_complex_numIfEPS3_EEv13rocblas_fill_17rocblas_diagonal_T1_iil.private_seg_size, 224
	.set _ZN9rocsolver6v33100L18trti2_kernel_smallILi27E19rocblas_complex_numIfEPS3_EEv13rocblas_fill_17rocblas_diagonal_T1_iil.uses_vcc, 1
	.set _ZN9rocsolver6v33100L18trti2_kernel_smallILi27E19rocblas_complex_numIfEPS3_EEv13rocblas_fill_17rocblas_diagonal_T1_iil.uses_flat_scratch, 1
	.set _ZN9rocsolver6v33100L18trti2_kernel_smallILi27E19rocblas_complex_numIfEPS3_EEv13rocblas_fill_17rocblas_diagonal_T1_iil.has_dyn_sized_stack, 0
	.set _ZN9rocsolver6v33100L18trti2_kernel_smallILi27E19rocblas_complex_numIfEPS3_EEv13rocblas_fill_17rocblas_diagonal_T1_iil.has_recursion, 0
	.set _ZN9rocsolver6v33100L18trti2_kernel_smallILi27E19rocblas_complex_numIfEPS3_EEv13rocblas_fill_17rocblas_diagonal_T1_iil.has_indirect_call, 0
	.section	.AMDGPU.csdata,"",@progbits
; Kernel info:
; codeLenInByte = 20336
; TotalNumSgprs: 22
; NumVgprs: 80
; ScratchSize: 224
; MemoryBound: 0
; FloatMode: 240
; IeeeMode: 1
; LDSByteSize: 440 bytes/workgroup (compile time only)
; SGPRBlocks: 0
; VGPRBlocks: 4
; NumSGPRsForWavesPerEU: 22
; NumVGPRsForWavesPerEU: 80
; NamedBarCnt: 0
; Occupancy: 12
; WaveLimiterHint : 0
; COMPUTE_PGM_RSRC2:SCRATCH_EN: 1
; COMPUTE_PGM_RSRC2:USER_SGPR: 2
; COMPUTE_PGM_RSRC2:TRAP_HANDLER: 0
; COMPUTE_PGM_RSRC2:TGID_X_EN: 1
; COMPUTE_PGM_RSRC2:TGID_Y_EN: 0
; COMPUTE_PGM_RSRC2:TGID_Z_EN: 0
; COMPUTE_PGM_RSRC2:TIDIG_COMP_CNT: 0
	.section	.text._ZN9rocsolver6v33100L18trti2_kernel_smallILi28E19rocblas_complex_numIfEPS3_EEv13rocblas_fill_17rocblas_diagonal_T1_iil,"axG",@progbits,_ZN9rocsolver6v33100L18trti2_kernel_smallILi28E19rocblas_complex_numIfEPS3_EEv13rocblas_fill_17rocblas_diagonal_T1_iil,comdat
	.globl	_ZN9rocsolver6v33100L18trti2_kernel_smallILi28E19rocblas_complex_numIfEPS3_EEv13rocblas_fill_17rocblas_diagonal_T1_iil ; -- Begin function _ZN9rocsolver6v33100L18trti2_kernel_smallILi28E19rocblas_complex_numIfEPS3_EEv13rocblas_fill_17rocblas_diagonal_T1_iil
	.p2align	8
	.type	_ZN9rocsolver6v33100L18trti2_kernel_smallILi28E19rocblas_complex_numIfEPS3_EEv13rocblas_fill_17rocblas_diagonal_T1_iil,@function
_ZN9rocsolver6v33100L18trti2_kernel_smallILi28E19rocblas_complex_numIfEPS3_EEv13rocblas_fill_17rocblas_diagonal_T1_iil: ; @_ZN9rocsolver6v33100L18trti2_kernel_smallILi28E19rocblas_complex_numIfEPS3_EEv13rocblas_fill_17rocblas_diagonal_T1_iil
; %bb.0:
	s_mov_b32 s2, exec_lo
	v_cmpx_gt_u32_e32 28, v0
	s_cbranch_execz .LBB27_544
; %bb.1:
	s_load_b256 s[4:11], s[0:1], 0x0
	s_wait_xcnt 0x0
	s_bfe_u32 s0, ttmp6, 0x4000c
	s_and_b32 s1, ttmp6, 15
	s_add_co_i32 s0, s0, 1
	s_getreg_b32 s2, hwreg(HW_REG_IB_STS2, 6, 4)
	s_mul_i32 s0, ttmp9, s0
	v_dual_mov_b32 v37, 0 :: v_dual_lshlrev_b32 v36, 3, v0
	s_add_co_i32 s0, s1, s0
	s_wait_kmcnt 0x0
	v_add3_u32 v6, s9, s9, v0
	s_ashr_i32 s1, s8, 31
	s_cmp_eq_u32 s2, 0
	s_cselect_b32 s2, ttmp9, s0
	s_delay_alu instid0(VALU_DEP_1)
	v_add_nc_u32_e32 v8, s9, v6
	s_ashr_i32 s3, s2, 31
	s_mov_b32 s0, s8
	s_mul_u64 s[2:3], s[10:11], s[2:3]
	s_lshl_b64 s[0:1], s[0:1], 3
	v_add_nc_u32_e32 v10, s9, v8
	s_lshl_b64 s[2:3], s[2:3], 3
	s_delay_alu instid0(SALU_CYCLE_1) | instskip(NEXT) | instid1(SALU_CYCLE_1)
	s_add_nc_u64 s[2:3], s[6:7], s[2:3]
	s_add_nc_u64 s[6:7], s[2:3], s[0:1]
	s_delay_alu instid0(VALU_DEP_1)
	v_add_nc_u32_e32 v12, s9, v10
	v_add_nc_u64_e32 v[2:3], s[6:7], v[36:37]
	s_mov_b32 s0, s9
	s_ashr_i32 s1, s9, 31
	s_cmp_lg_u32 s5, 0x84
	v_add_nc_u32_e32 v14, s9, v12
	s_cselect_b32 s3, -1, 0
	s_delay_alu instid0(VALU_DEP_2) | instskip(SKIP_1) | instid1(VALU_DEP_2)
	v_lshl_add_u64 v[4:5], s[0:1], 3, v[2:3]
	s_mov_b32 s0, -1
	v_add_nc_u32_e32 v16, s9, v14
	s_and_b32 vcc_lo, exec_lo, s3
	s_delay_alu instid0(VALU_DEP_1)
	v_add_nc_u32_e32 v18, s9, v16
	s_clause 0x7
	global_load_b64 v[44:45], v10, s[6:7] scale_offset
	global_load_b64 v[46:47], v12, s[6:7] scale_offset
	;; [unrolled: 1-line block ×3, first 2 shown]
	global_load_b64 v[50:51], v[4:5], off
	global_load_b64 v[52:53], v6, s[6:7] scale_offset
	global_load_b64 v[54:55], v8, s[6:7] scale_offset
	;; [unrolled: 1-line block ×4, first 2 shown]
	v_add_nc_u32_e32 v20, s9, v18
	s_delay_alu instid0(VALU_DEP_1) | instskip(NEXT) | instid1(VALU_DEP_1)
	v_add_nc_u32_e32 v22, s9, v20
	v_add_nc_u32_e32 v24, s9, v22
	s_delay_alu instid0(VALU_DEP_1) | instskip(SKIP_4) | instid1(VALU_DEP_1)
	v_add_nc_u32_e32 v26, s9, v24
	s_clause 0x1
	global_load_b64 v[60:61], v18, s[6:7] scale_offset
	global_load_b64 v[62:63], v20, s[6:7] scale_offset
	v_add_nc_u32_e32 v28, s9, v26
	v_add_nc_u32_e32 v30, s9, v28
	s_clause 0x1
	global_load_b64 v[64:65], v22, s[6:7] scale_offset
	global_load_b64 v[66:67], v24, s[6:7] scale_offset
	v_add_nc_u32_e32 v32, s9, v30
	s_delay_alu instid0(VALU_DEP_1) | instskip(NEXT) | instid1(VALU_DEP_1)
	v_add_nc_u32_e32 v34, s9, v32
	v_add_nc_u32_e32 v38, s9, v34
	s_delay_alu instid0(VALU_DEP_1) | instskip(NEXT) | instid1(VALU_DEP_1)
	v_add_nc_u32_e32 v40, s9, v38
	v_add_nc_u32_e32 v42, s9, v40
	s_clause 0x3
	global_load_b64 v[68:69], v26, s[6:7] scale_offset
	global_load_b64 v[70:71], v28, s[6:7] scale_offset
	global_load_b64 v[72:73], v30, s[6:7] scale_offset
	global_load_b64 v[74:75], v32, s[6:7] scale_offset
	s_wait_loadcnt 0xe
	scratch_store_b128 off, v[44:47], off offset:32
	s_wait_loadcnt 0xc
	scratch_store_b128 off, v[48:51], off
	s_wait_xcnt 0x1
	v_add_nc_u32_e32 v44, s9, v42
	s_delay_alu instid0(VALU_DEP_1)
	v_add_nc_u32_e32 v46, s9, v44
	s_clause 0x3
	global_load_b64 v[76:77], v34, s[6:7] scale_offset
	global_load_b64 v[78:79], v38, s[6:7] scale_offset
	;; [unrolled: 1-line block ×4, first 2 shown]
	s_wait_loadcnt 0xe
	scratch_store_b128 off, v[52:55], off offset:16
	s_wait_loadcnt 0xc
	scratch_store_b128 off, v[56:59], off offset:48
	s_wait_xcnt 0x6
	v_add_nc_u32_e32 v48, s9, v46
	s_delay_alu instid0(VALU_DEP_1) | instskip(SKIP_4) | instid1(VALU_DEP_1)
	v_add_nc_u32_e32 v50, s9, v48
	s_wait_loadcnt 0xa
	scratch_store_b128 off, v[60:63], off offset:64
	s_wait_xcnt 0x2
	v_add_nc_u32_e32 v52, s9, v50
	v_add_nc_u32_e32 v54, s9, v52
	s_wait_loadcnt 0x8
	scratch_store_b128 off, v[64:67], off offset:80
	s_wait_xcnt 0x2
	v_add_nc_u32_e32 v56, s9, v54
	s_wait_loadcnt 0x6
	scratch_store_b128 off, v[68:71], off offset:96
	s_wait_loadcnt 0x4
	scratch_store_b128 off, v[72:75], off offset:112
	v_add_nc_u32_e32 v58, s9, v56
	s_clause 0x3
	global_load_b64 v[60:61], v44, s[6:7] scale_offset
	global_load_b64 v[62:63], v46, s[6:7] scale_offset
	;; [unrolled: 1-line block ×4, first 2 shown]
	s_wait_loadcnt 0x6
	scratch_store_b128 off, v[76:79], off offset:128
	s_wait_loadcnt 0x4
	scratch_store_b128 off, v[80:83], off offset:144
	s_clause 0x3
	global_load_b64 v[68:69], v52, s[6:7] scale_offset
	global_load_b64 v[70:71], v54, s[6:7] scale_offset
	;; [unrolled: 1-line block ×4, first 2 shown]
	s_wait_loadcnt 0x6
	scratch_store_b128 off, v[60:63], off offset:160
	s_wait_loadcnt 0x4
	scratch_store_b128 off, v[64:67], off offset:176
	;; [unrolled: 2-line block ×4, first 2 shown]
	s_cbranch_vccz .LBB27_7
; %bb.2:
	scratch_load_b64 v[60:61], v0, off scale_offset
                                        ; implicit-def: $vgpr65
                                        ; implicit-def: $vgpr62
	s_wait_loadcnt 0x0
	v_cmp_ngt_f32_e64 s0, |v60|, |v61|
	s_wait_xcnt 0x0
	s_and_saveexec_b32 s1, s0
	s_delay_alu instid0(SALU_CYCLE_1)
	s_xor_b32 s0, exec_lo, s1
	s_cbranch_execz .LBB27_4
; %bb.3:
	v_div_scale_f32 v1, null, v61, v61, v60
	v_div_scale_f32 v11, vcc_lo, v60, v61, v60
	s_delay_alu instid0(VALU_DEP_2) | instskip(SKIP_1) | instid1(TRANS32_DEP_1)
	v_rcp_f32_e32 v7, v1
	v_nop
	v_fma_f32 v9, -v1, v7, 1.0
	s_delay_alu instid0(VALU_DEP_1) | instskip(NEXT) | instid1(VALU_DEP_1)
	v_fmac_f32_e32 v7, v9, v7
	v_mul_f32_e32 v9, v11, v7
	s_delay_alu instid0(VALU_DEP_1) | instskip(NEXT) | instid1(VALU_DEP_1)
	v_fma_f32 v13, -v1, v9, v11
	v_fmac_f32_e32 v9, v13, v7
	s_delay_alu instid0(VALU_DEP_1) | instskip(NEXT) | instid1(VALU_DEP_1)
	v_fma_f32 v1, -v1, v9, v11
	v_div_fmas_f32 v1, v1, v7, v9
	s_delay_alu instid0(VALU_DEP_1) | instskip(NEXT) | instid1(VALU_DEP_1)
	v_div_fixup_f32 v1, v1, v61, v60
	v_fmac_f32_e32 v61, v60, v1
	s_delay_alu instid0(VALU_DEP_1) | instskip(NEXT) | instid1(VALU_DEP_1)
	v_div_scale_f32 v7, null, v61, v61, -1.0
	v_rcp_f32_e32 v9, v7
	v_nop
	s_delay_alu instid0(TRANS32_DEP_1) | instskip(NEXT) | instid1(VALU_DEP_1)
	v_fma_f32 v11, -v7, v9, 1.0
	v_fmac_f32_e32 v9, v11, v9
	v_div_scale_f32 v11, vcc_lo, -1.0, v61, -1.0
	s_delay_alu instid0(VALU_DEP_1) | instskip(NEXT) | instid1(VALU_DEP_1)
	v_mul_f32_e32 v13, v11, v9
	v_fma_f32 v15, -v7, v13, v11
	s_delay_alu instid0(VALU_DEP_1) | instskip(NEXT) | instid1(VALU_DEP_1)
	v_fmac_f32_e32 v13, v15, v9
	v_fma_f32 v7, -v7, v13, v11
	s_delay_alu instid0(VALU_DEP_1) | instskip(NEXT) | instid1(VALU_DEP_1)
	v_div_fmas_f32 v7, v7, v9, v13
	v_div_fixup_f32 v65, v7, v61, -1.0
                                        ; implicit-def: $vgpr60_vgpr61
	s_delay_alu instid0(VALU_DEP_1) | instskip(NEXT) | instid1(VALU_DEP_1)
	v_mul_f32_e32 v62, v1, v65
	v_xor_b32_e32 v64, 0x80000000, v62
.LBB27_4:
	s_or_saveexec_b32 s0, s0
	v_lshl_add_u32 v1, v0, 3, 0
	s_xor_b32 exec_lo, exec_lo, s0
	s_cbranch_execz .LBB27_6
; %bb.5:
	v_div_scale_f32 v7, null, v60, v60, v61
	v_div_scale_f32 v13, vcc_lo, v61, v60, v61
	s_delay_alu instid0(VALU_DEP_2) | instskip(SKIP_1) | instid1(TRANS32_DEP_1)
	v_rcp_f32_e32 v9, v7
	v_nop
	v_fma_f32 v11, -v7, v9, 1.0
	s_delay_alu instid0(VALU_DEP_1) | instskip(NEXT) | instid1(VALU_DEP_1)
	v_fmac_f32_e32 v9, v11, v9
	v_mul_f32_e32 v11, v13, v9
	s_delay_alu instid0(VALU_DEP_1) | instskip(NEXT) | instid1(VALU_DEP_1)
	v_fma_f32 v15, -v7, v11, v13
	v_fmac_f32_e32 v11, v15, v9
	s_delay_alu instid0(VALU_DEP_1) | instskip(NEXT) | instid1(VALU_DEP_1)
	v_fma_f32 v7, -v7, v11, v13
	v_div_fmas_f32 v7, v7, v9, v11
	s_delay_alu instid0(VALU_DEP_1) | instskip(NEXT) | instid1(VALU_DEP_1)
	v_div_fixup_f32 v7, v7, v60, v61
	v_fmac_f32_e32 v60, v61, v7
	s_delay_alu instid0(VALU_DEP_1) | instskip(SKIP_1) | instid1(VALU_DEP_2)
	v_div_scale_f32 v9, null, v60, v60, 1.0
	v_div_scale_f32 v15, vcc_lo, 1.0, v60, 1.0
	v_rcp_f32_e32 v11, v9
	v_nop
	s_delay_alu instid0(TRANS32_DEP_1) | instskip(NEXT) | instid1(VALU_DEP_1)
	v_fma_f32 v13, -v9, v11, 1.0
	v_fmac_f32_e32 v11, v13, v11
	s_delay_alu instid0(VALU_DEP_1) | instskip(NEXT) | instid1(VALU_DEP_1)
	v_mul_f32_e32 v13, v15, v11
	v_fma_f32 v17, -v9, v13, v15
	s_delay_alu instid0(VALU_DEP_1) | instskip(NEXT) | instid1(VALU_DEP_1)
	v_fmac_f32_e32 v13, v17, v11
	v_fma_f32 v9, -v9, v13, v15
	s_delay_alu instid0(VALU_DEP_1) | instskip(NEXT) | instid1(VALU_DEP_1)
	v_div_fmas_f32 v9, v9, v11, v13
	v_div_fixup_f32 v64, v9, v60, 1.0
	s_delay_alu instid0(VALU_DEP_1)
	v_xor_b32_e32 v62, 0x80000000, v64
	v_mul_f32_e64 v65, v7, -v64
.LBB27_6:
	s_or_b32 exec_lo, exec_lo, s0
	s_delay_alu instid0(VALU_DEP_1)
	v_xor_b32_e32 v63, 0x80000000, v65
	s_mov_b32 s0, 0
	scratch_store_b64 v1, v[64:65], off
	ds_store_b64 v36, v[62:63]
.LBB27_7:
	s_and_b32 vcc_lo, exec_lo, s0
	s_cbranch_vccz .LBB27_9
; %bb.8:
	s_mov_b64 s[0:1], 0xbf800000
	s_wait_xcnt 0x3
	v_mov_b64_e32 v[60:61], s[0:1]
	ds_store_b64 v36, v[60:61]
.LBB27_9:
	v_dual_ashrrev_i32 v7, 31, v6 :: v_dual_ashrrev_i32 v9, 31, v8
	v_dual_ashrrev_i32 v11, 31, v10 :: v_dual_ashrrev_i32 v13, 31, v12
	;; [unrolled: 1-line block ×12, first 2 shown]
	v_dual_ashrrev_i32 v55, 31, v54 :: v_dual_mov_b32 v37, v36
	v_ashrrev_i32_e32 v59, 31, v58
	s_wait_xcnt 0x0
	v_add_nc_u32_e32 v1, 0xe0, v36
	s_cmp_eq_u32 s4, 0x79
	s_cbranch_scc1 .LBB27_13
; %bb.10:
	scratch_load_b64 v[60:61], off, off offset:208
	v_cmp_eq_u32_e64 s0, 27, v0
	s_movk_i32 s1, 0x50
	s_movk_i32 s10, 0x60
	;; [unrolled: 1-line block ×8, first 2 shown]
	s_wait_loadcnt 0x0
	ds_store_b64 v1, v[60:61]
	s_wait_storecnt_dscnt 0x0
	s_barrier_signal -1
	s_barrier_wait -1
	s_wait_xcnt 0x0
	s_and_saveexec_b32 s2, s0
	s_cbranch_execz .LBB27_17
; %bb.11:
	s_and_b32 vcc_lo, exec_lo, s3
	s_cbranch_vccz .LBB27_14
; %bb.12:
	scratch_load_b64 v[60:61], v37, off
	ds_load_b64 v[62:63], v1
	s_wait_loadcnt_dscnt 0x0
	v_pk_mul_f32 v[64:65], v[62:63], v[60:61] op_sel:[1,1] op_sel_hi:[0,1]
	v_pk_mul_f32 v[66:67], v[62:63], v[60:61] op_sel_hi:[1,0]
	s_delay_alu instid0(VALU_DEP_2) | instskip(NEXT) | instid1(VALU_DEP_2)
	v_pk_fma_f32 v[60:61], v[62:63], v[60:61], v[64:65] op_sel_hi:[1,0,1]
	v_sub_f32_e32 v60, v66, v64
	s_cbranch_execz .LBB27_15
	s_branch .LBB27_16
.LBB27_13:
	s_mov_b32 s1, 0
                                        ; implicit-def: $vgpr76
                                        ; implicit-def: $sgpr4
	s_cbranch_execnz .LBB27_276
	s_branch .LBB27_541
.LBB27_14:
                                        ; implicit-def: $vgpr61
.LBB27_15:
	ds_load_b64 v[60:61], v1
.LBB27_16:
	s_wait_dscnt 0x0
	v_dual_mov_b32 v62, 0 :: v_dual_mov_b32 v64, v61
	v_mov_b32_e32 v65, v60
	ds_load_b64 v[62:63], v62 offset:208
	s_wait_dscnt 0x0
	v_pk_mul_f32 v[64:65], v[64:65], v[62:63] op_sel:[0,1]
	s_delay_alu instid0(VALU_DEP_1) | instskip(SKIP_1) | instid1(VALU_DEP_2)
	v_pk_fma_f32 v[66:67], v[60:61], v[62:63], v[64:65] op_sel_hi:[1,0,1]
	v_pk_fma_f32 v[60:61], v[60:61], v[62:63], v[64:65] neg_lo:[0,0,1] neg_hi:[0,0,1]
	v_mov_b32_e32 v61, v67
	scratch_store_b64 off, v[60:61], off offset:208
.LBB27_17:
	s_wait_xcnt 0x0
	s_or_b32 exec_lo, exec_lo, s2
	scratch_load_b64 v[60:61], off, off offset:200
	s_mov_b32 s9, s1
	v_cmp_lt_u32_e64 s1, 25, v0
	s_mov_b32 s4, 16
	s_mov_b32 s5, 32
	;; [unrolled: 1-line block ×4, first 2 shown]
	s_wait_loadcnt 0x0
	ds_store_b64 v1, v[60:61]
	s_wait_storecnt_dscnt 0x0
	s_barrier_signal -1
	s_barrier_wait -1
	s_wait_xcnt 0x0
	s_and_saveexec_b32 s17, s1
	s_cbranch_execz .LBB27_25
; %bb.18:
	s_and_not1_b32 vcc_lo, exec_lo, s3
	s_cbranch_vccnz .LBB27_20
; %bb.19:
	scratch_load_b64 v[60:61], v37, off
	ds_load_b64 v[62:63], v1
	s_wait_loadcnt_dscnt 0x0
	v_pk_mul_f32 v[64:65], v[62:63], v[60:61] op_sel:[1,1] op_sel_hi:[0,1]
	s_delay_alu instid0(VALU_DEP_1) | instskip(SKIP_1) | instid1(VALU_DEP_2)
	v_pk_fma_f32 v[66:67], v[62:63], v[60:61], v[64:65] op_sel_hi:[1,0,1]
	v_pk_fma_f32 v[60:61], v[62:63], v[60:61], v[64:65] neg_lo:[0,0,1] neg_hi:[0,0,1]
	v_mov_b32_e32 v61, v67
	s_cbranch_execz .LBB27_21
	s_branch .LBB27_22
.LBB27_20:
                                        ; implicit-def: $vgpr60_vgpr61
.LBB27_21:
	ds_load_b64 v[60:61], v1
.LBB27_22:
	s_and_saveexec_b32 s18, s0
	s_cbranch_execz .LBB27_24
; %bb.23:
	scratch_load_b64 v[62:63], off, off offset:208
	v_mov_b32_e32 v64, 0
	ds_load_b64 v[64:65], v64 offset:432
	s_wait_loadcnt_dscnt 0x0
	v_pk_mul_f32 v[66:67], v[64:65], v[62:63] op_sel:[1,1] op_sel_hi:[0,1]
	s_delay_alu instid0(VALU_DEP_1) | instskip(SKIP_1) | instid1(VALU_DEP_2)
	v_pk_fma_f32 v[68:69], v[64:65], v[62:63], v[66:67] op_sel_hi:[1,0,1]
	v_pk_fma_f32 v[62:63], v[64:65], v[62:63], v[66:67] neg_lo:[0,0,1] neg_hi:[0,0,1]
	v_mov_b32_e32 v63, v69
	s_delay_alu instid0(VALU_DEP_1)
	v_pk_add_f32 v[60:61], v[60:61], v[62:63]
.LBB27_24:
	s_or_b32 exec_lo, exec_lo, s18
	v_mov_b32_e32 v62, 0
	ds_load_b64 v[62:63], v62 offset:200
	s_wait_dscnt 0x0
	v_pk_mul_f32 v[64:65], v[60:61], v[62:63] op_sel:[1,1] op_sel_hi:[0,1]
	s_delay_alu instid0(VALU_DEP_1) | instskip(SKIP_1) | instid1(VALU_DEP_2)
	v_pk_fma_f32 v[66:67], v[60:61], v[62:63], v[64:65] op_sel_hi:[1,0,1]
	v_pk_fma_f32 v[60:61], v[60:61], v[62:63], v[64:65] neg_lo:[0,0,1] neg_hi:[0,0,1]
	v_mov_b32_e32 v61, v67
	scratch_store_b64 off, v[60:61], off offset:200
.LBB27_25:
	s_wait_xcnt 0x0
	s_or_b32 exec_lo, exec_lo, s17
	scratch_load_b64 v[60:61], off, off offset:192
	v_cmp_lt_u32_e64 s0, 24, v0
	s_wait_loadcnt 0x0
	ds_store_b64 v1, v[60:61]
	s_wait_storecnt_dscnt 0x0
	s_barrier_signal -1
	s_barrier_wait -1
	s_wait_xcnt 0x0
	s_and_saveexec_b32 s17, s0
	s_cbranch_execz .LBB27_35
; %bb.26:
	s_and_not1_b32 vcc_lo, exec_lo, s3
	s_cbranch_vccnz .LBB27_28
; %bb.27:
	scratch_load_b64 v[60:61], v37, off
	ds_load_b64 v[62:63], v1
	s_wait_loadcnt_dscnt 0x0
	v_pk_mul_f32 v[64:65], v[62:63], v[60:61] op_sel:[1,1] op_sel_hi:[0,1]
	s_delay_alu instid0(VALU_DEP_1) | instskip(SKIP_1) | instid1(VALU_DEP_2)
	v_pk_fma_f32 v[66:67], v[62:63], v[60:61], v[64:65] op_sel_hi:[1,0,1]
	v_pk_fma_f32 v[60:61], v[62:63], v[60:61], v[64:65] neg_lo:[0,0,1] neg_hi:[0,0,1]
	v_mov_b32_e32 v61, v67
	s_cbranch_execz .LBB27_29
	s_branch .LBB27_30
.LBB27_28:
                                        ; implicit-def: $vgpr60_vgpr61
.LBB27_29:
	ds_load_b64 v[60:61], v1
.LBB27_30:
	s_and_saveexec_b32 s18, s1
	s_cbranch_execz .LBB27_34
; %bb.31:
	v_subrev_nc_u32_e32 v62, 25, v0
	s_movk_i32 s1, 0xc8
	s_movk_i32 s20, 0x1a8
	s_mov_b32 s19, 0
.LBB27_32:                              ; =>This Inner Loop Header: Depth=1
	scratch_load_b64 v[64:65], off, s1
	v_dual_mov_b32 v63, s20 :: v_dual_add_nc_u32 v62, -1, v62
	s_add_co_i32 s20, s20, 8
	s_wait_xcnt 0x0
	s_add_co_i32 s1, s1, 8
	ds_load_b64 v[66:67], v63
	v_cmp_eq_u32_e32 vcc_lo, 0, v62
	s_or_b32 s19, vcc_lo, s19
	s_wait_loadcnt_dscnt 0x0
	v_pk_mul_f32 v[68:69], v[66:67], v[64:65] op_sel:[1,1] op_sel_hi:[0,1]
	s_delay_alu instid0(VALU_DEP_1) | instskip(SKIP_1) | instid1(VALU_DEP_2)
	v_pk_fma_f32 v[70:71], v[66:67], v[64:65], v[68:69] op_sel_hi:[1,0,1]
	v_pk_fma_f32 v[64:65], v[66:67], v[64:65], v[68:69] neg_lo:[0,0,1] neg_hi:[0,0,1]
	v_mov_b32_e32 v65, v71
	s_delay_alu instid0(VALU_DEP_1)
	v_pk_add_f32 v[60:61], v[60:61], v[64:65]
	s_and_not1_b32 exec_lo, exec_lo, s19
	s_cbranch_execnz .LBB27_32
; %bb.33:
	s_or_b32 exec_lo, exec_lo, s19
.LBB27_34:
	s_delay_alu instid0(SALU_CYCLE_1) | instskip(SKIP_4) | instid1(VALU_DEP_1)
	s_or_b32 exec_lo, exec_lo, s18
	v_mov_b32_e32 v62, 0
	ds_load_b64 v[62:63], v62 offset:192
	s_wait_dscnt 0x0
	v_pk_mul_f32 v[64:65], v[60:61], v[62:63] op_sel:[1,1] op_sel_hi:[0,1]
	v_pk_fma_f32 v[66:67], v[60:61], v[62:63], v[64:65] op_sel_hi:[1,0,1]
	v_pk_fma_f32 v[60:61], v[60:61], v[62:63], v[64:65] neg_lo:[0,0,1] neg_hi:[0,0,1]
	s_delay_alu instid0(VALU_DEP_2)
	v_mov_b32_e32 v61, v67
	scratch_store_b64 off, v[60:61], off offset:192
.LBB27_35:
	s_wait_xcnt 0x0
	s_or_b32 exec_lo, exec_lo, s17
	scratch_load_b64 v[60:61], off, off offset:184
	v_cmp_lt_u32_e64 s1, 23, v0
	s_wait_loadcnt 0x0
	ds_store_b64 v1, v[60:61]
	s_wait_storecnt_dscnt 0x0
	s_barrier_signal -1
	s_barrier_wait -1
	s_wait_xcnt 0x0
	s_and_saveexec_b32 s17, s1
	s_cbranch_execz .LBB27_45
; %bb.36:
	s_and_not1_b32 vcc_lo, exec_lo, s3
	s_cbranch_vccnz .LBB27_38
; %bb.37:
	scratch_load_b64 v[60:61], v37, off
	ds_load_b64 v[62:63], v1
	s_wait_loadcnt_dscnt 0x0
	v_pk_mul_f32 v[64:65], v[62:63], v[60:61] op_sel:[1,1] op_sel_hi:[0,1]
	s_delay_alu instid0(VALU_DEP_1) | instskip(SKIP_1) | instid1(VALU_DEP_2)
	v_pk_fma_f32 v[66:67], v[62:63], v[60:61], v[64:65] op_sel_hi:[1,0,1]
	v_pk_fma_f32 v[60:61], v[62:63], v[60:61], v[64:65] neg_lo:[0,0,1] neg_hi:[0,0,1]
	v_mov_b32_e32 v61, v67
	s_cbranch_execz .LBB27_39
	s_branch .LBB27_40
.LBB27_38:
                                        ; implicit-def: $vgpr60_vgpr61
.LBB27_39:
	ds_load_b64 v[60:61], v1
.LBB27_40:
	s_and_saveexec_b32 s18, s0
	s_cbranch_execz .LBB27_44
; %bb.41:
	v_subrev_nc_u32_e32 v62, 24, v0
	s_movk_i32 s19, 0x1a0
	s_mov_b32 s0, 0
.LBB27_42:                              ; =>This Inner Loop Header: Depth=1
	scratch_load_b64 v[64:65], off, s16
	v_dual_mov_b32 v63, s19 :: v_dual_add_nc_u32 v62, -1, v62
	s_add_co_i32 s19, s19, 8
	s_wait_xcnt 0x0
	s_add_co_i32 s16, s16, 8
	ds_load_b64 v[66:67], v63
	v_cmp_eq_u32_e32 vcc_lo, 0, v62
	s_or_b32 s0, vcc_lo, s0
	s_wait_loadcnt_dscnt 0x0
	v_pk_mul_f32 v[68:69], v[66:67], v[64:65] op_sel:[1,1] op_sel_hi:[0,1]
	s_delay_alu instid0(VALU_DEP_1) | instskip(SKIP_1) | instid1(VALU_DEP_2)
	v_pk_fma_f32 v[70:71], v[66:67], v[64:65], v[68:69] op_sel_hi:[1,0,1]
	v_pk_fma_f32 v[64:65], v[66:67], v[64:65], v[68:69] neg_lo:[0,0,1] neg_hi:[0,0,1]
	v_mov_b32_e32 v65, v71
	s_delay_alu instid0(VALU_DEP_1)
	v_pk_add_f32 v[60:61], v[60:61], v[64:65]
	s_and_not1_b32 exec_lo, exec_lo, s0
	s_cbranch_execnz .LBB27_42
; %bb.43:
	s_or_b32 exec_lo, exec_lo, s0
.LBB27_44:
	s_delay_alu instid0(SALU_CYCLE_1) | instskip(SKIP_4) | instid1(VALU_DEP_1)
	s_or_b32 exec_lo, exec_lo, s18
	v_mov_b32_e32 v62, 0
	ds_load_b64 v[62:63], v62 offset:184
	s_wait_dscnt 0x0
	v_pk_mul_f32 v[64:65], v[60:61], v[62:63] op_sel:[1,1] op_sel_hi:[0,1]
	v_pk_fma_f32 v[66:67], v[60:61], v[62:63], v[64:65] op_sel_hi:[1,0,1]
	v_pk_fma_f32 v[60:61], v[60:61], v[62:63], v[64:65] neg_lo:[0,0,1] neg_hi:[0,0,1]
	s_delay_alu instid0(VALU_DEP_2)
	v_mov_b32_e32 v61, v67
	scratch_store_b64 off, v[60:61], off offset:184
.LBB27_45:
	s_wait_xcnt 0x0
	s_or_b32 exec_lo, exec_lo, s17
	scratch_load_b64 v[60:61], off, off offset:176
	v_cmp_lt_u32_e64 s0, 22, v0
	s_wait_loadcnt 0x0
	ds_store_b64 v1, v[60:61]
	s_wait_storecnt_dscnt 0x0
	s_barrier_signal -1
	s_barrier_wait -1
	s_wait_xcnt 0x0
	s_and_saveexec_b32 s16, s0
	s_cbranch_execz .LBB27_55
; %bb.46:
	s_and_not1_b32 vcc_lo, exec_lo, s3
	s_cbranch_vccnz .LBB27_48
; %bb.47:
	scratch_load_b64 v[60:61], v37, off
	ds_load_b64 v[62:63], v1
	s_wait_loadcnt_dscnt 0x0
	v_pk_mul_f32 v[64:65], v[62:63], v[60:61] op_sel:[1,1] op_sel_hi:[0,1]
	s_delay_alu instid0(VALU_DEP_1) | instskip(SKIP_1) | instid1(VALU_DEP_2)
	v_pk_fma_f32 v[66:67], v[62:63], v[60:61], v[64:65] op_sel_hi:[1,0,1]
	v_pk_fma_f32 v[60:61], v[62:63], v[60:61], v[64:65] neg_lo:[0,0,1] neg_hi:[0,0,1]
	v_mov_b32_e32 v61, v67
	s_cbranch_execz .LBB27_49
	s_branch .LBB27_50
.LBB27_48:
                                        ; implicit-def: $vgpr60_vgpr61
.LBB27_49:
	ds_load_b64 v[60:61], v1
.LBB27_50:
	s_and_saveexec_b32 s17, s1
	s_cbranch_execz .LBB27_54
; %bb.51:
	v_subrev_nc_u32_e32 v62, 23, v0
	s_movk_i32 s1, 0xb8
	s_movk_i32 s19, 0x198
	s_mov_b32 s18, 0
.LBB27_52:                              ; =>This Inner Loop Header: Depth=1
	scratch_load_b64 v[64:65], off, s1
	v_dual_mov_b32 v63, s19 :: v_dual_add_nc_u32 v62, -1, v62
	s_add_co_i32 s19, s19, 8
	s_wait_xcnt 0x0
	s_add_co_i32 s1, s1, 8
	ds_load_b64 v[66:67], v63
	v_cmp_eq_u32_e32 vcc_lo, 0, v62
	s_or_b32 s18, vcc_lo, s18
	s_wait_loadcnt_dscnt 0x0
	v_pk_mul_f32 v[68:69], v[66:67], v[64:65] op_sel:[1,1] op_sel_hi:[0,1]
	s_delay_alu instid0(VALU_DEP_1) | instskip(SKIP_1) | instid1(VALU_DEP_2)
	v_pk_fma_f32 v[70:71], v[66:67], v[64:65], v[68:69] op_sel_hi:[1,0,1]
	v_pk_fma_f32 v[64:65], v[66:67], v[64:65], v[68:69] neg_lo:[0,0,1] neg_hi:[0,0,1]
	v_mov_b32_e32 v65, v71
	s_delay_alu instid0(VALU_DEP_1)
	v_pk_add_f32 v[60:61], v[60:61], v[64:65]
	s_and_not1_b32 exec_lo, exec_lo, s18
	s_cbranch_execnz .LBB27_52
; %bb.53:
	s_or_b32 exec_lo, exec_lo, s18
.LBB27_54:
	s_delay_alu instid0(SALU_CYCLE_1) | instskip(SKIP_4) | instid1(VALU_DEP_1)
	s_or_b32 exec_lo, exec_lo, s17
	v_mov_b32_e32 v62, 0
	ds_load_b64 v[62:63], v62 offset:176
	s_wait_dscnt 0x0
	v_pk_mul_f32 v[64:65], v[60:61], v[62:63] op_sel:[1,1] op_sel_hi:[0,1]
	v_pk_fma_f32 v[66:67], v[60:61], v[62:63], v[64:65] op_sel_hi:[1,0,1]
	v_pk_fma_f32 v[60:61], v[60:61], v[62:63], v[64:65] neg_lo:[0,0,1] neg_hi:[0,0,1]
	s_delay_alu instid0(VALU_DEP_2)
	v_mov_b32_e32 v61, v67
	scratch_store_b64 off, v[60:61], off offset:176
.LBB27_55:
	s_wait_xcnt 0x0
	s_or_b32 exec_lo, exec_lo, s16
	scratch_load_b64 v[60:61], off, off offset:168
	v_cmp_lt_u32_e64 s1, 21, v0
	s_wait_loadcnt 0x0
	ds_store_b64 v1, v[60:61]
	s_wait_storecnt_dscnt 0x0
	s_barrier_signal -1
	s_barrier_wait -1
	s_wait_xcnt 0x0
	s_and_saveexec_b32 s16, s1
	s_cbranch_execz .LBB27_65
; %bb.56:
	s_and_not1_b32 vcc_lo, exec_lo, s3
	s_cbranch_vccnz .LBB27_58
; %bb.57:
	scratch_load_b64 v[60:61], v37, off
	ds_load_b64 v[62:63], v1
	s_wait_loadcnt_dscnt 0x0
	v_pk_mul_f32 v[64:65], v[62:63], v[60:61] op_sel:[1,1] op_sel_hi:[0,1]
	s_delay_alu instid0(VALU_DEP_1) | instskip(SKIP_1) | instid1(VALU_DEP_2)
	v_pk_fma_f32 v[66:67], v[62:63], v[60:61], v[64:65] op_sel_hi:[1,0,1]
	v_pk_fma_f32 v[60:61], v[62:63], v[60:61], v[64:65] neg_lo:[0,0,1] neg_hi:[0,0,1]
	v_mov_b32_e32 v61, v67
	s_cbranch_execz .LBB27_59
	s_branch .LBB27_60
.LBB27_58:
                                        ; implicit-def: $vgpr60_vgpr61
.LBB27_59:
	ds_load_b64 v[60:61], v1
.LBB27_60:
	s_and_saveexec_b32 s17, s0
	s_cbranch_execz .LBB27_64
; %bb.61:
	v_subrev_nc_u32_e32 v62, 22, v0
	s_movk_i32 s18, 0x190
	s_mov_b32 s0, 0
.LBB27_62:                              ; =>This Inner Loop Header: Depth=1
	scratch_load_b64 v[64:65], off, s15
	v_dual_mov_b32 v63, s18 :: v_dual_add_nc_u32 v62, -1, v62
	s_add_co_i32 s18, s18, 8
	s_wait_xcnt 0x0
	s_add_co_i32 s15, s15, 8
	ds_load_b64 v[66:67], v63
	v_cmp_eq_u32_e32 vcc_lo, 0, v62
	s_or_b32 s0, vcc_lo, s0
	s_wait_loadcnt_dscnt 0x0
	v_pk_mul_f32 v[68:69], v[66:67], v[64:65] op_sel:[1,1] op_sel_hi:[0,1]
	s_delay_alu instid0(VALU_DEP_1) | instskip(SKIP_1) | instid1(VALU_DEP_2)
	v_pk_fma_f32 v[70:71], v[66:67], v[64:65], v[68:69] op_sel_hi:[1,0,1]
	v_pk_fma_f32 v[64:65], v[66:67], v[64:65], v[68:69] neg_lo:[0,0,1] neg_hi:[0,0,1]
	v_mov_b32_e32 v65, v71
	s_delay_alu instid0(VALU_DEP_1)
	v_pk_add_f32 v[60:61], v[60:61], v[64:65]
	s_and_not1_b32 exec_lo, exec_lo, s0
	s_cbranch_execnz .LBB27_62
; %bb.63:
	s_or_b32 exec_lo, exec_lo, s0
.LBB27_64:
	s_delay_alu instid0(SALU_CYCLE_1) | instskip(SKIP_4) | instid1(VALU_DEP_1)
	s_or_b32 exec_lo, exec_lo, s17
	v_mov_b32_e32 v62, 0
	ds_load_b64 v[62:63], v62 offset:168
	s_wait_dscnt 0x0
	v_pk_mul_f32 v[64:65], v[60:61], v[62:63] op_sel:[1,1] op_sel_hi:[0,1]
	v_pk_fma_f32 v[66:67], v[60:61], v[62:63], v[64:65] op_sel_hi:[1,0,1]
	v_pk_fma_f32 v[60:61], v[60:61], v[62:63], v[64:65] neg_lo:[0,0,1] neg_hi:[0,0,1]
	s_delay_alu instid0(VALU_DEP_2)
	v_mov_b32_e32 v61, v67
	scratch_store_b64 off, v[60:61], off offset:168
.LBB27_65:
	s_wait_xcnt 0x0
	s_or_b32 exec_lo, exec_lo, s16
	scratch_load_b64 v[60:61], off, off offset:160
	v_cmp_lt_u32_e64 s0, 20, v0
	s_wait_loadcnt 0x0
	ds_store_b64 v1, v[60:61]
	s_wait_storecnt_dscnt 0x0
	s_barrier_signal -1
	s_barrier_wait -1
	s_wait_xcnt 0x0
	s_and_saveexec_b32 s15, s0
	s_cbranch_execz .LBB27_75
; %bb.66:
	s_and_not1_b32 vcc_lo, exec_lo, s3
	s_cbranch_vccnz .LBB27_68
; %bb.67:
	scratch_load_b64 v[60:61], v37, off
	ds_load_b64 v[62:63], v1
	s_wait_loadcnt_dscnt 0x0
	v_pk_mul_f32 v[64:65], v[62:63], v[60:61] op_sel:[1,1] op_sel_hi:[0,1]
	s_delay_alu instid0(VALU_DEP_1) | instskip(SKIP_1) | instid1(VALU_DEP_2)
	v_pk_fma_f32 v[66:67], v[62:63], v[60:61], v[64:65] op_sel_hi:[1,0,1]
	v_pk_fma_f32 v[60:61], v[62:63], v[60:61], v[64:65] neg_lo:[0,0,1] neg_hi:[0,0,1]
	v_mov_b32_e32 v61, v67
	s_cbranch_execz .LBB27_69
	s_branch .LBB27_70
.LBB27_68:
                                        ; implicit-def: $vgpr60_vgpr61
.LBB27_69:
	ds_load_b64 v[60:61], v1
.LBB27_70:
	s_and_saveexec_b32 s16, s1
	s_cbranch_execz .LBB27_74
; %bb.71:
	v_subrev_nc_u32_e32 v62, 21, v0
	s_movk_i32 s1, 0xa8
	s_movk_i32 s18, 0x188
	s_mov_b32 s17, 0
.LBB27_72:                              ; =>This Inner Loop Header: Depth=1
	scratch_load_b64 v[64:65], off, s1
	v_dual_mov_b32 v63, s18 :: v_dual_add_nc_u32 v62, -1, v62
	s_add_co_i32 s18, s18, 8
	s_wait_xcnt 0x0
	s_add_co_i32 s1, s1, 8
	ds_load_b64 v[66:67], v63
	v_cmp_eq_u32_e32 vcc_lo, 0, v62
	s_or_b32 s17, vcc_lo, s17
	s_wait_loadcnt_dscnt 0x0
	v_pk_mul_f32 v[68:69], v[66:67], v[64:65] op_sel:[1,1] op_sel_hi:[0,1]
	s_delay_alu instid0(VALU_DEP_1) | instskip(SKIP_1) | instid1(VALU_DEP_2)
	v_pk_fma_f32 v[70:71], v[66:67], v[64:65], v[68:69] op_sel_hi:[1,0,1]
	v_pk_fma_f32 v[64:65], v[66:67], v[64:65], v[68:69] neg_lo:[0,0,1] neg_hi:[0,0,1]
	v_mov_b32_e32 v65, v71
	s_delay_alu instid0(VALU_DEP_1)
	v_pk_add_f32 v[60:61], v[60:61], v[64:65]
	s_and_not1_b32 exec_lo, exec_lo, s17
	s_cbranch_execnz .LBB27_72
; %bb.73:
	s_or_b32 exec_lo, exec_lo, s17
.LBB27_74:
	s_delay_alu instid0(SALU_CYCLE_1) | instskip(SKIP_4) | instid1(VALU_DEP_1)
	s_or_b32 exec_lo, exec_lo, s16
	v_mov_b32_e32 v62, 0
	ds_load_b64 v[62:63], v62 offset:160
	s_wait_dscnt 0x0
	v_pk_mul_f32 v[64:65], v[60:61], v[62:63] op_sel:[1,1] op_sel_hi:[0,1]
	v_pk_fma_f32 v[66:67], v[60:61], v[62:63], v[64:65] op_sel_hi:[1,0,1]
	v_pk_fma_f32 v[60:61], v[60:61], v[62:63], v[64:65] neg_lo:[0,0,1] neg_hi:[0,0,1]
	s_delay_alu instid0(VALU_DEP_2)
	v_mov_b32_e32 v61, v67
	scratch_store_b64 off, v[60:61], off offset:160
.LBB27_75:
	s_wait_xcnt 0x0
	s_or_b32 exec_lo, exec_lo, s15
	scratch_load_b64 v[60:61], off, off offset:152
	v_cmp_lt_u32_e64 s1, 19, v0
	s_wait_loadcnt 0x0
	ds_store_b64 v1, v[60:61]
	s_wait_storecnt_dscnt 0x0
	s_barrier_signal -1
	s_barrier_wait -1
	s_wait_xcnt 0x0
	s_and_saveexec_b32 s15, s1
	s_cbranch_execz .LBB27_85
; %bb.76:
	s_and_not1_b32 vcc_lo, exec_lo, s3
	s_cbranch_vccnz .LBB27_78
; %bb.77:
	scratch_load_b64 v[60:61], v37, off
	ds_load_b64 v[62:63], v1
	s_wait_loadcnt_dscnt 0x0
	v_pk_mul_f32 v[64:65], v[62:63], v[60:61] op_sel:[1,1] op_sel_hi:[0,1]
	s_delay_alu instid0(VALU_DEP_1) | instskip(SKIP_1) | instid1(VALU_DEP_2)
	v_pk_fma_f32 v[66:67], v[62:63], v[60:61], v[64:65] op_sel_hi:[1,0,1]
	v_pk_fma_f32 v[60:61], v[62:63], v[60:61], v[64:65] neg_lo:[0,0,1] neg_hi:[0,0,1]
	v_mov_b32_e32 v61, v67
	s_cbranch_execz .LBB27_79
	s_branch .LBB27_80
.LBB27_78:
                                        ; implicit-def: $vgpr60_vgpr61
.LBB27_79:
	ds_load_b64 v[60:61], v1
.LBB27_80:
	s_and_saveexec_b32 s16, s0
	s_cbranch_execz .LBB27_84
; %bb.81:
	v_subrev_nc_u32_e32 v62, 20, v0
	s_movk_i32 s17, 0x180
	s_mov_b32 s0, 0
.LBB27_82:                              ; =>This Inner Loop Header: Depth=1
	scratch_load_b64 v[64:65], off, s14
	v_dual_mov_b32 v63, s17 :: v_dual_add_nc_u32 v62, -1, v62
	s_add_co_i32 s17, s17, 8
	s_wait_xcnt 0x0
	s_add_co_i32 s14, s14, 8
	ds_load_b64 v[66:67], v63
	v_cmp_eq_u32_e32 vcc_lo, 0, v62
	s_or_b32 s0, vcc_lo, s0
	s_wait_loadcnt_dscnt 0x0
	v_pk_mul_f32 v[68:69], v[66:67], v[64:65] op_sel:[1,1] op_sel_hi:[0,1]
	s_delay_alu instid0(VALU_DEP_1) | instskip(SKIP_1) | instid1(VALU_DEP_2)
	v_pk_fma_f32 v[70:71], v[66:67], v[64:65], v[68:69] op_sel_hi:[1,0,1]
	v_pk_fma_f32 v[64:65], v[66:67], v[64:65], v[68:69] neg_lo:[0,0,1] neg_hi:[0,0,1]
	v_mov_b32_e32 v65, v71
	s_delay_alu instid0(VALU_DEP_1)
	v_pk_add_f32 v[60:61], v[60:61], v[64:65]
	s_and_not1_b32 exec_lo, exec_lo, s0
	s_cbranch_execnz .LBB27_82
; %bb.83:
	s_or_b32 exec_lo, exec_lo, s0
.LBB27_84:
	s_delay_alu instid0(SALU_CYCLE_1) | instskip(SKIP_4) | instid1(VALU_DEP_1)
	s_or_b32 exec_lo, exec_lo, s16
	v_mov_b32_e32 v62, 0
	ds_load_b64 v[62:63], v62 offset:152
	s_wait_dscnt 0x0
	v_pk_mul_f32 v[64:65], v[60:61], v[62:63] op_sel:[1,1] op_sel_hi:[0,1]
	v_pk_fma_f32 v[66:67], v[60:61], v[62:63], v[64:65] op_sel_hi:[1,0,1]
	v_pk_fma_f32 v[60:61], v[60:61], v[62:63], v[64:65] neg_lo:[0,0,1] neg_hi:[0,0,1]
	s_delay_alu instid0(VALU_DEP_2)
	v_mov_b32_e32 v61, v67
	scratch_store_b64 off, v[60:61], off offset:152
.LBB27_85:
	s_wait_xcnt 0x0
	s_or_b32 exec_lo, exec_lo, s15
	scratch_load_b64 v[60:61], off, off offset:144
	v_cmp_lt_u32_e64 s0, 18, v0
	s_wait_loadcnt 0x0
	ds_store_b64 v1, v[60:61]
	s_wait_storecnt_dscnt 0x0
	s_barrier_signal -1
	s_barrier_wait -1
	s_wait_xcnt 0x0
	s_and_saveexec_b32 s14, s0
	s_cbranch_execz .LBB27_95
; %bb.86:
	s_and_not1_b32 vcc_lo, exec_lo, s3
	s_cbranch_vccnz .LBB27_88
; %bb.87:
	scratch_load_b64 v[60:61], v37, off
	ds_load_b64 v[62:63], v1
	s_wait_loadcnt_dscnt 0x0
	v_pk_mul_f32 v[64:65], v[62:63], v[60:61] op_sel:[1,1] op_sel_hi:[0,1]
	s_delay_alu instid0(VALU_DEP_1) | instskip(SKIP_1) | instid1(VALU_DEP_2)
	v_pk_fma_f32 v[66:67], v[62:63], v[60:61], v[64:65] op_sel_hi:[1,0,1]
	v_pk_fma_f32 v[60:61], v[62:63], v[60:61], v[64:65] neg_lo:[0,0,1] neg_hi:[0,0,1]
	v_mov_b32_e32 v61, v67
	s_cbranch_execz .LBB27_89
	s_branch .LBB27_90
.LBB27_88:
                                        ; implicit-def: $vgpr60_vgpr61
.LBB27_89:
	ds_load_b64 v[60:61], v1
.LBB27_90:
	s_and_saveexec_b32 s15, s1
	s_cbranch_execz .LBB27_94
; %bb.91:
	v_subrev_nc_u32_e32 v62, 19, v0
	s_movk_i32 s1, 0x98
	s_movk_i32 s17, 0x178
	s_mov_b32 s16, 0
.LBB27_92:                              ; =>This Inner Loop Header: Depth=1
	scratch_load_b64 v[64:65], off, s1
	v_dual_mov_b32 v63, s17 :: v_dual_add_nc_u32 v62, -1, v62
	s_add_co_i32 s17, s17, 8
	s_wait_xcnt 0x0
	s_add_co_i32 s1, s1, 8
	ds_load_b64 v[66:67], v63
	v_cmp_eq_u32_e32 vcc_lo, 0, v62
	s_or_b32 s16, vcc_lo, s16
	s_wait_loadcnt_dscnt 0x0
	v_pk_mul_f32 v[68:69], v[66:67], v[64:65] op_sel:[1,1] op_sel_hi:[0,1]
	s_delay_alu instid0(VALU_DEP_1) | instskip(SKIP_1) | instid1(VALU_DEP_2)
	v_pk_fma_f32 v[70:71], v[66:67], v[64:65], v[68:69] op_sel_hi:[1,0,1]
	v_pk_fma_f32 v[64:65], v[66:67], v[64:65], v[68:69] neg_lo:[0,0,1] neg_hi:[0,0,1]
	v_mov_b32_e32 v65, v71
	s_delay_alu instid0(VALU_DEP_1)
	v_pk_add_f32 v[60:61], v[60:61], v[64:65]
	s_and_not1_b32 exec_lo, exec_lo, s16
	s_cbranch_execnz .LBB27_92
; %bb.93:
	s_or_b32 exec_lo, exec_lo, s16
.LBB27_94:
	s_delay_alu instid0(SALU_CYCLE_1) | instskip(SKIP_4) | instid1(VALU_DEP_1)
	s_or_b32 exec_lo, exec_lo, s15
	v_mov_b32_e32 v62, 0
	ds_load_b64 v[62:63], v62 offset:144
	s_wait_dscnt 0x0
	v_pk_mul_f32 v[64:65], v[60:61], v[62:63] op_sel:[1,1] op_sel_hi:[0,1]
	v_pk_fma_f32 v[66:67], v[60:61], v[62:63], v[64:65] op_sel_hi:[1,0,1]
	v_pk_fma_f32 v[60:61], v[60:61], v[62:63], v[64:65] neg_lo:[0,0,1] neg_hi:[0,0,1]
	s_delay_alu instid0(VALU_DEP_2)
	v_mov_b32_e32 v61, v67
	scratch_store_b64 off, v[60:61], off offset:144
.LBB27_95:
	s_wait_xcnt 0x0
	s_or_b32 exec_lo, exec_lo, s14
	scratch_load_b64 v[60:61], off, off offset:136
	v_cmp_lt_u32_e64 s1, 17, v0
	s_wait_loadcnt 0x0
	ds_store_b64 v1, v[60:61]
	s_wait_storecnt_dscnt 0x0
	s_barrier_signal -1
	s_barrier_wait -1
	s_wait_xcnt 0x0
	s_and_saveexec_b32 s14, s1
	s_cbranch_execz .LBB27_105
; %bb.96:
	s_and_not1_b32 vcc_lo, exec_lo, s3
	s_cbranch_vccnz .LBB27_98
; %bb.97:
	scratch_load_b64 v[60:61], v37, off
	ds_load_b64 v[62:63], v1
	s_wait_loadcnt_dscnt 0x0
	v_pk_mul_f32 v[64:65], v[62:63], v[60:61] op_sel:[1,1] op_sel_hi:[0,1]
	s_delay_alu instid0(VALU_DEP_1) | instskip(SKIP_1) | instid1(VALU_DEP_2)
	v_pk_fma_f32 v[66:67], v[62:63], v[60:61], v[64:65] op_sel_hi:[1,0,1]
	v_pk_fma_f32 v[60:61], v[62:63], v[60:61], v[64:65] neg_lo:[0,0,1] neg_hi:[0,0,1]
	v_mov_b32_e32 v61, v67
	s_cbranch_execz .LBB27_99
	s_branch .LBB27_100
.LBB27_98:
                                        ; implicit-def: $vgpr60_vgpr61
.LBB27_99:
	ds_load_b64 v[60:61], v1
.LBB27_100:
	s_and_saveexec_b32 s15, s0
	s_cbranch_execz .LBB27_104
; %bb.101:
	v_subrev_nc_u32_e32 v62, 18, v0
	s_movk_i32 s16, 0x170
	s_mov_b32 s0, 0
.LBB27_102:                             ; =>This Inner Loop Header: Depth=1
	scratch_load_b64 v[64:65], off, s13
	v_dual_mov_b32 v63, s16 :: v_dual_add_nc_u32 v62, -1, v62
	s_add_co_i32 s16, s16, 8
	s_wait_xcnt 0x0
	s_add_co_i32 s13, s13, 8
	ds_load_b64 v[66:67], v63
	v_cmp_eq_u32_e32 vcc_lo, 0, v62
	s_or_b32 s0, vcc_lo, s0
	s_wait_loadcnt_dscnt 0x0
	v_pk_mul_f32 v[68:69], v[66:67], v[64:65] op_sel:[1,1] op_sel_hi:[0,1]
	s_delay_alu instid0(VALU_DEP_1) | instskip(SKIP_1) | instid1(VALU_DEP_2)
	v_pk_fma_f32 v[70:71], v[66:67], v[64:65], v[68:69] op_sel_hi:[1,0,1]
	v_pk_fma_f32 v[64:65], v[66:67], v[64:65], v[68:69] neg_lo:[0,0,1] neg_hi:[0,0,1]
	v_mov_b32_e32 v65, v71
	s_delay_alu instid0(VALU_DEP_1)
	v_pk_add_f32 v[60:61], v[60:61], v[64:65]
	s_and_not1_b32 exec_lo, exec_lo, s0
	s_cbranch_execnz .LBB27_102
; %bb.103:
	s_or_b32 exec_lo, exec_lo, s0
.LBB27_104:
	s_delay_alu instid0(SALU_CYCLE_1) | instskip(SKIP_4) | instid1(VALU_DEP_1)
	s_or_b32 exec_lo, exec_lo, s15
	v_mov_b32_e32 v62, 0
	ds_load_b64 v[62:63], v62 offset:136
	s_wait_dscnt 0x0
	v_pk_mul_f32 v[64:65], v[60:61], v[62:63] op_sel:[1,1] op_sel_hi:[0,1]
	v_pk_fma_f32 v[66:67], v[60:61], v[62:63], v[64:65] op_sel_hi:[1,0,1]
	v_pk_fma_f32 v[60:61], v[60:61], v[62:63], v[64:65] neg_lo:[0,0,1] neg_hi:[0,0,1]
	s_delay_alu instid0(VALU_DEP_2)
	v_mov_b32_e32 v61, v67
	scratch_store_b64 off, v[60:61], off offset:136
.LBB27_105:
	s_wait_xcnt 0x0
	s_or_b32 exec_lo, exec_lo, s14
	scratch_load_b64 v[60:61], off, off offset:128
	v_cmp_lt_u32_e64 s0, 16, v0
	s_wait_loadcnt 0x0
	ds_store_b64 v1, v[60:61]
	s_wait_storecnt_dscnt 0x0
	s_barrier_signal -1
	s_barrier_wait -1
	s_wait_xcnt 0x0
	s_and_saveexec_b32 s13, s0
	s_cbranch_execz .LBB27_115
; %bb.106:
	s_and_not1_b32 vcc_lo, exec_lo, s3
	s_cbranch_vccnz .LBB27_108
; %bb.107:
	scratch_load_b64 v[60:61], v37, off
	ds_load_b64 v[62:63], v1
	s_wait_loadcnt_dscnt 0x0
	v_pk_mul_f32 v[64:65], v[62:63], v[60:61] op_sel:[1,1] op_sel_hi:[0,1]
	s_delay_alu instid0(VALU_DEP_1) | instskip(SKIP_1) | instid1(VALU_DEP_2)
	v_pk_fma_f32 v[66:67], v[62:63], v[60:61], v[64:65] op_sel_hi:[1,0,1]
	v_pk_fma_f32 v[60:61], v[62:63], v[60:61], v[64:65] neg_lo:[0,0,1] neg_hi:[0,0,1]
	v_mov_b32_e32 v61, v67
	s_cbranch_execz .LBB27_109
	s_branch .LBB27_110
.LBB27_108:
                                        ; implicit-def: $vgpr60_vgpr61
.LBB27_109:
	ds_load_b64 v[60:61], v1
.LBB27_110:
	s_and_saveexec_b32 s14, s1
	s_cbranch_execz .LBB27_114
; %bb.111:
	v_subrev_nc_u32_e32 v62, 17, v0
	s_movk_i32 s1, 0x88
	s_movk_i32 s16, 0x168
	s_mov_b32 s15, 0
.LBB27_112:                             ; =>This Inner Loop Header: Depth=1
	scratch_load_b64 v[64:65], off, s1
	v_dual_mov_b32 v63, s16 :: v_dual_add_nc_u32 v62, -1, v62
	s_add_co_i32 s16, s16, 8
	s_wait_xcnt 0x0
	s_add_co_i32 s1, s1, 8
	ds_load_b64 v[66:67], v63
	v_cmp_eq_u32_e32 vcc_lo, 0, v62
	s_or_b32 s15, vcc_lo, s15
	s_wait_loadcnt_dscnt 0x0
	v_pk_mul_f32 v[68:69], v[66:67], v[64:65] op_sel:[1,1] op_sel_hi:[0,1]
	s_delay_alu instid0(VALU_DEP_1) | instskip(SKIP_1) | instid1(VALU_DEP_2)
	v_pk_fma_f32 v[70:71], v[66:67], v[64:65], v[68:69] op_sel_hi:[1,0,1]
	v_pk_fma_f32 v[64:65], v[66:67], v[64:65], v[68:69] neg_lo:[0,0,1] neg_hi:[0,0,1]
	v_mov_b32_e32 v65, v71
	s_delay_alu instid0(VALU_DEP_1)
	v_pk_add_f32 v[60:61], v[60:61], v[64:65]
	s_and_not1_b32 exec_lo, exec_lo, s15
	s_cbranch_execnz .LBB27_112
; %bb.113:
	s_or_b32 exec_lo, exec_lo, s15
.LBB27_114:
	s_delay_alu instid0(SALU_CYCLE_1) | instskip(SKIP_4) | instid1(VALU_DEP_1)
	s_or_b32 exec_lo, exec_lo, s14
	v_mov_b32_e32 v62, 0
	ds_load_b64 v[62:63], v62 offset:128
	s_wait_dscnt 0x0
	v_pk_mul_f32 v[64:65], v[60:61], v[62:63] op_sel:[1,1] op_sel_hi:[0,1]
	v_pk_fma_f32 v[66:67], v[60:61], v[62:63], v[64:65] op_sel_hi:[1,0,1]
	v_pk_fma_f32 v[60:61], v[60:61], v[62:63], v[64:65] neg_lo:[0,0,1] neg_hi:[0,0,1]
	s_delay_alu instid0(VALU_DEP_2)
	v_mov_b32_e32 v61, v67
	scratch_store_b64 off, v[60:61], off offset:128
.LBB27_115:
	s_wait_xcnt 0x0
	s_or_b32 exec_lo, exec_lo, s13
	scratch_load_b64 v[60:61], off, off offset:120
	v_cmp_lt_u32_e64 s1, 15, v0
	s_wait_loadcnt 0x0
	ds_store_b64 v1, v[60:61]
	s_wait_storecnt_dscnt 0x0
	s_barrier_signal -1
	s_barrier_wait -1
	s_wait_xcnt 0x0
	s_and_saveexec_b32 s13, s1
	s_cbranch_execz .LBB27_125
; %bb.116:
	s_and_not1_b32 vcc_lo, exec_lo, s3
	s_cbranch_vccnz .LBB27_118
; %bb.117:
	scratch_load_b64 v[60:61], v37, off
	ds_load_b64 v[62:63], v1
	s_wait_loadcnt_dscnt 0x0
	v_pk_mul_f32 v[64:65], v[62:63], v[60:61] op_sel:[1,1] op_sel_hi:[0,1]
	s_delay_alu instid0(VALU_DEP_1) | instskip(SKIP_1) | instid1(VALU_DEP_2)
	v_pk_fma_f32 v[66:67], v[62:63], v[60:61], v[64:65] op_sel_hi:[1,0,1]
	v_pk_fma_f32 v[60:61], v[62:63], v[60:61], v[64:65] neg_lo:[0,0,1] neg_hi:[0,0,1]
	v_mov_b32_e32 v61, v67
	s_cbranch_execz .LBB27_119
	s_branch .LBB27_120
.LBB27_118:
                                        ; implicit-def: $vgpr60_vgpr61
.LBB27_119:
	ds_load_b64 v[60:61], v1
.LBB27_120:
	s_and_saveexec_b32 s14, s0
	s_cbranch_execz .LBB27_124
; %bb.121:
	v_add_nc_u32_e32 v62, -16, v0
	s_movk_i32 s15, 0x160
	s_mov_b32 s0, 0
.LBB27_122:                             ; =>This Inner Loop Header: Depth=1
	scratch_load_b64 v[64:65], off, s12
	v_dual_mov_b32 v63, s15 :: v_dual_add_nc_u32 v62, -1, v62
	s_add_co_i32 s15, s15, 8
	s_wait_xcnt 0x0
	s_add_co_i32 s12, s12, 8
	ds_load_b64 v[66:67], v63
	v_cmp_eq_u32_e32 vcc_lo, 0, v62
	s_or_b32 s0, vcc_lo, s0
	s_wait_loadcnt_dscnt 0x0
	v_pk_mul_f32 v[68:69], v[66:67], v[64:65] op_sel:[1,1] op_sel_hi:[0,1]
	s_delay_alu instid0(VALU_DEP_1) | instskip(SKIP_1) | instid1(VALU_DEP_2)
	v_pk_fma_f32 v[70:71], v[66:67], v[64:65], v[68:69] op_sel_hi:[1,0,1]
	v_pk_fma_f32 v[64:65], v[66:67], v[64:65], v[68:69] neg_lo:[0,0,1] neg_hi:[0,0,1]
	v_mov_b32_e32 v65, v71
	s_delay_alu instid0(VALU_DEP_1)
	v_pk_add_f32 v[60:61], v[60:61], v[64:65]
	s_and_not1_b32 exec_lo, exec_lo, s0
	s_cbranch_execnz .LBB27_122
; %bb.123:
	s_or_b32 exec_lo, exec_lo, s0
.LBB27_124:
	s_delay_alu instid0(SALU_CYCLE_1) | instskip(SKIP_4) | instid1(VALU_DEP_1)
	s_or_b32 exec_lo, exec_lo, s14
	v_mov_b32_e32 v62, 0
	ds_load_b64 v[62:63], v62 offset:120
	s_wait_dscnt 0x0
	v_pk_mul_f32 v[64:65], v[60:61], v[62:63] op_sel:[1,1] op_sel_hi:[0,1]
	v_pk_fma_f32 v[66:67], v[60:61], v[62:63], v[64:65] op_sel_hi:[1,0,1]
	v_pk_fma_f32 v[60:61], v[60:61], v[62:63], v[64:65] neg_lo:[0,0,1] neg_hi:[0,0,1]
	s_delay_alu instid0(VALU_DEP_2)
	v_mov_b32_e32 v61, v67
	scratch_store_b64 off, v[60:61], off offset:120
.LBB27_125:
	s_wait_xcnt 0x0
	s_or_b32 exec_lo, exec_lo, s13
	scratch_load_b64 v[60:61], off, off offset:112
	v_cmp_lt_u32_e64 s0, 14, v0
	s_wait_loadcnt 0x0
	ds_store_b64 v1, v[60:61]
	s_wait_storecnt_dscnt 0x0
	s_barrier_signal -1
	s_barrier_wait -1
	s_wait_xcnt 0x0
	s_and_saveexec_b32 s12, s0
	s_cbranch_execz .LBB27_135
; %bb.126:
	s_and_not1_b32 vcc_lo, exec_lo, s3
	s_cbranch_vccnz .LBB27_128
; %bb.127:
	scratch_load_b64 v[60:61], v37, off
	ds_load_b64 v[62:63], v1
	s_wait_loadcnt_dscnt 0x0
	v_pk_mul_f32 v[64:65], v[62:63], v[60:61] op_sel:[1,1] op_sel_hi:[0,1]
	s_delay_alu instid0(VALU_DEP_1) | instskip(SKIP_1) | instid1(VALU_DEP_2)
	v_pk_fma_f32 v[66:67], v[62:63], v[60:61], v[64:65] op_sel_hi:[1,0,1]
	v_pk_fma_f32 v[60:61], v[62:63], v[60:61], v[64:65] neg_lo:[0,0,1] neg_hi:[0,0,1]
	v_mov_b32_e32 v61, v67
	s_cbranch_execz .LBB27_129
	s_branch .LBB27_130
.LBB27_128:
                                        ; implicit-def: $vgpr60_vgpr61
.LBB27_129:
	ds_load_b64 v[60:61], v1
.LBB27_130:
	s_and_saveexec_b32 s13, s1
	s_cbranch_execz .LBB27_134
; %bb.131:
	v_add_nc_u32_e32 v62, -15, v0
	s_movk_i32 s1, 0x78
	s_movk_i32 s15, 0x158
	s_mov_b32 s14, 0
.LBB27_132:                             ; =>This Inner Loop Header: Depth=1
	scratch_load_b64 v[64:65], off, s1
	v_dual_mov_b32 v63, s15 :: v_dual_add_nc_u32 v62, -1, v62
	s_add_co_i32 s15, s15, 8
	s_wait_xcnt 0x0
	s_add_co_i32 s1, s1, 8
	ds_load_b64 v[66:67], v63
	v_cmp_eq_u32_e32 vcc_lo, 0, v62
	s_or_b32 s14, vcc_lo, s14
	s_wait_loadcnt_dscnt 0x0
	v_pk_mul_f32 v[68:69], v[66:67], v[64:65] op_sel:[1,1] op_sel_hi:[0,1]
	s_delay_alu instid0(VALU_DEP_1) | instskip(SKIP_1) | instid1(VALU_DEP_2)
	v_pk_fma_f32 v[70:71], v[66:67], v[64:65], v[68:69] op_sel_hi:[1,0,1]
	v_pk_fma_f32 v[64:65], v[66:67], v[64:65], v[68:69] neg_lo:[0,0,1] neg_hi:[0,0,1]
	v_mov_b32_e32 v65, v71
	s_delay_alu instid0(VALU_DEP_1)
	v_pk_add_f32 v[60:61], v[60:61], v[64:65]
	s_and_not1_b32 exec_lo, exec_lo, s14
	s_cbranch_execnz .LBB27_132
; %bb.133:
	s_or_b32 exec_lo, exec_lo, s14
.LBB27_134:
	s_delay_alu instid0(SALU_CYCLE_1) | instskip(SKIP_4) | instid1(VALU_DEP_1)
	s_or_b32 exec_lo, exec_lo, s13
	v_mov_b32_e32 v62, 0
	ds_load_b64 v[62:63], v62 offset:112
	s_wait_dscnt 0x0
	v_pk_mul_f32 v[64:65], v[60:61], v[62:63] op_sel:[1,1] op_sel_hi:[0,1]
	v_pk_fma_f32 v[66:67], v[60:61], v[62:63], v[64:65] op_sel_hi:[1,0,1]
	v_pk_fma_f32 v[60:61], v[60:61], v[62:63], v[64:65] neg_lo:[0,0,1] neg_hi:[0,0,1]
	s_delay_alu instid0(VALU_DEP_2)
	v_mov_b32_e32 v61, v67
	scratch_store_b64 off, v[60:61], off offset:112
.LBB27_135:
	s_wait_xcnt 0x0
	s_or_b32 exec_lo, exec_lo, s12
	scratch_load_b64 v[60:61], off, off offset:104
	v_cmp_lt_u32_e64 s1, 13, v0
	s_wait_loadcnt 0x0
	ds_store_b64 v1, v[60:61]
	s_wait_storecnt_dscnt 0x0
	s_barrier_signal -1
	s_barrier_wait -1
	s_wait_xcnt 0x0
	s_and_saveexec_b32 s12, s1
	s_cbranch_execz .LBB27_145
; %bb.136:
	s_and_not1_b32 vcc_lo, exec_lo, s3
	s_cbranch_vccnz .LBB27_138
; %bb.137:
	scratch_load_b64 v[60:61], v37, off
	ds_load_b64 v[62:63], v1
	s_wait_loadcnt_dscnt 0x0
	v_pk_mul_f32 v[64:65], v[62:63], v[60:61] op_sel:[1,1] op_sel_hi:[0,1]
	s_delay_alu instid0(VALU_DEP_1) | instskip(SKIP_1) | instid1(VALU_DEP_2)
	v_pk_fma_f32 v[66:67], v[62:63], v[60:61], v[64:65] op_sel_hi:[1,0,1]
	v_pk_fma_f32 v[60:61], v[62:63], v[60:61], v[64:65] neg_lo:[0,0,1] neg_hi:[0,0,1]
	v_mov_b32_e32 v61, v67
	s_cbranch_execz .LBB27_139
	s_branch .LBB27_140
.LBB27_138:
                                        ; implicit-def: $vgpr60_vgpr61
.LBB27_139:
	ds_load_b64 v[60:61], v1
.LBB27_140:
	s_and_saveexec_b32 s13, s0
	s_cbranch_execz .LBB27_144
; %bb.141:
	v_add_nc_u32_e32 v62, -14, v0
	s_movk_i32 s14, 0x150
	s_mov_b32 s0, 0
.LBB27_142:                             ; =>This Inner Loop Header: Depth=1
	scratch_load_b64 v[64:65], off, s11
	v_dual_mov_b32 v63, s14 :: v_dual_add_nc_u32 v62, -1, v62
	s_add_co_i32 s14, s14, 8
	s_wait_xcnt 0x0
	s_add_co_i32 s11, s11, 8
	ds_load_b64 v[66:67], v63
	v_cmp_eq_u32_e32 vcc_lo, 0, v62
	s_or_b32 s0, vcc_lo, s0
	s_wait_loadcnt_dscnt 0x0
	v_pk_mul_f32 v[68:69], v[66:67], v[64:65] op_sel:[1,1] op_sel_hi:[0,1]
	s_delay_alu instid0(VALU_DEP_1) | instskip(SKIP_1) | instid1(VALU_DEP_2)
	v_pk_fma_f32 v[70:71], v[66:67], v[64:65], v[68:69] op_sel_hi:[1,0,1]
	v_pk_fma_f32 v[64:65], v[66:67], v[64:65], v[68:69] neg_lo:[0,0,1] neg_hi:[0,0,1]
	v_mov_b32_e32 v65, v71
	s_delay_alu instid0(VALU_DEP_1)
	v_pk_add_f32 v[60:61], v[60:61], v[64:65]
	s_and_not1_b32 exec_lo, exec_lo, s0
	s_cbranch_execnz .LBB27_142
; %bb.143:
	s_or_b32 exec_lo, exec_lo, s0
.LBB27_144:
	s_delay_alu instid0(SALU_CYCLE_1) | instskip(SKIP_4) | instid1(VALU_DEP_1)
	s_or_b32 exec_lo, exec_lo, s13
	v_mov_b32_e32 v62, 0
	ds_load_b64 v[62:63], v62 offset:104
	s_wait_dscnt 0x0
	v_pk_mul_f32 v[64:65], v[60:61], v[62:63] op_sel:[1,1] op_sel_hi:[0,1]
	v_pk_fma_f32 v[66:67], v[60:61], v[62:63], v[64:65] op_sel_hi:[1,0,1]
	v_pk_fma_f32 v[60:61], v[60:61], v[62:63], v[64:65] neg_lo:[0,0,1] neg_hi:[0,0,1]
	s_delay_alu instid0(VALU_DEP_2)
	v_mov_b32_e32 v61, v67
	scratch_store_b64 off, v[60:61], off offset:104
.LBB27_145:
	s_wait_xcnt 0x0
	s_or_b32 exec_lo, exec_lo, s12
	scratch_load_b64 v[60:61], off, off offset:96
	v_cmp_lt_u32_e64 s0, 12, v0
	s_wait_loadcnt 0x0
	ds_store_b64 v1, v[60:61]
	s_wait_storecnt_dscnt 0x0
	s_barrier_signal -1
	s_barrier_wait -1
	s_wait_xcnt 0x0
	s_and_saveexec_b32 s11, s0
	s_cbranch_execz .LBB27_155
; %bb.146:
	s_and_not1_b32 vcc_lo, exec_lo, s3
	s_cbranch_vccnz .LBB27_148
; %bb.147:
	scratch_load_b64 v[60:61], v37, off
	ds_load_b64 v[62:63], v1
	s_wait_loadcnt_dscnt 0x0
	v_pk_mul_f32 v[64:65], v[62:63], v[60:61] op_sel:[1,1] op_sel_hi:[0,1]
	s_delay_alu instid0(VALU_DEP_1) | instskip(SKIP_1) | instid1(VALU_DEP_2)
	v_pk_fma_f32 v[66:67], v[62:63], v[60:61], v[64:65] op_sel_hi:[1,0,1]
	v_pk_fma_f32 v[60:61], v[62:63], v[60:61], v[64:65] neg_lo:[0,0,1] neg_hi:[0,0,1]
	v_mov_b32_e32 v61, v67
	s_cbranch_execz .LBB27_149
	s_branch .LBB27_150
.LBB27_148:
                                        ; implicit-def: $vgpr60_vgpr61
.LBB27_149:
	ds_load_b64 v[60:61], v1
.LBB27_150:
	s_and_saveexec_b32 s12, s1
	s_cbranch_execz .LBB27_154
; %bb.151:
	v_add_nc_u32_e32 v62, -13, v0
	s_movk_i32 s1, 0x68
	s_movk_i32 s14, 0x148
	s_mov_b32 s13, 0
.LBB27_152:                             ; =>This Inner Loop Header: Depth=1
	scratch_load_b64 v[64:65], off, s1
	v_dual_mov_b32 v63, s14 :: v_dual_add_nc_u32 v62, -1, v62
	s_add_co_i32 s14, s14, 8
	s_wait_xcnt 0x0
	s_add_co_i32 s1, s1, 8
	ds_load_b64 v[66:67], v63
	v_cmp_eq_u32_e32 vcc_lo, 0, v62
	s_or_b32 s13, vcc_lo, s13
	s_wait_loadcnt_dscnt 0x0
	v_pk_mul_f32 v[68:69], v[66:67], v[64:65] op_sel:[1,1] op_sel_hi:[0,1]
	s_delay_alu instid0(VALU_DEP_1) | instskip(SKIP_1) | instid1(VALU_DEP_2)
	v_pk_fma_f32 v[70:71], v[66:67], v[64:65], v[68:69] op_sel_hi:[1,0,1]
	v_pk_fma_f32 v[64:65], v[66:67], v[64:65], v[68:69] neg_lo:[0,0,1] neg_hi:[0,0,1]
	v_mov_b32_e32 v65, v71
	s_delay_alu instid0(VALU_DEP_1)
	v_pk_add_f32 v[60:61], v[60:61], v[64:65]
	s_and_not1_b32 exec_lo, exec_lo, s13
	s_cbranch_execnz .LBB27_152
; %bb.153:
	s_or_b32 exec_lo, exec_lo, s13
.LBB27_154:
	s_delay_alu instid0(SALU_CYCLE_1) | instskip(SKIP_4) | instid1(VALU_DEP_1)
	s_or_b32 exec_lo, exec_lo, s12
	v_mov_b32_e32 v62, 0
	ds_load_b64 v[62:63], v62 offset:96
	s_wait_dscnt 0x0
	v_pk_mul_f32 v[64:65], v[60:61], v[62:63] op_sel:[1,1] op_sel_hi:[0,1]
	v_pk_fma_f32 v[66:67], v[60:61], v[62:63], v[64:65] op_sel_hi:[1,0,1]
	v_pk_fma_f32 v[60:61], v[60:61], v[62:63], v[64:65] neg_lo:[0,0,1] neg_hi:[0,0,1]
	s_delay_alu instid0(VALU_DEP_2)
	v_mov_b32_e32 v61, v67
	scratch_store_b64 off, v[60:61], off offset:96
.LBB27_155:
	s_wait_xcnt 0x0
	s_or_b32 exec_lo, exec_lo, s11
	scratch_load_b64 v[60:61], off, off offset:88
	v_cmp_lt_u32_e64 s1, 11, v0
	s_wait_loadcnt 0x0
	ds_store_b64 v1, v[60:61]
	s_wait_storecnt_dscnt 0x0
	s_barrier_signal -1
	s_barrier_wait -1
	s_wait_xcnt 0x0
	s_and_saveexec_b32 s11, s1
	s_cbranch_execz .LBB27_165
; %bb.156:
	s_and_not1_b32 vcc_lo, exec_lo, s3
	s_cbranch_vccnz .LBB27_158
; %bb.157:
	scratch_load_b64 v[60:61], v37, off
	ds_load_b64 v[62:63], v1
	s_wait_loadcnt_dscnt 0x0
	v_pk_mul_f32 v[64:65], v[62:63], v[60:61] op_sel:[1,1] op_sel_hi:[0,1]
	s_delay_alu instid0(VALU_DEP_1) | instskip(SKIP_1) | instid1(VALU_DEP_2)
	v_pk_fma_f32 v[66:67], v[62:63], v[60:61], v[64:65] op_sel_hi:[1,0,1]
	v_pk_fma_f32 v[60:61], v[62:63], v[60:61], v[64:65] neg_lo:[0,0,1] neg_hi:[0,0,1]
	v_mov_b32_e32 v61, v67
	s_cbranch_execz .LBB27_159
	s_branch .LBB27_160
.LBB27_158:
                                        ; implicit-def: $vgpr60_vgpr61
.LBB27_159:
	ds_load_b64 v[60:61], v1
.LBB27_160:
	s_and_saveexec_b32 s12, s0
	s_cbranch_execz .LBB27_164
; %bb.161:
	v_add_nc_u32_e32 v62, -12, v0
	s_movk_i32 s13, 0x140
	s_mov_b32 s0, 0
.LBB27_162:                             ; =>This Inner Loop Header: Depth=1
	scratch_load_b64 v[64:65], off, s10
	v_dual_mov_b32 v63, s13 :: v_dual_add_nc_u32 v62, -1, v62
	s_add_co_i32 s13, s13, 8
	s_wait_xcnt 0x0
	s_add_co_i32 s10, s10, 8
	ds_load_b64 v[66:67], v63
	v_cmp_eq_u32_e32 vcc_lo, 0, v62
	s_or_b32 s0, vcc_lo, s0
	s_wait_loadcnt_dscnt 0x0
	v_pk_mul_f32 v[68:69], v[66:67], v[64:65] op_sel:[1,1] op_sel_hi:[0,1]
	s_delay_alu instid0(VALU_DEP_1) | instskip(SKIP_1) | instid1(VALU_DEP_2)
	v_pk_fma_f32 v[70:71], v[66:67], v[64:65], v[68:69] op_sel_hi:[1,0,1]
	v_pk_fma_f32 v[64:65], v[66:67], v[64:65], v[68:69] neg_lo:[0,0,1] neg_hi:[0,0,1]
	v_mov_b32_e32 v65, v71
	s_delay_alu instid0(VALU_DEP_1)
	v_pk_add_f32 v[60:61], v[60:61], v[64:65]
	s_and_not1_b32 exec_lo, exec_lo, s0
	s_cbranch_execnz .LBB27_162
; %bb.163:
	s_or_b32 exec_lo, exec_lo, s0
.LBB27_164:
	s_delay_alu instid0(SALU_CYCLE_1) | instskip(SKIP_4) | instid1(VALU_DEP_1)
	s_or_b32 exec_lo, exec_lo, s12
	v_mov_b32_e32 v62, 0
	ds_load_b64 v[62:63], v62 offset:88
	s_wait_dscnt 0x0
	v_pk_mul_f32 v[64:65], v[60:61], v[62:63] op_sel:[1,1] op_sel_hi:[0,1]
	v_pk_fma_f32 v[66:67], v[60:61], v[62:63], v[64:65] op_sel_hi:[1,0,1]
	v_pk_fma_f32 v[60:61], v[60:61], v[62:63], v[64:65] neg_lo:[0,0,1] neg_hi:[0,0,1]
	s_delay_alu instid0(VALU_DEP_2)
	v_mov_b32_e32 v61, v67
	scratch_store_b64 off, v[60:61], off offset:88
.LBB27_165:
	s_wait_xcnt 0x0
	s_or_b32 exec_lo, exec_lo, s11
	scratch_load_b64 v[60:61], off, off offset:80
	v_cmp_lt_u32_e64 s0, 10, v0
	s_wait_loadcnt 0x0
	ds_store_b64 v1, v[60:61]
	s_wait_storecnt_dscnt 0x0
	s_barrier_signal -1
	s_barrier_wait -1
	s_wait_xcnt 0x0
	s_and_saveexec_b32 s10, s0
	s_cbranch_execz .LBB27_175
; %bb.166:
	s_and_not1_b32 vcc_lo, exec_lo, s3
	s_cbranch_vccnz .LBB27_168
; %bb.167:
	scratch_load_b64 v[60:61], v37, off
	ds_load_b64 v[62:63], v1
	s_wait_loadcnt_dscnt 0x0
	v_pk_mul_f32 v[64:65], v[62:63], v[60:61] op_sel:[1,1] op_sel_hi:[0,1]
	s_delay_alu instid0(VALU_DEP_1) | instskip(SKIP_1) | instid1(VALU_DEP_2)
	v_pk_fma_f32 v[66:67], v[62:63], v[60:61], v[64:65] op_sel_hi:[1,0,1]
	v_pk_fma_f32 v[60:61], v[62:63], v[60:61], v[64:65] neg_lo:[0,0,1] neg_hi:[0,0,1]
	v_mov_b32_e32 v61, v67
	s_cbranch_execz .LBB27_169
	s_branch .LBB27_170
.LBB27_168:
                                        ; implicit-def: $vgpr60_vgpr61
.LBB27_169:
	ds_load_b64 v[60:61], v1
.LBB27_170:
	s_and_saveexec_b32 s11, s1
	s_cbranch_execz .LBB27_174
; %bb.171:
	v_add_nc_u32_e32 v62, -11, v0
	s_movk_i32 s1, 0x58
	s_movk_i32 s13, 0x138
	s_mov_b32 s12, 0
.LBB27_172:                             ; =>This Inner Loop Header: Depth=1
	scratch_load_b64 v[64:65], off, s1
	v_dual_mov_b32 v63, s13 :: v_dual_add_nc_u32 v62, -1, v62
	s_add_co_i32 s13, s13, 8
	s_wait_xcnt 0x0
	s_add_co_i32 s1, s1, 8
	ds_load_b64 v[66:67], v63
	v_cmp_eq_u32_e32 vcc_lo, 0, v62
	s_or_b32 s12, vcc_lo, s12
	s_wait_loadcnt_dscnt 0x0
	v_pk_mul_f32 v[68:69], v[66:67], v[64:65] op_sel:[1,1] op_sel_hi:[0,1]
	s_delay_alu instid0(VALU_DEP_1) | instskip(SKIP_1) | instid1(VALU_DEP_2)
	v_pk_fma_f32 v[70:71], v[66:67], v[64:65], v[68:69] op_sel_hi:[1,0,1]
	v_pk_fma_f32 v[64:65], v[66:67], v[64:65], v[68:69] neg_lo:[0,0,1] neg_hi:[0,0,1]
	v_mov_b32_e32 v65, v71
	s_delay_alu instid0(VALU_DEP_1)
	v_pk_add_f32 v[60:61], v[60:61], v[64:65]
	s_and_not1_b32 exec_lo, exec_lo, s12
	s_cbranch_execnz .LBB27_172
; %bb.173:
	s_or_b32 exec_lo, exec_lo, s12
.LBB27_174:
	s_delay_alu instid0(SALU_CYCLE_1) | instskip(SKIP_4) | instid1(VALU_DEP_1)
	s_or_b32 exec_lo, exec_lo, s11
	v_mov_b32_e32 v62, 0
	ds_load_b64 v[62:63], v62 offset:80
	s_wait_dscnt 0x0
	v_pk_mul_f32 v[64:65], v[60:61], v[62:63] op_sel:[1,1] op_sel_hi:[0,1]
	v_pk_fma_f32 v[66:67], v[60:61], v[62:63], v[64:65] op_sel_hi:[1,0,1]
	v_pk_fma_f32 v[60:61], v[60:61], v[62:63], v[64:65] neg_lo:[0,0,1] neg_hi:[0,0,1]
	s_delay_alu instid0(VALU_DEP_2)
	v_mov_b32_e32 v61, v67
	scratch_store_b64 off, v[60:61], off offset:80
.LBB27_175:
	s_wait_xcnt 0x0
	s_or_b32 exec_lo, exec_lo, s10
	scratch_load_b64 v[60:61], off, off offset:72
	v_cmp_lt_u32_e64 s1, 9, v0
	s_wait_loadcnt 0x0
	ds_store_b64 v1, v[60:61]
	s_wait_storecnt_dscnt 0x0
	s_barrier_signal -1
	s_barrier_wait -1
	s_wait_xcnt 0x0
	s_and_saveexec_b32 s10, s1
	s_cbranch_execz .LBB27_185
; %bb.176:
	s_and_not1_b32 vcc_lo, exec_lo, s3
	s_cbranch_vccnz .LBB27_178
; %bb.177:
	scratch_load_b64 v[60:61], v37, off
	ds_load_b64 v[62:63], v1
	s_wait_loadcnt_dscnt 0x0
	v_pk_mul_f32 v[64:65], v[62:63], v[60:61] op_sel:[1,1] op_sel_hi:[0,1]
	s_delay_alu instid0(VALU_DEP_1) | instskip(SKIP_1) | instid1(VALU_DEP_2)
	v_pk_fma_f32 v[66:67], v[62:63], v[60:61], v[64:65] op_sel_hi:[1,0,1]
	v_pk_fma_f32 v[60:61], v[62:63], v[60:61], v[64:65] neg_lo:[0,0,1] neg_hi:[0,0,1]
	v_mov_b32_e32 v61, v67
	s_cbranch_execz .LBB27_179
	s_branch .LBB27_180
.LBB27_178:
                                        ; implicit-def: $vgpr60_vgpr61
.LBB27_179:
	ds_load_b64 v[60:61], v1
.LBB27_180:
	s_and_saveexec_b32 s11, s0
	s_cbranch_execz .LBB27_184
; %bb.181:
	v_add_nc_u32_e32 v62, -10, v0
	s_movk_i32 s12, 0x130
	s_mov_b32 s0, 0
.LBB27_182:                             ; =>This Inner Loop Header: Depth=1
	scratch_load_b64 v[64:65], off, s9
	v_dual_mov_b32 v63, s12 :: v_dual_add_nc_u32 v62, -1, v62
	s_add_co_i32 s12, s12, 8
	s_wait_xcnt 0x0
	s_add_co_i32 s9, s9, 8
	ds_load_b64 v[66:67], v63
	v_cmp_eq_u32_e32 vcc_lo, 0, v62
	s_or_b32 s0, vcc_lo, s0
	s_wait_loadcnt_dscnt 0x0
	v_pk_mul_f32 v[68:69], v[66:67], v[64:65] op_sel:[1,1] op_sel_hi:[0,1]
	s_delay_alu instid0(VALU_DEP_1) | instskip(SKIP_1) | instid1(VALU_DEP_2)
	v_pk_fma_f32 v[70:71], v[66:67], v[64:65], v[68:69] op_sel_hi:[1,0,1]
	v_pk_fma_f32 v[64:65], v[66:67], v[64:65], v[68:69] neg_lo:[0,0,1] neg_hi:[0,0,1]
	v_mov_b32_e32 v65, v71
	s_delay_alu instid0(VALU_DEP_1)
	v_pk_add_f32 v[60:61], v[60:61], v[64:65]
	s_and_not1_b32 exec_lo, exec_lo, s0
	s_cbranch_execnz .LBB27_182
; %bb.183:
	s_or_b32 exec_lo, exec_lo, s0
.LBB27_184:
	s_delay_alu instid0(SALU_CYCLE_1) | instskip(SKIP_4) | instid1(VALU_DEP_1)
	s_or_b32 exec_lo, exec_lo, s11
	v_mov_b32_e32 v62, 0
	ds_load_b64 v[62:63], v62 offset:72
	s_wait_dscnt 0x0
	v_pk_mul_f32 v[64:65], v[60:61], v[62:63] op_sel:[1,1] op_sel_hi:[0,1]
	v_pk_fma_f32 v[66:67], v[60:61], v[62:63], v[64:65] op_sel_hi:[1,0,1]
	v_pk_fma_f32 v[60:61], v[60:61], v[62:63], v[64:65] neg_lo:[0,0,1] neg_hi:[0,0,1]
	s_delay_alu instid0(VALU_DEP_2)
	v_mov_b32_e32 v61, v67
	scratch_store_b64 off, v[60:61], off offset:72
.LBB27_185:
	s_wait_xcnt 0x0
	s_or_b32 exec_lo, exec_lo, s10
	scratch_load_b64 v[60:61], off, off offset:64
	v_cmp_lt_u32_e64 s0, 8, v0
	s_wait_loadcnt 0x0
	ds_store_b64 v1, v[60:61]
	s_wait_storecnt_dscnt 0x0
	s_barrier_signal -1
	s_barrier_wait -1
	s_wait_xcnt 0x0
	s_and_saveexec_b32 s9, s0
	s_cbranch_execz .LBB27_195
; %bb.186:
	s_and_not1_b32 vcc_lo, exec_lo, s3
	s_cbranch_vccnz .LBB27_188
; %bb.187:
	scratch_load_b64 v[60:61], v37, off
	ds_load_b64 v[62:63], v1
	s_wait_loadcnt_dscnt 0x0
	v_pk_mul_f32 v[64:65], v[62:63], v[60:61] op_sel:[1,1] op_sel_hi:[0,1]
	s_delay_alu instid0(VALU_DEP_1) | instskip(SKIP_1) | instid1(VALU_DEP_2)
	v_pk_fma_f32 v[66:67], v[62:63], v[60:61], v[64:65] op_sel_hi:[1,0,1]
	v_pk_fma_f32 v[60:61], v[62:63], v[60:61], v[64:65] neg_lo:[0,0,1] neg_hi:[0,0,1]
	v_mov_b32_e32 v61, v67
	s_cbranch_execz .LBB27_189
	s_branch .LBB27_190
.LBB27_188:
                                        ; implicit-def: $vgpr60_vgpr61
.LBB27_189:
	ds_load_b64 v[60:61], v1
.LBB27_190:
	s_and_saveexec_b32 s10, s1
	s_cbranch_execz .LBB27_194
; %bb.191:
	v_add_nc_u32_e32 v62, -9, v0
	s_movk_i32 s1, 0x48
	s_movk_i32 s12, 0x128
	s_mov_b32 s11, 0
.LBB27_192:                             ; =>This Inner Loop Header: Depth=1
	scratch_load_b64 v[64:65], off, s1
	v_dual_mov_b32 v63, s12 :: v_dual_add_nc_u32 v62, -1, v62
	s_add_co_i32 s12, s12, 8
	s_wait_xcnt 0x0
	s_add_co_i32 s1, s1, 8
	ds_load_b64 v[66:67], v63
	v_cmp_eq_u32_e32 vcc_lo, 0, v62
	s_or_b32 s11, vcc_lo, s11
	s_wait_loadcnt_dscnt 0x0
	v_pk_mul_f32 v[68:69], v[66:67], v[64:65] op_sel:[1,1] op_sel_hi:[0,1]
	s_delay_alu instid0(VALU_DEP_1) | instskip(SKIP_1) | instid1(VALU_DEP_2)
	v_pk_fma_f32 v[70:71], v[66:67], v[64:65], v[68:69] op_sel_hi:[1,0,1]
	v_pk_fma_f32 v[64:65], v[66:67], v[64:65], v[68:69] neg_lo:[0,0,1] neg_hi:[0,0,1]
	v_mov_b32_e32 v65, v71
	s_delay_alu instid0(VALU_DEP_1)
	v_pk_add_f32 v[60:61], v[60:61], v[64:65]
	s_and_not1_b32 exec_lo, exec_lo, s11
	s_cbranch_execnz .LBB27_192
; %bb.193:
	s_or_b32 exec_lo, exec_lo, s11
.LBB27_194:
	s_delay_alu instid0(SALU_CYCLE_1) | instskip(SKIP_4) | instid1(VALU_DEP_1)
	s_or_b32 exec_lo, exec_lo, s10
	v_mov_b32_e32 v62, 0
	ds_load_b64 v[62:63], v62 offset:64
	s_wait_dscnt 0x0
	v_pk_mul_f32 v[64:65], v[60:61], v[62:63] op_sel:[1,1] op_sel_hi:[0,1]
	v_pk_fma_f32 v[66:67], v[60:61], v[62:63], v[64:65] op_sel_hi:[1,0,1]
	v_pk_fma_f32 v[60:61], v[60:61], v[62:63], v[64:65] neg_lo:[0,0,1] neg_hi:[0,0,1]
	s_delay_alu instid0(VALU_DEP_2)
	v_mov_b32_e32 v61, v67
	scratch_store_b64 off, v[60:61], off offset:64
.LBB27_195:
	s_wait_xcnt 0x0
	s_or_b32 exec_lo, exec_lo, s9
	scratch_load_b64 v[60:61], off, off offset:56
	v_cmp_lt_u32_e64 s1, 7, v0
	s_wait_loadcnt 0x0
	ds_store_b64 v1, v[60:61]
	s_wait_storecnt_dscnt 0x0
	s_barrier_signal -1
	s_barrier_wait -1
	s_wait_xcnt 0x0
	s_and_saveexec_b32 s9, s1
	s_cbranch_execz .LBB27_205
; %bb.196:
	s_and_not1_b32 vcc_lo, exec_lo, s3
	s_cbranch_vccnz .LBB27_198
; %bb.197:
	scratch_load_b64 v[60:61], v37, off
	ds_load_b64 v[62:63], v1
	s_wait_loadcnt_dscnt 0x0
	v_pk_mul_f32 v[64:65], v[62:63], v[60:61] op_sel:[1,1] op_sel_hi:[0,1]
	s_delay_alu instid0(VALU_DEP_1) | instskip(SKIP_1) | instid1(VALU_DEP_2)
	v_pk_fma_f32 v[66:67], v[62:63], v[60:61], v[64:65] op_sel_hi:[1,0,1]
	v_pk_fma_f32 v[60:61], v[62:63], v[60:61], v[64:65] neg_lo:[0,0,1] neg_hi:[0,0,1]
	v_mov_b32_e32 v61, v67
	s_cbranch_execz .LBB27_199
	s_branch .LBB27_200
.LBB27_198:
                                        ; implicit-def: $vgpr60_vgpr61
.LBB27_199:
	ds_load_b64 v[60:61], v1
.LBB27_200:
	s_and_saveexec_b32 s10, s0
	s_cbranch_execz .LBB27_204
; %bb.201:
	v_add_nc_u32_e32 v62, -8, v0
	s_movk_i32 s11, 0x120
	s_mov_b32 s0, 0
.LBB27_202:                             ; =>This Inner Loop Header: Depth=1
	scratch_load_b64 v[64:65], off, s8
	v_dual_mov_b32 v63, s11 :: v_dual_add_nc_u32 v62, -1, v62
	s_add_co_i32 s11, s11, 8
	s_wait_xcnt 0x0
	s_add_co_i32 s8, s8, 8
	ds_load_b64 v[66:67], v63
	v_cmp_eq_u32_e32 vcc_lo, 0, v62
	s_or_b32 s0, vcc_lo, s0
	s_wait_loadcnt_dscnt 0x0
	v_pk_mul_f32 v[68:69], v[66:67], v[64:65] op_sel:[1,1] op_sel_hi:[0,1]
	s_delay_alu instid0(VALU_DEP_1) | instskip(SKIP_1) | instid1(VALU_DEP_2)
	v_pk_fma_f32 v[70:71], v[66:67], v[64:65], v[68:69] op_sel_hi:[1,0,1]
	v_pk_fma_f32 v[64:65], v[66:67], v[64:65], v[68:69] neg_lo:[0,0,1] neg_hi:[0,0,1]
	v_mov_b32_e32 v65, v71
	s_delay_alu instid0(VALU_DEP_1)
	v_pk_add_f32 v[60:61], v[60:61], v[64:65]
	s_and_not1_b32 exec_lo, exec_lo, s0
	s_cbranch_execnz .LBB27_202
; %bb.203:
	s_or_b32 exec_lo, exec_lo, s0
.LBB27_204:
	s_delay_alu instid0(SALU_CYCLE_1) | instskip(SKIP_4) | instid1(VALU_DEP_1)
	s_or_b32 exec_lo, exec_lo, s10
	v_mov_b32_e32 v62, 0
	ds_load_b64 v[62:63], v62 offset:56
	s_wait_dscnt 0x0
	v_pk_mul_f32 v[64:65], v[60:61], v[62:63] op_sel:[1,1] op_sel_hi:[0,1]
	v_pk_fma_f32 v[66:67], v[60:61], v[62:63], v[64:65] op_sel_hi:[1,0,1]
	v_pk_fma_f32 v[60:61], v[60:61], v[62:63], v[64:65] neg_lo:[0,0,1] neg_hi:[0,0,1]
	s_delay_alu instid0(VALU_DEP_2)
	v_mov_b32_e32 v61, v67
	scratch_store_b64 off, v[60:61], off offset:56
.LBB27_205:
	s_wait_xcnt 0x0
	s_or_b32 exec_lo, exec_lo, s9
	scratch_load_b64 v[60:61], off, off offset:48
	v_cmp_lt_u32_e64 s0, 6, v0
	s_wait_loadcnt 0x0
	ds_store_b64 v1, v[60:61]
	s_wait_storecnt_dscnt 0x0
	s_barrier_signal -1
	s_barrier_wait -1
	s_wait_xcnt 0x0
	s_and_saveexec_b32 s8, s0
	s_cbranch_execz .LBB27_215
; %bb.206:
	s_and_not1_b32 vcc_lo, exec_lo, s3
	s_cbranch_vccnz .LBB27_208
; %bb.207:
	scratch_load_b64 v[60:61], v37, off
	ds_load_b64 v[62:63], v1
	s_wait_loadcnt_dscnt 0x0
	v_pk_mul_f32 v[64:65], v[62:63], v[60:61] op_sel:[1,1] op_sel_hi:[0,1]
	s_delay_alu instid0(VALU_DEP_1) | instskip(SKIP_1) | instid1(VALU_DEP_2)
	v_pk_fma_f32 v[66:67], v[62:63], v[60:61], v[64:65] op_sel_hi:[1,0,1]
	v_pk_fma_f32 v[60:61], v[62:63], v[60:61], v[64:65] neg_lo:[0,0,1] neg_hi:[0,0,1]
	v_mov_b32_e32 v61, v67
	s_cbranch_execz .LBB27_209
	s_branch .LBB27_210
.LBB27_208:
                                        ; implicit-def: $vgpr60_vgpr61
.LBB27_209:
	ds_load_b64 v[60:61], v1
.LBB27_210:
	s_and_saveexec_b32 s9, s1
	s_cbranch_execz .LBB27_214
; %bb.211:
	v_add_nc_u32_e32 v62, -7, v0
	s_mov_b32 s1, 56
	s_movk_i32 s11, 0x118
	s_mov_b32 s10, 0
.LBB27_212:                             ; =>This Inner Loop Header: Depth=1
	scratch_load_b64 v[64:65], off, s1
	v_dual_mov_b32 v63, s11 :: v_dual_add_nc_u32 v62, -1, v62
	s_add_co_i32 s11, s11, 8
	s_wait_xcnt 0x0
	s_add_co_i32 s1, s1, 8
	ds_load_b64 v[66:67], v63
	v_cmp_eq_u32_e32 vcc_lo, 0, v62
	s_or_b32 s10, vcc_lo, s10
	s_wait_loadcnt_dscnt 0x0
	v_pk_mul_f32 v[68:69], v[66:67], v[64:65] op_sel:[1,1] op_sel_hi:[0,1]
	s_delay_alu instid0(VALU_DEP_1) | instskip(SKIP_1) | instid1(VALU_DEP_2)
	v_pk_fma_f32 v[70:71], v[66:67], v[64:65], v[68:69] op_sel_hi:[1,0,1]
	v_pk_fma_f32 v[64:65], v[66:67], v[64:65], v[68:69] neg_lo:[0,0,1] neg_hi:[0,0,1]
	v_mov_b32_e32 v65, v71
	s_delay_alu instid0(VALU_DEP_1)
	v_pk_add_f32 v[60:61], v[60:61], v[64:65]
	s_and_not1_b32 exec_lo, exec_lo, s10
	s_cbranch_execnz .LBB27_212
; %bb.213:
	s_or_b32 exec_lo, exec_lo, s10
.LBB27_214:
	s_delay_alu instid0(SALU_CYCLE_1) | instskip(SKIP_4) | instid1(VALU_DEP_1)
	s_or_b32 exec_lo, exec_lo, s9
	v_mov_b32_e32 v62, 0
	ds_load_b64 v[62:63], v62 offset:48
	s_wait_dscnt 0x0
	v_pk_mul_f32 v[64:65], v[60:61], v[62:63] op_sel:[1,1] op_sel_hi:[0,1]
	v_pk_fma_f32 v[66:67], v[60:61], v[62:63], v[64:65] op_sel_hi:[1,0,1]
	v_pk_fma_f32 v[60:61], v[60:61], v[62:63], v[64:65] neg_lo:[0,0,1] neg_hi:[0,0,1]
	s_delay_alu instid0(VALU_DEP_2)
	v_mov_b32_e32 v61, v67
	scratch_store_b64 off, v[60:61], off offset:48
.LBB27_215:
	s_wait_xcnt 0x0
	s_or_b32 exec_lo, exec_lo, s8
	scratch_load_b64 v[60:61], off, off offset:40
	v_cmp_lt_u32_e64 s1, 5, v0
	s_wait_loadcnt 0x0
	ds_store_b64 v1, v[60:61]
	s_wait_storecnt_dscnt 0x0
	s_barrier_signal -1
	s_barrier_wait -1
	s_wait_xcnt 0x0
	s_and_saveexec_b32 s8, s1
	s_cbranch_execz .LBB27_225
; %bb.216:
	s_and_not1_b32 vcc_lo, exec_lo, s3
	s_cbranch_vccnz .LBB27_218
; %bb.217:
	scratch_load_b64 v[60:61], v37, off
	ds_load_b64 v[62:63], v1
	s_wait_loadcnt_dscnt 0x0
	v_pk_mul_f32 v[64:65], v[62:63], v[60:61] op_sel:[1,1] op_sel_hi:[0,1]
	s_delay_alu instid0(VALU_DEP_1) | instskip(SKIP_1) | instid1(VALU_DEP_2)
	v_pk_fma_f32 v[66:67], v[62:63], v[60:61], v[64:65] op_sel_hi:[1,0,1]
	v_pk_fma_f32 v[60:61], v[62:63], v[60:61], v[64:65] neg_lo:[0,0,1] neg_hi:[0,0,1]
	v_mov_b32_e32 v61, v67
	s_cbranch_execz .LBB27_219
	s_branch .LBB27_220
.LBB27_218:
                                        ; implicit-def: $vgpr60_vgpr61
.LBB27_219:
	ds_load_b64 v[60:61], v1
.LBB27_220:
	s_and_saveexec_b32 s9, s0
	s_cbranch_execz .LBB27_224
; %bb.221:
	v_add_nc_u32_e32 v62, -6, v0
	s_movk_i32 s10, 0x110
	s_mov_b32 s0, 0
.LBB27_222:                             ; =>This Inner Loop Header: Depth=1
	scratch_load_b64 v[64:65], off, s2
	v_dual_mov_b32 v63, s10 :: v_dual_add_nc_u32 v62, -1, v62
	s_add_co_i32 s10, s10, 8
	s_wait_xcnt 0x0
	s_add_co_i32 s2, s2, 8
	ds_load_b64 v[66:67], v63
	v_cmp_eq_u32_e32 vcc_lo, 0, v62
	s_or_b32 s0, vcc_lo, s0
	s_wait_loadcnt_dscnt 0x0
	v_pk_mul_f32 v[68:69], v[66:67], v[64:65] op_sel:[1,1] op_sel_hi:[0,1]
	s_delay_alu instid0(VALU_DEP_1) | instskip(SKIP_1) | instid1(VALU_DEP_2)
	v_pk_fma_f32 v[70:71], v[66:67], v[64:65], v[68:69] op_sel_hi:[1,0,1]
	v_pk_fma_f32 v[64:65], v[66:67], v[64:65], v[68:69] neg_lo:[0,0,1] neg_hi:[0,0,1]
	v_mov_b32_e32 v65, v71
	s_delay_alu instid0(VALU_DEP_1)
	v_pk_add_f32 v[60:61], v[60:61], v[64:65]
	s_and_not1_b32 exec_lo, exec_lo, s0
	s_cbranch_execnz .LBB27_222
; %bb.223:
	s_or_b32 exec_lo, exec_lo, s0
.LBB27_224:
	s_delay_alu instid0(SALU_CYCLE_1) | instskip(SKIP_4) | instid1(VALU_DEP_1)
	s_or_b32 exec_lo, exec_lo, s9
	v_mov_b32_e32 v62, 0
	ds_load_b64 v[62:63], v62 offset:40
	s_wait_dscnt 0x0
	v_pk_mul_f32 v[64:65], v[60:61], v[62:63] op_sel:[1,1] op_sel_hi:[0,1]
	v_pk_fma_f32 v[66:67], v[60:61], v[62:63], v[64:65] op_sel_hi:[1,0,1]
	v_pk_fma_f32 v[60:61], v[60:61], v[62:63], v[64:65] neg_lo:[0,0,1] neg_hi:[0,0,1]
	s_delay_alu instid0(VALU_DEP_2)
	v_mov_b32_e32 v61, v67
	scratch_store_b64 off, v[60:61], off offset:40
.LBB27_225:
	s_wait_xcnt 0x0
	s_or_b32 exec_lo, exec_lo, s8
	scratch_load_b64 v[60:61], off, off offset:32
	v_cmp_lt_u32_e64 s0, 4, v0
	s_wait_loadcnt 0x0
	ds_store_b64 v1, v[60:61]
	s_wait_storecnt_dscnt 0x0
	s_barrier_signal -1
	s_barrier_wait -1
	s_wait_xcnt 0x0
	s_and_saveexec_b32 s2, s0
	s_cbranch_execz .LBB27_235
; %bb.226:
	s_and_not1_b32 vcc_lo, exec_lo, s3
	s_cbranch_vccnz .LBB27_228
; %bb.227:
	scratch_load_b64 v[60:61], v37, off
	ds_load_b64 v[62:63], v1
	s_wait_loadcnt_dscnt 0x0
	v_pk_mul_f32 v[64:65], v[62:63], v[60:61] op_sel:[1,1] op_sel_hi:[0,1]
	s_delay_alu instid0(VALU_DEP_1) | instskip(SKIP_1) | instid1(VALU_DEP_2)
	v_pk_fma_f32 v[66:67], v[62:63], v[60:61], v[64:65] op_sel_hi:[1,0,1]
	v_pk_fma_f32 v[60:61], v[62:63], v[60:61], v[64:65] neg_lo:[0,0,1] neg_hi:[0,0,1]
	v_mov_b32_e32 v61, v67
	s_cbranch_execz .LBB27_229
	s_branch .LBB27_230
.LBB27_228:
                                        ; implicit-def: $vgpr60_vgpr61
.LBB27_229:
	ds_load_b64 v[60:61], v1
.LBB27_230:
	s_and_saveexec_b32 s8, s1
	s_cbranch_execz .LBB27_234
; %bb.231:
	v_add_nc_u32_e32 v62, -5, v0
	s_mov_b32 s1, 40
	s_movk_i32 s10, 0x108
	s_mov_b32 s9, 0
.LBB27_232:                             ; =>This Inner Loop Header: Depth=1
	scratch_load_b64 v[64:65], off, s1
	v_dual_mov_b32 v63, s10 :: v_dual_add_nc_u32 v62, -1, v62
	s_add_co_i32 s10, s10, 8
	s_wait_xcnt 0x0
	s_add_co_i32 s1, s1, 8
	ds_load_b64 v[66:67], v63
	v_cmp_eq_u32_e32 vcc_lo, 0, v62
	s_or_b32 s9, vcc_lo, s9
	s_wait_loadcnt_dscnt 0x0
	v_pk_mul_f32 v[68:69], v[66:67], v[64:65] op_sel:[1,1] op_sel_hi:[0,1]
	s_delay_alu instid0(VALU_DEP_1) | instskip(SKIP_1) | instid1(VALU_DEP_2)
	v_pk_fma_f32 v[70:71], v[66:67], v[64:65], v[68:69] op_sel_hi:[1,0,1]
	v_pk_fma_f32 v[64:65], v[66:67], v[64:65], v[68:69] neg_lo:[0,0,1] neg_hi:[0,0,1]
	v_mov_b32_e32 v65, v71
	s_delay_alu instid0(VALU_DEP_1)
	v_pk_add_f32 v[60:61], v[60:61], v[64:65]
	s_and_not1_b32 exec_lo, exec_lo, s9
	s_cbranch_execnz .LBB27_232
; %bb.233:
	s_or_b32 exec_lo, exec_lo, s9
.LBB27_234:
	s_delay_alu instid0(SALU_CYCLE_1) | instskip(SKIP_4) | instid1(VALU_DEP_1)
	s_or_b32 exec_lo, exec_lo, s8
	v_mov_b32_e32 v62, 0
	ds_load_b64 v[62:63], v62 offset:32
	s_wait_dscnt 0x0
	v_pk_mul_f32 v[64:65], v[60:61], v[62:63] op_sel:[1,1] op_sel_hi:[0,1]
	v_pk_fma_f32 v[66:67], v[60:61], v[62:63], v[64:65] op_sel_hi:[1,0,1]
	v_pk_fma_f32 v[60:61], v[60:61], v[62:63], v[64:65] neg_lo:[0,0,1] neg_hi:[0,0,1]
	s_delay_alu instid0(VALU_DEP_2)
	v_mov_b32_e32 v61, v67
	scratch_store_b64 off, v[60:61], off offset:32
.LBB27_235:
	s_wait_xcnt 0x0
	s_or_b32 exec_lo, exec_lo, s2
	scratch_load_b64 v[60:61], off, off offset:24
	v_cmp_lt_u32_e64 s2, 3, v0
	s_wait_loadcnt 0x0
	ds_store_b64 v1, v[60:61]
	s_wait_storecnt_dscnt 0x0
	s_barrier_signal -1
	s_barrier_wait -1
	s_wait_xcnt 0x0
	s_and_saveexec_b32 s1, s2
	s_cbranch_execz .LBB27_245
; %bb.236:
	s_and_not1_b32 vcc_lo, exec_lo, s3
	s_cbranch_vccnz .LBB27_238
; %bb.237:
	scratch_load_b64 v[60:61], v37, off
	ds_load_b64 v[62:63], v1
	s_wait_loadcnt_dscnt 0x0
	v_pk_mul_f32 v[64:65], v[62:63], v[60:61] op_sel:[1,1] op_sel_hi:[0,1]
	s_delay_alu instid0(VALU_DEP_1) | instskip(SKIP_1) | instid1(VALU_DEP_2)
	v_pk_fma_f32 v[66:67], v[62:63], v[60:61], v[64:65] op_sel_hi:[1,0,1]
	v_pk_fma_f32 v[60:61], v[62:63], v[60:61], v[64:65] neg_lo:[0,0,1] neg_hi:[0,0,1]
	v_mov_b32_e32 v61, v67
	s_cbranch_execz .LBB27_239
	s_branch .LBB27_240
.LBB27_238:
                                        ; implicit-def: $vgpr60_vgpr61
.LBB27_239:
	ds_load_b64 v[60:61], v1
.LBB27_240:
	s_and_saveexec_b32 s8, s0
	s_cbranch_execz .LBB27_244
; %bb.241:
	v_add_nc_u32_e32 v62, -4, v0
	s_movk_i32 s9, 0x100
	s_mov_b32 s0, 0
.LBB27_242:                             ; =>This Inner Loop Header: Depth=1
	scratch_load_b64 v[64:65], off, s5
	v_dual_mov_b32 v63, s9 :: v_dual_add_nc_u32 v62, -1, v62
	s_add_co_i32 s9, s9, 8
	s_wait_xcnt 0x0
	s_add_co_i32 s5, s5, 8
	ds_load_b64 v[66:67], v63
	v_cmp_eq_u32_e32 vcc_lo, 0, v62
	s_or_b32 s0, vcc_lo, s0
	s_wait_loadcnt_dscnt 0x0
	v_pk_mul_f32 v[68:69], v[66:67], v[64:65] op_sel:[1,1] op_sel_hi:[0,1]
	s_delay_alu instid0(VALU_DEP_1) | instskip(SKIP_1) | instid1(VALU_DEP_2)
	v_pk_fma_f32 v[70:71], v[66:67], v[64:65], v[68:69] op_sel_hi:[1,0,1]
	v_pk_fma_f32 v[64:65], v[66:67], v[64:65], v[68:69] neg_lo:[0,0,1] neg_hi:[0,0,1]
	v_mov_b32_e32 v65, v71
	s_delay_alu instid0(VALU_DEP_1)
	v_pk_add_f32 v[60:61], v[60:61], v[64:65]
	s_and_not1_b32 exec_lo, exec_lo, s0
	s_cbranch_execnz .LBB27_242
; %bb.243:
	s_or_b32 exec_lo, exec_lo, s0
.LBB27_244:
	s_delay_alu instid0(SALU_CYCLE_1) | instskip(SKIP_4) | instid1(VALU_DEP_1)
	s_or_b32 exec_lo, exec_lo, s8
	v_mov_b32_e32 v62, 0
	ds_load_b64 v[62:63], v62 offset:24
	s_wait_dscnt 0x0
	v_pk_mul_f32 v[64:65], v[60:61], v[62:63] op_sel:[1,1] op_sel_hi:[0,1]
	v_pk_fma_f32 v[66:67], v[60:61], v[62:63], v[64:65] op_sel_hi:[1,0,1]
	v_pk_fma_f32 v[60:61], v[60:61], v[62:63], v[64:65] neg_lo:[0,0,1] neg_hi:[0,0,1]
	s_delay_alu instid0(VALU_DEP_2)
	v_mov_b32_e32 v61, v67
	scratch_store_b64 off, v[60:61], off offset:24
.LBB27_245:
	s_wait_xcnt 0x0
	s_or_b32 exec_lo, exec_lo, s1
	scratch_load_b64 v[60:61], off, off offset:16
	v_cmp_lt_u32_e64 s1, 2, v0
	s_wait_loadcnt 0x0
	ds_store_b64 v1, v[60:61]
	s_wait_storecnt_dscnt 0x0
	s_barrier_signal -1
	s_barrier_wait -1
	s_wait_xcnt 0x0
	s_and_saveexec_b32 s0, s1
	s_cbranch_execz .LBB27_255
; %bb.246:
	s_and_not1_b32 vcc_lo, exec_lo, s3
	s_cbranch_vccnz .LBB27_248
; %bb.247:
	scratch_load_b64 v[60:61], v37, off
	ds_load_b64 v[62:63], v1
	s_wait_loadcnt_dscnt 0x0
	v_pk_mul_f32 v[64:65], v[62:63], v[60:61] op_sel:[1,1] op_sel_hi:[0,1]
	s_delay_alu instid0(VALU_DEP_1) | instskip(SKIP_1) | instid1(VALU_DEP_2)
	v_pk_fma_f32 v[66:67], v[62:63], v[60:61], v[64:65] op_sel_hi:[1,0,1]
	v_pk_fma_f32 v[60:61], v[62:63], v[60:61], v[64:65] neg_lo:[0,0,1] neg_hi:[0,0,1]
	v_mov_b32_e32 v61, v67
	s_cbranch_execz .LBB27_249
	s_branch .LBB27_250
.LBB27_248:
                                        ; implicit-def: $vgpr60_vgpr61
.LBB27_249:
	ds_load_b64 v[60:61], v1
.LBB27_250:
	s_and_saveexec_b32 s5, s2
	s_cbranch_execz .LBB27_254
; %bb.251:
	v_add_nc_u32_e32 v62, -3, v0
	s_mov_b32 s2, 24
	s_movk_i32 s9, 0xf8
	s_mov_b32 s8, 0
.LBB27_252:                             ; =>This Inner Loop Header: Depth=1
	scratch_load_b64 v[64:65], off, s2
	v_dual_mov_b32 v63, s9 :: v_dual_add_nc_u32 v62, -1, v62
	s_add_co_i32 s9, s9, 8
	s_wait_xcnt 0x0
	s_add_co_i32 s2, s2, 8
	ds_load_b64 v[66:67], v63
	v_cmp_eq_u32_e32 vcc_lo, 0, v62
	s_or_b32 s8, vcc_lo, s8
	s_wait_loadcnt_dscnt 0x0
	v_pk_mul_f32 v[68:69], v[66:67], v[64:65] op_sel:[1,1] op_sel_hi:[0,1]
	s_delay_alu instid0(VALU_DEP_1) | instskip(SKIP_1) | instid1(VALU_DEP_2)
	v_pk_fma_f32 v[70:71], v[66:67], v[64:65], v[68:69] op_sel_hi:[1,0,1]
	v_pk_fma_f32 v[64:65], v[66:67], v[64:65], v[68:69] neg_lo:[0,0,1] neg_hi:[0,0,1]
	v_mov_b32_e32 v65, v71
	s_delay_alu instid0(VALU_DEP_1)
	v_pk_add_f32 v[60:61], v[60:61], v[64:65]
	s_and_not1_b32 exec_lo, exec_lo, s8
	s_cbranch_execnz .LBB27_252
; %bb.253:
	s_or_b32 exec_lo, exec_lo, s8
.LBB27_254:
	s_delay_alu instid0(SALU_CYCLE_1) | instskip(SKIP_4) | instid1(VALU_DEP_1)
	s_or_b32 exec_lo, exec_lo, s5
	v_mov_b32_e32 v62, 0
	ds_load_b64 v[62:63], v62 offset:16
	s_wait_dscnt 0x0
	v_pk_mul_f32 v[64:65], v[60:61], v[62:63] op_sel:[1,1] op_sel_hi:[0,1]
	v_pk_fma_f32 v[66:67], v[60:61], v[62:63], v[64:65] op_sel_hi:[1,0,1]
	v_pk_fma_f32 v[60:61], v[60:61], v[62:63], v[64:65] neg_lo:[0,0,1] neg_hi:[0,0,1]
	s_delay_alu instid0(VALU_DEP_2)
	v_mov_b32_e32 v61, v67
	scratch_store_b64 off, v[60:61], off offset:16
.LBB27_255:
	s_wait_xcnt 0x0
	s_or_b32 exec_lo, exec_lo, s0
	scratch_load_b64 v[60:61], off, off offset:8
	v_cmp_lt_u32_e64 s0, 1, v0
	s_wait_loadcnt 0x0
	ds_store_b64 v1, v[60:61]
	s_wait_storecnt_dscnt 0x0
	s_barrier_signal -1
	s_barrier_wait -1
	s_wait_xcnt 0x0
	s_and_saveexec_b32 s2, s0
	s_cbranch_execz .LBB27_265
; %bb.256:
	s_and_not1_b32 vcc_lo, exec_lo, s3
	s_cbranch_vccnz .LBB27_258
; %bb.257:
	scratch_load_b64 v[60:61], v37, off
	ds_load_b64 v[62:63], v1
	s_wait_loadcnt_dscnt 0x0
	v_pk_mul_f32 v[64:65], v[62:63], v[60:61] op_sel:[1,1] op_sel_hi:[0,1]
	s_delay_alu instid0(VALU_DEP_1) | instskip(SKIP_1) | instid1(VALU_DEP_2)
	v_pk_fma_f32 v[66:67], v[62:63], v[60:61], v[64:65] op_sel_hi:[1,0,1]
	v_pk_fma_f32 v[60:61], v[62:63], v[60:61], v[64:65] neg_lo:[0,0,1] neg_hi:[0,0,1]
	v_mov_b32_e32 v61, v67
	s_cbranch_execz .LBB27_259
	s_branch .LBB27_260
.LBB27_258:
                                        ; implicit-def: $vgpr60_vgpr61
.LBB27_259:
	ds_load_b64 v[60:61], v1
.LBB27_260:
	s_and_saveexec_b32 s5, s1
	s_cbranch_execz .LBB27_264
; %bb.261:
	v_add_nc_u32_e32 v62, -2, v0
	s_movk_i32 s8, 0xf0
	s_mov_b32 s1, 0
.LBB27_262:                             ; =>This Inner Loop Header: Depth=1
	scratch_load_b64 v[64:65], off, s4
	v_dual_mov_b32 v63, s8 :: v_dual_add_nc_u32 v62, -1, v62
	s_add_co_i32 s8, s8, 8
	s_wait_xcnt 0x0
	s_add_co_i32 s4, s4, 8
	ds_load_b64 v[66:67], v63
	v_cmp_eq_u32_e32 vcc_lo, 0, v62
	s_or_b32 s1, vcc_lo, s1
	s_wait_loadcnt_dscnt 0x0
	v_pk_mul_f32 v[68:69], v[66:67], v[64:65] op_sel:[1,1] op_sel_hi:[0,1]
	s_delay_alu instid0(VALU_DEP_1) | instskip(SKIP_1) | instid1(VALU_DEP_2)
	v_pk_fma_f32 v[70:71], v[66:67], v[64:65], v[68:69] op_sel_hi:[1,0,1]
	v_pk_fma_f32 v[64:65], v[66:67], v[64:65], v[68:69] neg_lo:[0,0,1] neg_hi:[0,0,1]
	v_mov_b32_e32 v65, v71
	s_delay_alu instid0(VALU_DEP_1)
	v_pk_add_f32 v[60:61], v[60:61], v[64:65]
	s_and_not1_b32 exec_lo, exec_lo, s1
	s_cbranch_execnz .LBB27_262
; %bb.263:
	s_or_b32 exec_lo, exec_lo, s1
.LBB27_264:
	s_delay_alu instid0(SALU_CYCLE_1) | instskip(SKIP_4) | instid1(VALU_DEP_1)
	s_or_b32 exec_lo, exec_lo, s5
	v_mov_b32_e32 v62, 0
	ds_load_b64 v[62:63], v62 offset:8
	s_wait_dscnt 0x0
	v_pk_mul_f32 v[64:65], v[60:61], v[62:63] op_sel:[1,1] op_sel_hi:[0,1]
	v_pk_fma_f32 v[66:67], v[60:61], v[62:63], v[64:65] op_sel_hi:[1,0,1]
	v_pk_fma_f32 v[60:61], v[60:61], v[62:63], v[64:65] neg_lo:[0,0,1] neg_hi:[0,0,1]
	s_delay_alu instid0(VALU_DEP_2)
	v_mov_b32_e32 v61, v67
	scratch_store_b64 off, v[60:61], off offset:8
.LBB27_265:
	s_wait_xcnt 0x0
	s_or_b32 exec_lo, exec_lo, s2
	scratch_load_b64 v[60:61], off, off
	s_mov_b32 s2, 0
	s_mov_b32 s1, 0
	s_mov_b32 s5, exec_lo
                                        ; implicit-def: $vgpr76
                                        ; implicit-def: $sgpr4
	s_wait_loadcnt 0x0
	ds_store_b64 v1, v[60:61]
	s_wait_storecnt_dscnt 0x0
	s_barrier_signal -1
	s_barrier_wait -1
	s_wait_xcnt 0x0
	v_cmpx_ne_u32_e32 0, v0
	s_cbranch_execz .LBB27_275
; %bb.266:
	s_and_not1_b32 vcc_lo, exec_lo, s3
	s_cbranch_vccnz .LBB27_268
; %bb.267:
	scratch_load_b64 v[62:63], v37, off
	ds_load_b64 v[64:65], v1
	s_wait_loadcnt_dscnt 0x0
	v_dual_mul_f32 v60, v65, v63 :: v_dual_mul_f32 v61, v64, v63
	s_delay_alu instid0(VALU_DEP_1)
	v_dual_fma_f32 v60, v64, v62, -v60 :: v_dual_fmac_f32 v61, v65, v62
	s_and_not1_b32 vcc_lo, exec_lo, s1
	s_cbranch_vccz .LBB27_269
	s_branch .LBB27_270
.LBB27_268:
                                        ; implicit-def: $vgpr60
.LBB27_269:
	ds_load_b64 v[60:61], v1
.LBB27_270:
	s_and_saveexec_b32 s1, s0
	s_cbranch_execz .LBB27_274
; %bb.271:
	v_add_nc_u32_e32 v62, -1, v0
	s_or_b32 s0, 0, 8
	s_movk_i32 s8, 0xe8
	s_mov_b32 s4, 0
.LBB27_272:                             ; =>This Inner Loop Header: Depth=1
	scratch_load_b64 v[64:65], off, s0
	v_mov_b32_e32 v63, s8
	s_add_co_i32 s8, s8, 8
	s_wait_xcnt 0x0
	s_add_co_i32 s0, s0, 8
	v_add_nc_u32_e32 v62, -1, v62
	ds_load_b64 v[66:67], v63
	v_cmp_eq_u32_e32 vcc_lo, 0, v62
	s_or_b32 s4, vcc_lo, s4
	s_wait_loadcnt_dscnt 0x0
	v_dual_mul_f32 v63, v67, v65 :: v_dual_mul_f32 v65, v66, v65
	s_delay_alu instid0(VALU_DEP_1) | instskip(NEXT) | instid1(VALU_DEP_1)
	v_dual_fma_f32 v63, v66, v64, -v63 :: v_dual_fmac_f32 v65, v67, v64
	v_dual_add_f32 v60, v60, v63 :: v_dual_add_f32 v61, v61, v65
	s_and_not1_b32 exec_lo, exec_lo, s4
	s_cbranch_execnz .LBB27_272
; %bb.273:
	s_or_b32 exec_lo, exec_lo, s4
.LBB27_274:
	s_delay_alu instid0(SALU_CYCLE_1)
	s_or_b32 exec_lo, exec_lo, s1
	v_mov_b32_e32 v62, 0
	s_mov_b32 s1, exec_lo
	s_or_b32 s4, 0, 4
	ds_load_b64 v[62:63], v62
	s_wait_dscnt 0x0
	v_dual_mul_f32 v64, v61, v63 :: v_dual_mul_f32 v76, v60, v63
	s_delay_alu instid0(VALU_DEP_1) | instskip(NEXT) | instid1(VALU_DEP_2)
	v_fma_f32 v60, v60, v62, -v64
	v_fmac_f32_e32 v76, v61, v62
	scratch_store_b32 off, v60, off
.LBB27_275:
	s_wait_xcnt 0x0
	s_or_b32 exec_lo, exec_lo, s5
	s_delay_alu instid0(SALU_CYCLE_1)
	s_and_b32 vcc_lo, exec_lo, s2
	s_cbranch_vccz .LBB27_541
.LBB27_276:
	scratch_load_b64 v[60:61], off, off offset:8
	v_cmp_eq_u32_e64 s0, 0, v0
	s_wait_loadcnt 0x0
	ds_store_b64 v1, v[60:61]
	s_wait_storecnt_dscnt 0x0
	s_barrier_signal -1
	s_barrier_wait -1
	s_wait_xcnt 0x0
	s_and_saveexec_b32 s2, s0
	s_cbranch_execz .LBB27_282
; %bb.277:
	s_and_b32 vcc_lo, exec_lo, s3
	s_cbranch_vccz .LBB27_279
; %bb.278:
	scratch_load_b64 v[60:61], v37, off
	ds_load_b64 v[62:63], v1
	s_wait_loadcnt_dscnt 0x0
	v_pk_mul_f32 v[64:65], v[62:63], v[60:61] op_sel:[1,1] op_sel_hi:[0,1]
	v_pk_mul_f32 v[66:67], v[62:63], v[60:61] op_sel_hi:[1,0]
	s_delay_alu instid0(VALU_DEP_2) | instskip(NEXT) | instid1(VALU_DEP_2)
	v_pk_fma_f32 v[60:61], v[62:63], v[60:61], v[64:65] op_sel_hi:[1,0,1]
	v_sub_f32_e32 v60, v66, v64
	s_cbranch_execz .LBB27_280
	s_branch .LBB27_281
.LBB27_279:
                                        ; implicit-def: $vgpr61
.LBB27_280:
	ds_load_b64 v[60:61], v1
.LBB27_281:
	s_wait_dscnt 0x0
	v_dual_mov_b32 v62, 0 :: v_dual_mov_b32 v64, v61
	v_mov_b32_e32 v65, v60
	ds_load_b64 v[62:63], v62 offset:8
	s_wait_dscnt 0x0
	v_pk_mul_f32 v[64:65], v[64:65], v[62:63] op_sel:[0,1]
	s_delay_alu instid0(VALU_DEP_1) | instskip(SKIP_1) | instid1(VALU_DEP_2)
	v_pk_fma_f32 v[66:67], v[60:61], v[62:63], v[64:65] op_sel_hi:[1,0,1]
	v_pk_fma_f32 v[60:61], v[60:61], v[62:63], v[64:65] neg_lo:[0,0,1] neg_hi:[0,0,1]
	v_mov_b32_e32 v61, v67
	scratch_store_b64 off, v[60:61], off offset:8
.LBB27_282:
	s_wait_xcnt 0x0
	s_or_b32 exec_lo, exec_lo, s2
	scratch_load_b64 v[60:61], off, off offset:16
	v_cndmask_b32_e64 v62, 0, 1, s3
	s_mov_b32 s2, exec_lo
	s_wait_loadcnt 0x0
	ds_store_b64 v1, v[60:61]
	s_wait_storecnt_dscnt 0x0
	s_barrier_signal -1
	s_barrier_wait -1
	s_wait_xcnt 0x0
	v_cmpx_gt_u32_e32 2, v0
	s_cbranch_execz .LBB27_290
; %bb.283:
	s_and_not1_b32 vcc_lo, exec_lo, s3
	s_cbranch_vccnz .LBB27_285
; %bb.284:
	scratch_load_b64 v[60:61], v37, off
	ds_load_b64 v[64:65], v1
	s_wait_loadcnt_dscnt 0x0
	v_pk_mul_f32 v[66:67], v[64:65], v[60:61] op_sel:[1,1] op_sel_hi:[0,1]
	s_delay_alu instid0(VALU_DEP_1) | instskip(SKIP_1) | instid1(VALU_DEP_2)
	v_pk_fma_f32 v[68:69], v[64:65], v[60:61], v[66:67] op_sel_hi:[1,0,1]
	v_pk_fma_f32 v[60:61], v[64:65], v[60:61], v[66:67] neg_lo:[0,0,1] neg_hi:[0,0,1]
	v_mov_b32_e32 v61, v69
	s_cbranch_execz .LBB27_286
	s_branch .LBB27_287
.LBB27_285:
                                        ; implicit-def: $vgpr60_vgpr61
.LBB27_286:
	ds_load_b64 v[60:61], v1
.LBB27_287:
	s_and_saveexec_b32 s3, s0
	s_cbranch_execz .LBB27_289
; %bb.288:
	scratch_load_b64 v[64:65], off, off offset:8
	v_mov_b32_e32 v63, 0
	ds_load_b64 v[66:67], v63 offset:232
	s_wait_loadcnt_dscnt 0x0
	v_pk_mul_f32 v[68:69], v[66:67], v[64:65] op_sel:[1,1] op_sel_hi:[0,1]
	s_delay_alu instid0(VALU_DEP_1) | instskip(SKIP_1) | instid1(VALU_DEP_2)
	v_pk_fma_f32 v[70:71], v[66:67], v[64:65], v[68:69] op_sel_hi:[1,0,1]
	v_pk_fma_f32 v[64:65], v[66:67], v[64:65], v[68:69] neg_lo:[0,0,1] neg_hi:[0,0,1]
	v_mov_b32_e32 v65, v71
	s_delay_alu instid0(VALU_DEP_1)
	v_pk_add_f32 v[60:61], v[60:61], v[64:65]
.LBB27_289:
	s_or_b32 exec_lo, exec_lo, s3
	v_mov_b32_e32 v63, 0
	ds_load_b64 v[64:65], v63 offset:16
	s_wait_dscnt 0x0
	v_pk_mul_f32 v[66:67], v[60:61], v[64:65] op_sel:[1,1] op_sel_hi:[0,1]
	s_delay_alu instid0(VALU_DEP_1) | instskip(SKIP_1) | instid1(VALU_DEP_2)
	v_pk_fma_f32 v[68:69], v[60:61], v[64:65], v[66:67] op_sel_hi:[1,0,1]
	v_pk_fma_f32 v[60:61], v[60:61], v[64:65], v[66:67] neg_lo:[0,0,1] neg_hi:[0,0,1]
	v_mov_b32_e32 v61, v69
	scratch_store_b64 off, v[60:61], off offset:16
.LBB27_290:
	s_wait_xcnt 0x0
	s_or_b32 exec_lo, exec_lo, s2
	scratch_load_b64 v[60:61], off, off offset:24
	s_mov_b32 s2, exec_lo
	s_wait_loadcnt 0x0
	ds_store_b64 v1, v[60:61]
	s_wait_storecnt_dscnt 0x0
	s_barrier_signal -1
	s_barrier_wait -1
	s_wait_xcnt 0x0
	v_cmpx_gt_u32_e32 3, v0
	s_cbranch_execz .LBB27_300
; %bb.291:
	v_cmp_ne_u32_e32 vcc_lo, 1, v62
	s_cbranch_vccnz .LBB27_293
; %bb.292:
	scratch_load_b64 v[60:61], v37, off
	ds_load_b64 v[64:65], v1
	s_wait_loadcnt_dscnt 0x0
	v_pk_mul_f32 v[66:67], v[64:65], v[60:61] op_sel:[1,1] op_sel_hi:[0,1]
	s_delay_alu instid0(VALU_DEP_1) | instskip(SKIP_1) | instid1(VALU_DEP_2)
	v_pk_fma_f32 v[68:69], v[64:65], v[60:61], v[66:67] op_sel_hi:[1,0,1]
	v_pk_fma_f32 v[60:61], v[64:65], v[60:61], v[66:67] neg_lo:[0,0,1] neg_hi:[0,0,1]
	v_mov_b32_e32 v61, v69
	s_cbranch_execz .LBB27_294
	s_branch .LBB27_295
.LBB27_293:
                                        ; implicit-def: $vgpr60_vgpr61
.LBB27_294:
	ds_load_b64 v[60:61], v1
.LBB27_295:
	s_mov_b32 s3, exec_lo
	v_cmpx_ne_u32_e32 2, v0
	s_cbranch_execz .LBB27_299
; %bb.296:
	scratch_load_b64 v[64:65], v37, off offset:8
	ds_load_b64 v[66:67], v1 offset:8
	s_wait_loadcnt_dscnt 0x0
	v_pk_mul_f32 v[68:69], v[66:67], v[64:65] op_sel:[1,1] op_sel_hi:[0,1]
	s_delay_alu instid0(VALU_DEP_1) | instskip(SKIP_1) | instid1(VALU_DEP_2)
	v_pk_fma_f32 v[70:71], v[66:67], v[64:65], v[68:69] op_sel_hi:[1,0,1]
	v_pk_fma_f32 v[64:65], v[66:67], v[64:65], v[68:69] neg_lo:[0,0,1] neg_hi:[0,0,1]
	v_mov_b32_e32 v65, v71
	s_delay_alu instid0(VALU_DEP_1)
	v_pk_add_f32 v[60:61], v[60:61], v[64:65]
	s_and_saveexec_b32 s4, s0
	s_cbranch_execz .LBB27_298
; %bb.297:
	scratch_load_b64 v[64:65], off, off offset:16
	v_mov_b32_e32 v63, 0
	ds_load_b64 v[66:67], v63 offset:240
	s_wait_loadcnt_dscnt 0x0
	v_pk_mul_f32 v[68:69], v[66:67], v[64:65] op_sel:[1,1] op_sel_hi:[0,1]
	s_delay_alu instid0(VALU_DEP_1) | instskip(SKIP_1) | instid1(VALU_DEP_2)
	v_pk_fma_f32 v[70:71], v[66:67], v[64:65], v[68:69] op_sel_hi:[1,0,1]
	v_pk_fma_f32 v[64:65], v[66:67], v[64:65], v[68:69] neg_lo:[0,0,1] neg_hi:[0,0,1]
	v_mov_b32_e32 v65, v71
	s_delay_alu instid0(VALU_DEP_1)
	v_pk_add_f32 v[60:61], v[60:61], v[64:65]
.LBB27_298:
	s_or_b32 exec_lo, exec_lo, s4
.LBB27_299:
	s_delay_alu instid0(SALU_CYCLE_1) | instskip(SKIP_4) | instid1(VALU_DEP_1)
	s_or_b32 exec_lo, exec_lo, s3
	v_mov_b32_e32 v63, 0
	ds_load_b64 v[64:65], v63 offset:24
	s_wait_dscnt 0x0
	v_pk_mul_f32 v[66:67], v[60:61], v[64:65] op_sel:[1,1] op_sel_hi:[0,1]
	v_pk_fma_f32 v[68:69], v[60:61], v[64:65], v[66:67] op_sel_hi:[1,0,1]
	v_pk_fma_f32 v[60:61], v[60:61], v[64:65], v[66:67] neg_lo:[0,0,1] neg_hi:[0,0,1]
	s_delay_alu instid0(VALU_DEP_2)
	v_mov_b32_e32 v61, v69
	scratch_store_b64 off, v[60:61], off offset:24
.LBB27_300:
	s_wait_xcnt 0x0
	s_or_b32 exec_lo, exec_lo, s2
	scratch_load_b64 v[60:61], off, off offset:32
	s_mov_b32 s0, exec_lo
	s_wait_loadcnt 0x0
	ds_store_b64 v1, v[60:61]
	s_wait_storecnt_dscnt 0x0
	s_barrier_signal -1
	s_barrier_wait -1
	s_wait_xcnt 0x0
	v_cmpx_gt_u32_e32 4, v0
	s_cbranch_execz .LBB27_310
; %bb.301:
	v_cmp_ne_u32_e32 vcc_lo, 1, v62
	s_cbranch_vccnz .LBB27_303
; %bb.302:
	scratch_load_b64 v[60:61], v37, off
	ds_load_b64 v[64:65], v1
	s_wait_loadcnt_dscnt 0x0
	v_pk_mul_f32 v[66:67], v[64:65], v[60:61] op_sel:[1,1] op_sel_hi:[0,1]
	s_delay_alu instid0(VALU_DEP_1) | instskip(SKIP_1) | instid1(VALU_DEP_2)
	v_pk_fma_f32 v[68:69], v[64:65], v[60:61], v[66:67] op_sel_hi:[1,0,1]
	v_pk_fma_f32 v[60:61], v[64:65], v[60:61], v[66:67] neg_lo:[0,0,1] neg_hi:[0,0,1]
	v_mov_b32_e32 v61, v69
	s_cbranch_execz .LBB27_304
	s_branch .LBB27_305
.LBB27_303:
                                        ; implicit-def: $vgpr60_vgpr61
.LBB27_304:
	ds_load_b64 v[60:61], v1
.LBB27_305:
	s_mov_b32 s2, exec_lo
	v_cmpx_ne_u32_e32 3, v0
	s_cbranch_execz .LBB27_309
; %bb.306:
	v_add_nc_u32_e32 v63, 0xe8, v36
	v_add3_u32 v64, 0, v36, 8
	v_mov_b32_e32 v65, v0
	s_mov_b32 s3, 0
.LBB27_307:                             ; =>This Inner Loop Header: Depth=1
	scratch_load_b64 v[66:67], v64, off
	ds_load_b64 v[68:69], v63
	s_wait_xcnt 0x0
	v_dual_add_nc_u32 v63, 8, v63 :: v_dual_add_nc_u32 v64, 8, v64
	s_wait_loadcnt_dscnt 0x0
	v_pk_mul_f32 v[70:71], v[68:69], v[66:67] op_sel:[1,1] op_sel_hi:[0,1]
	s_delay_alu instid0(VALU_DEP_1) | instskip(SKIP_2) | instid1(VALU_DEP_3)
	v_pk_fma_f32 v[72:73], v[68:69], v[66:67], v[70:71] op_sel_hi:[1,0,1]
	v_add_nc_u32_e32 v65, 1, v65
	v_pk_fma_f32 v[66:67], v[68:69], v[66:67], v[70:71] neg_lo:[0,0,1] neg_hi:[0,0,1]
	v_mov_b32_e32 v67, v73
	s_delay_alu instid0(VALU_DEP_3) | instskip(NEXT) | instid1(VALU_DEP_2)
	v_cmp_lt_u32_e32 vcc_lo, 2, v65
	v_pk_add_f32 v[60:61], v[60:61], v[66:67]
	s_or_b32 s3, vcc_lo, s3
	s_delay_alu instid0(SALU_CYCLE_1)
	s_and_not1_b32 exec_lo, exec_lo, s3
	s_cbranch_execnz .LBB27_307
; %bb.308:
	s_or_b32 exec_lo, exec_lo, s3
.LBB27_309:
	s_delay_alu instid0(SALU_CYCLE_1) | instskip(SKIP_4) | instid1(VALU_DEP_1)
	s_or_b32 exec_lo, exec_lo, s2
	v_mov_b32_e32 v63, 0
	ds_load_b64 v[64:65], v63 offset:32
	s_wait_dscnt 0x0
	v_pk_mul_f32 v[66:67], v[60:61], v[64:65] op_sel:[1,1] op_sel_hi:[0,1]
	v_pk_fma_f32 v[68:69], v[60:61], v[64:65], v[66:67] op_sel_hi:[1,0,1]
	v_pk_fma_f32 v[60:61], v[60:61], v[64:65], v[66:67] neg_lo:[0,0,1] neg_hi:[0,0,1]
	s_delay_alu instid0(VALU_DEP_2)
	v_mov_b32_e32 v61, v69
	scratch_store_b64 off, v[60:61], off offset:32
.LBB27_310:
	s_wait_xcnt 0x0
	s_or_b32 exec_lo, exec_lo, s0
	scratch_load_b64 v[60:61], off, off offset:40
	s_mov_b32 s0, exec_lo
	s_wait_loadcnt 0x0
	ds_store_b64 v1, v[60:61]
	s_wait_storecnt_dscnt 0x0
	s_barrier_signal -1
	s_barrier_wait -1
	s_wait_xcnt 0x0
	v_cmpx_gt_u32_e32 5, v0
	s_cbranch_execz .LBB27_320
; %bb.311:
	v_cmp_ne_u32_e32 vcc_lo, 1, v62
	s_cbranch_vccnz .LBB27_313
; %bb.312:
	scratch_load_b64 v[60:61], v37, off
	ds_load_b64 v[64:65], v1
	s_wait_loadcnt_dscnt 0x0
	v_pk_mul_f32 v[66:67], v[64:65], v[60:61] op_sel:[1,1] op_sel_hi:[0,1]
	s_delay_alu instid0(VALU_DEP_1) | instskip(SKIP_1) | instid1(VALU_DEP_2)
	v_pk_fma_f32 v[68:69], v[64:65], v[60:61], v[66:67] op_sel_hi:[1,0,1]
	v_pk_fma_f32 v[60:61], v[64:65], v[60:61], v[66:67] neg_lo:[0,0,1] neg_hi:[0,0,1]
	v_mov_b32_e32 v61, v69
	s_cbranch_execz .LBB27_314
	s_branch .LBB27_315
.LBB27_313:
                                        ; implicit-def: $vgpr60_vgpr61
.LBB27_314:
	ds_load_b64 v[60:61], v1
.LBB27_315:
	s_mov_b32 s2, exec_lo
	v_cmpx_ne_u32_e32 4, v0
	s_cbranch_execz .LBB27_319
; %bb.316:
	v_add_nc_u32_e32 v63, 0xe8, v36
	v_add3_u32 v64, 0, v36, 8
	v_mov_b32_e32 v65, v0
	s_mov_b32 s3, 0
.LBB27_317:                             ; =>This Inner Loop Header: Depth=1
	scratch_load_b64 v[66:67], v64, off
	ds_load_b64 v[68:69], v63
	s_wait_xcnt 0x0
	v_dual_add_nc_u32 v63, 8, v63 :: v_dual_add_nc_u32 v64, 8, v64
	s_wait_loadcnt_dscnt 0x0
	v_pk_mul_f32 v[70:71], v[68:69], v[66:67] op_sel:[1,1] op_sel_hi:[0,1]
	s_delay_alu instid0(VALU_DEP_1) | instskip(SKIP_2) | instid1(VALU_DEP_3)
	v_pk_fma_f32 v[72:73], v[68:69], v[66:67], v[70:71] op_sel_hi:[1,0,1]
	v_add_nc_u32_e32 v65, 1, v65
	v_pk_fma_f32 v[66:67], v[68:69], v[66:67], v[70:71] neg_lo:[0,0,1] neg_hi:[0,0,1]
	v_mov_b32_e32 v67, v73
	s_delay_alu instid0(VALU_DEP_3) | instskip(NEXT) | instid1(VALU_DEP_2)
	v_cmp_lt_u32_e32 vcc_lo, 3, v65
	v_pk_add_f32 v[60:61], v[60:61], v[66:67]
	s_or_b32 s3, vcc_lo, s3
	s_delay_alu instid0(SALU_CYCLE_1)
	s_and_not1_b32 exec_lo, exec_lo, s3
	s_cbranch_execnz .LBB27_317
; %bb.318:
	s_or_b32 exec_lo, exec_lo, s3
.LBB27_319:
	s_delay_alu instid0(SALU_CYCLE_1) | instskip(SKIP_4) | instid1(VALU_DEP_1)
	s_or_b32 exec_lo, exec_lo, s2
	v_mov_b32_e32 v63, 0
	ds_load_b64 v[64:65], v63 offset:40
	s_wait_dscnt 0x0
	v_pk_mul_f32 v[66:67], v[60:61], v[64:65] op_sel:[1,1] op_sel_hi:[0,1]
	v_pk_fma_f32 v[68:69], v[60:61], v[64:65], v[66:67] op_sel_hi:[1,0,1]
	v_pk_fma_f32 v[60:61], v[60:61], v[64:65], v[66:67] neg_lo:[0,0,1] neg_hi:[0,0,1]
	s_delay_alu instid0(VALU_DEP_2)
	v_mov_b32_e32 v61, v69
	scratch_store_b64 off, v[60:61], off offset:40
.LBB27_320:
	s_wait_xcnt 0x0
	s_or_b32 exec_lo, exec_lo, s0
	scratch_load_b64 v[60:61], off, off offset:48
	s_mov_b32 s0, exec_lo
	s_wait_loadcnt 0x0
	ds_store_b64 v1, v[60:61]
	s_wait_storecnt_dscnt 0x0
	s_barrier_signal -1
	s_barrier_wait -1
	s_wait_xcnt 0x0
	v_cmpx_gt_u32_e32 6, v0
	s_cbranch_execz .LBB27_330
; %bb.321:
	v_cmp_ne_u32_e32 vcc_lo, 1, v62
	s_cbranch_vccnz .LBB27_323
; %bb.322:
	scratch_load_b64 v[60:61], v37, off
	ds_load_b64 v[64:65], v1
	s_wait_loadcnt_dscnt 0x0
	v_pk_mul_f32 v[66:67], v[64:65], v[60:61] op_sel:[1,1] op_sel_hi:[0,1]
	s_delay_alu instid0(VALU_DEP_1) | instskip(SKIP_1) | instid1(VALU_DEP_2)
	v_pk_fma_f32 v[68:69], v[64:65], v[60:61], v[66:67] op_sel_hi:[1,0,1]
	v_pk_fma_f32 v[60:61], v[64:65], v[60:61], v[66:67] neg_lo:[0,0,1] neg_hi:[0,0,1]
	v_mov_b32_e32 v61, v69
	s_cbranch_execz .LBB27_324
	s_branch .LBB27_325
.LBB27_323:
                                        ; implicit-def: $vgpr60_vgpr61
.LBB27_324:
	ds_load_b64 v[60:61], v1
.LBB27_325:
	s_mov_b32 s2, exec_lo
	v_cmpx_ne_u32_e32 5, v0
	s_cbranch_execz .LBB27_329
; %bb.326:
	v_add_nc_u32_e32 v63, 0xe8, v36
	v_add3_u32 v64, 0, v36, 8
	v_mov_b32_e32 v65, v0
	s_mov_b32 s3, 0
.LBB27_327:                             ; =>This Inner Loop Header: Depth=1
	scratch_load_b64 v[66:67], v64, off
	ds_load_b64 v[68:69], v63
	s_wait_xcnt 0x0
	v_dual_add_nc_u32 v63, 8, v63 :: v_dual_add_nc_u32 v64, 8, v64
	s_wait_loadcnt_dscnt 0x0
	v_pk_mul_f32 v[70:71], v[68:69], v[66:67] op_sel:[1,1] op_sel_hi:[0,1]
	s_delay_alu instid0(VALU_DEP_1) | instskip(SKIP_2) | instid1(VALU_DEP_3)
	v_pk_fma_f32 v[72:73], v[68:69], v[66:67], v[70:71] op_sel_hi:[1,0,1]
	v_add_nc_u32_e32 v65, 1, v65
	v_pk_fma_f32 v[66:67], v[68:69], v[66:67], v[70:71] neg_lo:[0,0,1] neg_hi:[0,0,1]
	v_mov_b32_e32 v67, v73
	s_delay_alu instid0(VALU_DEP_3) | instskip(NEXT) | instid1(VALU_DEP_2)
	v_cmp_lt_u32_e32 vcc_lo, 4, v65
	v_pk_add_f32 v[60:61], v[60:61], v[66:67]
	s_or_b32 s3, vcc_lo, s3
	s_delay_alu instid0(SALU_CYCLE_1)
	s_and_not1_b32 exec_lo, exec_lo, s3
	s_cbranch_execnz .LBB27_327
; %bb.328:
	s_or_b32 exec_lo, exec_lo, s3
.LBB27_329:
	s_delay_alu instid0(SALU_CYCLE_1) | instskip(SKIP_4) | instid1(VALU_DEP_1)
	s_or_b32 exec_lo, exec_lo, s2
	v_mov_b32_e32 v63, 0
	ds_load_b64 v[64:65], v63 offset:48
	s_wait_dscnt 0x0
	v_pk_mul_f32 v[66:67], v[60:61], v[64:65] op_sel:[1,1] op_sel_hi:[0,1]
	v_pk_fma_f32 v[68:69], v[60:61], v[64:65], v[66:67] op_sel_hi:[1,0,1]
	v_pk_fma_f32 v[60:61], v[60:61], v[64:65], v[66:67] neg_lo:[0,0,1] neg_hi:[0,0,1]
	s_delay_alu instid0(VALU_DEP_2)
	v_mov_b32_e32 v61, v69
	scratch_store_b64 off, v[60:61], off offset:48
.LBB27_330:
	s_wait_xcnt 0x0
	s_or_b32 exec_lo, exec_lo, s0
	scratch_load_b64 v[60:61], off, off offset:56
	s_mov_b32 s0, exec_lo
	s_wait_loadcnt 0x0
	ds_store_b64 v1, v[60:61]
	s_wait_storecnt_dscnt 0x0
	s_barrier_signal -1
	s_barrier_wait -1
	s_wait_xcnt 0x0
	v_cmpx_gt_u32_e32 7, v0
	s_cbranch_execz .LBB27_340
; %bb.331:
	v_cmp_ne_u32_e32 vcc_lo, 1, v62
	s_cbranch_vccnz .LBB27_333
; %bb.332:
	scratch_load_b64 v[60:61], v37, off
	ds_load_b64 v[64:65], v1
	s_wait_loadcnt_dscnt 0x0
	v_pk_mul_f32 v[66:67], v[64:65], v[60:61] op_sel:[1,1] op_sel_hi:[0,1]
	s_delay_alu instid0(VALU_DEP_1) | instskip(SKIP_1) | instid1(VALU_DEP_2)
	v_pk_fma_f32 v[68:69], v[64:65], v[60:61], v[66:67] op_sel_hi:[1,0,1]
	v_pk_fma_f32 v[60:61], v[64:65], v[60:61], v[66:67] neg_lo:[0,0,1] neg_hi:[0,0,1]
	v_mov_b32_e32 v61, v69
	s_cbranch_execz .LBB27_334
	s_branch .LBB27_335
.LBB27_333:
                                        ; implicit-def: $vgpr60_vgpr61
.LBB27_334:
	ds_load_b64 v[60:61], v1
.LBB27_335:
	s_mov_b32 s2, exec_lo
	v_cmpx_ne_u32_e32 6, v0
	s_cbranch_execz .LBB27_339
; %bb.336:
	v_add_nc_u32_e32 v63, 0xe8, v36
	v_add3_u32 v64, 0, v36, 8
	v_mov_b32_e32 v65, v0
	s_mov_b32 s3, 0
.LBB27_337:                             ; =>This Inner Loop Header: Depth=1
	scratch_load_b64 v[66:67], v64, off
	ds_load_b64 v[68:69], v63
	s_wait_xcnt 0x0
	v_dual_add_nc_u32 v63, 8, v63 :: v_dual_add_nc_u32 v64, 8, v64
	s_wait_loadcnt_dscnt 0x0
	v_pk_mul_f32 v[70:71], v[68:69], v[66:67] op_sel:[1,1] op_sel_hi:[0,1]
	s_delay_alu instid0(VALU_DEP_1) | instskip(SKIP_2) | instid1(VALU_DEP_3)
	v_pk_fma_f32 v[72:73], v[68:69], v[66:67], v[70:71] op_sel_hi:[1,0,1]
	v_add_nc_u32_e32 v65, 1, v65
	v_pk_fma_f32 v[66:67], v[68:69], v[66:67], v[70:71] neg_lo:[0,0,1] neg_hi:[0,0,1]
	v_mov_b32_e32 v67, v73
	s_delay_alu instid0(VALU_DEP_3) | instskip(NEXT) | instid1(VALU_DEP_2)
	v_cmp_lt_u32_e32 vcc_lo, 5, v65
	v_pk_add_f32 v[60:61], v[60:61], v[66:67]
	s_or_b32 s3, vcc_lo, s3
	s_delay_alu instid0(SALU_CYCLE_1)
	s_and_not1_b32 exec_lo, exec_lo, s3
	s_cbranch_execnz .LBB27_337
; %bb.338:
	s_or_b32 exec_lo, exec_lo, s3
.LBB27_339:
	s_delay_alu instid0(SALU_CYCLE_1) | instskip(SKIP_4) | instid1(VALU_DEP_1)
	s_or_b32 exec_lo, exec_lo, s2
	v_mov_b32_e32 v63, 0
	ds_load_b64 v[64:65], v63 offset:56
	s_wait_dscnt 0x0
	v_pk_mul_f32 v[66:67], v[60:61], v[64:65] op_sel:[1,1] op_sel_hi:[0,1]
	v_pk_fma_f32 v[68:69], v[60:61], v[64:65], v[66:67] op_sel_hi:[1,0,1]
	v_pk_fma_f32 v[60:61], v[60:61], v[64:65], v[66:67] neg_lo:[0,0,1] neg_hi:[0,0,1]
	s_delay_alu instid0(VALU_DEP_2)
	v_mov_b32_e32 v61, v69
	scratch_store_b64 off, v[60:61], off offset:56
.LBB27_340:
	s_wait_xcnt 0x0
	s_or_b32 exec_lo, exec_lo, s0
	scratch_load_b64 v[60:61], off, off offset:64
	s_mov_b32 s0, exec_lo
	s_wait_loadcnt 0x0
	ds_store_b64 v1, v[60:61]
	s_wait_storecnt_dscnt 0x0
	s_barrier_signal -1
	s_barrier_wait -1
	s_wait_xcnt 0x0
	v_cmpx_gt_u32_e32 8, v0
	s_cbranch_execz .LBB27_350
; %bb.341:
	v_cmp_ne_u32_e32 vcc_lo, 1, v62
	s_cbranch_vccnz .LBB27_343
; %bb.342:
	scratch_load_b64 v[60:61], v37, off
	ds_load_b64 v[64:65], v1
	s_wait_loadcnt_dscnt 0x0
	v_pk_mul_f32 v[66:67], v[64:65], v[60:61] op_sel:[1,1] op_sel_hi:[0,1]
	s_delay_alu instid0(VALU_DEP_1) | instskip(SKIP_1) | instid1(VALU_DEP_2)
	v_pk_fma_f32 v[68:69], v[64:65], v[60:61], v[66:67] op_sel_hi:[1,0,1]
	v_pk_fma_f32 v[60:61], v[64:65], v[60:61], v[66:67] neg_lo:[0,0,1] neg_hi:[0,0,1]
	v_mov_b32_e32 v61, v69
	s_cbranch_execz .LBB27_344
	s_branch .LBB27_345
.LBB27_343:
                                        ; implicit-def: $vgpr60_vgpr61
.LBB27_344:
	ds_load_b64 v[60:61], v1
.LBB27_345:
	s_mov_b32 s2, exec_lo
	v_cmpx_ne_u32_e32 7, v0
	s_cbranch_execz .LBB27_349
; %bb.346:
	v_add_nc_u32_e32 v63, 0xe8, v36
	v_add3_u32 v64, 0, v36, 8
	v_mov_b32_e32 v65, v0
	s_mov_b32 s3, 0
.LBB27_347:                             ; =>This Inner Loop Header: Depth=1
	scratch_load_b64 v[66:67], v64, off
	ds_load_b64 v[68:69], v63
	s_wait_xcnt 0x0
	v_dual_add_nc_u32 v63, 8, v63 :: v_dual_add_nc_u32 v64, 8, v64
	s_wait_loadcnt_dscnt 0x0
	v_pk_mul_f32 v[70:71], v[68:69], v[66:67] op_sel:[1,1] op_sel_hi:[0,1]
	s_delay_alu instid0(VALU_DEP_1) | instskip(SKIP_2) | instid1(VALU_DEP_3)
	v_pk_fma_f32 v[72:73], v[68:69], v[66:67], v[70:71] op_sel_hi:[1,0,1]
	v_add_nc_u32_e32 v65, 1, v65
	v_pk_fma_f32 v[66:67], v[68:69], v[66:67], v[70:71] neg_lo:[0,0,1] neg_hi:[0,0,1]
	v_mov_b32_e32 v67, v73
	s_delay_alu instid0(VALU_DEP_3) | instskip(NEXT) | instid1(VALU_DEP_2)
	v_cmp_lt_u32_e32 vcc_lo, 6, v65
	v_pk_add_f32 v[60:61], v[60:61], v[66:67]
	s_or_b32 s3, vcc_lo, s3
	s_delay_alu instid0(SALU_CYCLE_1)
	s_and_not1_b32 exec_lo, exec_lo, s3
	s_cbranch_execnz .LBB27_347
; %bb.348:
	s_or_b32 exec_lo, exec_lo, s3
.LBB27_349:
	s_delay_alu instid0(SALU_CYCLE_1) | instskip(SKIP_4) | instid1(VALU_DEP_1)
	s_or_b32 exec_lo, exec_lo, s2
	v_mov_b32_e32 v63, 0
	ds_load_b64 v[64:65], v63 offset:64
	s_wait_dscnt 0x0
	v_pk_mul_f32 v[66:67], v[60:61], v[64:65] op_sel:[1,1] op_sel_hi:[0,1]
	v_pk_fma_f32 v[68:69], v[60:61], v[64:65], v[66:67] op_sel_hi:[1,0,1]
	v_pk_fma_f32 v[60:61], v[60:61], v[64:65], v[66:67] neg_lo:[0,0,1] neg_hi:[0,0,1]
	s_delay_alu instid0(VALU_DEP_2)
	v_mov_b32_e32 v61, v69
	scratch_store_b64 off, v[60:61], off offset:64
.LBB27_350:
	s_wait_xcnt 0x0
	s_or_b32 exec_lo, exec_lo, s0
	scratch_load_b64 v[60:61], off, off offset:72
	s_mov_b32 s0, exec_lo
	s_wait_loadcnt 0x0
	ds_store_b64 v1, v[60:61]
	s_wait_storecnt_dscnt 0x0
	s_barrier_signal -1
	s_barrier_wait -1
	s_wait_xcnt 0x0
	v_cmpx_gt_u32_e32 9, v0
	s_cbranch_execz .LBB27_360
; %bb.351:
	v_cmp_ne_u32_e32 vcc_lo, 1, v62
	s_cbranch_vccnz .LBB27_353
; %bb.352:
	scratch_load_b64 v[60:61], v37, off
	ds_load_b64 v[64:65], v1
	s_wait_loadcnt_dscnt 0x0
	v_pk_mul_f32 v[66:67], v[64:65], v[60:61] op_sel:[1,1] op_sel_hi:[0,1]
	s_delay_alu instid0(VALU_DEP_1) | instskip(SKIP_1) | instid1(VALU_DEP_2)
	v_pk_fma_f32 v[68:69], v[64:65], v[60:61], v[66:67] op_sel_hi:[1,0,1]
	v_pk_fma_f32 v[60:61], v[64:65], v[60:61], v[66:67] neg_lo:[0,0,1] neg_hi:[0,0,1]
	v_mov_b32_e32 v61, v69
	s_cbranch_execz .LBB27_354
	s_branch .LBB27_355
.LBB27_353:
                                        ; implicit-def: $vgpr60_vgpr61
.LBB27_354:
	ds_load_b64 v[60:61], v1
.LBB27_355:
	s_mov_b32 s2, exec_lo
	v_cmpx_ne_u32_e32 8, v0
	s_cbranch_execz .LBB27_359
; %bb.356:
	v_add_nc_u32_e32 v63, 0xe8, v36
	v_add3_u32 v64, 0, v36, 8
	v_mov_b32_e32 v65, v0
	s_mov_b32 s3, 0
.LBB27_357:                             ; =>This Inner Loop Header: Depth=1
	scratch_load_b64 v[66:67], v64, off
	ds_load_b64 v[68:69], v63
	s_wait_xcnt 0x0
	v_dual_add_nc_u32 v63, 8, v63 :: v_dual_add_nc_u32 v64, 8, v64
	s_wait_loadcnt_dscnt 0x0
	v_pk_mul_f32 v[70:71], v[68:69], v[66:67] op_sel:[1,1] op_sel_hi:[0,1]
	s_delay_alu instid0(VALU_DEP_1) | instskip(SKIP_2) | instid1(VALU_DEP_3)
	v_pk_fma_f32 v[72:73], v[68:69], v[66:67], v[70:71] op_sel_hi:[1,0,1]
	v_add_nc_u32_e32 v65, 1, v65
	v_pk_fma_f32 v[66:67], v[68:69], v[66:67], v[70:71] neg_lo:[0,0,1] neg_hi:[0,0,1]
	v_mov_b32_e32 v67, v73
	s_delay_alu instid0(VALU_DEP_3) | instskip(NEXT) | instid1(VALU_DEP_2)
	v_cmp_lt_u32_e32 vcc_lo, 7, v65
	v_pk_add_f32 v[60:61], v[60:61], v[66:67]
	s_or_b32 s3, vcc_lo, s3
	s_delay_alu instid0(SALU_CYCLE_1)
	s_and_not1_b32 exec_lo, exec_lo, s3
	s_cbranch_execnz .LBB27_357
; %bb.358:
	s_or_b32 exec_lo, exec_lo, s3
.LBB27_359:
	s_delay_alu instid0(SALU_CYCLE_1) | instskip(SKIP_4) | instid1(VALU_DEP_1)
	s_or_b32 exec_lo, exec_lo, s2
	v_mov_b32_e32 v63, 0
	ds_load_b64 v[64:65], v63 offset:72
	s_wait_dscnt 0x0
	v_pk_mul_f32 v[66:67], v[60:61], v[64:65] op_sel:[1,1] op_sel_hi:[0,1]
	v_pk_fma_f32 v[68:69], v[60:61], v[64:65], v[66:67] op_sel_hi:[1,0,1]
	v_pk_fma_f32 v[60:61], v[60:61], v[64:65], v[66:67] neg_lo:[0,0,1] neg_hi:[0,0,1]
	s_delay_alu instid0(VALU_DEP_2)
	v_mov_b32_e32 v61, v69
	scratch_store_b64 off, v[60:61], off offset:72
.LBB27_360:
	s_wait_xcnt 0x0
	s_or_b32 exec_lo, exec_lo, s0
	scratch_load_b64 v[60:61], off, off offset:80
	s_mov_b32 s0, exec_lo
	s_wait_loadcnt 0x0
	ds_store_b64 v1, v[60:61]
	s_wait_storecnt_dscnt 0x0
	s_barrier_signal -1
	s_barrier_wait -1
	s_wait_xcnt 0x0
	v_cmpx_gt_u32_e32 10, v0
	s_cbranch_execz .LBB27_370
; %bb.361:
	v_cmp_ne_u32_e32 vcc_lo, 1, v62
	s_cbranch_vccnz .LBB27_363
; %bb.362:
	scratch_load_b64 v[60:61], v37, off
	ds_load_b64 v[64:65], v1
	s_wait_loadcnt_dscnt 0x0
	v_pk_mul_f32 v[66:67], v[64:65], v[60:61] op_sel:[1,1] op_sel_hi:[0,1]
	s_delay_alu instid0(VALU_DEP_1) | instskip(SKIP_1) | instid1(VALU_DEP_2)
	v_pk_fma_f32 v[68:69], v[64:65], v[60:61], v[66:67] op_sel_hi:[1,0,1]
	v_pk_fma_f32 v[60:61], v[64:65], v[60:61], v[66:67] neg_lo:[0,0,1] neg_hi:[0,0,1]
	v_mov_b32_e32 v61, v69
	s_cbranch_execz .LBB27_364
	s_branch .LBB27_365
.LBB27_363:
                                        ; implicit-def: $vgpr60_vgpr61
.LBB27_364:
	ds_load_b64 v[60:61], v1
.LBB27_365:
	s_mov_b32 s2, exec_lo
	v_cmpx_ne_u32_e32 9, v0
	s_cbranch_execz .LBB27_369
; %bb.366:
	v_add_nc_u32_e32 v63, 0xe8, v36
	v_add3_u32 v64, 0, v36, 8
	v_mov_b32_e32 v65, v0
	s_mov_b32 s3, 0
.LBB27_367:                             ; =>This Inner Loop Header: Depth=1
	scratch_load_b64 v[66:67], v64, off
	ds_load_b64 v[68:69], v63
	s_wait_xcnt 0x0
	v_dual_add_nc_u32 v63, 8, v63 :: v_dual_add_nc_u32 v64, 8, v64
	s_wait_loadcnt_dscnt 0x0
	v_pk_mul_f32 v[70:71], v[68:69], v[66:67] op_sel:[1,1] op_sel_hi:[0,1]
	s_delay_alu instid0(VALU_DEP_1) | instskip(SKIP_2) | instid1(VALU_DEP_3)
	v_pk_fma_f32 v[72:73], v[68:69], v[66:67], v[70:71] op_sel_hi:[1,0,1]
	v_add_nc_u32_e32 v65, 1, v65
	v_pk_fma_f32 v[66:67], v[68:69], v[66:67], v[70:71] neg_lo:[0,0,1] neg_hi:[0,0,1]
	v_mov_b32_e32 v67, v73
	s_delay_alu instid0(VALU_DEP_3) | instskip(NEXT) | instid1(VALU_DEP_2)
	v_cmp_lt_u32_e32 vcc_lo, 8, v65
	v_pk_add_f32 v[60:61], v[60:61], v[66:67]
	s_or_b32 s3, vcc_lo, s3
	s_delay_alu instid0(SALU_CYCLE_1)
	s_and_not1_b32 exec_lo, exec_lo, s3
	s_cbranch_execnz .LBB27_367
; %bb.368:
	s_or_b32 exec_lo, exec_lo, s3
.LBB27_369:
	s_delay_alu instid0(SALU_CYCLE_1) | instskip(SKIP_4) | instid1(VALU_DEP_1)
	s_or_b32 exec_lo, exec_lo, s2
	v_mov_b32_e32 v63, 0
	ds_load_b64 v[64:65], v63 offset:80
	s_wait_dscnt 0x0
	v_pk_mul_f32 v[66:67], v[60:61], v[64:65] op_sel:[1,1] op_sel_hi:[0,1]
	v_pk_fma_f32 v[68:69], v[60:61], v[64:65], v[66:67] op_sel_hi:[1,0,1]
	v_pk_fma_f32 v[60:61], v[60:61], v[64:65], v[66:67] neg_lo:[0,0,1] neg_hi:[0,0,1]
	s_delay_alu instid0(VALU_DEP_2)
	v_mov_b32_e32 v61, v69
	scratch_store_b64 off, v[60:61], off offset:80
.LBB27_370:
	s_wait_xcnt 0x0
	s_or_b32 exec_lo, exec_lo, s0
	scratch_load_b64 v[60:61], off, off offset:88
	s_mov_b32 s0, exec_lo
	s_wait_loadcnt 0x0
	ds_store_b64 v1, v[60:61]
	s_wait_storecnt_dscnt 0x0
	s_barrier_signal -1
	s_barrier_wait -1
	s_wait_xcnt 0x0
	v_cmpx_gt_u32_e32 11, v0
	s_cbranch_execz .LBB27_380
; %bb.371:
	v_cmp_ne_u32_e32 vcc_lo, 1, v62
	s_cbranch_vccnz .LBB27_373
; %bb.372:
	scratch_load_b64 v[60:61], v37, off
	ds_load_b64 v[64:65], v1
	s_wait_loadcnt_dscnt 0x0
	v_pk_mul_f32 v[66:67], v[64:65], v[60:61] op_sel:[1,1] op_sel_hi:[0,1]
	s_delay_alu instid0(VALU_DEP_1) | instskip(SKIP_1) | instid1(VALU_DEP_2)
	v_pk_fma_f32 v[68:69], v[64:65], v[60:61], v[66:67] op_sel_hi:[1,0,1]
	v_pk_fma_f32 v[60:61], v[64:65], v[60:61], v[66:67] neg_lo:[0,0,1] neg_hi:[0,0,1]
	v_mov_b32_e32 v61, v69
	s_cbranch_execz .LBB27_374
	s_branch .LBB27_375
.LBB27_373:
                                        ; implicit-def: $vgpr60_vgpr61
.LBB27_374:
	ds_load_b64 v[60:61], v1
.LBB27_375:
	s_mov_b32 s2, exec_lo
	v_cmpx_ne_u32_e32 10, v0
	s_cbranch_execz .LBB27_379
; %bb.376:
	v_add_nc_u32_e32 v63, 0xe8, v36
	v_add3_u32 v64, 0, v36, 8
	v_mov_b32_e32 v65, v0
	s_mov_b32 s3, 0
.LBB27_377:                             ; =>This Inner Loop Header: Depth=1
	scratch_load_b64 v[66:67], v64, off
	ds_load_b64 v[68:69], v63
	s_wait_xcnt 0x0
	v_dual_add_nc_u32 v63, 8, v63 :: v_dual_add_nc_u32 v64, 8, v64
	s_wait_loadcnt_dscnt 0x0
	v_pk_mul_f32 v[70:71], v[68:69], v[66:67] op_sel:[1,1] op_sel_hi:[0,1]
	s_delay_alu instid0(VALU_DEP_1) | instskip(SKIP_2) | instid1(VALU_DEP_3)
	v_pk_fma_f32 v[72:73], v[68:69], v[66:67], v[70:71] op_sel_hi:[1,0,1]
	v_add_nc_u32_e32 v65, 1, v65
	v_pk_fma_f32 v[66:67], v[68:69], v[66:67], v[70:71] neg_lo:[0,0,1] neg_hi:[0,0,1]
	v_mov_b32_e32 v67, v73
	s_delay_alu instid0(VALU_DEP_3) | instskip(NEXT) | instid1(VALU_DEP_2)
	v_cmp_lt_u32_e32 vcc_lo, 9, v65
	v_pk_add_f32 v[60:61], v[60:61], v[66:67]
	s_or_b32 s3, vcc_lo, s3
	s_delay_alu instid0(SALU_CYCLE_1)
	s_and_not1_b32 exec_lo, exec_lo, s3
	s_cbranch_execnz .LBB27_377
; %bb.378:
	s_or_b32 exec_lo, exec_lo, s3
.LBB27_379:
	s_delay_alu instid0(SALU_CYCLE_1) | instskip(SKIP_4) | instid1(VALU_DEP_1)
	s_or_b32 exec_lo, exec_lo, s2
	v_mov_b32_e32 v63, 0
	ds_load_b64 v[64:65], v63 offset:88
	s_wait_dscnt 0x0
	v_pk_mul_f32 v[66:67], v[60:61], v[64:65] op_sel:[1,1] op_sel_hi:[0,1]
	v_pk_fma_f32 v[68:69], v[60:61], v[64:65], v[66:67] op_sel_hi:[1,0,1]
	v_pk_fma_f32 v[60:61], v[60:61], v[64:65], v[66:67] neg_lo:[0,0,1] neg_hi:[0,0,1]
	s_delay_alu instid0(VALU_DEP_2)
	v_mov_b32_e32 v61, v69
	scratch_store_b64 off, v[60:61], off offset:88
.LBB27_380:
	s_wait_xcnt 0x0
	s_or_b32 exec_lo, exec_lo, s0
	scratch_load_b64 v[60:61], off, off offset:96
	s_mov_b32 s0, exec_lo
	s_wait_loadcnt 0x0
	ds_store_b64 v1, v[60:61]
	s_wait_storecnt_dscnt 0x0
	s_barrier_signal -1
	s_barrier_wait -1
	s_wait_xcnt 0x0
	v_cmpx_gt_u32_e32 12, v0
	s_cbranch_execz .LBB27_390
; %bb.381:
	v_cmp_ne_u32_e32 vcc_lo, 1, v62
	s_cbranch_vccnz .LBB27_383
; %bb.382:
	scratch_load_b64 v[60:61], v37, off
	ds_load_b64 v[64:65], v1
	s_wait_loadcnt_dscnt 0x0
	v_pk_mul_f32 v[66:67], v[64:65], v[60:61] op_sel:[1,1] op_sel_hi:[0,1]
	s_delay_alu instid0(VALU_DEP_1) | instskip(SKIP_1) | instid1(VALU_DEP_2)
	v_pk_fma_f32 v[68:69], v[64:65], v[60:61], v[66:67] op_sel_hi:[1,0,1]
	v_pk_fma_f32 v[60:61], v[64:65], v[60:61], v[66:67] neg_lo:[0,0,1] neg_hi:[0,0,1]
	v_mov_b32_e32 v61, v69
	s_cbranch_execz .LBB27_384
	s_branch .LBB27_385
.LBB27_383:
                                        ; implicit-def: $vgpr60_vgpr61
.LBB27_384:
	ds_load_b64 v[60:61], v1
.LBB27_385:
	s_mov_b32 s2, exec_lo
	v_cmpx_ne_u32_e32 11, v0
	s_cbranch_execz .LBB27_389
; %bb.386:
	v_add_nc_u32_e32 v63, 0xe8, v36
	v_add3_u32 v64, 0, v36, 8
	v_mov_b32_e32 v65, v0
	s_mov_b32 s3, 0
.LBB27_387:                             ; =>This Inner Loop Header: Depth=1
	scratch_load_b64 v[66:67], v64, off
	ds_load_b64 v[68:69], v63
	s_wait_xcnt 0x0
	v_dual_add_nc_u32 v63, 8, v63 :: v_dual_add_nc_u32 v64, 8, v64
	s_wait_loadcnt_dscnt 0x0
	v_pk_mul_f32 v[70:71], v[68:69], v[66:67] op_sel:[1,1] op_sel_hi:[0,1]
	s_delay_alu instid0(VALU_DEP_1) | instskip(SKIP_2) | instid1(VALU_DEP_3)
	v_pk_fma_f32 v[72:73], v[68:69], v[66:67], v[70:71] op_sel_hi:[1,0,1]
	v_add_nc_u32_e32 v65, 1, v65
	v_pk_fma_f32 v[66:67], v[68:69], v[66:67], v[70:71] neg_lo:[0,0,1] neg_hi:[0,0,1]
	v_mov_b32_e32 v67, v73
	s_delay_alu instid0(VALU_DEP_3) | instskip(NEXT) | instid1(VALU_DEP_2)
	v_cmp_lt_u32_e32 vcc_lo, 10, v65
	v_pk_add_f32 v[60:61], v[60:61], v[66:67]
	s_or_b32 s3, vcc_lo, s3
	s_delay_alu instid0(SALU_CYCLE_1)
	s_and_not1_b32 exec_lo, exec_lo, s3
	s_cbranch_execnz .LBB27_387
; %bb.388:
	s_or_b32 exec_lo, exec_lo, s3
.LBB27_389:
	s_delay_alu instid0(SALU_CYCLE_1) | instskip(SKIP_4) | instid1(VALU_DEP_1)
	s_or_b32 exec_lo, exec_lo, s2
	v_mov_b32_e32 v63, 0
	ds_load_b64 v[64:65], v63 offset:96
	s_wait_dscnt 0x0
	v_pk_mul_f32 v[66:67], v[60:61], v[64:65] op_sel:[1,1] op_sel_hi:[0,1]
	v_pk_fma_f32 v[68:69], v[60:61], v[64:65], v[66:67] op_sel_hi:[1,0,1]
	v_pk_fma_f32 v[60:61], v[60:61], v[64:65], v[66:67] neg_lo:[0,0,1] neg_hi:[0,0,1]
	s_delay_alu instid0(VALU_DEP_2)
	v_mov_b32_e32 v61, v69
	scratch_store_b64 off, v[60:61], off offset:96
.LBB27_390:
	s_wait_xcnt 0x0
	s_or_b32 exec_lo, exec_lo, s0
	scratch_load_b64 v[60:61], off, off offset:104
	s_mov_b32 s0, exec_lo
	s_wait_loadcnt 0x0
	ds_store_b64 v1, v[60:61]
	s_wait_storecnt_dscnt 0x0
	s_barrier_signal -1
	s_barrier_wait -1
	s_wait_xcnt 0x0
	v_cmpx_gt_u32_e32 13, v0
	s_cbranch_execz .LBB27_400
; %bb.391:
	v_cmp_ne_u32_e32 vcc_lo, 1, v62
	s_cbranch_vccnz .LBB27_393
; %bb.392:
	scratch_load_b64 v[60:61], v37, off
	ds_load_b64 v[64:65], v1
	s_wait_loadcnt_dscnt 0x0
	v_pk_mul_f32 v[66:67], v[64:65], v[60:61] op_sel:[1,1] op_sel_hi:[0,1]
	s_delay_alu instid0(VALU_DEP_1) | instskip(SKIP_1) | instid1(VALU_DEP_2)
	v_pk_fma_f32 v[68:69], v[64:65], v[60:61], v[66:67] op_sel_hi:[1,0,1]
	v_pk_fma_f32 v[60:61], v[64:65], v[60:61], v[66:67] neg_lo:[0,0,1] neg_hi:[0,0,1]
	v_mov_b32_e32 v61, v69
	s_cbranch_execz .LBB27_394
	s_branch .LBB27_395
.LBB27_393:
                                        ; implicit-def: $vgpr60_vgpr61
.LBB27_394:
	ds_load_b64 v[60:61], v1
.LBB27_395:
	s_mov_b32 s2, exec_lo
	v_cmpx_ne_u32_e32 12, v0
	s_cbranch_execz .LBB27_399
; %bb.396:
	v_add_nc_u32_e32 v63, 0xe8, v36
	v_add3_u32 v64, 0, v36, 8
	v_mov_b32_e32 v65, v0
	s_mov_b32 s3, 0
.LBB27_397:                             ; =>This Inner Loop Header: Depth=1
	scratch_load_b64 v[66:67], v64, off
	ds_load_b64 v[68:69], v63
	s_wait_xcnt 0x0
	v_dual_add_nc_u32 v63, 8, v63 :: v_dual_add_nc_u32 v64, 8, v64
	s_wait_loadcnt_dscnt 0x0
	v_pk_mul_f32 v[70:71], v[68:69], v[66:67] op_sel:[1,1] op_sel_hi:[0,1]
	s_delay_alu instid0(VALU_DEP_1) | instskip(SKIP_2) | instid1(VALU_DEP_3)
	v_pk_fma_f32 v[72:73], v[68:69], v[66:67], v[70:71] op_sel_hi:[1,0,1]
	v_add_nc_u32_e32 v65, 1, v65
	v_pk_fma_f32 v[66:67], v[68:69], v[66:67], v[70:71] neg_lo:[0,0,1] neg_hi:[0,0,1]
	v_mov_b32_e32 v67, v73
	s_delay_alu instid0(VALU_DEP_3) | instskip(NEXT) | instid1(VALU_DEP_2)
	v_cmp_lt_u32_e32 vcc_lo, 11, v65
	v_pk_add_f32 v[60:61], v[60:61], v[66:67]
	s_or_b32 s3, vcc_lo, s3
	s_delay_alu instid0(SALU_CYCLE_1)
	s_and_not1_b32 exec_lo, exec_lo, s3
	s_cbranch_execnz .LBB27_397
; %bb.398:
	s_or_b32 exec_lo, exec_lo, s3
.LBB27_399:
	s_delay_alu instid0(SALU_CYCLE_1) | instskip(SKIP_4) | instid1(VALU_DEP_1)
	s_or_b32 exec_lo, exec_lo, s2
	v_mov_b32_e32 v63, 0
	ds_load_b64 v[64:65], v63 offset:104
	s_wait_dscnt 0x0
	v_pk_mul_f32 v[66:67], v[60:61], v[64:65] op_sel:[1,1] op_sel_hi:[0,1]
	v_pk_fma_f32 v[68:69], v[60:61], v[64:65], v[66:67] op_sel_hi:[1,0,1]
	v_pk_fma_f32 v[60:61], v[60:61], v[64:65], v[66:67] neg_lo:[0,0,1] neg_hi:[0,0,1]
	s_delay_alu instid0(VALU_DEP_2)
	v_mov_b32_e32 v61, v69
	scratch_store_b64 off, v[60:61], off offset:104
.LBB27_400:
	s_wait_xcnt 0x0
	s_or_b32 exec_lo, exec_lo, s0
	scratch_load_b64 v[60:61], off, off offset:112
	s_mov_b32 s0, exec_lo
	s_wait_loadcnt 0x0
	ds_store_b64 v1, v[60:61]
	s_wait_storecnt_dscnt 0x0
	s_barrier_signal -1
	s_barrier_wait -1
	s_wait_xcnt 0x0
	v_cmpx_gt_u32_e32 14, v0
	s_cbranch_execz .LBB27_410
; %bb.401:
	v_cmp_ne_u32_e32 vcc_lo, 1, v62
	s_cbranch_vccnz .LBB27_403
; %bb.402:
	scratch_load_b64 v[60:61], v37, off
	ds_load_b64 v[64:65], v1
	s_wait_loadcnt_dscnt 0x0
	v_pk_mul_f32 v[66:67], v[64:65], v[60:61] op_sel:[1,1] op_sel_hi:[0,1]
	s_delay_alu instid0(VALU_DEP_1) | instskip(SKIP_1) | instid1(VALU_DEP_2)
	v_pk_fma_f32 v[68:69], v[64:65], v[60:61], v[66:67] op_sel_hi:[1,0,1]
	v_pk_fma_f32 v[60:61], v[64:65], v[60:61], v[66:67] neg_lo:[0,0,1] neg_hi:[0,0,1]
	v_mov_b32_e32 v61, v69
	s_cbranch_execz .LBB27_404
	s_branch .LBB27_405
.LBB27_403:
                                        ; implicit-def: $vgpr60_vgpr61
.LBB27_404:
	ds_load_b64 v[60:61], v1
.LBB27_405:
	s_mov_b32 s2, exec_lo
	v_cmpx_ne_u32_e32 13, v0
	s_cbranch_execz .LBB27_409
; %bb.406:
	v_add_nc_u32_e32 v63, 0xe8, v36
	v_add3_u32 v64, 0, v36, 8
	v_mov_b32_e32 v65, v0
	s_mov_b32 s3, 0
.LBB27_407:                             ; =>This Inner Loop Header: Depth=1
	scratch_load_b64 v[66:67], v64, off
	ds_load_b64 v[68:69], v63
	s_wait_xcnt 0x0
	v_dual_add_nc_u32 v63, 8, v63 :: v_dual_add_nc_u32 v64, 8, v64
	s_wait_loadcnt_dscnt 0x0
	v_pk_mul_f32 v[70:71], v[68:69], v[66:67] op_sel:[1,1] op_sel_hi:[0,1]
	s_delay_alu instid0(VALU_DEP_1) | instskip(SKIP_2) | instid1(VALU_DEP_3)
	v_pk_fma_f32 v[72:73], v[68:69], v[66:67], v[70:71] op_sel_hi:[1,0,1]
	v_add_nc_u32_e32 v65, 1, v65
	v_pk_fma_f32 v[66:67], v[68:69], v[66:67], v[70:71] neg_lo:[0,0,1] neg_hi:[0,0,1]
	v_mov_b32_e32 v67, v73
	s_delay_alu instid0(VALU_DEP_3) | instskip(NEXT) | instid1(VALU_DEP_2)
	v_cmp_lt_u32_e32 vcc_lo, 12, v65
	v_pk_add_f32 v[60:61], v[60:61], v[66:67]
	s_or_b32 s3, vcc_lo, s3
	s_delay_alu instid0(SALU_CYCLE_1)
	s_and_not1_b32 exec_lo, exec_lo, s3
	s_cbranch_execnz .LBB27_407
; %bb.408:
	s_or_b32 exec_lo, exec_lo, s3
.LBB27_409:
	s_delay_alu instid0(SALU_CYCLE_1) | instskip(SKIP_4) | instid1(VALU_DEP_1)
	s_or_b32 exec_lo, exec_lo, s2
	v_mov_b32_e32 v63, 0
	ds_load_b64 v[64:65], v63 offset:112
	s_wait_dscnt 0x0
	v_pk_mul_f32 v[66:67], v[60:61], v[64:65] op_sel:[1,1] op_sel_hi:[0,1]
	v_pk_fma_f32 v[68:69], v[60:61], v[64:65], v[66:67] op_sel_hi:[1,0,1]
	v_pk_fma_f32 v[60:61], v[60:61], v[64:65], v[66:67] neg_lo:[0,0,1] neg_hi:[0,0,1]
	s_delay_alu instid0(VALU_DEP_2)
	v_mov_b32_e32 v61, v69
	scratch_store_b64 off, v[60:61], off offset:112
.LBB27_410:
	s_wait_xcnt 0x0
	s_or_b32 exec_lo, exec_lo, s0
	scratch_load_b64 v[60:61], off, off offset:120
	s_mov_b32 s0, exec_lo
	s_wait_loadcnt 0x0
	ds_store_b64 v1, v[60:61]
	s_wait_storecnt_dscnt 0x0
	s_barrier_signal -1
	s_barrier_wait -1
	s_wait_xcnt 0x0
	v_cmpx_gt_u32_e32 15, v0
	s_cbranch_execz .LBB27_420
; %bb.411:
	v_cmp_ne_u32_e32 vcc_lo, 1, v62
	s_cbranch_vccnz .LBB27_413
; %bb.412:
	scratch_load_b64 v[60:61], v37, off
	ds_load_b64 v[64:65], v1
	s_wait_loadcnt_dscnt 0x0
	v_pk_mul_f32 v[66:67], v[64:65], v[60:61] op_sel:[1,1] op_sel_hi:[0,1]
	s_delay_alu instid0(VALU_DEP_1) | instskip(SKIP_1) | instid1(VALU_DEP_2)
	v_pk_fma_f32 v[68:69], v[64:65], v[60:61], v[66:67] op_sel_hi:[1,0,1]
	v_pk_fma_f32 v[60:61], v[64:65], v[60:61], v[66:67] neg_lo:[0,0,1] neg_hi:[0,0,1]
	v_mov_b32_e32 v61, v69
	s_cbranch_execz .LBB27_414
	s_branch .LBB27_415
.LBB27_413:
                                        ; implicit-def: $vgpr60_vgpr61
.LBB27_414:
	ds_load_b64 v[60:61], v1
.LBB27_415:
	s_mov_b32 s2, exec_lo
	v_cmpx_ne_u32_e32 14, v0
	s_cbranch_execz .LBB27_419
; %bb.416:
	v_add_nc_u32_e32 v63, 0xe8, v36
	v_add3_u32 v64, 0, v36, 8
	v_mov_b32_e32 v65, v0
	s_mov_b32 s3, 0
.LBB27_417:                             ; =>This Inner Loop Header: Depth=1
	scratch_load_b64 v[66:67], v64, off
	ds_load_b64 v[68:69], v63
	s_wait_xcnt 0x0
	v_dual_add_nc_u32 v63, 8, v63 :: v_dual_add_nc_u32 v64, 8, v64
	s_wait_loadcnt_dscnt 0x0
	v_pk_mul_f32 v[70:71], v[68:69], v[66:67] op_sel:[1,1] op_sel_hi:[0,1]
	s_delay_alu instid0(VALU_DEP_1) | instskip(SKIP_2) | instid1(VALU_DEP_3)
	v_pk_fma_f32 v[72:73], v[68:69], v[66:67], v[70:71] op_sel_hi:[1,0,1]
	v_add_nc_u32_e32 v65, 1, v65
	v_pk_fma_f32 v[66:67], v[68:69], v[66:67], v[70:71] neg_lo:[0,0,1] neg_hi:[0,0,1]
	v_mov_b32_e32 v67, v73
	s_delay_alu instid0(VALU_DEP_3) | instskip(NEXT) | instid1(VALU_DEP_2)
	v_cmp_lt_u32_e32 vcc_lo, 13, v65
	v_pk_add_f32 v[60:61], v[60:61], v[66:67]
	s_or_b32 s3, vcc_lo, s3
	s_delay_alu instid0(SALU_CYCLE_1)
	s_and_not1_b32 exec_lo, exec_lo, s3
	s_cbranch_execnz .LBB27_417
; %bb.418:
	s_or_b32 exec_lo, exec_lo, s3
.LBB27_419:
	s_delay_alu instid0(SALU_CYCLE_1) | instskip(SKIP_4) | instid1(VALU_DEP_1)
	s_or_b32 exec_lo, exec_lo, s2
	v_mov_b32_e32 v63, 0
	ds_load_b64 v[64:65], v63 offset:120
	s_wait_dscnt 0x0
	v_pk_mul_f32 v[66:67], v[60:61], v[64:65] op_sel:[1,1] op_sel_hi:[0,1]
	v_pk_fma_f32 v[68:69], v[60:61], v[64:65], v[66:67] op_sel_hi:[1,0,1]
	v_pk_fma_f32 v[60:61], v[60:61], v[64:65], v[66:67] neg_lo:[0,0,1] neg_hi:[0,0,1]
	s_delay_alu instid0(VALU_DEP_2)
	v_mov_b32_e32 v61, v69
	scratch_store_b64 off, v[60:61], off offset:120
.LBB27_420:
	s_wait_xcnt 0x0
	s_or_b32 exec_lo, exec_lo, s0
	scratch_load_b64 v[60:61], off, off offset:128
	s_mov_b32 s0, exec_lo
	s_wait_loadcnt 0x0
	ds_store_b64 v1, v[60:61]
	s_wait_storecnt_dscnt 0x0
	s_barrier_signal -1
	s_barrier_wait -1
	s_wait_xcnt 0x0
	v_cmpx_gt_u32_e32 16, v0
	s_cbranch_execz .LBB27_430
; %bb.421:
	v_cmp_ne_u32_e32 vcc_lo, 1, v62
	s_cbranch_vccnz .LBB27_423
; %bb.422:
	scratch_load_b64 v[60:61], v37, off
	ds_load_b64 v[64:65], v1
	s_wait_loadcnt_dscnt 0x0
	v_pk_mul_f32 v[66:67], v[64:65], v[60:61] op_sel:[1,1] op_sel_hi:[0,1]
	s_delay_alu instid0(VALU_DEP_1) | instskip(SKIP_1) | instid1(VALU_DEP_2)
	v_pk_fma_f32 v[68:69], v[64:65], v[60:61], v[66:67] op_sel_hi:[1,0,1]
	v_pk_fma_f32 v[60:61], v[64:65], v[60:61], v[66:67] neg_lo:[0,0,1] neg_hi:[0,0,1]
	v_mov_b32_e32 v61, v69
	s_cbranch_execz .LBB27_424
	s_branch .LBB27_425
.LBB27_423:
                                        ; implicit-def: $vgpr60_vgpr61
.LBB27_424:
	ds_load_b64 v[60:61], v1
.LBB27_425:
	s_mov_b32 s2, exec_lo
	v_cmpx_ne_u32_e32 15, v0
	s_cbranch_execz .LBB27_429
; %bb.426:
	v_add_nc_u32_e32 v63, 0xe8, v36
	v_add3_u32 v64, 0, v36, 8
	v_mov_b32_e32 v65, v0
	s_mov_b32 s3, 0
.LBB27_427:                             ; =>This Inner Loop Header: Depth=1
	scratch_load_b64 v[66:67], v64, off
	ds_load_b64 v[68:69], v63
	s_wait_xcnt 0x0
	v_dual_add_nc_u32 v63, 8, v63 :: v_dual_add_nc_u32 v64, 8, v64
	s_wait_loadcnt_dscnt 0x0
	v_pk_mul_f32 v[70:71], v[68:69], v[66:67] op_sel:[1,1] op_sel_hi:[0,1]
	s_delay_alu instid0(VALU_DEP_1) | instskip(SKIP_2) | instid1(VALU_DEP_3)
	v_pk_fma_f32 v[72:73], v[68:69], v[66:67], v[70:71] op_sel_hi:[1,0,1]
	v_add_nc_u32_e32 v65, 1, v65
	v_pk_fma_f32 v[66:67], v[68:69], v[66:67], v[70:71] neg_lo:[0,0,1] neg_hi:[0,0,1]
	v_mov_b32_e32 v67, v73
	s_delay_alu instid0(VALU_DEP_3) | instskip(NEXT) | instid1(VALU_DEP_2)
	v_cmp_lt_u32_e32 vcc_lo, 14, v65
	v_pk_add_f32 v[60:61], v[60:61], v[66:67]
	s_or_b32 s3, vcc_lo, s3
	s_delay_alu instid0(SALU_CYCLE_1)
	s_and_not1_b32 exec_lo, exec_lo, s3
	s_cbranch_execnz .LBB27_427
; %bb.428:
	s_or_b32 exec_lo, exec_lo, s3
.LBB27_429:
	s_delay_alu instid0(SALU_CYCLE_1) | instskip(SKIP_4) | instid1(VALU_DEP_1)
	s_or_b32 exec_lo, exec_lo, s2
	v_mov_b32_e32 v63, 0
	ds_load_b64 v[64:65], v63 offset:128
	s_wait_dscnt 0x0
	v_pk_mul_f32 v[66:67], v[60:61], v[64:65] op_sel:[1,1] op_sel_hi:[0,1]
	v_pk_fma_f32 v[68:69], v[60:61], v[64:65], v[66:67] op_sel_hi:[1,0,1]
	v_pk_fma_f32 v[60:61], v[60:61], v[64:65], v[66:67] neg_lo:[0,0,1] neg_hi:[0,0,1]
	s_delay_alu instid0(VALU_DEP_2)
	v_mov_b32_e32 v61, v69
	scratch_store_b64 off, v[60:61], off offset:128
.LBB27_430:
	s_wait_xcnt 0x0
	s_or_b32 exec_lo, exec_lo, s0
	scratch_load_b64 v[60:61], off, off offset:136
	s_mov_b32 s0, exec_lo
	s_wait_loadcnt 0x0
	ds_store_b64 v1, v[60:61]
	s_wait_storecnt_dscnt 0x0
	s_barrier_signal -1
	s_barrier_wait -1
	s_wait_xcnt 0x0
	v_cmpx_gt_u32_e32 17, v0
	s_cbranch_execz .LBB27_440
; %bb.431:
	v_cmp_ne_u32_e32 vcc_lo, 1, v62
	s_cbranch_vccnz .LBB27_433
; %bb.432:
	scratch_load_b64 v[60:61], v37, off
	ds_load_b64 v[64:65], v1
	s_wait_loadcnt_dscnt 0x0
	v_pk_mul_f32 v[66:67], v[64:65], v[60:61] op_sel:[1,1] op_sel_hi:[0,1]
	s_delay_alu instid0(VALU_DEP_1) | instskip(SKIP_1) | instid1(VALU_DEP_2)
	v_pk_fma_f32 v[68:69], v[64:65], v[60:61], v[66:67] op_sel_hi:[1,0,1]
	v_pk_fma_f32 v[60:61], v[64:65], v[60:61], v[66:67] neg_lo:[0,0,1] neg_hi:[0,0,1]
	v_mov_b32_e32 v61, v69
	s_cbranch_execz .LBB27_434
	s_branch .LBB27_435
.LBB27_433:
                                        ; implicit-def: $vgpr60_vgpr61
.LBB27_434:
	ds_load_b64 v[60:61], v1
.LBB27_435:
	s_mov_b32 s2, exec_lo
	v_cmpx_ne_u32_e32 16, v0
	s_cbranch_execz .LBB27_439
; %bb.436:
	v_add_nc_u32_e32 v63, 0xe8, v36
	v_add3_u32 v64, 0, v36, 8
	v_mov_b32_e32 v65, v0
	s_mov_b32 s3, 0
.LBB27_437:                             ; =>This Inner Loop Header: Depth=1
	scratch_load_b64 v[66:67], v64, off
	ds_load_b64 v[68:69], v63
	s_wait_xcnt 0x0
	v_dual_add_nc_u32 v63, 8, v63 :: v_dual_add_nc_u32 v64, 8, v64
	s_wait_loadcnt_dscnt 0x0
	v_pk_mul_f32 v[70:71], v[68:69], v[66:67] op_sel:[1,1] op_sel_hi:[0,1]
	s_delay_alu instid0(VALU_DEP_1) | instskip(SKIP_2) | instid1(VALU_DEP_3)
	v_pk_fma_f32 v[72:73], v[68:69], v[66:67], v[70:71] op_sel_hi:[1,0,1]
	v_add_nc_u32_e32 v65, 1, v65
	v_pk_fma_f32 v[66:67], v[68:69], v[66:67], v[70:71] neg_lo:[0,0,1] neg_hi:[0,0,1]
	v_mov_b32_e32 v67, v73
	s_delay_alu instid0(VALU_DEP_3) | instskip(NEXT) | instid1(VALU_DEP_2)
	v_cmp_lt_u32_e32 vcc_lo, 15, v65
	v_pk_add_f32 v[60:61], v[60:61], v[66:67]
	s_or_b32 s3, vcc_lo, s3
	s_delay_alu instid0(SALU_CYCLE_1)
	s_and_not1_b32 exec_lo, exec_lo, s3
	s_cbranch_execnz .LBB27_437
; %bb.438:
	s_or_b32 exec_lo, exec_lo, s3
.LBB27_439:
	s_delay_alu instid0(SALU_CYCLE_1) | instskip(SKIP_4) | instid1(VALU_DEP_1)
	s_or_b32 exec_lo, exec_lo, s2
	v_mov_b32_e32 v63, 0
	ds_load_b64 v[64:65], v63 offset:136
	s_wait_dscnt 0x0
	v_pk_mul_f32 v[66:67], v[60:61], v[64:65] op_sel:[1,1] op_sel_hi:[0,1]
	v_pk_fma_f32 v[68:69], v[60:61], v[64:65], v[66:67] op_sel_hi:[1,0,1]
	v_pk_fma_f32 v[60:61], v[60:61], v[64:65], v[66:67] neg_lo:[0,0,1] neg_hi:[0,0,1]
	s_delay_alu instid0(VALU_DEP_2)
	v_mov_b32_e32 v61, v69
	scratch_store_b64 off, v[60:61], off offset:136
.LBB27_440:
	s_wait_xcnt 0x0
	s_or_b32 exec_lo, exec_lo, s0
	scratch_load_b64 v[60:61], off, off offset:144
	s_mov_b32 s0, exec_lo
	s_wait_loadcnt 0x0
	ds_store_b64 v1, v[60:61]
	s_wait_storecnt_dscnt 0x0
	s_barrier_signal -1
	s_barrier_wait -1
	s_wait_xcnt 0x0
	v_cmpx_gt_u32_e32 18, v0
	s_cbranch_execz .LBB27_450
; %bb.441:
	v_cmp_ne_u32_e32 vcc_lo, 1, v62
	s_cbranch_vccnz .LBB27_443
; %bb.442:
	scratch_load_b64 v[60:61], v37, off
	ds_load_b64 v[64:65], v1
	s_wait_loadcnt_dscnt 0x0
	v_pk_mul_f32 v[66:67], v[64:65], v[60:61] op_sel:[1,1] op_sel_hi:[0,1]
	s_delay_alu instid0(VALU_DEP_1) | instskip(SKIP_1) | instid1(VALU_DEP_2)
	v_pk_fma_f32 v[68:69], v[64:65], v[60:61], v[66:67] op_sel_hi:[1,0,1]
	v_pk_fma_f32 v[60:61], v[64:65], v[60:61], v[66:67] neg_lo:[0,0,1] neg_hi:[0,0,1]
	v_mov_b32_e32 v61, v69
	s_cbranch_execz .LBB27_444
	s_branch .LBB27_445
.LBB27_443:
                                        ; implicit-def: $vgpr60_vgpr61
.LBB27_444:
	ds_load_b64 v[60:61], v1
.LBB27_445:
	s_mov_b32 s2, exec_lo
	v_cmpx_ne_u32_e32 17, v0
	s_cbranch_execz .LBB27_449
; %bb.446:
	v_add_nc_u32_e32 v63, 0xe8, v36
	v_add3_u32 v64, 0, v36, 8
	v_mov_b32_e32 v65, v0
	s_mov_b32 s3, 0
.LBB27_447:                             ; =>This Inner Loop Header: Depth=1
	scratch_load_b64 v[66:67], v64, off
	ds_load_b64 v[68:69], v63
	s_wait_xcnt 0x0
	v_dual_add_nc_u32 v63, 8, v63 :: v_dual_add_nc_u32 v64, 8, v64
	s_wait_loadcnt_dscnt 0x0
	v_pk_mul_f32 v[70:71], v[68:69], v[66:67] op_sel:[1,1] op_sel_hi:[0,1]
	s_delay_alu instid0(VALU_DEP_1) | instskip(SKIP_2) | instid1(VALU_DEP_3)
	v_pk_fma_f32 v[72:73], v[68:69], v[66:67], v[70:71] op_sel_hi:[1,0,1]
	v_add_nc_u32_e32 v65, 1, v65
	v_pk_fma_f32 v[66:67], v[68:69], v[66:67], v[70:71] neg_lo:[0,0,1] neg_hi:[0,0,1]
	v_mov_b32_e32 v67, v73
	s_delay_alu instid0(VALU_DEP_3) | instskip(NEXT) | instid1(VALU_DEP_2)
	v_cmp_lt_u32_e32 vcc_lo, 16, v65
	v_pk_add_f32 v[60:61], v[60:61], v[66:67]
	s_or_b32 s3, vcc_lo, s3
	s_delay_alu instid0(SALU_CYCLE_1)
	s_and_not1_b32 exec_lo, exec_lo, s3
	s_cbranch_execnz .LBB27_447
; %bb.448:
	s_or_b32 exec_lo, exec_lo, s3
.LBB27_449:
	s_delay_alu instid0(SALU_CYCLE_1) | instskip(SKIP_4) | instid1(VALU_DEP_1)
	s_or_b32 exec_lo, exec_lo, s2
	v_mov_b32_e32 v63, 0
	ds_load_b64 v[64:65], v63 offset:144
	s_wait_dscnt 0x0
	v_pk_mul_f32 v[66:67], v[60:61], v[64:65] op_sel:[1,1] op_sel_hi:[0,1]
	v_pk_fma_f32 v[68:69], v[60:61], v[64:65], v[66:67] op_sel_hi:[1,0,1]
	v_pk_fma_f32 v[60:61], v[60:61], v[64:65], v[66:67] neg_lo:[0,0,1] neg_hi:[0,0,1]
	s_delay_alu instid0(VALU_DEP_2)
	v_mov_b32_e32 v61, v69
	scratch_store_b64 off, v[60:61], off offset:144
.LBB27_450:
	s_wait_xcnt 0x0
	s_or_b32 exec_lo, exec_lo, s0
	scratch_load_b64 v[60:61], off, off offset:152
	s_mov_b32 s0, exec_lo
	s_wait_loadcnt 0x0
	ds_store_b64 v1, v[60:61]
	s_wait_storecnt_dscnt 0x0
	s_barrier_signal -1
	s_barrier_wait -1
	s_wait_xcnt 0x0
	v_cmpx_gt_u32_e32 19, v0
	s_cbranch_execz .LBB27_460
; %bb.451:
	v_cmp_ne_u32_e32 vcc_lo, 1, v62
	s_cbranch_vccnz .LBB27_453
; %bb.452:
	scratch_load_b64 v[60:61], v37, off
	ds_load_b64 v[64:65], v1
	s_wait_loadcnt_dscnt 0x0
	v_pk_mul_f32 v[66:67], v[64:65], v[60:61] op_sel:[1,1] op_sel_hi:[0,1]
	s_delay_alu instid0(VALU_DEP_1) | instskip(SKIP_1) | instid1(VALU_DEP_2)
	v_pk_fma_f32 v[68:69], v[64:65], v[60:61], v[66:67] op_sel_hi:[1,0,1]
	v_pk_fma_f32 v[60:61], v[64:65], v[60:61], v[66:67] neg_lo:[0,0,1] neg_hi:[0,0,1]
	v_mov_b32_e32 v61, v69
	s_cbranch_execz .LBB27_454
	s_branch .LBB27_455
.LBB27_453:
                                        ; implicit-def: $vgpr60_vgpr61
.LBB27_454:
	ds_load_b64 v[60:61], v1
.LBB27_455:
	s_mov_b32 s2, exec_lo
	v_cmpx_ne_u32_e32 18, v0
	s_cbranch_execz .LBB27_459
; %bb.456:
	v_add_nc_u32_e32 v63, 0xe8, v36
	v_add3_u32 v64, 0, v36, 8
	v_mov_b32_e32 v65, v0
	s_mov_b32 s3, 0
.LBB27_457:                             ; =>This Inner Loop Header: Depth=1
	scratch_load_b64 v[66:67], v64, off
	ds_load_b64 v[68:69], v63
	s_wait_xcnt 0x0
	v_dual_add_nc_u32 v63, 8, v63 :: v_dual_add_nc_u32 v64, 8, v64
	s_wait_loadcnt_dscnt 0x0
	v_pk_mul_f32 v[70:71], v[68:69], v[66:67] op_sel:[1,1] op_sel_hi:[0,1]
	s_delay_alu instid0(VALU_DEP_1) | instskip(SKIP_2) | instid1(VALU_DEP_3)
	v_pk_fma_f32 v[72:73], v[68:69], v[66:67], v[70:71] op_sel_hi:[1,0,1]
	v_add_nc_u32_e32 v65, 1, v65
	v_pk_fma_f32 v[66:67], v[68:69], v[66:67], v[70:71] neg_lo:[0,0,1] neg_hi:[0,0,1]
	v_mov_b32_e32 v67, v73
	s_delay_alu instid0(VALU_DEP_3) | instskip(NEXT) | instid1(VALU_DEP_2)
	v_cmp_lt_u32_e32 vcc_lo, 17, v65
	v_pk_add_f32 v[60:61], v[60:61], v[66:67]
	s_or_b32 s3, vcc_lo, s3
	s_delay_alu instid0(SALU_CYCLE_1)
	s_and_not1_b32 exec_lo, exec_lo, s3
	s_cbranch_execnz .LBB27_457
; %bb.458:
	s_or_b32 exec_lo, exec_lo, s3
.LBB27_459:
	s_delay_alu instid0(SALU_CYCLE_1) | instskip(SKIP_4) | instid1(VALU_DEP_1)
	s_or_b32 exec_lo, exec_lo, s2
	v_mov_b32_e32 v63, 0
	ds_load_b64 v[64:65], v63 offset:152
	s_wait_dscnt 0x0
	v_pk_mul_f32 v[66:67], v[60:61], v[64:65] op_sel:[1,1] op_sel_hi:[0,1]
	v_pk_fma_f32 v[68:69], v[60:61], v[64:65], v[66:67] op_sel_hi:[1,0,1]
	v_pk_fma_f32 v[60:61], v[60:61], v[64:65], v[66:67] neg_lo:[0,0,1] neg_hi:[0,0,1]
	s_delay_alu instid0(VALU_DEP_2)
	v_mov_b32_e32 v61, v69
	scratch_store_b64 off, v[60:61], off offset:152
.LBB27_460:
	s_wait_xcnt 0x0
	s_or_b32 exec_lo, exec_lo, s0
	scratch_load_b64 v[60:61], off, off offset:160
	s_mov_b32 s0, exec_lo
	s_wait_loadcnt 0x0
	ds_store_b64 v1, v[60:61]
	s_wait_storecnt_dscnt 0x0
	s_barrier_signal -1
	s_barrier_wait -1
	s_wait_xcnt 0x0
	v_cmpx_gt_u32_e32 20, v0
	s_cbranch_execz .LBB27_470
; %bb.461:
	v_cmp_ne_u32_e32 vcc_lo, 1, v62
	s_cbranch_vccnz .LBB27_463
; %bb.462:
	scratch_load_b64 v[60:61], v37, off
	ds_load_b64 v[64:65], v1
	s_wait_loadcnt_dscnt 0x0
	v_pk_mul_f32 v[66:67], v[64:65], v[60:61] op_sel:[1,1] op_sel_hi:[0,1]
	s_delay_alu instid0(VALU_DEP_1) | instskip(SKIP_1) | instid1(VALU_DEP_2)
	v_pk_fma_f32 v[68:69], v[64:65], v[60:61], v[66:67] op_sel_hi:[1,0,1]
	v_pk_fma_f32 v[60:61], v[64:65], v[60:61], v[66:67] neg_lo:[0,0,1] neg_hi:[0,0,1]
	v_mov_b32_e32 v61, v69
	s_cbranch_execz .LBB27_464
	s_branch .LBB27_465
.LBB27_463:
                                        ; implicit-def: $vgpr60_vgpr61
.LBB27_464:
	ds_load_b64 v[60:61], v1
.LBB27_465:
	s_mov_b32 s2, exec_lo
	v_cmpx_ne_u32_e32 19, v0
	s_cbranch_execz .LBB27_469
; %bb.466:
	v_add_nc_u32_e32 v63, 0xe8, v36
	v_add3_u32 v64, 0, v36, 8
	v_mov_b32_e32 v65, v0
	s_mov_b32 s3, 0
.LBB27_467:                             ; =>This Inner Loop Header: Depth=1
	scratch_load_b64 v[66:67], v64, off
	ds_load_b64 v[68:69], v63
	s_wait_xcnt 0x0
	v_dual_add_nc_u32 v63, 8, v63 :: v_dual_add_nc_u32 v64, 8, v64
	s_wait_loadcnt_dscnt 0x0
	v_pk_mul_f32 v[70:71], v[68:69], v[66:67] op_sel:[1,1] op_sel_hi:[0,1]
	s_delay_alu instid0(VALU_DEP_1) | instskip(SKIP_2) | instid1(VALU_DEP_3)
	v_pk_fma_f32 v[72:73], v[68:69], v[66:67], v[70:71] op_sel_hi:[1,0,1]
	v_add_nc_u32_e32 v65, 1, v65
	v_pk_fma_f32 v[66:67], v[68:69], v[66:67], v[70:71] neg_lo:[0,0,1] neg_hi:[0,0,1]
	v_mov_b32_e32 v67, v73
	s_delay_alu instid0(VALU_DEP_3) | instskip(NEXT) | instid1(VALU_DEP_2)
	v_cmp_lt_u32_e32 vcc_lo, 18, v65
	v_pk_add_f32 v[60:61], v[60:61], v[66:67]
	s_or_b32 s3, vcc_lo, s3
	s_delay_alu instid0(SALU_CYCLE_1)
	s_and_not1_b32 exec_lo, exec_lo, s3
	s_cbranch_execnz .LBB27_467
; %bb.468:
	s_or_b32 exec_lo, exec_lo, s3
.LBB27_469:
	s_delay_alu instid0(SALU_CYCLE_1) | instskip(SKIP_4) | instid1(VALU_DEP_1)
	s_or_b32 exec_lo, exec_lo, s2
	v_mov_b32_e32 v63, 0
	ds_load_b64 v[64:65], v63 offset:160
	s_wait_dscnt 0x0
	v_pk_mul_f32 v[66:67], v[60:61], v[64:65] op_sel:[1,1] op_sel_hi:[0,1]
	v_pk_fma_f32 v[68:69], v[60:61], v[64:65], v[66:67] op_sel_hi:[1,0,1]
	v_pk_fma_f32 v[60:61], v[60:61], v[64:65], v[66:67] neg_lo:[0,0,1] neg_hi:[0,0,1]
	s_delay_alu instid0(VALU_DEP_2)
	v_mov_b32_e32 v61, v69
	scratch_store_b64 off, v[60:61], off offset:160
.LBB27_470:
	s_wait_xcnt 0x0
	s_or_b32 exec_lo, exec_lo, s0
	scratch_load_b64 v[60:61], off, off offset:168
	s_mov_b32 s0, exec_lo
	s_wait_loadcnt 0x0
	ds_store_b64 v1, v[60:61]
	s_wait_storecnt_dscnt 0x0
	s_barrier_signal -1
	s_barrier_wait -1
	s_wait_xcnt 0x0
	v_cmpx_gt_u32_e32 21, v0
	s_cbranch_execz .LBB27_480
; %bb.471:
	v_cmp_ne_u32_e32 vcc_lo, 1, v62
	s_cbranch_vccnz .LBB27_473
; %bb.472:
	scratch_load_b64 v[60:61], v37, off
	ds_load_b64 v[64:65], v1
	s_wait_loadcnt_dscnt 0x0
	v_pk_mul_f32 v[66:67], v[64:65], v[60:61] op_sel:[1,1] op_sel_hi:[0,1]
	s_delay_alu instid0(VALU_DEP_1) | instskip(SKIP_1) | instid1(VALU_DEP_2)
	v_pk_fma_f32 v[68:69], v[64:65], v[60:61], v[66:67] op_sel_hi:[1,0,1]
	v_pk_fma_f32 v[60:61], v[64:65], v[60:61], v[66:67] neg_lo:[0,0,1] neg_hi:[0,0,1]
	v_mov_b32_e32 v61, v69
	s_cbranch_execz .LBB27_474
	s_branch .LBB27_475
.LBB27_473:
                                        ; implicit-def: $vgpr60_vgpr61
.LBB27_474:
	ds_load_b64 v[60:61], v1
.LBB27_475:
	s_mov_b32 s2, exec_lo
	v_cmpx_ne_u32_e32 20, v0
	s_cbranch_execz .LBB27_479
; %bb.476:
	v_add_nc_u32_e32 v63, 0xe8, v36
	v_add3_u32 v64, 0, v36, 8
	v_mov_b32_e32 v65, v0
	s_mov_b32 s3, 0
.LBB27_477:                             ; =>This Inner Loop Header: Depth=1
	scratch_load_b64 v[66:67], v64, off
	ds_load_b64 v[68:69], v63
	s_wait_xcnt 0x0
	v_dual_add_nc_u32 v63, 8, v63 :: v_dual_add_nc_u32 v64, 8, v64
	s_wait_loadcnt_dscnt 0x0
	v_pk_mul_f32 v[70:71], v[68:69], v[66:67] op_sel:[1,1] op_sel_hi:[0,1]
	s_delay_alu instid0(VALU_DEP_1) | instskip(SKIP_2) | instid1(VALU_DEP_3)
	v_pk_fma_f32 v[72:73], v[68:69], v[66:67], v[70:71] op_sel_hi:[1,0,1]
	v_add_nc_u32_e32 v65, 1, v65
	v_pk_fma_f32 v[66:67], v[68:69], v[66:67], v[70:71] neg_lo:[0,0,1] neg_hi:[0,0,1]
	v_mov_b32_e32 v67, v73
	s_delay_alu instid0(VALU_DEP_3) | instskip(NEXT) | instid1(VALU_DEP_2)
	v_cmp_lt_u32_e32 vcc_lo, 19, v65
	v_pk_add_f32 v[60:61], v[60:61], v[66:67]
	s_or_b32 s3, vcc_lo, s3
	s_delay_alu instid0(SALU_CYCLE_1)
	s_and_not1_b32 exec_lo, exec_lo, s3
	s_cbranch_execnz .LBB27_477
; %bb.478:
	s_or_b32 exec_lo, exec_lo, s3
.LBB27_479:
	s_delay_alu instid0(SALU_CYCLE_1) | instskip(SKIP_4) | instid1(VALU_DEP_1)
	s_or_b32 exec_lo, exec_lo, s2
	v_mov_b32_e32 v63, 0
	ds_load_b64 v[64:65], v63 offset:168
	s_wait_dscnt 0x0
	v_pk_mul_f32 v[66:67], v[60:61], v[64:65] op_sel:[1,1] op_sel_hi:[0,1]
	v_pk_fma_f32 v[68:69], v[60:61], v[64:65], v[66:67] op_sel_hi:[1,0,1]
	v_pk_fma_f32 v[60:61], v[60:61], v[64:65], v[66:67] neg_lo:[0,0,1] neg_hi:[0,0,1]
	s_delay_alu instid0(VALU_DEP_2)
	v_mov_b32_e32 v61, v69
	scratch_store_b64 off, v[60:61], off offset:168
.LBB27_480:
	s_wait_xcnt 0x0
	s_or_b32 exec_lo, exec_lo, s0
	scratch_load_b64 v[60:61], off, off offset:176
	s_mov_b32 s0, exec_lo
	s_wait_loadcnt 0x0
	ds_store_b64 v1, v[60:61]
	s_wait_storecnt_dscnt 0x0
	s_barrier_signal -1
	s_barrier_wait -1
	s_wait_xcnt 0x0
	v_cmpx_gt_u32_e32 22, v0
	s_cbranch_execz .LBB27_490
; %bb.481:
	v_cmp_ne_u32_e32 vcc_lo, 1, v62
	s_cbranch_vccnz .LBB27_483
; %bb.482:
	scratch_load_b64 v[60:61], v37, off
	ds_load_b64 v[64:65], v1
	s_wait_loadcnt_dscnt 0x0
	v_pk_mul_f32 v[66:67], v[64:65], v[60:61] op_sel:[1,1] op_sel_hi:[0,1]
	s_delay_alu instid0(VALU_DEP_1) | instskip(SKIP_1) | instid1(VALU_DEP_2)
	v_pk_fma_f32 v[68:69], v[64:65], v[60:61], v[66:67] op_sel_hi:[1,0,1]
	v_pk_fma_f32 v[60:61], v[64:65], v[60:61], v[66:67] neg_lo:[0,0,1] neg_hi:[0,0,1]
	v_mov_b32_e32 v61, v69
	s_cbranch_execz .LBB27_484
	s_branch .LBB27_485
.LBB27_483:
                                        ; implicit-def: $vgpr60_vgpr61
.LBB27_484:
	ds_load_b64 v[60:61], v1
.LBB27_485:
	s_mov_b32 s2, exec_lo
	v_cmpx_ne_u32_e32 21, v0
	s_cbranch_execz .LBB27_489
; %bb.486:
	v_add_nc_u32_e32 v63, 0xe8, v36
	v_add3_u32 v64, 0, v36, 8
	v_mov_b32_e32 v65, v0
	s_mov_b32 s3, 0
.LBB27_487:                             ; =>This Inner Loop Header: Depth=1
	scratch_load_b64 v[66:67], v64, off
	ds_load_b64 v[68:69], v63
	s_wait_xcnt 0x0
	v_dual_add_nc_u32 v63, 8, v63 :: v_dual_add_nc_u32 v64, 8, v64
	s_wait_loadcnt_dscnt 0x0
	v_pk_mul_f32 v[70:71], v[68:69], v[66:67] op_sel:[1,1] op_sel_hi:[0,1]
	s_delay_alu instid0(VALU_DEP_1) | instskip(SKIP_2) | instid1(VALU_DEP_3)
	v_pk_fma_f32 v[72:73], v[68:69], v[66:67], v[70:71] op_sel_hi:[1,0,1]
	v_add_nc_u32_e32 v65, 1, v65
	v_pk_fma_f32 v[66:67], v[68:69], v[66:67], v[70:71] neg_lo:[0,0,1] neg_hi:[0,0,1]
	v_mov_b32_e32 v67, v73
	s_delay_alu instid0(VALU_DEP_3) | instskip(NEXT) | instid1(VALU_DEP_2)
	v_cmp_lt_u32_e32 vcc_lo, 20, v65
	v_pk_add_f32 v[60:61], v[60:61], v[66:67]
	s_or_b32 s3, vcc_lo, s3
	s_delay_alu instid0(SALU_CYCLE_1)
	s_and_not1_b32 exec_lo, exec_lo, s3
	s_cbranch_execnz .LBB27_487
; %bb.488:
	s_or_b32 exec_lo, exec_lo, s3
.LBB27_489:
	s_delay_alu instid0(SALU_CYCLE_1) | instskip(SKIP_4) | instid1(VALU_DEP_1)
	s_or_b32 exec_lo, exec_lo, s2
	v_mov_b32_e32 v63, 0
	ds_load_b64 v[64:65], v63 offset:176
	s_wait_dscnt 0x0
	v_pk_mul_f32 v[66:67], v[60:61], v[64:65] op_sel:[1,1] op_sel_hi:[0,1]
	v_pk_fma_f32 v[68:69], v[60:61], v[64:65], v[66:67] op_sel_hi:[1,0,1]
	v_pk_fma_f32 v[60:61], v[60:61], v[64:65], v[66:67] neg_lo:[0,0,1] neg_hi:[0,0,1]
	s_delay_alu instid0(VALU_DEP_2)
	v_mov_b32_e32 v61, v69
	scratch_store_b64 off, v[60:61], off offset:176
.LBB27_490:
	s_wait_xcnt 0x0
	s_or_b32 exec_lo, exec_lo, s0
	scratch_load_b64 v[60:61], off, off offset:184
	s_mov_b32 s0, exec_lo
	s_wait_loadcnt 0x0
	ds_store_b64 v1, v[60:61]
	s_wait_storecnt_dscnt 0x0
	s_barrier_signal -1
	s_barrier_wait -1
	s_wait_xcnt 0x0
	v_cmpx_gt_u32_e32 23, v0
	s_cbranch_execz .LBB27_500
; %bb.491:
	v_cmp_ne_u32_e32 vcc_lo, 1, v62
	s_cbranch_vccnz .LBB27_493
; %bb.492:
	scratch_load_b64 v[60:61], v37, off
	ds_load_b64 v[64:65], v1
	s_wait_loadcnt_dscnt 0x0
	v_pk_mul_f32 v[66:67], v[64:65], v[60:61] op_sel:[1,1] op_sel_hi:[0,1]
	s_delay_alu instid0(VALU_DEP_1) | instskip(SKIP_1) | instid1(VALU_DEP_2)
	v_pk_fma_f32 v[68:69], v[64:65], v[60:61], v[66:67] op_sel_hi:[1,0,1]
	v_pk_fma_f32 v[60:61], v[64:65], v[60:61], v[66:67] neg_lo:[0,0,1] neg_hi:[0,0,1]
	v_mov_b32_e32 v61, v69
	s_cbranch_execz .LBB27_494
	s_branch .LBB27_495
.LBB27_493:
                                        ; implicit-def: $vgpr60_vgpr61
.LBB27_494:
	ds_load_b64 v[60:61], v1
.LBB27_495:
	s_mov_b32 s2, exec_lo
	v_cmpx_ne_u32_e32 22, v0
	s_cbranch_execz .LBB27_499
; %bb.496:
	v_add_nc_u32_e32 v63, 0xe8, v36
	v_add3_u32 v64, 0, v36, 8
	v_mov_b32_e32 v65, v0
	s_mov_b32 s3, 0
.LBB27_497:                             ; =>This Inner Loop Header: Depth=1
	scratch_load_b64 v[66:67], v64, off
	ds_load_b64 v[68:69], v63
	s_wait_xcnt 0x0
	v_dual_add_nc_u32 v63, 8, v63 :: v_dual_add_nc_u32 v64, 8, v64
	s_wait_loadcnt_dscnt 0x0
	v_pk_mul_f32 v[70:71], v[68:69], v[66:67] op_sel:[1,1] op_sel_hi:[0,1]
	s_delay_alu instid0(VALU_DEP_1) | instskip(SKIP_2) | instid1(VALU_DEP_3)
	v_pk_fma_f32 v[72:73], v[68:69], v[66:67], v[70:71] op_sel_hi:[1,0,1]
	v_add_nc_u32_e32 v65, 1, v65
	v_pk_fma_f32 v[66:67], v[68:69], v[66:67], v[70:71] neg_lo:[0,0,1] neg_hi:[0,0,1]
	v_mov_b32_e32 v67, v73
	s_delay_alu instid0(VALU_DEP_3) | instskip(NEXT) | instid1(VALU_DEP_2)
	v_cmp_lt_u32_e32 vcc_lo, 21, v65
	v_pk_add_f32 v[60:61], v[60:61], v[66:67]
	s_or_b32 s3, vcc_lo, s3
	s_delay_alu instid0(SALU_CYCLE_1)
	s_and_not1_b32 exec_lo, exec_lo, s3
	s_cbranch_execnz .LBB27_497
; %bb.498:
	s_or_b32 exec_lo, exec_lo, s3
.LBB27_499:
	s_delay_alu instid0(SALU_CYCLE_1) | instskip(SKIP_4) | instid1(VALU_DEP_1)
	s_or_b32 exec_lo, exec_lo, s2
	v_mov_b32_e32 v63, 0
	ds_load_b64 v[64:65], v63 offset:184
	s_wait_dscnt 0x0
	v_pk_mul_f32 v[66:67], v[60:61], v[64:65] op_sel:[1,1] op_sel_hi:[0,1]
	v_pk_fma_f32 v[68:69], v[60:61], v[64:65], v[66:67] op_sel_hi:[1,0,1]
	v_pk_fma_f32 v[60:61], v[60:61], v[64:65], v[66:67] neg_lo:[0,0,1] neg_hi:[0,0,1]
	s_delay_alu instid0(VALU_DEP_2)
	v_mov_b32_e32 v61, v69
	scratch_store_b64 off, v[60:61], off offset:184
.LBB27_500:
	s_wait_xcnt 0x0
	s_or_b32 exec_lo, exec_lo, s0
	scratch_load_b64 v[60:61], off, off offset:192
	s_mov_b32 s0, exec_lo
	s_wait_loadcnt 0x0
	ds_store_b64 v1, v[60:61]
	s_wait_storecnt_dscnt 0x0
	s_barrier_signal -1
	s_barrier_wait -1
	s_wait_xcnt 0x0
	v_cmpx_gt_u32_e32 24, v0
	s_cbranch_execz .LBB27_510
; %bb.501:
	v_cmp_ne_u32_e32 vcc_lo, 1, v62
	s_cbranch_vccnz .LBB27_503
; %bb.502:
	scratch_load_b64 v[60:61], v37, off
	ds_load_b64 v[64:65], v1
	s_wait_loadcnt_dscnt 0x0
	v_pk_mul_f32 v[66:67], v[64:65], v[60:61] op_sel:[1,1] op_sel_hi:[0,1]
	s_delay_alu instid0(VALU_DEP_1) | instskip(SKIP_1) | instid1(VALU_DEP_2)
	v_pk_fma_f32 v[68:69], v[64:65], v[60:61], v[66:67] op_sel_hi:[1,0,1]
	v_pk_fma_f32 v[60:61], v[64:65], v[60:61], v[66:67] neg_lo:[0,0,1] neg_hi:[0,0,1]
	v_mov_b32_e32 v61, v69
	s_cbranch_execz .LBB27_504
	s_branch .LBB27_505
.LBB27_503:
                                        ; implicit-def: $vgpr60_vgpr61
.LBB27_504:
	ds_load_b64 v[60:61], v1
.LBB27_505:
	s_mov_b32 s2, exec_lo
	v_cmpx_ne_u32_e32 23, v0
	s_cbranch_execz .LBB27_509
; %bb.506:
	v_add_nc_u32_e32 v63, 0xe8, v36
	v_add3_u32 v64, 0, v36, 8
	v_mov_b32_e32 v65, v0
	s_mov_b32 s3, 0
.LBB27_507:                             ; =>This Inner Loop Header: Depth=1
	scratch_load_b64 v[66:67], v64, off
	ds_load_b64 v[68:69], v63
	s_wait_xcnt 0x0
	v_dual_add_nc_u32 v63, 8, v63 :: v_dual_add_nc_u32 v64, 8, v64
	s_wait_loadcnt_dscnt 0x0
	v_pk_mul_f32 v[70:71], v[68:69], v[66:67] op_sel:[1,1] op_sel_hi:[0,1]
	s_delay_alu instid0(VALU_DEP_1) | instskip(SKIP_2) | instid1(VALU_DEP_3)
	v_pk_fma_f32 v[72:73], v[68:69], v[66:67], v[70:71] op_sel_hi:[1,0,1]
	v_add_nc_u32_e32 v65, 1, v65
	v_pk_fma_f32 v[66:67], v[68:69], v[66:67], v[70:71] neg_lo:[0,0,1] neg_hi:[0,0,1]
	v_mov_b32_e32 v67, v73
	s_delay_alu instid0(VALU_DEP_3) | instskip(NEXT) | instid1(VALU_DEP_2)
	v_cmp_lt_u32_e32 vcc_lo, 22, v65
	v_pk_add_f32 v[60:61], v[60:61], v[66:67]
	s_or_b32 s3, vcc_lo, s3
	s_delay_alu instid0(SALU_CYCLE_1)
	s_and_not1_b32 exec_lo, exec_lo, s3
	s_cbranch_execnz .LBB27_507
; %bb.508:
	s_or_b32 exec_lo, exec_lo, s3
.LBB27_509:
	s_delay_alu instid0(SALU_CYCLE_1) | instskip(SKIP_4) | instid1(VALU_DEP_1)
	s_or_b32 exec_lo, exec_lo, s2
	v_mov_b32_e32 v63, 0
	ds_load_b64 v[64:65], v63 offset:192
	s_wait_dscnt 0x0
	v_pk_mul_f32 v[66:67], v[60:61], v[64:65] op_sel:[1,1] op_sel_hi:[0,1]
	v_pk_fma_f32 v[68:69], v[60:61], v[64:65], v[66:67] op_sel_hi:[1,0,1]
	v_pk_fma_f32 v[60:61], v[60:61], v[64:65], v[66:67] neg_lo:[0,0,1] neg_hi:[0,0,1]
	s_delay_alu instid0(VALU_DEP_2)
	v_mov_b32_e32 v61, v69
	scratch_store_b64 off, v[60:61], off offset:192
.LBB27_510:
	s_wait_xcnt 0x0
	s_or_b32 exec_lo, exec_lo, s0
	scratch_load_b64 v[60:61], off, off offset:200
	s_mov_b32 s0, exec_lo
	s_wait_loadcnt 0x0
	ds_store_b64 v1, v[60:61]
	s_wait_storecnt_dscnt 0x0
	s_barrier_signal -1
	s_barrier_wait -1
	s_wait_xcnt 0x0
	v_cmpx_gt_u32_e32 25, v0
	s_cbranch_execz .LBB27_520
; %bb.511:
	v_cmp_ne_u32_e32 vcc_lo, 1, v62
	s_cbranch_vccnz .LBB27_513
; %bb.512:
	scratch_load_b64 v[60:61], v37, off
	ds_load_b64 v[64:65], v1
	s_wait_loadcnt_dscnt 0x0
	v_pk_mul_f32 v[66:67], v[64:65], v[60:61] op_sel:[1,1] op_sel_hi:[0,1]
	s_delay_alu instid0(VALU_DEP_1) | instskip(SKIP_1) | instid1(VALU_DEP_2)
	v_pk_fma_f32 v[68:69], v[64:65], v[60:61], v[66:67] op_sel_hi:[1,0,1]
	v_pk_fma_f32 v[60:61], v[64:65], v[60:61], v[66:67] neg_lo:[0,0,1] neg_hi:[0,0,1]
	v_mov_b32_e32 v61, v69
	s_cbranch_execz .LBB27_514
	s_branch .LBB27_515
.LBB27_513:
                                        ; implicit-def: $vgpr60_vgpr61
.LBB27_514:
	ds_load_b64 v[60:61], v1
.LBB27_515:
	s_mov_b32 s2, exec_lo
	v_cmpx_ne_u32_e32 24, v0
	s_cbranch_execz .LBB27_519
; %bb.516:
	v_add_nc_u32_e32 v63, 0xe8, v36
	v_add3_u32 v64, 0, v36, 8
	v_mov_b32_e32 v65, v0
	s_mov_b32 s3, 0
.LBB27_517:                             ; =>This Inner Loop Header: Depth=1
	scratch_load_b64 v[66:67], v64, off
	ds_load_b64 v[68:69], v63
	s_wait_xcnt 0x0
	v_dual_add_nc_u32 v63, 8, v63 :: v_dual_add_nc_u32 v64, 8, v64
	s_wait_loadcnt_dscnt 0x0
	v_pk_mul_f32 v[70:71], v[68:69], v[66:67] op_sel:[1,1] op_sel_hi:[0,1]
	s_delay_alu instid0(VALU_DEP_1) | instskip(SKIP_2) | instid1(VALU_DEP_3)
	v_pk_fma_f32 v[72:73], v[68:69], v[66:67], v[70:71] op_sel_hi:[1,0,1]
	v_add_nc_u32_e32 v65, 1, v65
	v_pk_fma_f32 v[66:67], v[68:69], v[66:67], v[70:71] neg_lo:[0,0,1] neg_hi:[0,0,1]
	v_mov_b32_e32 v67, v73
	s_delay_alu instid0(VALU_DEP_3) | instskip(NEXT) | instid1(VALU_DEP_2)
	v_cmp_lt_u32_e32 vcc_lo, 23, v65
	v_pk_add_f32 v[60:61], v[60:61], v[66:67]
	s_or_b32 s3, vcc_lo, s3
	s_delay_alu instid0(SALU_CYCLE_1)
	s_and_not1_b32 exec_lo, exec_lo, s3
	s_cbranch_execnz .LBB27_517
; %bb.518:
	s_or_b32 exec_lo, exec_lo, s3
.LBB27_519:
	s_delay_alu instid0(SALU_CYCLE_1) | instskip(SKIP_4) | instid1(VALU_DEP_1)
	s_or_b32 exec_lo, exec_lo, s2
	v_mov_b32_e32 v63, 0
	ds_load_b64 v[64:65], v63 offset:200
	s_wait_dscnt 0x0
	v_pk_mul_f32 v[66:67], v[60:61], v[64:65] op_sel:[1,1] op_sel_hi:[0,1]
	v_pk_fma_f32 v[68:69], v[60:61], v[64:65], v[66:67] op_sel_hi:[1,0,1]
	v_pk_fma_f32 v[60:61], v[60:61], v[64:65], v[66:67] neg_lo:[0,0,1] neg_hi:[0,0,1]
	s_delay_alu instid0(VALU_DEP_2)
	v_mov_b32_e32 v61, v69
	scratch_store_b64 off, v[60:61], off offset:200
.LBB27_520:
	s_wait_xcnt 0x0
	s_or_b32 exec_lo, exec_lo, s0
	scratch_load_b64 v[60:61], off, off offset:208
	v_cmp_gt_u32_e64 s0, 26, v0
	s_wait_loadcnt 0x0
	ds_store_b64 v1, v[60:61]
	s_wait_storecnt_dscnt 0x0
	s_barrier_signal -1
	s_barrier_wait -1
	s_wait_xcnt 0x0
	s_and_saveexec_b32 s2, s0
	s_cbranch_execz .LBB27_530
; %bb.521:
	v_cmp_ne_u32_e32 vcc_lo, 1, v62
	s_cbranch_vccnz .LBB27_523
; %bb.522:
	scratch_load_b64 v[60:61], v37, off
	ds_load_b64 v[64:65], v1
	s_wait_loadcnt_dscnt 0x0
	v_pk_mul_f32 v[66:67], v[64:65], v[60:61] op_sel:[1,1] op_sel_hi:[0,1]
	s_delay_alu instid0(VALU_DEP_1) | instskip(SKIP_1) | instid1(VALU_DEP_2)
	v_pk_fma_f32 v[68:69], v[64:65], v[60:61], v[66:67] op_sel_hi:[1,0,1]
	v_pk_fma_f32 v[60:61], v[64:65], v[60:61], v[66:67] neg_lo:[0,0,1] neg_hi:[0,0,1]
	v_mov_b32_e32 v61, v69
	s_cbranch_execz .LBB27_524
	s_branch .LBB27_525
.LBB27_523:
                                        ; implicit-def: $vgpr60_vgpr61
.LBB27_524:
	ds_load_b64 v[60:61], v1
.LBB27_525:
	s_mov_b32 s3, exec_lo
	v_cmpx_ne_u32_e32 25, v0
	s_cbranch_execz .LBB27_529
; %bb.526:
	v_add_nc_u32_e32 v63, 0xe8, v36
	v_add3_u32 v64, 0, v36, 8
	v_mov_b32_e32 v65, v0
	s_mov_b32 s4, 0
.LBB27_527:                             ; =>This Inner Loop Header: Depth=1
	scratch_load_b64 v[66:67], v64, off
	ds_load_b64 v[68:69], v63
	s_wait_xcnt 0x0
	v_dual_add_nc_u32 v63, 8, v63 :: v_dual_add_nc_u32 v64, 8, v64
	s_wait_loadcnt_dscnt 0x0
	v_pk_mul_f32 v[70:71], v[68:69], v[66:67] op_sel:[1,1] op_sel_hi:[0,1]
	s_delay_alu instid0(VALU_DEP_1) | instskip(SKIP_2) | instid1(VALU_DEP_3)
	v_pk_fma_f32 v[72:73], v[68:69], v[66:67], v[70:71] op_sel_hi:[1,0,1]
	v_add_nc_u32_e32 v65, 1, v65
	v_pk_fma_f32 v[66:67], v[68:69], v[66:67], v[70:71] neg_lo:[0,0,1] neg_hi:[0,0,1]
	v_mov_b32_e32 v67, v73
	s_delay_alu instid0(VALU_DEP_3) | instskip(NEXT) | instid1(VALU_DEP_2)
	v_cmp_lt_u32_e32 vcc_lo, 24, v65
	v_pk_add_f32 v[60:61], v[60:61], v[66:67]
	s_or_b32 s4, vcc_lo, s4
	s_delay_alu instid0(SALU_CYCLE_1)
	s_and_not1_b32 exec_lo, exec_lo, s4
	s_cbranch_execnz .LBB27_527
; %bb.528:
	s_or_b32 exec_lo, exec_lo, s4
.LBB27_529:
	s_delay_alu instid0(SALU_CYCLE_1) | instskip(SKIP_4) | instid1(VALU_DEP_1)
	s_or_b32 exec_lo, exec_lo, s3
	v_mov_b32_e32 v63, 0
	ds_load_b64 v[64:65], v63 offset:208
	s_wait_dscnt 0x0
	v_pk_mul_f32 v[66:67], v[60:61], v[64:65] op_sel:[1,1] op_sel_hi:[0,1]
	v_pk_fma_f32 v[68:69], v[60:61], v[64:65], v[66:67] op_sel_hi:[1,0,1]
	v_pk_fma_f32 v[60:61], v[60:61], v[64:65], v[66:67] neg_lo:[0,0,1] neg_hi:[0,0,1]
	s_delay_alu instid0(VALU_DEP_2)
	v_mov_b32_e32 v61, v69
	scratch_store_b64 off, v[60:61], off offset:208
.LBB27_530:
	s_wait_xcnt 0x0
	s_or_b32 exec_lo, exec_lo, s2
	scratch_load_b64 v[60:61], off, off offset:216
	s_mov_b32 s2, exec_lo
                                        ; implicit-def: $vgpr76
                                        ; implicit-def: $sgpr4
	s_wait_loadcnt 0x0
	ds_store_b64 v1, v[60:61]
	s_wait_storecnt_dscnt 0x0
	s_barrier_signal -1
	s_barrier_wait -1
	s_wait_xcnt 0x0
	v_cmpx_ne_u32_e32 27, v0
	s_cbranch_execz .LBB27_540
; %bb.531:
	v_cmp_ne_u32_e32 vcc_lo, 1, v62
	s_cbranch_vccnz .LBB27_533
; %bb.532:
	scratch_load_b64 v[62:63], v37, off
	ds_load_b64 v[64:65], v1
	s_wait_loadcnt_dscnt 0x0
	v_dual_mul_f32 v37, v65, v63 :: v_dual_mul_f32 v61, v64, v63
	s_delay_alu instid0(VALU_DEP_1) | instskip(NEXT) | instid1(VALU_DEP_2)
	v_fma_f32 v60, v64, v62, -v37
	v_fmac_f32_e32 v61, v65, v62
	s_cbranch_execz .LBB27_534
	s_branch .LBB27_535
.LBB27_533:
                                        ; implicit-def: $vgpr61
.LBB27_534:
	ds_load_b64 v[60:61], v1
.LBB27_535:
	s_and_saveexec_b32 s3, s0
	s_cbranch_execz .LBB27_539
; %bb.536:
	v_add_nc_u32_e32 v1, 0xe8, v36
	v_add3_u32 v36, 0, v36, 8
	s_mov_b32 s0, 0
.LBB27_537:                             ; =>This Inner Loop Header: Depth=1
	scratch_load_b64 v[62:63], v36, off
	ds_load_b64 v[64:65], v1
	s_wait_loadcnt_dscnt 0x0
	v_dual_add_nc_u32 v1, 8, v1 :: v_dual_mul_f32 v37, v65, v63
	v_dual_mul_f32 v63, v64, v63 :: v_dual_add_nc_u32 v0, 1, v0
	s_delay_alu instid0(VALU_DEP_1) | instskip(NEXT) | instid1(VALU_DEP_2)
	v_dual_fma_f32 v37, v64, v62, -v37 :: v_dual_fmac_f32 v63, v65, v62
	v_cmp_lt_u32_e32 vcc_lo, 25, v0
	s_delay_alu instid0(VALU_DEP_2) | instskip(NEXT) | instid1(VALU_DEP_3)
	v_dual_add_nc_u32 v36, 8, v36 :: v_dual_add_f32 v60, v60, v37
	v_add_f32_e32 v61, v61, v63
	s_or_b32 s0, vcc_lo, s0
	s_delay_alu instid0(SALU_CYCLE_1)
	s_and_not1_b32 exec_lo, exec_lo, s0
	s_cbranch_execnz .LBB27_537
; %bb.538:
	s_or_b32 exec_lo, exec_lo, s0
.LBB27_539:
	s_delay_alu instid0(SALU_CYCLE_1)
	s_or_b32 exec_lo, exec_lo, s3
	v_mov_b32_e32 v0, 0
	s_movk_i32 s4, 0xdc
	s_or_b32 s1, s1, exec_lo
	ds_load_b64 v[0:1], v0 offset:216
	s_wait_dscnt 0x0
	v_dual_mul_f32 v36, v61, v1 :: v_dual_mul_f32 v76, v60, v1
	s_delay_alu instid0(VALU_DEP_1) | instskip(NEXT) | instid1(VALU_DEP_2)
	v_fma_f32 v1, v60, v0, -v36
	v_fmac_f32_e32 v76, v61, v0
	scratch_store_b32 off, v1, off offset:216
.LBB27_540:
	s_wait_xcnt 0x0
	s_or_b32 exec_lo, exec_lo, s2
.LBB27_541:
	v_lshl_add_u64 v[72:73], v[6:7], 3, s[6:7]
	v_lshl_add_u64 v[74:75], v[8:9], 3, s[6:7]
	;; [unrolled: 1-line block ×26, first 2 shown]
	s_and_saveexec_b32 s0, s1
	s_cbranch_execz .LBB27_543
; %bb.542:
	scratch_store_b32 off, v76, s4
.LBB27_543:
	s_wait_xcnt 0x0
	s_or_b32 exec_lo, exec_lo, s0
	s_clause 0x4
	scratch_load_b128 v[40:43], off, off
	scratch_load_b128 v[44:47], off, off offset:16
	scratch_load_b128 v[48:51], off, off offset:32
	;; [unrolled: 1-line block ×4, first 2 shown]
	s_wait_loadcnt 0x4
	s_clause 0x1
	global_store_b64 v[2:3], v[40:41], off
	global_store_b64 v[4:5], v[42:43], off
	s_clause 0x1
	scratch_load_b128 v[2:5], off, off offset:80
	scratch_load_b128 v[40:43], off, off offset:96
	s_wait_loadcnt 0x5
	s_clause 0x1
	global_store_b64 v[72:73], v[44:45], off
	global_store_b64 v[74:75], v[46:47], off
	s_clause 0x1
	scratch_load_b128 v[44:47], off, off offset:112
	scratch_load_b128 v[72:75], off, off offset:128
	;; [unrolled: 7-line block ×4, first 2 shown]
	s_wait_loadcnt 0x8
	s_clause 0x1
	global_store_b64 v[60:61], v[56:57], off
	global_store_b64 v[62:63], v[58:59], off
	scratch_load_b128 v[56:59], off, off offset:208
	s_wait_loadcnt 0x8
	s_clause 0x1
	global_store_b64 v[8:9], v[2:3], off
	global_store_b64 v[10:11], v[4:5], off
	s_wait_loadcnt 0x7
	s_clause 0x1
	global_store_b64 v[12:13], v[40:41], off
	global_store_b64 v[14:15], v[42:43], off
	;; [unrolled: 4-line block ×9, first 2 shown]
.LBB27_544:
	s_sendmsg sendmsg(MSG_DEALLOC_VGPRS)
	s_endpgm
	.section	.rodata,"a",@progbits
	.p2align	6, 0x0
	.amdhsa_kernel _ZN9rocsolver6v33100L18trti2_kernel_smallILi28E19rocblas_complex_numIfEPS3_EEv13rocblas_fill_17rocblas_diagonal_T1_iil
		.amdhsa_group_segment_fixed_size 448
		.amdhsa_private_segment_fixed_size 240
		.amdhsa_kernarg_size 32
		.amdhsa_user_sgpr_count 2
		.amdhsa_user_sgpr_dispatch_ptr 0
		.amdhsa_user_sgpr_queue_ptr 0
		.amdhsa_user_sgpr_kernarg_segment_ptr 1
		.amdhsa_user_sgpr_dispatch_id 0
		.amdhsa_user_sgpr_kernarg_preload_length 0
		.amdhsa_user_sgpr_kernarg_preload_offset 0
		.amdhsa_user_sgpr_private_segment_size 0
		.amdhsa_wavefront_size32 1
		.amdhsa_uses_dynamic_stack 0
		.amdhsa_enable_private_segment 1
		.amdhsa_system_sgpr_workgroup_id_x 1
		.amdhsa_system_sgpr_workgroup_id_y 0
		.amdhsa_system_sgpr_workgroup_id_z 0
		.amdhsa_system_sgpr_workgroup_info 0
		.amdhsa_system_vgpr_workitem_id 0
		.amdhsa_next_free_vgpr 84
		.amdhsa_next_free_sgpr 21
		.amdhsa_named_barrier_count 0
		.amdhsa_reserve_vcc 1
		.amdhsa_float_round_mode_32 0
		.amdhsa_float_round_mode_16_64 0
		.amdhsa_float_denorm_mode_32 3
		.amdhsa_float_denorm_mode_16_64 3
		.amdhsa_fp16_overflow 0
		.amdhsa_memory_ordered 1
		.amdhsa_forward_progress 1
		.amdhsa_inst_pref_size 165
		.amdhsa_round_robin_scheduling 0
		.amdhsa_exception_fp_ieee_invalid_op 0
		.amdhsa_exception_fp_denorm_src 0
		.amdhsa_exception_fp_ieee_div_zero 0
		.amdhsa_exception_fp_ieee_overflow 0
		.amdhsa_exception_fp_ieee_underflow 0
		.amdhsa_exception_fp_ieee_inexact 0
		.amdhsa_exception_int_div_zero 0
	.end_amdhsa_kernel
	.section	.text._ZN9rocsolver6v33100L18trti2_kernel_smallILi28E19rocblas_complex_numIfEPS3_EEv13rocblas_fill_17rocblas_diagonal_T1_iil,"axG",@progbits,_ZN9rocsolver6v33100L18trti2_kernel_smallILi28E19rocblas_complex_numIfEPS3_EEv13rocblas_fill_17rocblas_diagonal_T1_iil,comdat
.Lfunc_end27:
	.size	_ZN9rocsolver6v33100L18trti2_kernel_smallILi28E19rocblas_complex_numIfEPS3_EEv13rocblas_fill_17rocblas_diagonal_T1_iil, .Lfunc_end27-_ZN9rocsolver6v33100L18trti2_kernel_smallILi28E19rocblas_complex_numIfEPS3_EEv13rocblas_fill_17rocblas_diagonal_T1_iil
                                        ; -- End function
	.set _ZN9rocsolver6v33100L18trti2_kernel_smallILi28E19rocblas_complex_numIfEPS3_EEv13rocblas_fill_17rocblas_diagonal_T1_iil.num_vgpr, 84
	.set _ZN9rocsolver6v33100L18trti2_kernel_smallILi28E19rocblas_complex_numIfEPS3_EEv13rocblas_fill_17rocblas_diagonal_T1_iil.num_agpr, 0
	.set _ZN9rocsolver6v33100L18trti2_kernel_smallILi28E19rocblas_complex_numIfEPS3_EEv13rocblas_fill_17rocblas_diagonal_T1_iil.numbered_sgpr, 21
	.set _ZN9rocsolver6v33100L18trti2_kernel_smallILi28E19rocblas_complex_numIfEPS3_EEv13rocblas_fill_17rocblas_diagonal_T1_iil.num_named_barrier, 0
	.set _ZN9rocsolver6v33100L18trti2_kernel_smallILi28E19rocblas_complex_numIfEPS3_EEv13rocblas_fill_17rocblas_diagonal_T1_iil.private_seg_size, 240
	.set _ZN9rocsolver6v33100L18trti2_kernel_smallILi28E19rocblas_complex_numIfEPS3_EEv13rocblas_fill_17rocblas_diagonal_T1_iil.uses_vcc, 1
	.set _ZN9rocsolver6v33100L18trti2_kernel_smallILi28E19rocblas_complex_numIfEPS3_EEv13rocblas_fill_17rocblas_diagonal_T1_iil.uses_flat_scratch, 1
	.set _ZN9rocsolver6v33100L18trti2_kernel_smallILi28E19rocblas_complex_numIfEPS3_EEv13rocblas_fill_17rocblas_diagonal_T1_iil.has_dyn_sized_stack, 0
	.set _ZN9rocsolver6v33100L18trti2_kernel_smallILi28E19rocblas_complex_numIfEPS3_EEv13rocblas_fill_17rocblas_diagonal_T1_iil.has_recursion, 0
	.set _ZN9rocsolver6v33100L18trti2_kernel_smallILi28E19rocblas_complex_numIfEPS3_EEv13rocblas_fill_17rocblas_diagonal_T1_iil.has_indirect_call, 0
	.section	.AMDGPU.csdata,"",@progbits
; Kernel info:
; codeLenInByte = 21080
; TotalNumSgprs: 23
; NumVgprs: 84
; ScratchSize: 240
; MemoryBound: 0
; FloatMode: 240
; IeeeMode: 1
; LDSByteSize: 448 bytes/workgroup (compile time only)
; SGPRBlocks: 0
; VGPRBlocks: 5
; NumSGPRsForWavesPerEU: 23
; NumVGPRsForWavesPerEU: 84
; NamedBarCnt: 0
; Occupancy: 10
; WaveLimiterHint : 0
; COMPUTE_PGM_RSRC2:SCRATCH_EN: 1
; COMPUTE_PGM_RSRC2:USER_SGPR: 2
; COMPUTE_PGM_RSRC2:TRAP_HANDLER: 0
; COMPUTE_PGM_RSRC2:TGID_X_EN: 1
; COMPUTE_PGM_RSRC2:TGID_Y_EN: 0
; COMPUTE_PGM_RSRC2:TGID_Z_EN: 0
; COMPUTE_PGM_RSRC2:TIDIG_COMP_CNT: 0
	.section	.text._ZN9rocsolver6v33100L18trti2_kernel_smallILi29E19rocblas_complex_numIfEPS3_EEv13rocblas_fill_17rocblas_diagonal_T1_iil,"axG",@progbits,_ZN9rocsolver6v33100L18trti2_kernel_smallILi29E19rocblas_complex_numIfEPS3_EEv13rocblas_fill_17rocblas_diagonal_T1_iil,comdat
	.globl	_ZN9rocsolver6v33100L18trti2_kernel_smallILi29E19rocblas_complex_numIfEPS3_EEv13rocblas_fill_17rocblas_diagonal_T1_iil ; -- Begin function _ZN9rocsolver6v33100L18trti2_kernel_smallILi29E19rocblas_complex_numIfEPS3_EEv13rocblas_fill_17rocblas_diagonal_T1_iil
	.p2align	8
	.type	_ZN9rocsolver6v33100L18trti2_kernel_smallILi29E19rocblas_complex_numIfEPS3_EEv13rocblas_fill_17rocblas_diagonal_T1_iil,@function
_ZN9rocsolver6v33100L18trti2_kernel_smallILi29E19rocblas_complex_numIfEPS3_EEv13rocblas_fill_17rocblas_diagonal_T1_iil: ; @_ZN9rocsolver6v33100L18trti2_kernel_smallILi29E19rocblas_complex_numIfEPS3_EEv13rocblas_fill_17rocblas_diagonal_T1_iil
; %bb.0:
	s_mov_b32 s2, exec_lo
	v_cmpx_gt_u32_e32 29, v0
	s_cbranch_execz .LBB28_564
; %bb.1:
	s_load_b256 s[4:11], s[0:1], 0x0
	s_wait_xcnt 0x0
	s_bfe_u32 s0, ttmp6, 0x4000c
	s_and_b32 s1, ttmp6, 15
	s_add_co_i32 s0, s0, 1
	s_getreg_b32 s2, hwreg(HW_REG_IB_STS2, 6, 4)
	s_mul_i32 s0, ttmp9, s0
	s_delay_alu instid0(SALU_CYCLE_1)
	s_add_co_i32 s0, s1, s0
	s_wait_kmcnt 0x0
	v_add3_u32 v6, s9, s9, v0
	v_lshlrev_b32_e32 v38, 3, v0
	s_ashr_i32 s1, s8, 31
	s_cmp_eq_u32 s2, 0
	s_cselect_b32 s2, ttmp9, s0
	v_dual_mov_b32 v39, 0 :: v_dual_add_nc_u32 v8, s9, v6
	s_ashr_i32 s3, s2, 31
	s_mov_b32 s0, s8
	s_mul_u64 s[2:3], s[10:11], s[2:3]
	s_delay_alu instid0(VALU_DEP_1) | instskip(SKIP_3) | instid1(VALU_DEP_1)
	v_add_nc_u32_e32 v10, s9, v8
	s_lshl_b64 s[2:3], s[2:3], 3
	s_lshl_b64 s[0:1], s[0:1], 3
	s_add_nc_u64 s[2:3], s[6:7], s[2:3]
	v_add_nc_u32_e32 v12, s9, v10
	s_add_nc_u64 s[6:7], s[2:3], s[0:1]
	s_mov_b32 s0, s9
	v_add_nc_u64_e32 v[2:3], s[6:7], v[38:39]
	s_ashr_i32 s1, s9, 31
	v_add_nc_u32_e32 v14, s9, v12
	s_cmp_lg_u32 s5, 0x84
	s_cselect_b32 s3, -1, 0
	s_delay_alu instid0(VALU_DEP_1) | instskip(NEXT) | instid1(VALU_DEP_3)
	v_add_nc_u32_e32 v16, s9, v14
	v_lshl_add_u64 v[4:5], s[0:1], 3, v[2:3]
	s_mov_b32 s0, -1
	s_and_b32 vcc_lo, exec_lo, s3
	s_delay_alu instid0(VALU_DEP_2) | instskip(SKIP_4) | instid1(VALU_DEP_1)
	v_add_nc_u32_e32 v18, s9, v16
	s_clause 0x1
	global_load_b64 v[46:47], v10, s[6:7] scale_offset
	global_load_b64 v[48:49], v12, s[6:7] scale_offset
	v_add_nc_u32_e32 v20, s9, v18
	v_add_nc_u32_e32 v22, s9, v20
	s_clause 0x7
	global_load_b64 v[50:51], v0, s[6:7] scale_offset
	global_load_b64 v[52:53], v[4:5], off
	global_load_b64 v[54:55], v6, s[6:7] scale_offset
	global_load_b64 v[56:57], v8, s[6:7] scale_offset
	;; [unrolled: 1-line block ×6, first 2 shown]
	v_add_nc_u32_e32 v24, s9, v22
	s_delay_alu instid0(VALU_DEP_1) | instskip(NEXT) | instid1(VALU_DEP_1)
	v_add_nc_u32_e32 v26, s9, v24
	v_add_nc_u32_e32 v28, s9, v26
	s_delay_alu instid0(VALU_DEP_1) | instskip(SKIP_4) | instid1(VALU_DEP_1)
	v_add_nc_u32_e32 v30, s9, v28
	s_clause 0x1
	global_load_b64 v[66:67], v22, s[6:7] scale_offset
	global_load_b64 v[68:69], v24, s[6:7] scale_offset
	v_add_nc_u32_e32 v32, s9, v30
	v_add_nc_u32_e32 v34, s9, v32
	s_clause 0x1
	global_load_b64 v[70:71], v26, s[6:7] scale_offset
	global_load_b64 v[72:73], v28, s[6:7] scale_offset
	v_add_nc_u32_e32 v36, s9, v34
	s_delay_alu instid0(VALU_DEP_1) | instskip(NEXT) | instid1(VALU_DEP_1)
	v_add_nc_u32_e32 v40, s9, v36
	v_add_nc_u32_e32 v42, s9, v40
	s_delay_alu instid0(VALU_DEP_1)
	v_add_nc_u32_e32 v44, s9, v42
	s_wait_loadcnt 0xc
	scratch_store_b128 off, v[46:49], off offset:32
	s_wait_xcnt 0x0
	v_add_nc_u32_e32 v46, s9, v44
	s_clause 0x1
	global_load_b64 v[74:75], v30, s[6:7] scale_offset
	global_load_b64 v[76:77], v32, s[6:7] scale_offset
	s_wait_loadcnt 0xc
	scratch_store_b128 off, v[50:53], off
	s_wait_loadcnt 0xa
	scratch_store_b128 off, v[54:57], off offset:16
	v_add_nc_u32_e32 v48, s9, v46
	s_clause 0x3
	global_load_b64 v[78:79], v34, s[6:7] scale_offset
	global_load_b64 v[80:81], v36, s[6:7] scale_offset
	;; [unrolled: 1-line block ×4, first 2 shown]
	s_wait_loadcnt 0xc
	scratch_store_b128 off, v[58:61], off offset:48
	s_wait_xcnt 0x6
	v_add_nc_u32_e32 v50, s9, v48
	s_delay_alu instid0(VALU_DEP_1)
	v_add_nc_u32_e32 v52, s9, v50
	s_clause 0x1
	global_load_b64 v[86:87], v44, s[6:7] scale_offset
	global_load_b64 v[88:89], v46, s[6:7] scale_offset
	s_wait_loadcnt 0xc
	scratch_store_b128 off, v[62:65], off offset:64
	s_wait_xcnt 0x8
	v_add_nc_u32_e32 v54, s9, v52
	s_delay_alu instid0(VALU_DEP_1) | instskip(SKIP_4) | instid1(VALU_DEP_1)
	v_add_nc_u32_e32 v56, s9, v54
	s_wait_loadcnt 0xa
	scratch_store_b128 off, v[66:69], off offset:80
	s_wait_xcnt 0x4
	v_add_nc_u32_e32 v58, s9, v56
	v_add_nc_u32_e32 v60, s9, v58
	s_wait_loadcnt 0x8
	scratch_store_b128 off, v[70:73], off offset:96
	s_wait_loadcnt 0x6
	scratch_store_b128 off, v[74:77], off offset:112
	s_clause 0x1
	global_load_b64 v[62:63], v48, s[6:7] scale_offset
	global_load_b64 v[64:65], v50, s[6:7] scale_offset
	s_wait_loadcnt 0x6
	scratch_store_b128 off, v[78:81], off offset:128
	s_wait_loadcnt 0x4
	scratch_store_b128 off, v[82:85], off offset:144
	;; [unrolled: 2-line block ×3, first 2 shown]
	s_clause 0x4
	global_load_b64 v[66:67], v52, s[6:7] scale_offset
	global_load_b64 v[68:69], v54, s[6:7] scale_offset
	;; [unrolled: 1-line block ×5, first 2 shown]
	s_wait_loadcnt 0x5
	scratch_store_b128 off, v[62:65], off offset:176
	s_wait_loadcnt 0x3
	scratch_store_b128 off, v[66:69], off offset:192
	;; [unrolled: 2-line block ×3, first 2 shown]
	s_wait_loadcnt 0x0
	scratch_store_b64 off, v[74:75], off offset:224
	s_cbranch_vccz .LBB28_7
; %bb.2:
	scratch_load_b64 v[62:63], v0, off scale_offset
                                        ; implicit-def: $vgpr67
                                        ; implicit-def: $vgpr64
	s_wait_loadcnt 0x0
	v_cmp_ngt_f32_e64 s0, |v62|, |v63|
	s_wait_xcnt 0x0
	s_and_saveexec_b32 s1, s0
	s_delay_alu instid0(SALU_CYCLE_1)
	s_xor_b32 s0, exec_lo, s1
	s_cbranch_execz .LBB28_4
; %bb.3:
	v_div_scale_f32 v1, null, v63, v63, v62
	v_div_scale_f32 v11, vcc_lo, v62, v63, v62
	s_delay_alu instid0(VALU_DEP_2) | instskip(SKIP_1) | instid1(TRANS32_DEP_1)
	v_rcp_f32_e32 v7, v1
	v_nop
	v_fma_f32 v9, -v1, v7, 1.0
	s_delay_alu instid0(VALU_DEP_1) | instskip(NEXT) | instid1(VALU_DEP_1)
	v_fmac_f32_e32 v7, v9, v7
	v_mul_f32_e32 v9, v11, v7
	s_delay_alu instid0(VALU_DEP_1) | instskip(NEXT) | instid1(VALU_DEP_1)
	v_fma_f32 v13, -v1, v9, v11
	v_fmac_f32_e32 v9, v13, v7
	s_delay_alu instid0(VALU_DEP_1) | instskip(NEXT) | instid1(VALU_DEP_1)
	v_fma_f32 v1, -v1, v9, v11
	v_div_fmas_f32 v1, v1, v7, v9
	s_delay_alu instid0(VALU_DEP_1) | instskip(NEXT) | instid1(VALU_DEP_1)
	v_div_fixup_f32 v1, v1, v63, v62
	v_fmac_f32_e32 v63, v62, v1
	s_delay_alu instid0(VALU_DEP_1) | instskip(NEXT) | instid1(VALU_DEP_1)
	v_div_scale_f32 v7, null, v63, v63, -1.0
	v_rcp_f32_e32 v9, v7
	v_nop
	s_delay_alu instid0(TRANS32_DEP_1) | instskip(NEXT) | instid1(VALU_DEP_1)
	v_fma_f32 v11, -v7, v9, 1.0
	v_fmac_f32_e32 v9, v11, v9
	v_div_scale_f32 v11, vcc_lo, -1.0, v63, -1.0
	s_delay_alu instid0(VALU_DEP_1) | instskip(NEXT) | instid1(VALU_DEP_1)
	v_mul_f32_e32 v13, v11, v9
	v_fma_f32 v15, -v7, v13, v11
	s_delay_alu instid0(VALU_DEP_1) | instskip(NEXT) | instid1(VALU_DEP_1)
	v_fmac_f32_e32 v13, v15, v9
	v_fma_f32 v7, -v7, v13, v11
	s_delay_alu instid0(VALU_DEP_1) | instskip(NEXT) | instid1(VALU_DEP_1)
	v_div_fmas_f32 v7, v7, v9, v13
	v_div_fixup_f32 v67, v7, v63, -1.0
                                        ; implicit-def: $vgpr62_vgpr63
	s_delay_alu instid0(VALU_DEP_1) | instskip(NEXT) | instid1(VALU_DEP_1)
	v_mul_f32_e32 v64, v1, v67
	v_xor_b32_e32 v66, 0x80000000, v64
.LBB28_4:
	s_or_saveexec_b32 s0, s0
	v_lshl_add_u32 v1, v0, 3, 0
	s_xor_b32 exec_lo, exec_lo, s0
	s_cbranch_execz .LBB28_6
; %bb.5:
	v_div_scale_f32 v7, null, v62, v62, v63
	v_div_scale_f32 v13, vcc_lo, v63, v62, v63
	s_delay_alu instid0(VALU_DEP_2) | instskip(SKIP_1) | instid1(TRANS32_DEP_1)
	v_rcp_f32_e32 v9, v7
	v_nop
	v_fma_f32 v11, -v7, v9, 1.0
	s_delay_alu instid0(VALU_DEP_1) | instskip(NEXT) | instid1(VALU_DEP_1)
	v_fmac_f32_e32 v9, v11, v9
	v_mul_f32_e32 v11, v13, v9
	s_delay_alu instid0(VALU_DEP_1) | instskip(NEXT) | instid1(VALU_DEP_1)
	v_fma_f32 v15, -v7, v11, v13
	v_fmac_f32_e32 v11, v15, v9
	s_delay_alu instid0(VALU_DEP_1) | instskip(NEXT) | instid1(VALU_DEP_1)
	v_fma_f32 v7, -v7, v11, v13
	v_div_fmas_f32 v7, v7, v9, v11
	s_delay_alu instid0(VALU_DEP_1) | instskip(NEXT) | instid1(VALU_DEP_1)
	v_div_fixup_f32 v7, v7, v62, v63
	v_fmac_f32_e32 v62, v63, v7
	s_delay_alu instid0(VALU_DEP_1) | instskip(SKIP_1) | instid1(VALU_DEP_2)
	v_div_scale_f32 v9, null, v62, v62, 1.0
	v_div_scale_f32 v15, vcc_lo, 1.0, v62, 1.0
	v_rcp_f32_e32 v11, v9
	v_nop
	s_delay_alu instid0(TRANS32_DEP_1) | instskip(NEXT) | instid1(VALU_DEP_1)
	v_fma_f32 v13, -v9, v11, 1.0
	v_fmac_f32_e32 v11, v13, v11
	s_delay_alu instid0(VALU_DEP_1) | instskip(NEXT) | instid1(VALU_DEP_1)
	v_mul_f32_e32 v13, v15, v11
	v_fma_f32 v17, -v9, v13, v15
	s_delay_alu instid0(VALU_DEP_1) | instskip(NEXT) | instid1(VALU_DEP_1)
	v_fmac_f32_e32 v13, v17, v11
	v_fma_f32 v9, -v9, v13, v15
	s_delay_alu instid0(VALU_DEP_1) | instskip(NEXT) | instid1(VALU_DEP_1)
	v_div_fmas_f32 v9, v9, v11, v13
	v_div_fixup_f32 v66, v9, v62, 1.0
	s_delay_alu instid0(VALU_DEP_1)
	v_xor_b32_e32 v64, 0x80000000, v66
	v_mul_f32_e64 v67, v7, -v66
.LBB28_6:
	s_or_b32 exec_lo, exec_lo, s0
	s_delay_alu instid0(VALU_DEP_1)
	v_xor_b32_e32 v65, 0x80000000, v67
	s_mov_b32 s0, 0
	scratch_store_b64 v1, v[66:67], off
	ds_store_b64 v38, v[64:65]
.LBB28_7:
	s_and_b32 vcc_lo, exec_lo, s0
	s_cbranch_vccz .LBB28_9
; %bb.8:
	s_mov_b64 s[0:1], 0xbf800000
	s_wait_xcnt 0x3
	v_mov_b64_e32 v[62:63], s[0:1]
	ds_store_b64 v38, v[62:63]
.LBB28_9:
	v_dual_ashrrev_i32 v7, 31, v6 :: v_dual_ashrrev_i32 v9, 31, v8
	v_dual_ashrrev_i32 v11, 31, v10 :: v_dual_ashrrev_i32 v13, 31, v12
	;; [unrolled: 1-line block ×13, first 2 shown]
	v_dual_ashrrev_i32 v61, 31, v60 :: v_dual_mov_b32 v39, v38
	s_wait_xcnt 0x0
	v_add_nc_u32_e32 v1, 0xf0, v38
	s_cmp_eq_u32 s4, 0x79
	s_cbranch_scc1 .LBB28_13
; %bb.10:
	scratch_load_b64 v[62:63], off, off offset:216
	v_cmp_eq_u32_e64 s0, 28, v0
	s_movk_i32 s1, 0x50
	s_movk_i32 s2, 0x60
	s_movk_i32 s12, 0x70
	s_movk_i32 s13, 0x80
	s_movk_i32 s14, 0x90
	s_movk_i32 s15, 0xa0
	s_movk_i32 s16, 0xb0
	s_movk_i32 s17, 0xc0
	s_movk_i32 s18, 0xd0
	s_wait_loadcnt 0x0
	ds_store_b64 v1, v[62:63]
	s_wait_storecnt_dscnt 0x0
	s_barrier_signal -1
	s_barrier_wait -1
	s_wait_xcnt 0x0
	s_and_saveexec_b32 s4, s0
	s_cbranch_execz .LBB28_17
; %bb.11:
	s_and_b32 vcc_lo, exec_lo, s3
	s_cbranch_vccz .LBB28_14
; %bb.12:
	scratch_load_b64 v[62:63], v39, off
	ds_load_b64 v[64:65], v1
	s_wait_loadcnt_dscnt 0x0
	v_pk_mul_f32 v[66:67], v[64:65], v[62:63] op_sel:[1,1] op_sel_hi:[0,1]
	v_pk_mul_f32 v[68:69], v[64:65], v[62:63] op_sel_hi:[1,0]
	s_delay_alu instid0(VALU_DEP_2) | instskip(NEXT) | instid1(VALU_DEP_2)
	v_pk_fma_f32 v[62:63], v[64:65], v[62:63], v[66:67] op_sel_hi:[1,0,1]
	v_sub_f32_e32 v62, v68, v66
	s_cbranch_execz .LBB28_15
	s_branch .LBB28_16
.LBB28_13:
	s_mov_b32 s1, 0
                                        ; implicit-def: $vgpr78
                                        ; implicit-def: $sgpr4
	s_cbranch_execnz .LBB28_286
	s_branch .LBB28_561
.LBB28_14:
                                        ; implicit-def: $vgpr63
.LBB28_15:
	ds_load_b64 v[62:63], v1
.LBB28_16:
	s_wait_dscnt 0x0
	v_dual_mov_b32 v64, 0 :: v_dual_mov_b32 v66, v63
	v_mov_b32_e32 v67, v62
	ds_load_b64 v[64:65], v64 offset:216
	s_wait_dscnt 0x0
	v_pk_mul_f32 v[66:67], v[66:67], v[64:65] op_sel:[0,1]
	s_delay_alu instid0(VALU_DEP_1) | instskip(SKIP_1) | instid1(VALU_DEP_2)
	v_pk_fma_f32 v[68:69], v[62:63], v[64:65], v[66:67] op_sel_hi:[1,0,1]
	v_pk_fma_f32 v[62:63], v[62:63], v[64:65], v[66:67] neg_lo:[0,0,1] neg_hi:[0,0,1]
	v_mov_b32_e32 v63, v69
	scratch_store_b64 off, v[62:63], off offset:216
.LBB28_17:
	s_wait_xcnt 0x0
	s_or_b32 exec_lo, exec_lo, s4
	scratch_load_b64 v[62:63], off, off offset:208
	s_mov_b32 s11, s2
	v_cmp_lt_u32_e64 s2, 26, v0
	s_mov_b32 s4, 16
	s_mov_b32 s5, 32
	;; [unrolled: 1-line block ×5, first 2 shown]
	s_wait_loadcnt 0x0
	ds_store_b64 v1, v[62:63]
	s_wait_storecnt_dscnt 0x0
	s_barrier_signal -1
	s_barrier_wait -1
	s_wait_xcnt 0x0
	s_and_saveexec_b32 s1, s2
	s_cbranch_execz .LBB28_25
; %bb.18:
	s_and_not1_b32 vcc_lo, exec_lo, s3
	s_cbranch_vccnz .LBB28_20
; %bb.19:
	scratch_load_b64 v[62:63], v39, off
	ds_load_b64 v[64:65], v1
	s_wait_loadcnt_dscnt 0x0
	v_pk_mul_f32 v[66:67], v[64:65], v[62:63] op_sel:[1,1] op_sel_hi:[0,1]
	s_delay_alu instid0(VALU_DEP_1) | instskip(SKIP_1) | instid1(VALU_DEP_2)
	v_pk_fma_f32 v[68:69], v[64:65], v[62:63], v[66:67] op_sel_hi:[1,0,1]
	v_pk_fma_f32 v[62:63], v[64:65], v[62:63], v[66:67] neg_lo:[0,0,1] neg_hi:[0,0,1]
	v_mov_b32_e32 v63, v69
	s_cbranch_execz .LBB28_21
	s_branch .LBB28_22
.LBB28_20:
                                        ; implicit-def: $vgpr62_vgpr63
.LBB28_21:
	ds_load_b64 v[62:63], v1
.LBB28_22:
	s_and_saveexec_b32 s19, s0
	s_cbranch_execz .LBB28_24
; %bb.23:
	scratch_load_b64 v[64:65], off, off offset:216
	v_mov_b32_e32 v66, 0
	ds_load_b64 v[66:67], v66 offset:456
	s_wait_loadcnt_dscnt 0x0
	v_pk_mul_f32 v[68:69], v[66:67], v[64:65] op_sel:[1,1] op_sel_hi:[0,1]
	s_delay_alu instid0(VALU_DEP_1) | instskip(SKIP_1) | instid1(VALU_DEP_2)
	v_pk_fma_f32 v[70:71], v[66:67], v[64:65], v[68:69] op_sel_hi:[1,0,1]
	v_pk_fma_f32 v[64:65], v[66:67], v[64:65], v[68:69] neg_lo:[0,0,1] neg_hi:[0,0,1]
	v_mov_b32_e32 v65, v71
	s_delay_alu instid0(VALU_DEP_1)
	v_pk_add_f32 v[62:63], v[62:63], v[64:65]
.LBB28_24:
	s_or_b32 exec_lo, exec_lo, s19
	v_mov_b32_e32 v64, 0
	ds_load_b64 v[64:65], v64 offset:208
	s_wait_dscnt 0x0
	v_pk_mul_f32 v[66:67], v[62:63], v[64:65] op_sel:[1,1] op_sel_hi:[0,1]
	s_delay_alu instid0(VALU_DEP_1) | instskip(SKIP_1) | instid1(VALU_DEP_2)
	v_pk_fma_f32 v[68:69], v[62:63], v[64:65], v[66:67] op_sel_hi:[1,0,1]
	v_pk_fma_f32 v[62:63], v[62:63], v[64:65], v[66:67] neg_lo:[0,0,1] neg_hi:[0,0,1]
	v_mov_b32_e32 v63, v69
	scratch_store_b64 off, v[62:63], off offset:208
.LBB28_25:
	s_wait_xcnt 0x0
	s_or_b32 exec_lo, exec_lo, s1
	scratch_load_b64 v[62:63], off, off offset:200
	v_cmp_lt_u32_e64 s1, 25, v0
	s_wait_loadcnt 0x0
	ds_store_b64 v1, v[62:63]
	s_wait_storecnt_dscnt 0x0
	s_barrier_signal -1
	s_barrier_wait -1
	s_wait_xcnt 0x0
	s_and_saveexec_b32 s0, s1
	s_cbranch_execz .LBB28_35
; %bb.26:
	s_and_not1_b32 vcc_lo, exec_lo, s3
	s_cbranch_vccnz .LBB28_28
; %bb.27:
	scratch_load_b64 v[62:63], v39, off
	ds_load_b64 v[64:65], v1
	s_wait_loadcnt_dscnt 0x0
	v_pk_mul_f32 v[66:67], v[64:65], v[62:63] op_sel:[1,1] op_sel_hi:[0,1]
	s_delay_alu instid0(VALU_DEP_1) | instskip(SKIP_1) | instid1(VALU_DEP_2)
	v_pk_fma_f32 v[68:69], v[64:65], v[62:63], v[66:67] op_sel_hi:[1,0,1]
	v_pk_fma_f32 v[62:63], v[64:65], v[62:63], v[66:67] neg_lo:[0,0,1] neg_hi:[0,0,1]
	v_mov_b32_e32 v63, v69
	s_cbranch_execz .LBB28_29
	s_branch .LBB28_30
.LBB28_28:
                                        ; implicit-def: $vgpr62_vgpr63
.LBB28_29:
	ds_load_b64 v[62:63], v1
.LBB28_30:
	s_and_saveexec_b32 s19, s2
	s_cbranch_execz .LBB28_34
; %bb.31:
	v_subrev_nc_u32_e32 v64, 26, v0
	s_movk_i32 s20, 0x1c0
	s_mov_b32 s2, 0
.LBB28_32:                              ; =>This Inner Loop Header: Depth=1
	scratch_load_b64 v[66:67], off, s18
	v_dual_mov_b32 v65, s20 :: v_dual_add_nc_u32 v64, -1, v64
	s_add_co_i32 s20, s20, 8
	s_wait_xcnt 0x0
	s_add_co_i32 s18, s18, 8
	ds_load_b64 v[68:69], v65
	v_cmp_eq_u32_e32 vcc_lo, 0, v64
	s_or_b32 s2, vcc_lo, s2
	s_wait_loadcnt_dscnt 0x0
	v_pk_mul_f32 v[70:71], v[68:69], v[66:67] op_sel:[1,1] op_sel_hi:[0,1]
	s_delay_alu instid0(VALU_DEP_1) | instskip(SKIP_1) | instid1(VALU_DEP_2)
	v_pk_fma_f32 v[72:73], v[68:69], v[66:67], v[70:71] op_sel_hi:[1,0,1]
	v_pk_fma_f32 v[66:67], v[68:69], v[66:67], v[70:71] neg_lo:[0,0,1] neg_hi:[0,0,1]
	v_mov_b32_e32 v67, v73
	s_delay_alu instid0(VALU_DEP_1)
	v_pk_add_f32 v[62:63], v[62:63], v[66:67]
	s_and_not1_b32 exec_lo, exec_lo, s2
	s_cbranch_execnz .LBB28_32
; %bb.33:
	s_or_b32 exec_lo, exec_lo, s2
.LBB28_34:
	s_delay_alu instid0(SALU_CYCLE_1) | instskip(SKIP_4) | instid1(VALU_DEP_1)
	s_or_b32 exec_lo, exec_lo, s19
	v_mov_b32_e32 v64, 0
	ds_load_b64 v[64:65], v64 offset:200
	s_wait_dscnt 0x0
	v_pk_mul_f32 v[66:67], v[62:63], v[64:65] op_sel:[1,1] op_sel_hi:[0,1]
	v_pk_fma_f32 v[68:69], v[62:63], v[64:65], v[66:67] op_sel_hi:[1,0,1]
	v_pk_fma_f32 v[62:63], v[62:63], v[64:65], v[66:67] neg_lo:[0,0,1] neg_hi:[0,0,1]
	s_delay_alu instid0(VALU_DEP_2)
	v_mov_b32_e32 v63, v69
	scratch_store_b64 off, v[62:63], off offset:200
.LBB28_35:
	s_wait_xcnt 0x0
	s_or_b32 exec_lo, exec_lo, s0
	scratch_load_b64 v[62:63], off, off offset:192
	v_cmp_lt_u32_e64 s0, 24, v0
	s_wait_loadcnt 0x0
	ds_store_b64 v1, v[62:63]
	s_wait_storecnt_dscnt 0x0
	s_barrier_signal -1
	s_barrier_wait -1
	s_wait_xcnt 0x0
	s_and_saveexec_b32 s2, s0
	s_cbranch_execz .LBB28_45
; %bb.36:
	s_and_not1_b32 vcc_lo, exec_lo, s3
	s_cbranch_vccnz .LBB28_38
; %bb.37:
	scratch_load_b64 v[62:63], v39, off
	ds_load_b64 v[64:65], v1
	s_wait_loadcnt_dscnt 0x0
	v_pk_mul_f32 v[66:67], v[64:65], v[62:63] op_sel:[1,1] op_sel_hi:[0,1]
	s_delay_alu instid0(VALU_DEP_1) | instskip(SKIP_1) | instid1(VALU_DEP_2)
	v_pk_fma_f32 v[68:69], v[64:65], v[62:63], v[66:67] op_sel_hi:[1,0,1]
	v_pk_fma_f32 v[62:63], v[64:65], v[62:63], v[66:67] neg_lo:[0,0,1] neg_hi:[0,0,1]
	v_mov_b32_e32 v63, v69
	s_cbranch_execz .LBB28_39
	s_branch .LBB28_40
.LBB28_38:
                                        ; implicit-def: $vgpr62_vgpr63
.LBB28_39:
	ds_load_b64 v[62:63], v1
.LBB28_40:
	s_and_saveexec_b32 s18, s1
	s_cbranch_execz .LBB28_44
; %bb.41:
	v_subrev_nc_u32_e32 v64, 25, v0
	s_movk_i32 s1, 0xc8
	s_movk_i32 s20, 0x1b8
	s_mov_b32 s19, 0
.LBB28_42:                              ; =>This Inner Loop Header: Depth=1
	scratch_load_b64 v[66:67], off, s1
	v_dual_mov_b32 v65, s20 :: v_dual_add_nc_u32 v64, -1, v64
	s_add_co_i32 s20, s20, 8
	s_wait_xcnt 0x0
	s_add_co_i32 s1, s1, 8
	ds_load_b64 v[68:69], v65
	v_cmp_eq_u32_e32 vcc_lo, 0, v64
	s_or_b32 s19, vcc_lo, s19
	s_wait_loadcnt_dscnt 0x0
	v_pk_mul_f32 v[70:71], v[68:69], v[66:67] op_sel:[1,1] op_sel_hi:[0,1]
	s_delay_alu instid0(VALU_DEP_1) | instskip(SKIP_1) | instid1(VALU_DEP_2)
	v_pk_fma_f32 v[72:73], v[68:69], v[66:67], v[70:71] op_sel_hi:[1,0,1]
	v_pk_fma_f32 v[66:67], v[68:69], v[66:67], v[70:71] neg_lo:[0,0,1] neg_hi:[0,0,1]
	v_mov_b32_e32 v67, v73
	s_delay_alu instid0(VALU_DEP_1)
	v_pk_add_f32 v[62:63], v[62:63], v[66:67]
	s_and_not1_b32 exec_lo, exec_lo, s19
	s_cbranch_execnz .LBB28_42
; %bb.43:
	s_or_b32 exec_lo, exec_lo, s19
.LBB28_44:
	s_delay_alu instid0(SALU_CYCLE_1) | instskip(SKIP_4) | instid1(VALU_DEP_1)
	s_or_b32 exec_lo, exec_lo, s18
	v_mov_b32_e32 v64, 0
	ds_load_b64 v[64:65], v64 offset:192
	s_wait_dscnt 0x0
	v_pk_mul_f32 v[66:67], v[62:63], v[64:65] op_sel:[1,1] op_sel_hi:[0,1]
	v_pk_fma_f32 v[68:69], v[62:63], v[64:65], v[66:67] op_sel_hi:[1,0,1]
	v_pk_fma_f32 v[62:63], v[62:63], v[64:65], v[66:67] neg_lo:[0,0,1] neg_hi:[0,0,1]
	s_delay_alu instid0(VALU_DEP_2)
	v_mov_b32_e32 v63, v69
	scratch_store_b64 off, v[62:63], off offset:192
.LBB28_45:
	s_wait_xcnt 0x0
	s_or_b32 exec_lo, exec_lo, s2
	scratch_load_b64 v[62:63], off, off offset:184
	v_cmp_lt_u32_e64 s1, 23, v0
	s_wait_loadcnt 0x0
	ds_store_b64 v1, v[62:63]
	s_wait_storecnt_dscnt 0x0
	s_barrier_signal -1
	s_barrier_wait -1
	s_wait_xcnt 0x0
	s_and_saveexec_b32 s2, s1
	s_cbranch_execz .LBB28_55
; %bb.46:
	s_and_not1_b32 vcc_lo, exec_lo, s3
	s_cbranch_vccnz .LBB28_48
; %bb.47:
	scratch_load_b64 v[62:63], v39, off
	ds_load_b64 v[64:65], v1
	s_wait_loadcnt_dscnt 0x0
	v_pk_mul_f32 v[66:67], v[64:65], v[62:63] op_sel:[1,1] op_sel_hi:[0,1]
	s_delay_alu instid0(VALU_DEP_1) | instskip(SKIP_1) | instid1(VALU_DEP_2)
	v_pk_fma_f32 v[68:69], v[64:65], v[62:63], v[66:67] op_sel_hi:[1,0,1]
	v_pk_fma_f32 v[62:63], v[64:65], v[62:63], v[66:67] neg_lo:[0,0,1] neg_hi:[0,0,1]
	v_mov_b32_e32 v63, v69
	s_cbranch_execz .LBB28_49
	s_branch .LBB28_50
.LBB28_48:
                                        ; implicit-def: $vgpr62_vgpr63
.LBB28_49:
	ds_load_b64 v[62:63], v1
.LBB28_50:
	s_and_saveexec_b32 s18, s0
	s_cbranch_execz .LBB28_54
; %bb.51:
	v_subrev_nc_u32_e32 v64, 24, v0
	s_movk_i32 s19, 0x1b0
	s_mov_b32 s0, 0
.LBB28_52:                              ; =>This Inner Loop Header: Depth=1
	scratch_load_b64 v[66:67], off, s17
	v_dual_mov_b32 v65, s19 :: v_dual_add_nc_u32 v64, -1, v64
	s_add_co_i32 s19, s19, 8
	s_wait_xcnt 0x0
	s_add_co_i32 s17, s17, 8
	ds_load_b64 v[68:69], v65
	v_cmp_eq_u32_e32 vcc_lo, 0, v64
	s_or_b32 s0, vcc_lo, s0
	s_wait_loadcnt_dscnt 0x0
	v_pk_mul_f32 v[70:71], v[68:69], v[66:67] op_sel:[1,1] op_sel_hi:[0,1]
	s_delay_alu instid0(VALU_DEP_1) | instskip(SKIP_1) | instid1(VALU_DEP_2)
	v_pk_fma_f32 v[72:73], v[68:69], v[66:67], v[70:71] op_sel_hi:[1,0,1]
	v_pk_fma_f32 v[66:67], v[68:69], v[66:67], v[70:71] neg_lo:[0,0,1] neg_hi:[0,0,1]
	v_mov_b32_e32 v67, v73
	s_delay_alu instid0(VALU_DEP_1)
	v_pk_add_f32 v[62:63], v[62:63], v[66:67]
	s_and_not1_b32 exec_lo, exec_lo, s0
	s_cbranch_execnz .LBB28_52
; %bb.53:
	s_or_b32 exec_lo, exec_lo, s0
.LBB28_54:
	s_delay_alu instid0(SALU_CYCLE_1) | instskip(SKIP_4) | instid1(VALU_DEP_1)
	s_or_b32 exec_lo, exec_lo, s18
	v_mov_b32_e32 v64, 0
	ds_load_b64 v[64:65], v64 offset:184
	s_wait_dscnt 0x0
	v_pk_mul_f32 v[66:67], v[62:63], v[64:65] op_sel:[1,1] op_sel_hi:[0,1]
	v_pk_fma_f32 v[68:69], v[62:63], v[64:65], v[66:67] op_sel_hi:[1,0,1]
	v_pk_fma_f32 v[62:63], v[62:63], v[64:65], v[66:67] neg_lo:[0,0,1] neg_hi:[0,0,1]
	s_delay_alu instid0(VALU_DEP_2)
	v_mov_b32_e32 v63, v69
	scratch_store_b64 off, v[62:63], off offset:184
.LBB28_55:
	s_wait_xcnt 0x0
	s_or_b32 exec_lo, exec_lo, s2
	scratch_load_b64 v[62:63], off, off offset:176
	v_cmp_lt_u32_e64 s0, 22, v0
	s_wait_loadcnt 0x0
	ds_store_b64 v1, v[62:63]
	s_wait_storecnt_dscnt 0x0
	s_barrier_signal -1
	s_barrier_wait -1
	s_wait_xcnt 0x0
	s_and_saveexec_b32 s2, s0
	s_cbranch_execz .LBB28_65
; %bb.56:
	s_and_not1_b32 vcc_lo, exec_lo, s3
	s_cbranch_vccnz .LBB28_58
; %bb.57:
	scratch_load_b64 v[62:63], v39, off
	ds_load_b64 v[64:65], v1
	s_wait_loadcnt_dscnt 0x0
	v_pk_mul_f32 v[66:67], v[64:65], v[62:63] op_sel:[1,1] op_sel_hi:[0,1]
	s_delay_alu instid0(VALU_DEP_1) | instskip(SKIP_1) | instid1(VALU_DEP_2)
	v_pk_fma_f32 v[68:69], v[64:65], v[62:63], v[66:67] op_sel_hi:[1,0,1]
	v_pk_fma_f32 v[62:63], v[64:65], v[62:63], v[66:67] neg_lo:[0,0,1] neg_hi:[0,0,1]
	v_mov_b32_e32 v63, v69
	s_cbranch_execz .LBB28_59
	s_branch .LBB28_60
.LBB28_58:
                                        ; implicit-def: $vgpr62_vgpr63
.LBB28_59:
	ds_load_b64 v[62:63], v1
.LBB28_60:
	s_and_saveexec_b32 s17, s1
	s_cbranch_execz .LBB28_64
; %bb.61:
	v_subrev_nc_u32_e32 v64, 23, v0
	s_movk_i32 s1, 0xb8
	s_movk_i32 s19, 0x1a8
	s_mov_b32 s18, 0
.LBB28_62:                              ; =>This Inner Loop Header: Depth=1
	scratch_load_b64 v[66:67], off, s1
	v_dual_mov_b32 v65, s19 :: v_dual_add_nc_u32 v64, -1, v64
	s_add_co_i32 s19, s19, 8
	s_wait_xcnt 0x0
	s_add_co_i32 s1, s1, 8
	ds_load_b64 v[68:69], v65
	v_cmp_eq_u32_e32 vcc_lo, 0, v64
	s_or_b32 s18, vcc_lo, s18
	s_wait_loadcnt_dscnt 0x0
	v_pk_mul_f32 v[70:71], v[68:69], v[66:67] op_sel:[1,1] op_sel_hi:[0,1]
	s_delay_alu instid0(VALU_DEP_1) | instskip(SKIP_1) | instid1(VALU_DEP_2)
	v_pk_fma_f32 v[72:73], v[68:69], v[66:67], v[70:71] op_sel_hi:[1,0,1]
	v_pk_fma_f32 v[66:67], v[68:69], v[66:67], v[70:71] neg_lo:[0,0,1] neg_hi:[0,0,1]
	v_mov_b32_e32 v67, v73
	s_delay_alu instid0(VALU_DEP_1)
	v_pk_add_f32 v[62:63], v[62:63], v[66:67]
	s_and_not1_b32 exec_lo, exec_lo, s18
	s_cbranch_execnz .LBB28_62
; %bb.63:
	s_or_b32 exec_lo, exec_lo, s18
.LBB28_64:
	s_delay_alu instid0(SALU_CYCLE_1) | instskip(SKIP_4) | instid1(VALU_DEP_1)
	s_or_b32 exec_lo, exec_lo, s17
	v_mov_b32_e32 v64, 0
	ds_load_b64 v[64:65], v64 offset:176
	s_wait_dscnt 0x0
	v_pk_mul_f32 v[66:67], v[62:63], v[64:65] op_sel:[1,1] op_sel_hi:[0,1]
	v_pk_fma_f32 v[68:69], v[62:63], v[64:65], v[66:67] op_sel_hi:[1,0,1]
	v_pk_fma_f32 v[62:63], v[62:63], v[64:65], v[66:67] neg_lo:[0,0,1] neg_hi:[0,0,1]
	s_delay_alu instid0(VALU_DEP_2)
	v_mov_b32_e32 v63, v69
	scratch_store_b64 off, v[62:63], off offset:176
.LBB28_65:
	s_wait_xcnt 0x0
	s_or_b32 exec_lo, exec_lo, s2
	scratch_load_b64 v[62:63], off, off offset:168
	v_cmp_lt_u32_e64 s1, 21, v0
	s_wait_loadcnt 0x0
	ds_store_b64 v1, v[62:63]
	s_wait_storecnt_dscnt 0x0
	s_barrier_signal -1
	s_barrier_wait -1
	s_wait_xcnt 0x0
	s_and_saveexec_b32 s2, s1
	s_cbranch_execz .LBB28_75
; %bb.66:
	s_and_not1_b32 vcc_lo, exec_lo, s3
	s_cbranch_vccnz .LBB28_68
; %bb.67:
	scratch_load_b64 v[62:63], v39, off
	ds_load_b64 v[64:65], v1
	s_wait_loadcnt_dscnt 0x0
	v_pk_mul_f32 v[66:67], v[64:65], v[62:63] op_sel:[1,1] op_sel_hi:[0,1]
	s_delay_alu instid0(VALU_DEP_1) | instskip(SKIP_1) | instid1(VALU_DEP_2)
	v_pk_fma_f32 v[68:69], v[64:65], v[62:63], v[66:67] op_sel_hi:[1,0,1]
	v_pk_fma_f32 v[62:63], v[64:65], v[62:63], v[66:67] neg_lo:[0,0,1] neg_hi:[0,0,1]
	v_mov_b32_e32 v63, v69
	s_cbranch_execz .LBB28_69
	s_branch .LBB28_70
.LBB28_68:
                                        ; implicit-def: $vgpr62_vgpr63
.LBB28_69:
	ds_load_b64 v[62:63], v1
.LBB28_70:
	s_and_saveexec_b32 s17, s0
	s_cbranch_execz .LBB28_74
; %bb.71:
	v_subrev_nc_u32_e32 v64, 22, v0
	s_movk_i32 s18, 0x1a0
	s_mov_b32 s0, 0
.LBB28_72:                              ; =>This Inner Loop Header: Depth=1
	scratch_load_b64 v[66:67], off, s16
	v_dual_mov_b32 v65, s18 :: v_dual_add_nc_u32 v64, -1, v64
	s_add_co_i32 s18, s18, 8
	s_wait_xcnt 0x0
	s_add_co_i32 s16, s16, 8
	ds_load_b64 v[68:69], v65
	v_cmp_eq_u32_e32 vcc_lo, 0, v64
	s_or_b32 s0, vcc_lo, s0
	s_wait_loadcnt_dscnt 0x0
	v_pk_mul_f32 v[70:71], v[68:69], v[66:67] op_sel:[1,1] op_sel_hi:[0,1]
	s_delay_alu instid0(VALU_DEP_1) | instskip(SKIP_1) | instid1(VALU_DEP_2)
	v_pk_fma_f32 v[72:73], v[68:69], v[66:67], v[70:71] op_sel_hi:[1,0,1]
	v_pk_fma_f32 v[66:67], v[68:69], v[66:67], v[70:71] neg_lo:[0,0,1] neg_hi:[0,0,1]
	v_mov_b32_e32 v67, v73
	s_delay_alu instid0(VALU_DEP_1)
	v_pk_add_f32 v[62:63], v[62:63], v[66:67]
	s_and_not1_b32 exec_lo, exec_lo, s0
	s_cbranch_execnz .LBB28_72
; %bb.73:
	s_or_b32 exec_lo, exec_lo, s0
.LBB28_74:
	s_delay_alu instid0(SALU_CYCLE_1) | instskip(SKIP_4) | instid1(VALU_DEP_1)
	s_or_b32 exec_lo, exec_lo, s17
	v_mov_b32_e32 v64, 0
	ds_load_b64 v[64:65], v64 offset:168
	s_wait_dscnt 0x0
	v_pk_mul_f32 v[66:67], v[62:63], v[64:65] op_sel:[1,1] op_sel_hi:[0,1]
	v_pk_fma_f32 v[68:69], v[62:63], v[64:65], v[66:67] op_sel_hi:[1,0,1]
	v_pk_fma_f32 v[62:63], v[62:63], v[64:65], v[66:67] neg_lo:[0,0,1] neg_hi:[0,0,1]
	s_delay_alu instid0(VALU_DEP_2)
	v_mov_b32_e32 v63, v69
	scratch_store_b64 off, v[62:63], off offset:168
.LBB28_75:
	s_wait_xcnt 0x0
	s_or_b32 exec_lo, exec_lo, s2
	scratch_load_b64 v[62:63], off, off offset:160
	v_cmp_lt_u32_e64 s0, 20, v0
	s_wait_loadcnt 0x0
	ds_store_b64 v1, v[62:63]
	s_wait_storecnt_dscnt 0x0
	s_barrier_signal -1
	s_barrier_wait -1
	s_wait_xcnt 0x0
	s_and_saveexec_b32 s2, s0
	s_cbranch_execz .LBB28_85
; %bb.76:
	s_and_not1_b32 vcc_lo, exec_lo, s3
	s_cbranch_vccnz .LBB28_78
; %bb.77:
	scratch_load_b64 v[62:63], v39, off
	ds_load_b64 v[64:65], v1
	s_wait_loadcnt_dscnt 0x0
	v_pk_mul_f32 v[66:67], v[64:65], v[62:63] op_sel:[1,1] op_sel_hi:[0,1]
	s_delay_alu instid0(VALU_DEP_1) | instskip(SKIP_1) | instid1(VALU_DEP_2)
	v_pk_fma_f32 v[68:69], v[64:65], v[62:63], v[66:67] op_sel_hi:[1,0,1]
	v_pk_fma_f32 v[62:63], v[64:65], v[62:63], v[66:67] neg_lo:[0,0,1] neg_hi:[0,0,1]
	v_mov_b32_e32 v63, v69
	s_cbranch_execz .LBB28_79
	s_branch .LBB28_80
.LBB28_78:
                                        ; implicit-def: $vgpr62_vgpr63
.LBB28_79:
	ds_load_b64 v[62:63], v1
.LBB28_80:
	s_and_saveexec_b32 s16, s1
	s_cbranch_execz .LBB28_84
; %bb.81:
	v_subrev_nc_u32_e32 v64, 21, v0
	s_movk_i32 s1, 0xa8
	s_movk_i32 s18, 0x198
	s_mov_b32 s17, 0
.LBB28_82:                              ; =>This Inner Loop Header: Depth=1
	scratch_load_b64 v[66:67], off, s1
	v_dual_mov_b32 v65, s18 :: v_dual_add_nc_u32 v64, -1, v64
	s_add_co_i32 s18, s18, 8
	s_wait_xcnt 0x0
	s_add_co_i32 s1, s1, 8
	ds_load_b64 v[68:69], v65
	v_cmp_eq_u32_e32 vcc_lo, 0, v64
	s_or_b32 s17, vcc_lo, s17
	s_wait_loadcnt_dscnt 0x0
	v_pk_mul_f32 v[70:71], v[68:69], v[66:67] op_sel:[1,1] op_sel_hi:[0,1]
	s_delay_alu instid0(VALU_DEP_1) | instskip(SKIP_1) | instid1(VALU_DEP_2)
	v_pk_fma_f32 v[72:73], v[68:69], v[66:67], v[70:71] op_sel_hi:[1,0,1]
	v_pk_fma_f32 v[66:67], v[68:69], v[66:67], v[70:71] neg_lo:[0,0,1] neg_hi:[0,0,1]
	v_mov_b32_e32 v67, v73
	s_delay_alu instid0(VALU_DEP_1)
	v_pk_add_f32 v[62:63], v[62:63], v[66:67]
	s_and_not1_b32 exec_lo, exec_lo, s17
	s_cbranch_execnz .LBB28_82
; %bb.83:
	s_or_b32 exec_lo, exec_lo, s17
.LBB28_84:
	s_delay_alu instid0(SALU_CYCLE_1) | instskip(SKIP_4) | instid1(VALU_DEP_1)
	s_or_b32 exec_lo, exec_lo, s16
	v_mov_b32_e32 v64, 0
	ds_load_b64 v[64:65], v64 offset:160
	s_wait_dscnt 0x0
	v_pk_mul_f32 v[66:67], v[62:63], v[64:65] op_sel:[1,1] op_sel_hi:[0,1]
	v_pk_fma_f32 v[68:69], v[62:63], v[64:65], v[66:67] op_sel_hi:[1,0,1]
	v_pk_fma_f32 v[62:63], v[62:63], v[64:65], v[66:67] neg_lo:[0,0,1] neg_hi:[0,0,1]
	s_delay_alu instid0(VALU_DEP_2)
	v_mov_b32_e32 v63, v69
	scratch_store_b64 off, v[62:63], off offset:160
.LBB28_85:
	s_wait_xcnt 0x0
	s_or_b32 exec_lo, exec_lo, s2
	scratch_load_b64 v[62:63], off, off offset:152
	v_cmp_lt_u32_e64 s1, 19, v0
	s_wait_loadcnt 0x0
	ds_store_b64 v1, v[62:63]
	s_wait_storecnt_dscnt 0x0
	s_barrier_signal -1
	s_barrier_wait -1
	s_wait_xcnt 0x0
	s_and_saveexec_b32 s2, s1
	s_cbranch_execz .LBB28_95
; %bb.86:
	s_and_not1_b32 vcc_lo, exec_lo, s3
	s_cbranch_vccnz .LBB28_88
; %bb.87:
	scratch_load_b64 v[62:63], v39, off
	ds_load_b64 v[64:65], v1
	s_wait_loadcnt_dscnt 0x0
	v_pk_mul_f32 v[66:67], v[64:65], v[62:63] op_sel:[1,1] op_sel_hi:[0,1]
	s_delay_alu instid0(VALU_DEP_1) | instskip(SKIP_1) | instid1(VALU_DEP_2)
	v_pk_fma_f32 v[68:69], v[64:65], v[62:63], v[66:67] op_sel_hi:[1,0,1]
	v_pk_fma_f32 v[62:63], v[64:65], v[62:63], v[66:67] neg_lo:[0,0,1] neg_hi:[0,0,1]
	v_mov_b32_e32 v63, v69
	s_cbranch_execz .LBB28_89
	s_branch .LBB28_90
.LBB28_88:
                                        ; implicit-def: $vgpr62_vgpr63
.LBB28_89:
	ds_load_b64 v[62:63], v1
.LBB28_90:
	s_and_saveexec_b32 s16, s0
	s_cbranch_execz .LBB28_94
; %bb.91:
	v_subrev_nc_u32_e32 v64, 20, v0
	s_movk_i32 s17, 0x190
	s_mov_b32 s0, 0
.LBB28_92:                              ; =>This Inner Loop Header: Depth=1
	scratch_load_b64 v[66:67], off, s15
	v_dual_mov_b32 v65, s17 :: v_dual_add_nc_u32 v64, -1, v64
	s_add_co_i32 s17, s17, 8
	s_wait_xcnt 0x0
	s_add_co_i32 s15, s15, 8
	ds_load_b64 v[68:69], v65
	v_cmp_eq_u32_e32 vcc_lo, 0, v64
	s_or_b32 s0, vcc_lo, s0
	s_wait_loadcnt_dscnt 0x0
	v_pk_mul_f32 v[70:71], v[68:69], v[66:67] op_sel:[1,1] op_sel_hi:[0,1]
	s_delay_alu instid0(VALU_DEP_1) | instskip(SKIP_1) | instid1(VALU_DEP_2)
	v_pk_fma_f32 v[72:73], v[68:69], v[66:67], v[70:71] op_sel_hi:[1,0,1]
	v_pk_fma_f32 v[66:67], v[68:69], v[66:67], v[70:71] neg_lo:[0,0,1] neg_hi:[0,0,1]
	v_mov_b32_e32 v67, v73
	s_delay_alu instid0(VALU_DEP_1)
	v_pk_add_f32 v[62:63], v[62:63], v[66:67]
	s_and_not1_b32 exec_lo, exec_lo, s0
	s_cbranch_execnz .LBB28_92
; %bb.93:
	s_or_b32 exec_lo, exec_lo, s0
.LBB28_94:
	s_delay_alu instid0(SALU_CYCLE_1) | instskip(SKIP_4) | instid1(VALU_DEP_1)
	s_or_b32 exec_lo, exec_lo, s16
	v_mov_b32_e32 v64, 0
	ds_load_b64 v[64:65], v64 offset:152
	s_wait_dscnt 0x0
	v_pk_mul_f32 v[66:67], v[62:63], v[64:65] op_sel:[1,1] op_sel_hi:[0,1]
	v_pk_fma_f32 v[68:69], v[62:63], v[64:65], v[66:67] op_sel_hi:[1,0,1]
	v_pk_fma_f32 v[62:63], v[62:63], v[64:65], v[66:67] neg_lo:[0,0,1] neg_hi:[0,0,1]
	s_delay_alu instid0(VALU_DEP_2)
	v_mov_b32_e32 v63, v69
	scratch_store_b64 off, v[62:63], off offset:152
.LBB28_95:
	s_wait_xcnt 0x0
	s_or_b32 exec_lo, exec_lo, s2
	scratch_load_b64 v[62:63], off, off offset:144
	v_cmp_lt_u32_e64 s0, 18, v0
	s_wait_loadcnt 0x0
	ds_store_b64 v1, v[62:63]
	s_wait_storecnt_dscnt 0x0
	s_barrier_signal -1
	s_barrier_wait -1
	s_wait_xcnt 0x0
	s_and_saveexec_b32 s2, s0
	s_cbranch_execz .LBB28_105
; %bb.96:
	s_and_not1_b32 vcc_lo, exec_lo, s3
	s_cbranch_vccnz .LBB28_98
; %bb.97:
	scratch_load_b64 v[62:63], v39, off
	ds_load_b64 v[64:65], v1
	s_wait_loadcnt_dscnt 0x0
	v_pk_mul_f32 v[66:67], v[64:65], v[62:63] op_sel:[1,1] op_sel_hi:[0,1]
	s_delay_alu instid0(VALU_DEP_1) | instskip(SKIP_1) | instid1(VALU_DEP_2)
	v_pk_fma_f32 v[68:69], v[64:65], v[62:63], v[66:67] op_sel_hi:[1,0,1]
	v_pk_fma_f32 v[62:63], v[64:65], v[62:63], v[66:67] neg_lo:[0,0,1] neg_hi:[0,0,1]
	v_mov_b32_e32 v63, v69
	s_cbranch_execz .LBB28_99
	s_branch .LBB28_100
.LBB28_98:
                                        ; implicit-def: $vgpr62_vgpr63
.LBB28_99:
	ds_load_b64 v[62:63], v1
.LBB28_100:
	s_and_saveexec_b32 s15, s1
	s_cbranch_execz .LBB28_104
; %bb.101:
	v_subrev_nc_u32_e32 v64, 19, v0
	s_movk_i32 s1, 0x98
	s_movk_i32 s17, 0x188
	s_mov_b32 s16, 0
.LBB28_102:                             ; =>This Inner Loop Header: Depth=1
	scratch_load_b64 v[66:67], off, s1
	v_dual_mov_b32 v65, s17 :: v_dual_add_nc_u32 v64, -1, v64
	s_add_co_i32 s17, s17, 8
	s_wait_xcnt 0x0
	s_add_co_i32 s1, s1, 8
	ds_load_b64 v[68:69], v65
	v_cmp_eq_u32_e32 vcc_lo, 0, v64
	s_or_b32 s16, vcc_lo, s16
	s_wait_loadcnt_dscnt 0x0
	v_pk_mul_f32 v[70:71], v[68:69], v[66:67] op_sel:[1,1] op_sel_hi:[0,1]
	s_delay_alu instid0(VALU_DEP_1) | instskip(SKIP_1) | instid1(VALU_DEP_2)
	v_pk_fma_f32 v[72:73], v[68:69], v[66:67], v[70:71] op_sel_hi:[1,0,1]
	v_pk_fma_f32 v[66:67], v[68:69], v[66:67], v[70:71] neg_lo:[0,0,1] neg_hi:[0,0,1]
	v_mov_b32_e32 v67, v73
	s_delay_alu instid0(VALU_DEP_1)
	v_pk_add_f32 v[62:63], v[62:63], v[66:67]
	s_and_not1_b32 exec_lo, exec_lo, s16
	s_cbranch_execnz .LBB28_102
; %bb.103:
	s_or_b32 exec_lo, exec_lo, s16
.LBB28_104:
	s_delay_alu instid0(SALU_CYCLE_1) | instskip(SKIP_4) | instid1(VALU_DEP_1)
	s_or_b32 exec_lo, exec_lo, s15
	v_mov_b32_e32 v64, 0
	ds_load_b64 v[64:65], v64 offset:144
	s_wait_dscnt 0x0
	v_pk_mul_f32 v[66:67], v[62:63], v[64:65] op_sel:[1,1] op_sel_hi:[0,1]
	v_pk_fma_f32 v[68:69], v[62:63], v[64:65], v[66:67] op_sel_hi:[1,0,1]
	v_pk_fma_f32 v[62:63], v[62:63], v[64:65], v[66:67] neg_lo:[0,0,1] neg_hi:[0,0,1]
	s_delay_alu instid0(VALU_DEP_2)
	v_mov_b32_e32 v63, v69
	scratch_store_b64 off, v[62:63], off offset:144
.LBB28_105:
	s_wait_xcnt 0x0
	s_or_b32 exec_lo, exec_lo, s2
	scratch_load_b64 v[62:63], off, off offset:136
	v_cmp_lt_u32_e64 s1, 17, v0
	s_wait_loadcnt 0x0
	ds_store_b64 v1, v[62:63]
	s_wait_storecnt_dscnt 0x0
	s_barrier_signal -1
	s_barrier_wait -1
	s_wait_xcnt 0x0
	s_and_saveexec_b32 s2, s1
	s_cbranch_execz .LBB28_115
; %bb.106:
	s_and_not1_b32 vcc_lo, exec_lo, s3
	s_cbranch_vccnz .LBB28_108
; %bb.107:
	scratch_load_b64 v[62:63], v39, off
	ds_load_b64 v[64:65], v1
	s_wait_loadcnt_dscnt 0x0
	v_pk_mul_f32 v[66:67], v[64:65], v[62:63] op_sel:[1,1] op_sel_hi:[0,1]
	s_delay_alu instid0(VALU_DEP_1) | instskip(SKIP_1) | instid1(VALU_DEP_2)
	v_pk_fma_f32 v[68:69], v[64:65], v[62:63], v[66:67] op_sel_hi:[1,0,1]
	v_pk_fma_f32 v[62:63], v[64:65], v[62:63], v[66:67] neg_lo:[0,0,1] neg_hi:[0,0,1]
	v_mov_b32_e32 v63, v69
	s_cbranch_execz .LBB28_109
	s_branch .LBB28_110
.LBB28_108:
                                        ; implicit-def: $vgpr62_vgpr63
.LBB28_109:
	ds_load_b64 v[62:63], v1
.LBB28_110:
	s_and_saveexec_b32 s15, s0
	s_cbranch_execz .LBB28_114
; %bb.111:
	v_subrev_nc_u32_e32 v64, 18, v0
	s_movk_i32 s16, 0x180
	s_mov_b32 s0, 0
.LBB28_112:                             ; =>This Inner Loop Header: Depth=1
	scratch_load_b64 v[66:67], off, s14
	v_dual_mov_b32 v65, s16 :: v_dual_add_nc_u32 v64, -1, v64
	s_add_co_i32 s16, s16, 8
	s_wait_xcnt 0x0
	s_add_co_i32 s14, s14, 8
	ds_load_b64 v[68:69], v65
	v_cmp_eq_u32_e32 vcc_lo, 0, v64
	s_or_b32 s0, vcc_lo, s0
	s_wait_loadcnt_dscnt 0x0
	v_pk_mul_f32 v[70:71], v[68:69], v[66:67] op_sel:[1,1] op_sel_hi:[0,1]
	s_delay_alu instid0(VALU_DEP_1) | instskip(SKIP_1) | instid1(VALU_DEP_2)
	v_pk_fma_f32 v[72:73], v[68:69], v[66:67], v[70:71] op_sel_hi:[1,0,1]
	v_pk_fma_f32 v[66:67], v[68:69], v[66:67], v[70:71] neg_lo:[0,0,1] neg_hi:[0,0,1]
	v_mov_b32_e32 v67, v73
	s_delay_alu instid0(VALU_DEP_1)
	v_pk_add_f32 v[62:63], v[62:63], v[66:67]
	s_and_not1_b32 exec_lo, exec_lo, s0
	s_cbranch_execnz .LBB28_112
; %bb.113:
	s_or_b32 exec_lo, exec_lo, s0
.LBB28_114:
	s_delay_alu instid0(SALU_CYCLE_1) | instskip(SKIP_4) | instid1(VALU_DEP_1)
	s_or_b32 exec_lo, exec_lo, s15
	v_mov_b32_e32 v64, 0
	ds_load_b64 v[64:65], v64 offset:136
	s_wait_dscnt 0x0
	v_pk_mul_f32 v[66:67], v[62:63], v[64:65] op_sel:[1,1] op_sel_hi:[0,1]
	v_pk_fma_f32 v[68:69], v[62:63], v[64:65], v[66:67] op_sel_hi:[1,0,1]
	v_pk_fma_f32 v[62:63], v[62:63], v[64:65], v[66:67] neg_lo:[0,0,1] neg_hi:[0,0,1]
	s_delay_alu instid0(VALU_DEP_2)
	v_mov_b32_e32 v63, v69
	scratch_store_b64 off, v[62:63], off offset:136
.LBB28_115:
	s_wait_xcnt 0x0
	s_or_b32 exec_lo, exec_lo, s2
	scratch_load_b64 v[62:63], off, off offset:128
	v_cmp_lt_u32_e64 s0, 16, v0
	s_wait_loadcnt 0x0
	ds_store_b64 v1, v[62:63]
	s_wait_storecnt_dscnt 0x0
	s_barrier_signal -1
	s_barrier_wait -1
	s_wait_xcnt 0x0
	s_and_saveexec_b32 s2, s0
	s_cbranch_execz .LBB28_125
; %bb.116:
	s_and_not1_b32 vcc_lo, exec_lo, s3
	s_cbranch_vccnz .LBB28_118
; %bb.117:
	scratch_load_b64 v[62:63], v39, off
	ds_load_b64 v[64:65], v1
	s_wait_loadcnt_dscnt 0x0
	v_pk_mul_f32 v[66:67], v[64:65], v[62:63] op_sel:[1,1] op_sel_hi:[0,1]
	s_delay_alu instid0(VALU_DEP_1) | instskip(SKIP_1) | instid1(VALU_DEP_2)
	v_pk_fma_f32 v[68:69], v[64:65], v[62:63], v[66:67] op_sel_hi:[1,0,1]
	v_pk_fma_f32 v[62:63], v[64:65], v[62:63], v[66:67] neg_lo:[0,0,1] neg_hi:[0,0,1]
	v_mov_b32_e32 v63, v69
	s_cbranch_execz .LBB28_119
	s_branch .LBB28_120
.LBB28_118:
                                        ; implicit-def: $vgpr62_vgpr63
.LBB28_119:
	ds_load_b64 v[62:63], v1
.LBB28_120:
	s_and_saveexec_b32 s14, s1
	s_cbranch_execz .LBB28_124
; %bb.121:
	v_subrev_nc_u32_e32 v64, 17, v0
	s_movk_i32 s1, 0x88
	s_movk_i32 s16, 0x178
	s_mov_b32 s15, 0
.LBB28_122:                             ; =>This Inner Loop Header: Depth=1
	scratch_load_b64 v[66:67], off, s1
	v_dual_mov_b32 v65, s16 :: v_dual_add_nc_u32 v64, -1, v64
	s_add_co_i32 s16, s16, 8
	s_wait_xcnt 0x0
	s_add_co_i32 s1, s1, 8
	ds_load_b64 v[68:69], v65
	v_cmp_eq_u32_e32 vcc_lo, 0, v64
	s_or_b32 s15, vcc_lo, s15
	s_wait_loadcnt_dscnt 0x0
	v_pk_mul_f32 v[70:71], v[68:69], v[66:67] op_sel:[1,1] op_sel_hi:[0,1]
	s_delay_alu instid0(VALU_DEP_1) | instskip(SKIP_1) | instid1(VALU_DEP_2)
	v_pk_fma_f32 v[72:73], v[68:69], v[66:67], v[70:71] op_sel_hi:[1,0,1]
	v_pk_fma_f32 v[66:67], v[68:69], v[66:67], v[70:71] neg_lo:[0,0,1] neg_hi:[0,0,1]
	v_mov_b32_e32 v67, v73
	s_delay_alu instid0(VALU_DEP_1)
	v_pk_add_f32 v[62:63], v[62:63], v[66:67]
	s_and_not1_b32 exec_lo, exec_lo, s15
	s_cbranch_execnz .LBB28_122
; %bb.123:
	s_or_b32 exec_lo, exec_lo, s15
.LBB28_124:
	s_delay_alu instid0(SALU_CYCLE_1) | instskip(SKIP_4) | instid1(VALU_DEP_1)
	s_or_b32 exec_lo, exec_lo, s14
	v_mov_b32_e32 v64, 0
	ds_load_b64 v[64:65], v64 offset:128
	s_wait_dscnt 0x0
	v_pk_mul_f32 v[66:67], v[62:63], v[64:65] op_sel:[1,1] op_sel_hi:[0,1]
	v_pk_fma_f32 v[68:69], v[62:63], v[64:65], v[66:67] op_sel_hi:[1,0,1]
	v_pk_fma_f32 v[62:63], v[62:63], v[64:65], v[66:67] neg_lo:[0,0,1] neg_hi:[0,0,1]
	s_delay_alu instid0(VALU_DEP_2)
	v_mov_b32_e32 v63, v69
	scratch_store_b64 off, v[62:63], off offset:128
.LBB28_125:
	s_wait_xcnt 0x0
	s_or_b32 exec_lo, exec_lo, s2
	scratch_load_b64 v[62:63], off, off offset:120
	v_cmp_lt_u32_e64 s1, 15, v0
	s_wait_loadcnt 0x0
	ds_store_b64 v1, v[62:63]
	s_wait_storecnt_dscnt 0x0
	s_barrier_signal -1
	s_barrier_wait -1
	s_wait_xcnt 0x0
	s_and_saveexec_b32 s2, s1
	s_cbranch_execz .LBB28_135
; %bb.126:
	s_and_not1_b32 vcc_lo, exec_lo, s3
	s_cbranch_vccnz .LBB28_128
; %bb.127:
	scratch_load_b64 v[62:63], v39, off
	ds_load_b64 v[64:65], v1
	s_wait_loadcnt_dscnt 0x0
	v_pk_mul_f32 v[66:67], v[64:65], v[62:63] op_sel:[1,1] op_sel_hi:[0,1]
	s_delay_alu instid0(VALU_DEP_1) | instskip(SKIP_1) | instid1(VALU_DEP_2)
	v_pk_fma_f32 v[68:69], v[64:65], v[62:63], v[66:67] op_sel_hi:[1,0,1]
	v_pk_fma_f32 v[62:63], v[64:65], v[62:63], v[66:67] neg_lo:[0,0,1] neg_hi:[0,0,1]
	v_mov_b32_e32 v63, v69
	s_cbranch_execz .LBB28_129
	s_branch .LBB28_130
.LBB28_128:
                                        ; implicit-def: $vgpr62_vgpr63
.LBB28_129:
	ds_load_b64 v[62:63], v1
.LBB28_130:
	s_and_saveexec_b32 s14, s0
	s_cbranch_execz .LBB28_134
; %bb.131:
	v_add_nc_u32_e32 v64, -16, v0
	s_movk_i32 s15, 0x170
	s_mov_b32 s0, 0
.LBB28_132:                             ; =>This Inner Loop Header: Depth=1
	scratch_load_b64 v[66:67], off, s13
	v_dual_mov_b32 v65, s15 :: v_dual_add_nc_u32 v64, -1, v64
	s_add_co_i32 s15, s15, 8
	s_wait_xcnt 0x0
	s_add_co_i32 s13, s13, 8
	ds_load_b64 v[68:69], v65
	v_cmp_eq_u32_e32 vcc_lo, 0, v64
	s_or_b32 s0, vcc_lo, s0
	s_wait_loadcnt_dscnt 0x0
	v_pk_mul_f32 v[70:71], v[68:69], v[66:67] op_sel:[1,1] op_sel_hi:[0,1]
	s_delay_alu instid0(VALU_DEP_1) | instskip(SKIP_1) | instid1(VALU_DEP_2)
	v_pk_fma_f32 v[72:73], v[68:69], v[66:67], v[70:71] op_sel_hi:[1,0,1]
	v_pk_fma_f32 v[66:67], v[68:69], v[66:67], v[70:71] neg_lo:[0,0,1] neg_hi:[0,0,1]
	v_mov_b32_e32 v67, v73
	s_delay_alu instid0(VALU_DEP_1)
	v_pk_add_f32 v[62:63], v[62:63], v[66:67]
	s_and_not1_b32 exec_lo, exec_lo, s0
	s_cbranch_execnz .LBB28_132
; %bb.133:
	s_or_b32 exec_lo, exec_lo, s0
.LBB28_134:
	s_delay_alu instid0(SALU_CYCLE_1) | instskip(SKIP_4) | instid1(VALU_DEP_1)
	s_or_b32 exec_lo, exec_lo, s14
	v_mov_b32_e32 v64, 0
	ds_load_b64 v[64:65], v64 offset:120
	s_wait_dscnt 0x0
	v_pk_mul_f32 v[66:67], v[62:63], v[64:65] op_sel:[1,1] op_sel_hi:[0,1]
	v_pk_fma_f32 v[68:69], v[62:63], v[64:65], v[66:67] op_sel_hi:[1,0,1]
	v_pk_fma_f32 v[62:63], v[62:63], v[64:65], v[66:67] neg_lo:[0,0,1] neg_hi:[0,0,1]
	s_delay_alu instid0(VALU_DEP_2)
	v_mov_b32_e32 v63, v69
	scratch_store_b64 off, v[62:63], off offset:120
.LBB28_135:
	s_wait_xcnt 0x0
	s_or_b32 exec_lo, exec_lo, s2
	scratch_load_b64 v[62:63], off, off offset:112
	v_cmp_lt_u32_e64 s0, 14, v0
	s_wait_loadcnt 0x0
	ds_store_b64 v1, v[62:63]
	s_wait_storecnt_dscnt 0x0
	s_barrier_signal -1
	s_barrier_wait -1
	s_wait_xcnt 0x0
	s_and_saveexec_b32 s2, s0
	s_cbranch_execz .LBB28_145
; %bb.136:
	s_and_not1_b32 vcc_lo, exec_lo, s3
	s_cbranch_vccnz .LBB28_138
; %bb.137:
	scratch_load_b64 v[62:63], v39, off
	ds_load_b64 v[64:65], v1
	s_wait_loadcnt_dscnt 0x0
	v_pk_mul_f32 v[66:67], v[64:65], v[62:63] op_sel:[1,1] op_sel_hi:[0,1]
	s_delay_alu instid0(VALU_DEP_1) | instskip(SKIP_1) | instid1(VALU_DEP_2)
	v_pk_fma_f32 v[68:69], v[64:65], v[62:63], v[66:67] op_sel_hi:[1,0,1]
	v_pk_fma_f32 v[62:63], v[64:65], v[62:63], v[66:67] neg_lo:[0,0,1] neg_hi:[0,0,1]
	v_mov_b32_e32 v63, v69
	s_cbranch_execz .LBB28_139
	s_branch .LBB28_140
.LBB28_138:
                                        ; implicit-def: $vgpr62_vgpr63
.LBB28_139:
	ds_load_b64 v[62:63], v1
.LBB28_140:
	s_and_saveexec_b32 s13, s1
	s_cbranch_execz .LBB28_144
; %bb.141:
	v_add_nc_u32_e32 v64, -15, v0
	s_movk_i32 s1, 0x78
	s_movk_i32 s15, 0x168
	s_mov_b32 s14, 0
.LBB28_142:                             ; =>This Inner Loop Header: Depth=1
	scratch_load_b64 v[66:67], off, s1
	v_dual_mov_b32 v65, s15 :: v_dual_add_nc_u32 v64, -1, v64
	s_add_co_i32 s15, s15, 8
	s_wait_xcnt 0x0
	s_add_co_i32 s1, s1, 8
	ds_load_b64 v[68:69], v65
	v_cmp_eq_u32_e32 vcc_lo, 0, v64
	s_or_b32 s14, vcc_lo, s14
	s_wait_loadcnt_dscnt 0x0
	v_pk_mul_f32 v[70:71], v[68:69], v[66:67] op_sel:[1,1] op_sel_hi:[0,1]
	s_delay_alu instid0(VALU_DEP_1) | instskip(SKIP_1) | instid1(VALU_DEP_2)
	v_pk_fma_f32 v[72:73], v[68:69], v[66:67], v[70:71] op_sel_hi:[1,0,1]
	v_pk_fma_f32 v[66:67], v[68:69], v[66:67], v[70:71] neg_lo:[0,0,1] neg_hi:[0,0,1]
	v_mov_b32_e32 v67, v73
	s_delay_alu instid0(VALU_DEP_1)
	v_pk_add_f32 v[62:63], v[62:63], v[66:67]
	s_and_not1_b32 exec_lo, exec_lo, s14
	s_cbranch_execnz .LBB28_142
; %bb.143:
	s_or_b32 exec_lo, exec_lo, s14
.LBB28_144:
	s_delay_alu instid0(SALU_CYCLE_1) | instskip(SKIP_4) | instid1(VALU_DEP_1)
	s_or_b32 exec_lo, exec_lo, s13
	v_mov_b32_e32 v64, 0
	ds_load_b64 v[64:65], v64 offset:112
	s_wait_dscnt 0x0
	v_pk_mul_f32 v[66:67], v[62:63], v[64:65] op_sel:[1,1] op_sel_hi:[0,1]
	v_pk_fma_f32 v[68:69], v[62:63], v[64:65], v[66:67] op_sel_hi:[1,0,1]
	v_pk_fma_f32 v[62:63], v[62:63], v[64:65], v[66:67] neg_lo:[0,0,1] neg_hi:[0,0,1]
	s_delay_alu instid0(VALU_DEP_2)
	v_mov_b32_e32 v63, v69
	scratch_store_b64 off, v[62:63], off offset:112
.LBB28_145:
	s_wait_xcnt 0x0
	s_or_b32 exec_lo, exec_lo, s2
	scratch_load_b64 v[62:63], off, off offset:104
	v_cmp_lt_u32_e64 s1, 13, v0
	s_wait_loadcnt 0x0
	ds_store_b64 v1, v[62:63]
	s_wait_storecnt_dscnt 0x0
	s_barrier_signal -1
	s_barrier_wait -1
	s_wait_xcnt 0x0
	s_and_saveexec_b32 s2, s1
	s_cbranch_execz .LBB28_155
; %bb.146:
	s_and_not1_b32 vcc_lo, exec_lo, s3
	s_cbranch_vccnz .LBB28_148
; %bb.147:
	scratch_load_b64 v[62:63], v39, off
	ds_load_b64 v[64:65], v1
	s_wait_loadcnt_dscnt 0x0
	v_pk_mul_f32 v[66:67], v[64:65], v[62:63] op_sel:[1,1] op_sel_hi:[0,1]
	s_delay_alu instid0(VALU_DEP_1) | instskip(SKIP_1) | instid1(VALU_DEP_2)
	v_pk_fma_f32 v[68:69], v[64:65], v[62:63], v[66:67] op_sel_hi:[1,0,1]
	v_pk_fma_f32 v[62:63], v[64:65], v[62:63], v[66:67] neg_lo:[0,0,1] neg_hi:[0,0,1]
	v_mov_b32_e32 v63, v69
	s_cbranch_execz .LBB28_149
	s_branch .LBB28_150
.LBB28_148:
                                        ; implicit-def: $vgpr62_vgpr63
.LBB28_149:
	ds_load_b64 v[62:63], v1
.LBB28_150:
	s_and_saveexec_b32 s13, s0
	s_cbranch_execz .LBB28_154
; %bb.151:
	v_add_nc_u32_e32 v64, -14, v0
	s_movk_i32 s14, 0x160
	s_mov_b32 s0, 0
.LBB28_152:                             ; =>This Inner Loop Header: Depth=1
	scratch_load_b64 v[66:67], off, s12
	v_dual_mov_b32 v65, s14 :: v_dual_add_nc_u32 v64, -1, v64
	s_add_co_i32 s14, s14, 8
	s_wait_xcnt 0x0
	s_add_co_i32 s12, s12, 8
	ds_load_b64 v[68:69], v65
	v_cmp_eq_u32_e32 vcc_lo, 0, v64
	s_or_b32 s0, vcc_lo, s0
	s_wait_loadcnt_dscnt 0x0
	v_pk_mul_f32 v[70:71], v[68:69], v[66:67] op_sel:[1,1] op_sel_hi:[0,1]
	s_delay_alu instid0(VALU_DEP_1) | instskip(SKIP_1) | instid1(VALU_DEP_2)
	v_pk_fma_f32 v[72:73], v[68:69], v[66:67], v[70:71] op_sel_hi:[1,0,1]
	v_pk_fma_f32 v[66:67], v[68:69], v[66:67], v[70:71] neg_lo:[0,0,1] neg_hi:[0,0,1]
	v_mov_b32_e32 v67, v73
	s_delay_alu instid0(VALU_DEP_1)
	v_pk_add_f32 v[62:63], v[62:63], v[66:67]
	s_and_not1_b32 exec_lo, exec_lo, s0
	s_cbranch_execnz .LBB28_152
; %bb.153:
	s_or_b32 exec_lo, exec_lo, s0
.LBB28_154:
	s_delay_alu instid0(SALU_CYCLE_1) | instskip(SKIP_4) | instid1(VALU_DEP_1)
	s_or_b32 exec_lo, exec_lo, s13
	v_mov_b32_e32 v64, 0
	ds_load_b64 v[64:65], v64 offset:104
	s_wait_dscnt 0x0
	v_pk_mul_f32 v[66:67], v[62:63], v[64:65] op_sel:[1,1] op_sel_hi:[0,1]
	v_pk_fma_f32 v[68:69], v[62:63], v[64:65], v[66:67] op_sel_hi:[1,0,1]
	v_pk_fma_f32 v[62:63], v[62:63], v[64:65], v[66:67] neg_lo:[0,0,1] neg_hi:[0,0,1]
	s_delay_alu instid0(VALU_DEP_2)
	v_mov_b32_e32 v63, v69
	scratch_store_b64 off, v[62:63], off offset:104
.LBB28_155:
	s_wait_xcnt 0x0
	s_or_b32 exec_lo, exec_lo, s2
	scratch_load_b64 v[62:63], off, off offset:96
	v_cmp_lt_u32_e64 s0, 12, v0
	s_wait_loadcnt 0x0
	ds_store_b64 v1, v[62:63]
	s_wait_storecnt_dscnt 0x0
	s_barrier_signal -1
	s_barrier_wait -1
	s_wait_xcnt 0x0
	s_and_saveexec_b32 s2, s0
	s_cbranch_execz .LBB28_165
; %bb.156:
	s_and_not1_b32 vcc_lo, exec_lo, s3
	s_cbranch_vccnz .LBB28_158
; %bb.157:
	scratch_load_b64 v[62:63], v39, off
	ds_load_b64 v[64:65], v1
	s_wait_loadcnt_dscnt 0x0
	v_pk_mul_f32 v[66:67], v[64:65], v[62:63] op_sel:[1,1] op_sel_hi:[0,1]
	s_delay_alu instid0(VALU_DEP_1) | instskip(SKIP_1) | instid1(VALU_DEP_2)
	v_pk_fma_f32 v[68:69], v[64:65], v[62:63], v[66:67] op_sel_hi:[1,0,1]
	v_pk_fma_f32 v[62:63], v[64:65], v[62:63], v[66:67] neg_lo:[0,0,1] neg_hi:[0,0,1]
	v_mov_b32_e32 v63, v69
	s_cbranch_execz .LBB28_159
	s_branch .LBB28_160
.LBB28_158:
                                        ; implicit-def: $vgpr62_vgpr63
.LBB28_159:
	ds_load_b64 v[62:63], v1
.LBB28_160:
	s_and_saveexec_b32 s12, s1
	s_cbranch_execz .LBB28_164
; %bb.161:
	v_add_nc_u32_e32 v64, -13, v0
	s_movk_i32 s1, 0x68
	s_movk_i32 s14, 0x158
	s_mov_b32 s13, 0
.LBB28_162:                             ; =>This Inner Loop Header: Depth=1
	scratch_load_b64 v[66:67], off, s1
	v_dual_mov_b32 v65, s14 :: v_dual_add_nc_u32 v64, -1, v64
	s_add_co_i32 s14, s14, 8
	s_wait_xcnt 0x0
	s_add_co_i32 s1, s1, 8
	ds_load_b64 v[68:69], v65
	v_cmp_eq_u32_e32 vcc_lo, 0, v64
	s_or_b32 s13, vcc_lo, s13
	s_wait_loadcnt_dscnt 0x0
	v_pk_mul_f32 v[70:71], v[68:69], v[66:67] op_sel:[1,1] op_sel_hi:[0,1]
	s_delay_alu instid0(VALU_DEP_1) | instskip(SKIP_1) | instid1(VALU_DEP_2)
	v_pk_fma_f32 v[72:73], v[68:69], v[66:67], v[70:71] op_sel_hi:[1,0,1]
	v_pk_fma_f32 v[66:67], v[68:69], v[66:67], v[70:71] neg_lo:[0,0,1] neg_hi:[0,0,1]
	v_mov_b32_e32 v67, v73
	s_delay_alu instid0(VALU_DEP_1)
	v_pk_add_f32 v[62:63], v[62:63], v[66:67]
	s_and_not1_b32 exec_lo, exec_lo, s13
	s_cbranch_execnz .LBB28_162
; %bb.163:
	s_or_b32 exec_lo, exec_lo, s13
.LBB28_164:
	s_delay_alu instid0(SALU_CYCLE_1) | instskip(SKIP_4) | instid1(VALU_DEP_1)
	s_or_b32 exec_lo, exec_lo, s12
	v_mov_b32_e32 v64, 0
	ds_load_b64 v[64:65], v64 offset:96
	s_wait_dscnt 0x0
	v_pk_mul_f32 v[66:67], v[62:63], v[64:65] op_sel:[1,1] op_sel_hi:[0,1]
	v_pk_fma_f32 v[68:69], v[62:63], v[64:65], v[66:67] op_sel_hi:[1,0,1]
	v_pk_fma_f32 v[62:63], v[62:63], v[64:65], v[66:67] neg_lo:[0,0,1] neg_hi:[0,0,1]
	s_delay_alu instid0(VALU_DEP_2)
	v_mov_b32_e32 v63, v69
	scratch_store_b64 off, v[62:63], off offset:96
.LBB28_165:
	s_wait_xcnt 0x0
	s_or_b32 exec_lo, exec_lo, s2
	scratch_load_b64 v[62:63], off, off offset:88
	v_cmp_lt_u32_e64 s1, 11, v0
	s_wait_loadcnt 0x0
	ds_store_b64 v1, v[62:63]
	s_wait_storecnt_dscnt 0x0
	s_barrier_signal -1
	s_barrier_wait -1
	s_wait_xcnt 0x0
	s_and_saveexec_b32 s2, s1
	s_cbranch_execz .LBB28_175
; %bb.166:
	s_and_not1_b32 vcc_lo, exec_lo, s3
	s_cbranch_vccnz .LBB28_168
; %bb.167:
	scratch_load_b64 v[62:63], v39, off
	ds_load_b64 v[64:65], v1
	s_wait_loadcnt_dscnt 0x0
	v_pk_mul_f32 v[66:67], v[64:65], v[62:63] op_sel:[1,1] op_sel_hi:[0,1]
	s_delay_alu instid0(VALU_DEP_1) | instskip(SKIP_1) | instid1(VALU_DEP_2)
	v_pk_fma_f32 v[68:69], v[64:65], v[62:63], v[66:67] op_sel_hi:[1,0,1]
	v_pk_fma_f32 v[62:63], v[64:65], v[62:63], v[66:67] neg_lo:[0,0,1] neg_hi:[0,0,1]
	v_mov_b32_e32 v63, v69
	s_cbranch_execz .LBB28_169
	s_branch .LBB28_170
.LBB28_168:
                                        ; implicit-def: $vgpr62_vgpr63
.LBB28_169:
	ds_load_b64 v[62:63], v1
.LBB28_170:
	s_and_saveexec_b32 s12, s0
	s_cbranch_execz .LBB28_174
; %bb.171:
	v_add_nc_u32_e32 v64, -12, v0
	s_movk_i32 s13, 0x150
	s_mov_b32 s0, 0
.LBB28_172:                             ; =>This Inner Loop Header: Depth=1
	scratch_load_b64 v[66:67], off, s11
	v_dual_mov_b32 v65, s13 :: v_dual_add_nc_u32 v64, -1, v64
	s_add_co_i32 s13, s13, 8
	s_wait_xcnt 0x0
	s_add_co_i32 s11, s11, 8
	ds_load_b64 v[68:69], v65
	v_cmp_eq_u32_e32 vcc_lo, 0, v64
	s_or_b32 s0, vcc_lo, s0
	s_wait_loadcnt_dscnt 0x0
	v_pk_mul_f32 v[70:71], v[68:69], v[66:67] op_sel:[1,1] op_sel_hi:[0,1]
	s_delay_alu instid0(VALU_DEP_1) | instskip(SKIP_1) | instid1(VALU_DEP_2)
	v_pk_fma_f32 v[72:73], v[68:69], v[66:67], v[70:71] op_sel_hi:[1,0,1]
	v_pk_fma_f32 v[66:67], v[68:69], v[66:67], v[70:71] neg_lo:[0,0,1] neg_hi:[0,0,1]
	v_mov_b32_e32 v67, v73
	s_delay_alu instid0(VALU_DEP_1)
	v_pk_add_f32 v[62:63], v[62:63], v[66:67]
	s_and_not1_b32 exec_lo, exec_lo, s0
	s_cbranch_execnz .LBB28_172
; %bb.173:
	s_or_b32 exec_lo, exec_lo, s0
.LBB28_174:
	s_delay_alu instid0(SALU_CYCLE_1) | instskip(SKIP_4) | instid1(VALU_DEP_1)
	s_or_b32 exec_lo, exec_lo, s12
	v_mov_b32_e32 v64, 0
	ds_load_b64 v[64:65], v64 offset:88
	s_wait_dscnt 0x0
	v_pk_mul_f32 v[66:67], v[62:63], v[64:65] op_sel:[1,1] op_sel_hi:[0,1]
	v_pk_fma_f32 v[68:69], v[62:63], v[64:65], v[66:67] op_sel_hi:[1,0,1]
	v_pk_fma_f32 v[62:63], v[62:63], v[64:65], v[66:67] neg_lo:[0,0,1] neg_hi:[0,0,1]
	s_delay_alu instid0(VALU_DEP_2)
	v_mov_b32_e32 v63, v69
	scratch_store_b64 off, v[62:63], off offset:88
.LBB28_175:
	s_wait_xcnt 0x0
	s_or_b32 exec_lo, exec_lo, s2
	scratch_load_b64 v[62:63], off, off offset:80
	v_cmp_lt_u32_e64 s0, 10, v0
	s_wait_loadcnt 0x0
	ds_store_b64 v1, v[62:63]
	s_wait_storecnt_dscnt 0x0
	s_barrier_signal -1
	s_barrier_wait -1
	s_wait_xcnt 0x0
	s_and_saveexec_b32 s2, s0
	s_cbranch_execz .LBB28_185
; %bb.176:
	s_and_not1_b32 vcc_lo, exec_lo, s3
	s_cbranch_vccnz .LBB28_178
; %bb.177:
	scratch_load_b64 v[62:63], v39, off
	ds_load_b64 v[64:65], v1
	s_wait_loadcnt_dscnt 0x0
	v_pk_mul_f32 v[66:67], v[64:65], v[62:63] op_sel:[1,1] op_sel_hi:[0,1]
	s_delay_alu instid0(VALU_DEP_1) | instskip(SKIP_1) | instid1(VALU_DEP_2)
	v_pk_fma_f32 v[68:69], v[64:65], v[62:63], v[66:67] op_sel_hi:[1,0,1]
	v_pk_fma_f32 v[62:63], v[64:65], v[62:63], v[66:67] neg_lo:[0,0,1] neg_hi:[0,0,1]
	v_mov_b32_e32 v63, v69
	s_cbranch_execz .LBB28_179
	s_branch .LBB28_180
.LBB28_178:
                                        ; implicit-def: $vgpr62_vgpr63
.LBB28_179:
	ds_load_b64 v[62:63], v1
.LBB28_180:
	s_and_saveexec_b32 s11, s1
	s_cbranch_execz .LBB28_184
; %bb.181:
	v_add_nc_u32_e32 v64, -11, v0
	s_movk_i32 s1, 0x58
	s_movk_i32 s13, 0x148
	s_mov_b32 s12, 0
.LBB28_182:                             ; =>This Inner Loop Header: Depth=1
	scratch_load_b64 v[66:67], off, s1
	v_dual_mov_b32 v65, s13 :: v_dual_add_nc_u32 v64, -1, v64
	s_add_co_i32 s13, s13, 8
	s_wait_xcnt 0x0
	s_add_co_i32 s1, s1, 8
	ds_load_b64 v[68:69], v65
	v_cmp_eq_u32_e32 vcc_lo, 0, v64
	s_or_b32 s12, vcc_lo, s12
	s_wait_loadcnt_dscnt 0x0
	v_pk_mul_f32 v[70:71], v[68:69], v[66:67] op_sel:[1,1] op_sel_hi:[0,1]
	s_delay_alu instid0(VALU_DEP_1) | instskip(SKIP_1) | instid1(VALU_DEP_2)
	v_pk_fma_f32 v[72:73], v[68:69], v[66:67], v[70:71] op_sel_hi:[1,0,1]
	v_pk_fma_f32 v[66:67], v[68:69], v[66:67], v[70:71] neg_lo:[0,0,1] neg_hi:[0,0,1]
	v_mov_b32_e32 v67, v73
	s_delay_alu instid0(VALU_DEP_1)
	v_pk_add_f32 v[62:63], v[62:63], v[66:67]
	s_and_not1_b32 exec_lo, exec_lo, s12
	s_cbranch_execnz .LBB28_182
; %bb.183:
	s_or_b32 exec_lo, exec_lo, s12
.LBB28_184:
	s_delay_alu instid0(SALU_CYCLE_1) | instskip(SKIP_4) | instid1(VALU_DEP_1)
	s_or_b32 exec_lo, exec_lo, s11
	v_mov_b32_e32 v64, 0
	ds_load_b64 v[64:65], v64 offset:80
	s_wait_dscnt 0x0
	v_pk_mul_f32 v[66:67], v[62:63], v[64:65] op_sel:[1,1] op_sel_hi:[0,1]
	v_pk_fma_f32 v[68:69], v[62:63], v[64:65], v[66:67] op_sel_hi:[1,0,1]
	v_pk_fma_f32 v[62:63], v[62:63], v[64:65], v[66:67] neg_lo:[0,0,1] neg_hi:[0,0,1]
	s_delay_alu instid0(VALU_DEP_2)
	v_mov_b32_e32 v63, v69
	scratch_store_b64 off, v[62:63], off offset:80
.LBB28_185:
	s_wait_xcnt 0x0
	s_or_b32 exec_lo, exec_lo, s2
	scratch_load_b64 v[62:63], off, off offset:72
	v_cmp_lt_u32_e64 s1, 9, v0
	s_wait_loadcnt 0x0
	ds_store_b64 v1, v[62:63]
	s_wait_storecnt_dscnt 0x0
	s_barrier_signal -1
	s_barrier_wait -1
	s_wait_xcnt 0x0
	s_and_saveexec_b32 s2, s1
	s_cbranch_execz .LBB28_195
; %bb.186:
	s_and_not1_b32 vcc_lo, exec_lo, s3
	s_cbranch_vccnz .LBB28_188
; %bb.187:
	scratch_load_b64 v[62:63], v39, off
	ds_load_b64 v[64:65], v1
	s_wait_loadcnt_dscnt 0x0
	v_pk_mul_f32 v[66:67], v[64:65], v[62:63] op_sel:[1,1] op_sel_hi:[0,1]
	s_delay_alu instid0(VALU_DEP_1) | instskip(SKIP_1) | instid1(VALU_DEP_2)
	v_pk_fma_f32 v[68:69], v[64:65], v[62:63], v[66:67] op_sel_hi:[1,0,1]
	v_pk_fma_f32 v[62:63], v[64:65], v[62:63], v[66:67] neg_lo:[0,0,1] neg_hi:[0,0,1]
	v_mov_b32_e32 v63, v69
	s_cbranch_execz .LBB28_189
	s_branch .LBB28_190
.LBB28_188:
                                        ; implicit-def: $vgpr62_vgpr63
.LBB28_189:
	ds_load_b64 v[62:63], v1
.LBB28_190:
	s_and_saveexec_b32 s11, s0
	s_cbranch_execz .LBB28_194
; %bb.191:
	v_add_nc_u32_e32 v64, -10, v0
	s_movk_i32 s12, 0x140
	s_mov_b32 s0, 0
.LBB28_192:                             ; =>This Inner Loop Header: Depth=1
	scratch_load_b64 v[66:67], off, s10
	v_dual_mov_b32 v65, s12 :: v_dual_add_nc_u32 v64, -1, v64
	s_add_co_i32 s12, s12, 8
	s_wait_xcnt 0x0
	s_add_co_i32 s10, s10, 8
	ds_load_b64 v[68:69], v65
	v_cmp_eq_u32_e32 vcc_lo, 0, v64
	s_or_b32 s0, vcc_lo, s0
	s_wait_loadcnt_dscnt 0x0
	v_pk_mul_f32 v[70:71], v[68:69], v[66:67] op_sel:[1,1] op_sel_hi:[0,1]
	s_delay_alu instid0(VALU_DEP_1) | instskip(SKIP_1) | instid1(VALU_DEP_2)
	v_pk_fma_f32 v[72:73], v[68:69], v[66:67], v[70:71] op_sel_hi:[1,0,1]
	v_pk_fma_f32 v[66:67], v[68:69], v[66:67], v[70:71] neg_lo:[0,0,1] neg_hi:[0,0,1]
	v_mov_b32_e32 v67, v73
	s_delay_alu instid0(VALU_DEP_1)
	v_pk_add_f32 v[62:63], v[62:63], v[66:67]
	s_and_not1_b32 exec_lo, exec_lo, s0
	s_cbranch_execnz .LBB28_192
; %bb.193:
	s_or_b32 exec_lo, exec_lo, s0
.LBB28_194:
	s_delay_alu instid0(SALU_CYCLE_1) | instskip(SKIP_4) | instid1(VALU_DEP_1)
	s_or_b32 exec_lo, exec_lo, s11
	v_mov_b32_e32 v64, 0
	ds_load_b64 v[64:65], v64 offset:72
	s_wait_dscnt 0x0
	v_pk_mul_f32 v[66:67], v[62:63], v[64:65] op_sel:[1,1] op_sel_hi:[0,1]
	v_pk_fma_f32 v[68:69], v[62:63], v[64:65], v[66:67] op_sel_hi:[1,0,1]
	v_pk_fma_f32 v[62:63], v[62:63], v[64:65], v[66:67] neg_lo:[0,0,1] neg_hi:[0,0,1]
	s_delay_alu instid0(VALU_DEP_2)
	v_mov_b32_e32 v63, v69
	scratch_store_b64 off, v[62:63], off offset:72
.LBB28_195:
	s_wait_xcnt 0x0
	s_or_b32 exec_lo, exec_lo, s2
	scratch_load_b64 v[62:63], off, off offset:64
	v_cmp_lt_u32_e64 s0, 8, v0
	s_wait_loadcnt 0x0
	ds_store_b64 v1, v[62:63]
	s_wait_storecnt_dscnt 0x0
	s_barrier_signal -1
	s_barrier_wait -1
	s_wait_xcnt 0x0
	s_and_saveexec_b32 s2, s0
	s_cbranch_execz .LBB28_205
; %bb.196:
	s_and_not1_b32 vcc_lo, exec_lo, s3
	s_cbranch_vccnz .LBB28_198
; %bb.197:
	scratch_load_b64 v[62:63], v39, off
	ds_load_b64 v[64:65], v1
	s_wait_loadcnt_dscnt 0x0
	v_pk_mul_f32 v[66:67], v[64:65], v[62:63] op_sel:[1,1] op_sel_hi:[0,1]
	s_delay_alu instid0(VALU_DEP_1) | instskip(SKIP_1) | instid1(VALU_DEP_2)
	v_pk_fma_f32 v[68:69], v[64:65], v[62:63], v[66:67] op_sel_hi:[1,0,1]
	v_pk_fma_f32 v[62:63], v[64:65], v[62:63], v[66:67] neg_lo:[0,0,1] neg_hi:[0,0,1]
	v_mov_b32_e32 v63, v69
	s_cbranch_execz .LBB28_199
	s_branch .LBB28_200
.LBB28_198:
                                        ; implicit-def: $vgpr62_vgpr63
.LBB28_199:
	ds_load_b64 v[62:63], v1
.LBB28_200:
	s_and_saveexec_b32 s10, s1
	s_cbranch_execz .LBB28_204
; %bb.201:
	v_add_nc_u32_e32 v64, -9, v0
	s_movk_i32 s1, 0x48
	s_movk_i32 s12, 0x138
	s_mov_b32 s11, 0
.LBB28_202:                             ; =>This Inner Loop Header: Depth=1
	scratch_load_b64 v[66:67], off, s1
	v_dual_mov_b32 v65, s12 :: v_dual_add_nc_u32 v64, -1, v64
	s_add_co_i32 s12, s12, 8
	s_wait_xcnt 0x0
	s_add_co_i32 s1, s1, 8
	ds_load_b64 v[68:69], v65
	v_cmp_eq_u32_e32 vcc_lo, 0, v64
	s_or_b32 s11, vcc_lo, s11
	s_wait_loadcnt_dscnt 0x0
	v_pk_mul_f32 v[70:71], v[68:69], v[66:67] op_sel:[1,1] op_sel_hi:[0,1]
	s_delay_alu instid0(VALU_DEP_1) | instskip(SKIP_1) | instid1(VALU_DEP_2)
	v_pk_fma_f32 v[72:73], v[68:69], v[66:67], v[70:71] op_sel_hi:[1,0,1]
	v_pk_fma_f32 v[66:67], v[68:69], v[66:67], v[70:71] neg_lo:[0,0,1] neg_hi:[0,0,1]
	v_mov_b32_e32 v67, v73
	s_delay_alu instid0(VALU_DEP_1)
	v_pk_add_f32 v[62:63], v[62:63], v[66:67]
	s_and_not1_b32 exec_lo, exec_lo, s11
	s_cbranch_execnz .LBB28_202
; %bb.203:
	s_or_b32 exec_lo, exec_lo, s11
.LBB28_204:
	s_delay_alu instid0(SALU_CYCLE_1) | instskip(SKIP_4) | instid1(VALU_DEP_1)
	s_or_b32 exec_lo, exec_lo, s10
	v_mov_b32_e32 v64, 0
	ds_load_b64 v[64:65], v64 offset:64
	s_wait_dscnt 0x0
	v_pk_mul_f32 v[66:67], v[62:63], v[64:65] op_sel:[1,1] op_sel_hi:[0,1]
	v_pk_fma_f32 v[68:69], v[62:63], v[64:65], v[66:67] op_sel_hi:[1,0,1]
	v_pk_fma_f32 v[62:63], v[62:63], v[64:65], v[66:67] neg_lo:[0,0,1] neg_hi:[0,0,1]
	s_delay_alu instid0(VALU_DEP_2)
	v_mov_b32_e32 v63, v69
	scratch_store_b64 off, v[62:63], off offset:64
.LBB28_205:
	s_wait_xcnt 0x0
	s_or_b32 exec_lo, exec_lo, s2
	scratch_load_b64 v[62:63], off, off offset:56
	v_cmp_lt_u32_e64 s1, 7, v0
	s_wait_loadcnt 0x0
	ds_store_b64 v1, v[62:63]
	s_wait_storecnt_dscnt 0x0
	s_barrier_signal -1
	s_barrier_wait -1
	s_wait_xcnt 0x0
	s_and_saveexec_b32 s2, s1
	s_cbranch_execz .LBB28_215
; %bb.206:
	s_and_not1_b32 vcc_lo, exec_lo, s3
	s_cbranch_vccnz .LBB28_208
; %bb.207:
	scratch_load_b64 v[62:63], v39, off
	ds_load_b64 v[64:65], v1
	s_wait_loadcnt_dscnt 0x0
	v_pk_mul_f32 v[66:67], v[64:65], v[62:63] op_sel:[1,1] op_sel_hi:[0,1]
	s_delay_alu instid0(VALU_DEP_1) | instskip(SKIP_1) | instid1(VALU_DEP_2)
	v_pk_fma_f32 v[68:69], v[64:65], v[62:63], v[66:67] op_sel_hi:[1,0,1]
	v_pk_fma_f32 v[62:63], v[64:65], v[62:63], v[66:67] neg_lo:[0,0,1] neg_hi:[0,0,1]
	v_mov_b32_e32 v63, v69
	s_cbranch_execz .LBB28_209
	s_branch .LBB28_210
.LBB28_208:
                                        ; implicit-def: $vgpr62_vgpr63
.LBB28_209:
	ds_load_b64 v[62:63], v1
.LBB28_210:
	s_and_saveexec_b32 s10, s0
	s_cbranch_execz .LBB28_214
; %bb.211:
	v_add_nc_u32_e32 v64, -8, v0
	s_movk_i32 s11, 0x130
	s_mov_b32 s0, 0
.LBB28_212:                             ; =>This Inner Loop Header: Depth=1
	scratch_load_b64 v[66:67], off, s9
	v_dual_mov_b32 v65, s11 :: v_dual_add_nc_u32 v64, -1, v64
	s_add_co_i32 s11, s11, 8
	s_wait_xcnt 0x0
	s_add_co_i32 s9, s9, 8
	ds_load_b64 v[68:69], v65
	v_cmp_eq_u32_e32 vcc_lo, 0, v64
	s_or_b32 s0, vcc_lo, s0
	s_wait_loadcnt_dscnt 0x0
	v_pk_mul_f32 v[70:71], v[68:69], v[66:67] op_sel:[1,1] op_sel_hi:[0,1]
	s_delay_alu instid0(VALU_DEP_1) | instskip(SKIP_1) | instid1(VALU_DEP_2)
	v_pk_fma_f32 v[72:73], v[68:69], v[66:67], v[70:71] op_sel_hi:[1,0,1]
	v_pk_fma_f32 v[66:67], v[68:69], v[66:67], v[70:71] neg_lo:[0,0,1] neg_hi:[0,0,1]
	v_mov_b32_e32 v67, v73
	s_delay_alu instid0(VALU_DEP_1)
	v_pk_add_f32 v[62:63], v[62:63], v[66:67]
	s_and_not1_b32 exec_lo, exec_lo, s0
	s_cbranch_execnz .LBB28_212
; %bb.213:
	s_or_b32 exec_lo, exec_lo, s0
.LBB28_214:
	s_delay_alu instid0(SALU_CYCLE_1) | instskip(SKIP_4) | instid1(VALU_DEP_1)
	s_or_b32 exec_lo, exec_lo, s10
	v_mov_b32_e32 v64, 0
	ds_load_b64 v[64:65], v64 offset:56
	s_wait_dscnt 0x0
	v_pk_mul_f32 v[66:67], v[62:63], v[64:65] op_sel:[1,1] op_sel_hi:[0,1]
	v_pk_fma_f32 v[68:69], v[62:63], v[64:65], v[66:67] op_sel_hi:[1,0,1]
	v_pk_fma_f32 v[62:63], v[62:63], v[64:65], v[66:67] neg_lo:[0,0,1] neg_hi:[0,0,1]
	s_delay_alu instid0(VALU_DEP_2)
	v_mov_b32_e32 v63, v69
	scratch_store_b64 off, v[62:63], off offset:56
.LBB28_215:
	s_wait_xcnt 0x0
	s_or_b32 exec_lo, exec_lo, s2
	scratch_load_b64 v[62:63], off, off offset:48
	v_cmp_lt_u32_e64 s0, 6, v0
	s_wait_loadcnt 0x0
	ds_store_b64 v1, v[62:63]
	s_wait_storecnt_dscnt 0x0
	s_barrier_signal -1
	s_barrier_wait -1
	s_wait_xcnt 0x0
	s_and_saveexec_b32 s2, s0
	s_cbranch_execz .LBB28_225
; %bb.216:
	s_and_not1_b32 vcc_lo, exec_lo, s3
	s_cbranch_vccnz .LBB28_218
; %bb.217:
	scratch_load_b64 v[62:63], v39, off
	ds_load_b64 v[64:65], v1
	s_wait_loadcnt_dscnt 0x0
	v_pk_mul_f32 v[66:67], v[64:65], v[62:63] op_sel:[1,1] op_sel_hi:[0,1]
	s_delay_alu instid0(VALU_DEP_1) | instskip(SKIP_1) | instid1(VALU_DEP_2)
	v_pk_fma_f32 v[68:69], v[64:65], v[62:63], v[66:67] op_sel_hi:[1,0,1]
	v_pk_fma_f32 v[62:63], v[64:65], v[62:63], v[66:67] neg_lo:[0,0,1] neg_hi:[0,0,1]
	v_mov_b32_e32 v63, v69
	s_cbranch_execz .LBB28_219
	s_branch .LBB28_220
.LBB28_218:
                                        ; implicit-def: $vgpr62_vgpr63
.LBB28_219:
	ds_load_b64 v[62:63], v1
.LBB28_220:
	s_and_saveexec_b32 s9, s1
	s_cbranch_execz .LBB28_224
; %bb.221:
	v_add_nc_u32_e32 v64, -7, v0
	s_mov_b32 s1, 56
	s_movk_i32 s11, 0x128
	s_mov_b32 s10, 0
.LBB28_222:                             ; =>This Inner Loop Header: Depth=1
	scratch_load_b64 v[66:67], off, s1
	v_dual_mov_b32 v65, s11 :: v_dual_add_nc_u32 v64, -1, v64
	s_add_co_i32 s11, s11, 8
	s_wait_xcnt 0x0
	s_add_co_i32 s1, s1, 8
	ds_load_b64 v[68:69], v65
	v_cmp_eq_u32_e32 vcc_lo, 0, v64
	s_or_b32 s10, vcc_lo, s10
	s_wait_loadcnt_dscnt 0x0
	v_pk_mul_f32 v[70:71], v[68:69], v[66:67] op_sel:[1,1] op_sel_hi:[0,1]
	s_delay_alu instid0(VALU_DEP_1) | instskip(SKIP_1) | instid1(VALU_DEP_2)
	v_pk_fma_f32 v[72:73], v[68:69], v[66:67], v[70:71] op_sel_hi:[1,0,1]
	v_pk_fma_f32 v[66:67], v[68:69], v[66:67], v[70:71] neg_lo:[0,0,1] neg_hi:[0,0,1]
	v_mov_b32_e32 v67, v73
	s_delay_alu instid0(VALU_DEP_1)
	v_pk_add_f32 v[62:63], v[62:63], v[66:67]
	s_and_not1_b32 exec_lo, exec_lo, s10
	s_cbranch_execnz .LBB28_222
; %bb.223:
	s_or_b32 exec_lo, exec_lo, s10
.LBB28_224:
	s_delay_alu instid0(SALU_CYCLE_1) | instskip(SKIP_4) | instid1(VALU_DEP_1)
	s_or_b32 exec_lo, exec_lo, s9
	v_mov_b32_e32 v64, 0
	ds_load_b64 v[64:65], v64 offset:48
	s_wait_dscnt 0x0
	v_pk_mul_f32 v[66:67], v[62:63], v[64:65] op_sel:[1,1] op_sel_hi:[0,1]
	v_pk_fma_f32 v[68:69], v[62:63], v[64:65], v[66:67] op_sel_hi:[1,0,1]
	v_pk_fma_f32 v[62:63], v[62:63], v[64:65], v[66:67] neg_lo:[0,0,1] neg_hi:[0,0,1]
	s_delay_alu instid0(VALU_DEP_2)
	v_mov_b32_e32 v63, v69
	scratch_store_b64 off, v[62:63], off offset:48
.LBB28_225:
	s_wait_xcnt 0x0
	s_or_b32 exec_lo, exec_lo, s2
	scratch_load_b64 v[62:63], off, off offset:40
	v_cmp_lt_u32_e64 s1, 5, v0
	s_wait_loadcnt 0x0
	ds_store_b64 v1, v[62:63]
	s_wait_storecnt_dscnt 0x0
	s_barrier_signal -1
	s_barrier_wait -1
	s_wait_xcnt 0x0
	s_and_saveexec_b32 s2, s1
	s_cbranch_execz .LBB28_235
; %bb.226:
	s_and_not1_b32 vcc_lo, exec_lo, s3
	s_cbranch_vccnz .LBB28_228
; %bb.227:
	scratch_load_b64 v[62:63], v39, off
	ds_load_b64 v[64:65], v1
	s_wait_loadcnt_dscnt 0x0
	v_pk_mul_f32 v[66:67], v[64:65], v[62:63] op_sel:[1,1] op_sel_hi:[0,1]
	s_delay_alu instid0(VALU_DEP_1) | instskip(SKIP_1) | instid1(VALU_DEP_2)
	v_pk_fma_f32 v[68:69], v[64:65], v[62:63], v[66:67] op_sel_hi:[1,0,1]
	v_pk_fma_f32 v[62:63], v[64:65], v[62:63], v[66:67] neg_lo:[0,0,1] neg_hi:[0,0,1]
	v_mov_b32_e32 v63, v69
	s_cbranch_execz .LBB28_229
	s_branch .LBB28_230
.LBB28_228:
                                        ; implicit-def: $vgpr62_vgpr63
.LBB28_229:
	ds_load_b64 v[62:63], v1
.LBB28_230:
	s_and_saveexec_b32 s9, s0
	s_cbranch_execz .LBB28_234
; %bb.231:
	v_add_nc_u32_e32 v64, -6, v0
	s_movk_i32 s10, 0x120
	s_mov_b32 s0, 0
.LBB28_232:                             ; =>This Inner Loop Header: Depth=1
	scratch_load_b64 v[66:67], off, s8
	v_dual_mov_b32 v65, s10 :: v_dual_add_nc_u32 v64, -1, v64
	s_add_co_i32 s10, s10, 8
	s_wait_xcnt 0x0
	s_add_co_i32 s8, s8, 8
	ds_load_b64 v[68:69], v65
	v_cmp_eq_u32_e32 vcc_lo, 0, v64
	s_or_b32 s0, vcc_lo, s0
	s_wait_loadcnt_dscnt 0x0
	v_pk_mul_f32 v[70:71], v[68:69], v[66:67] op_sel:[1,1] op_sel_hi:[0,1]
	s_delay_alu instid0(VALU_DEP_1) | instskip(SKIP_1) | instid1(VALU_DEP_2)
	v_pk_fma_f32 v[72:73], v[68:69], v[66:67], v[70:71] op_sel_hi:[1,0,1]
	v_pk_fma_f32 v[66:67], v[68:69], v[66:67], v[70:71] neg_lo:[0,0,1] neg_hi:[0,0,1]
	v_mov_b32_e32 v67, v73
	s_delay_alu instid0(VALU_DEP_1)
	v_pk_add_f32 v[62:63], v[62:63], v[66:67]
	s_and_not1_b32 exec_lo, exec_lo, s0
	s_cbranch_execnz .LBB28_232
; %bb.233:
	s_or_b32 exec_lo, exec_lo, s0
.LBB28_234:
	s_delay_alu instid0(SALU_CYCLE_1) | instskip(SKIP_4) | instid1(VALU_DEP_1)
	s_or_b32 exec_lo, exec_lo, s9
	v_mov_b32_e32 v64, 0
	ds_load_b64 v[64:65], v64 offset:40
	s_wait_dscnt 0x0
	v_pk_mul_f32 v[66:67], v[62:63], v[64:65] op_sel:[1,1] op_sel_hi:[0,1]
	v_pk_fma_f32 v[68:69], v[62:63], v[64:65], v[66:67] op_sel_hi:[1,0,1]
	v_pk_fma_f32 v[62:63], v[62:63], v[64:65], v[66:67] neg_lo:[0,0,1] neg_hi:[0,0,1]
	s_delay_alu instid0(VALU_DEP_2)
	v_mov_b32_e32 v63, v69
	scratch_store_b64 off, v[62:63], off offset:40
.LBB28_235:
	s_wait_xcnt 0x0
	s_or_b32 exec_lo, exec_lo, s2
	scratch_load_b64 v[62:63], off, off offset:32
	v_cmp_lt_u32_e64 s0, 4, v0
	s_wait_loadcnt 0x0
	ds_store_b64 v1, v[62:63]
	s_wait_storecnt_dscnt 0x0
	s_barrier_signal -1
	s_barrier_wait -1
	s_wait_xcnt 0x0
	s_and_saveexec_b32 s2, s0
	s_cbranch_execz .LBB28_245
; %bb.236:
	s_and_not1_b32 vcc_lo, exec_lo, s3
	s_cbranch_vccnz .LBB28_238
; %bb.237:
	scratch_load_b64 v[62:63], v39, off
	ds_load_b64 v[64:65], v1
	s_wait_loadcnt_dscnt 0x0
	v_pk_mul_f32 v[66:67], v[64:65], v[62:63] op_sel:[1,1] op_sel_hi:[0,1]
	s_delay_alu instid0(VALU_DEP_1) | instskip(SKIP_1) | instid1(VALU_DEP_2)
	v_pk_fma_f32 v[68:69], v[64:65], v[62:63], v[66:67] op_sel_hi:[1,0,1]
	v_pk_fma_f32 v[62:63], v[64:65], v[62:63], v[66:67] neg_lo:[0,0,1] neg_hi:[0,0,1]
	v_mov_b32_e32 v63, v69
	s_cbranch_execz .LBB28_239
	s_branch .LBB28_240
.LBB28_238:
                                        ; implicit-def: $vgpr62_vgpr63
.LBB28_239:
	ds_load_b64 v[62:63], v1
.LBB28_240:
	s_and_saveexec_b32 s8, s1
	s_cbranch_execz .LBB28_244
; %bb.241:
	v_add_nc_u32_e32 v64, -5, v0
	s_mov_b32 s1, 40
	s_movk_i32 s10, 0x118
	s_mov_b32 s9, 0
.LBB28_242:                             ; =>This Inner Loop Header: Depth=1
	scratch_load_b64 v[66:67], off, s1
	v_dual_mov_b32 v65, s10 :: v_dual_add_nc_u32 v64, -1, v64
	s_add_co_i32 s10, s10, 8
	s_wait_xcnt 0x0
	s_add_co_i32 s1, s1, 8
	ds_load_b64 v[68:69], v65
	v_cmp_eq_u32_e32 vcc_lo, 0, v64
	s_or_b32 s9, vcc_lo, s9
	s_wait_loadcnt_dscnt 0x0
	v_pk_mul_f32 v[70:71], v[68:69], v[66:67] op_sel:[1,1] op_sel_hi:[0,1]
	s_delay_alu instid0(VALU_DEP_1) | instskip(SKIP_1) | instid1(VALU_DEP_2)
	v_pk_fma_f32 v[72:73], v[68:69], v[66:67], v[70:71] op_sel_hi:[1,0,1]
	v_pk_fma_f32 v[66:67], v[68:69], v[66:67], v[70:71] neg_lo:[0,0,1] neg_hi:[0,0,1]
	v_mov_b32_e32 v67, v73
	s_delay_alu instid0(VALU_DEP_1)
	v_pk_add_f32 v[62:63], v[62:63], v[66:67]
	s_and_not1_b32 exec_lo, exec_lo, s9
	s_cbranch_execnz .LBB28_242
; %bb.243:
	s_or_b32 exec_lo, exec_lo, s9
.LBB28_244:
	s_delay_alu instid0(SALU_CYCLE_1) | instskip(SKIP_4) | instid1(VALU_DEP_1)
	s_or_b32 exec_lo, exec_lo, s8
	v_mov_b32_e32 v64, 0
	ds_load_b64 v[64:65], v64 offset:32
	s_wait_dscnt 0x0
	v_pk_mul_f32 v[66:67], v[62:63], v[64:65] op_sel:[1,1] op_sel_hi:[0,1]
	v_pk_fma_f32 v[68:69], v[62:63], v[64:65], v[66:67] op_sel_hi:[1,0,1]
	v_pk_fma_f32 v[62:63], v[62:63], v[64:65], v[66:67] neg_lo:[0,0,1] neg_hi:[0,0,1]
	s_delay_alu instid0(VALU_DEP_2)
	v_mov_b32_e32 v63, v69
	scratch_store_b64 off, v[62:63], off offset:32
.LBB28_245:
	s_wait_xcnt 0x0
	s_or_b32 exec_lo, exec_lo, s2
	scratch_load_b64 v[62:63], off, off offset:24
	v_cmp_lt_u32_e64 s2, 3, v0
	s_wait_loadcnt 0x0
	ds_store_b64 v1, v[62:63]
	s_wait_storecnt_dscnt 0x0
	s_barrier_signal -1
	s_barrier_wait -1
	s_wait_xcnt 0x0
	s_and_saveexec_b32 s1, s2
	s_cbranch_execz .LBB28_255
; %bb.246:
	s_and_not1_b32 vcc_lo, exec_lo, s3
	s_cbranch_vccnz .LBB28_248
; %bb.247:
	scratch_load_b64 v[62:63], v39, off
	ds_load_b64 v[64:65], v1
	s_wait_loadcnt_dscnt 0x0
	v_pk_mul_f32 v[66:67], v[64:65], v[62:63] op_sel:[1,1] op_sel_hi:[0,1]
	s_delay_alu instid0(VALU_DEP_1) | instskip(SKIP_1) | instid1(VALU_DEP_2)
	v_pk_fma_f32 v[68:69], v[64:65], v[62:63], v[66:67] op_sel_hi:[1,0,1]
	v_pk_fma_f32 v[62:63], v[64:65], v[62:63], v[66:67] neg_lo:[0,0,1] neg_hi:[0,0,1]
	v_mov_b32_e32 v63, v69
	s_cbranch_execz .LBB28_249
	s_branch .LBB28_250
.LBB28_248:
                                        ; implicit-def: $vgpr62_vgpr63
.LBB28_249:
	ds_load_b64 v[62:63], v1
.LBB28_250:
	s_and_saveexec_b32 s8, s0
	s_cbranch_execz .LBB28_254
; %bb.251:
	v_add_nc_u32_e32 v64, -4, v0
	s_movk_i32 s9, 0x110
	s_mov_b32 s0, 0
.LBB28_252:                             ; =>This Inner Loop Header: Depth=1
	scratch_load_b64 v[66:67], off, s5
	v_dual_mov_b32 v65, s9 :: v_dual_add_nc_u32 v64, -1, v64
	s_add_co_i32 s9, s9, 8
	s_wait_xcnt 0x0
	s_add_co_i32 s5, s5, 8
	ds_load_b64 v[68:69], v65
	v_cmp_eq_u32_e32 vcc_lo, 0, v64
	s_or_b32 s0, vcc_lo, s0
	s_wait_loadcnt_dscnt 0x0
	v_pk_mul_f32 v[70:71], v[68:69], v[66:67] op_sel:[1,1] op_sel_hi:[0,1]
	s_delay_alu instid0(VALU_DEP_1) | instskip(SKIP_1) | instid1(VALU_DEP_2)
	v_pk_fma_f32 v[72:73], v[68:69], v[66:67], v[70:71] op_sel_hi:[1,0,1]
	v_pk_fma_f32 v[66:67], v[68:69], v[66:67], v[70:71] neg_lo:[0,0,1] neg_hi:[0,0,1]
	v_mov_b32_e32 v67, v73
	s_delay_alu instid0(VALU_DEP_1)
	v_pk_add_f32 v[62:63], v[62:63], v[66:67]
	s_and_not1_b32 exec_lo, exec_lo, s0
	s_cbranch_execnz .LBB28_252
; %bb.253:
	s_or_b32 exec_lo, exec_lo, s0
.LBB28_254:
	s_delay_alu instid0(SALU_CYCLE_1) | instskip(SKIP_4) | instid1(VALU_DEP_1)
	s_or_b32 exec_lo, exec_lo, s8
	v_mov_b32_e32 v64, 0
	ds_load_b64 v[64:65], v64 offset:24
	s_wait_dscnt 0x0
	v_pk_mul_f32 v[66:67], v[62:63], v[64:65] op_sel:[1,1] op_sel_hi:[0,1]
	v_pk_fma_f32 v[68:69], v[62:63], v[64:65], v[66:67] op_sel_hi:[1,0,1]
	v_pk_fma_f32 v[62:63], v[62:63], v[64:65], v[66:67] neg_lo:[0,0,1] neg_hi:[0,0,1]
	s_delay_alu instid0(VALU_DEP_2)
	v_mov_b32_e32 v63, v69
	scratch_store_b64 off, v[62:63], off offset:24
.LBB28_255:
	s_wait_xcnt 0x0
	s_or_b32 exec_lo, exec_lo, s1
	scratch_load_b64 v[62:63], off, off offset:16
	v_cmp_lt_u32_e64 s1, 2, v0
	s_wait_loadcnt 0x0
	ds_store_b64 v1, v[62:63]
	s_wait_storecnt_dscnt 0x0
	s_barrier_signal -1
	s_barrier_wait -1
	s_wait_xcnt 0x0
	s_and_saveexec_b32 s0, s1
	s_cbranch_execz .LBB28_265
; %bb.256:
	s_and_not1_b32 vcc_lo, exec_lo, s3
	s_cbranch_vccnz .LBB28_258
; %bb.257:
	scratch_load_b64 v[62:63], v39, off
	ds_load_b64 v[64:65], v1
	s_wait_loadcnt_dscnt 0x0
	v_pk_mul_f32 v[66:67], v[64:65], v[62:63] op_sel:[1,1] op_sel_hi:[0,1]
	s_delay_alu instid0(VALU_DEP_1) | instskip(SKIP_1) | instid1(VALU_DEP_2)
	v_pk_fma_f32 v[68:69], v[64:65], v[62:63], v[66:67] op_sel_hi:[1,0,1]
	v_pk_fma_f32 v[62:63], v[64:65], v[62:63], v[66:67] neg_lo:[0,0,1] neg_hi:[0,0,1]
	v_mov_b32_e32 v63, v69
	s_cbranch_execz .LBB28_259
	s_branch .LBB28_260
.LBB28_258:
                                        ; implicit-def: $vgpr62_vgpr63
.LBB28_259:
	ds_load_b64 v[62:63], v1
.LBB28_260:
	s_and_saveexec_b32 s5, s2
	s_cbranch_execz .LBB28_264
; %bb.261:
	v_add_nc_u32_e32 v64, -3, v0
	s_mov_b32 s2, 24
	s_movk_i32 s9, 0x108
	s_mov_b32 s8, 0
.LBB28_262:                             ; =>This Inner Loop Header: Depth=1
	scratch_load_b64 v[66:67], off, s2
	v_dual_mov_b32 v65, s9 :: v_dual_add_nc_u32 v64, -1, v64
	s_add_co_i32 s9, s9, 8
	s_wait_xcnt 0x0
	s_add_co_i32 s2, s2, 8
	ds_load_b64 v[68:69], v65
	v_cmp_eq_u32_e32 vcc_lo, 0, v64
	s_or_b32 s8, vcc_lo, s8
	s_wait_loadcnt_dscnt 0x0
	v_pk_mul_f32 v[70:71], v[68:69], v[66:67] op_sel:[1,1] op_sel_hi:[0,1]
	s_delay_alu instid0(VALU_DEP_1) | instskip(SKIP_1) | instid1(VALU_DEP_2)
	v_pk_fma_f32 v[72:73], v[68:69], v[66:67], v[70:71] op_sel_hi:[1,0,1]
	v_pk_fma_f32 v[66:67], v[68:69], v[66:67], v[70:71] neg_lo:[0,0,1] neg_hi:[0,0,1]
	v_mov_b32_e32 v67, v73
	s_delay_alu instid0(VALU_DEP_1)
	v_pk_add_f32 v[62:63], v[62:63], v[66:67]
	s_and_not1_b32 exec_lo, exec_lo, s8
	s_cbranch_execnz .LBB28_262
; %bb.263:
	s_or_b32 exec_lo, exec_lo, s8
.LBB28_264:
	s_delay_alu instid0(SALU_CYCLE_1) | instskip(SKIP_4) | instid1(VALU_DEP_1)
	s_or_b32 exec_lo, exec_lo, s5
	v_mov_b32_e32 v64, 0
	ds_load_b64 v[64:65], v64 offset:16
	s_wait_dscnt 0x0
	v_pk_mul_f32 v[66:67], v[62:63], v[64:65] op_sel:[1,1] op_sel_hi:[0,1]
	v_pk_fma_f32 v[68:69], v[62:63], v[64:65], v[66:67] op_sel_hi:[1,0,1]
	v_pk_fma_f32 v[62:63], v[62:63], v[64:65], v[66:67] neg_lo:[0,0,1] neg_hi:[0,0,1]
	s_delay_alu instid0(VALU_DEP_2)
	v_mov_b32_e32 v63, v69
	scratch_store_b64 off, v[62:63], off offset:16
.LBB28_265:
	s_wait_xcnt 0x0
	s_or_b32 exec_lo, exec_lo, s0
	scratch_load_b64 v[62:63], off, off offset:8
	v_cmp_lt_u32_e64 s0, 1, v0
	s_wait_loadcnt 0x0
	ds_store_b64 v1, v[62:63]
	s_wait_storecnt_dscnt 0x0
	s_barrier_signal -1
	s_barrier_wait -1
	s_wait_xcnt 0x0
	s_and_saveexec_b32 s2, s0
	s_cbranch_execz .LBB28_275
; %bb.266:
	s_and_not1_b32 vcc_lo, exec_lo, s3
	s_cbranch_vccnz .LBB28_268
; %bb.267:
	scratch_load_b64 v[62:63], v39, off
	ds_load_b64 v[64:65], v1
	s_wait_loadcnt_dscnt 0x0
	v_pk_mul_f32 v[66:67], v[64:65], v[62:63] op_sel:[1,1] op_sel_hi:[0,1]
	s_delay_alu instid0(VALU_DEP_1) | instskip(SKIP_1) | instid1(VALU_DEP_2)
	v_pk_fma_f32 v[68:69], v[64:65], v[62:63], v[66:67] op_sel_hi:[1,0,1]
	v_pk_fma_f32 v[62:63], v[64:65], v[62:63], v[66:67] neg_lo:[0,0,1] neg_hi:[0,0,1]
	v_mov_b32_e32 v63, v69
	s_cbranch_execz .LBB28_269
	s_branch .LBB28_270
.LBB28_268:
                                        ; implicit-def: $vgpr62_vgpr63
.LBB28_269:
	ds_load_b64 v[62:63], v1
.LBB28_270:
	s_and_saveexec_b32 s5, s1
	s_cbranch_execz .LBB28_274
; %bb.271:
	v_add_nc_u32_e32 v64, -2, v0
	s_movk_i32 s8, 0x100
	s_mov_b32 s1, 0
.LBB28_272:                             ; =>This Inner Loop Header: Depth=1
	scratch_load_b64 v[66:67], off, s4
	v_dual_mov_b32 v65, s8 :: v_dual_add_nc_u32 v64, -1, v64
	s_add_co_i32 s8, s8, 8
	s_wait_xcnt 0x0
	s_add_co_i32 s4, s4, 8
	ds_load_b64 v[68:69], v65
	v_cmp_eq_u32_e32 vcc_lo, 0, v64
	s_or_b32 s1, vcc_lo, s1
	s_wait_loadcnt_dscnt 0x0
	v_pk_mul_f32 v[70:71], v[68:69], v[66:67] op_sel:[1,1] op_sel_hi:[0,1]
	s_delay_alu instid0(VALU_DEP_1) | instskip(SKIP_1) | instid1(VALU_DEP_2)
	v_pk_fma_f32 v[72:73], v[68:69], v[66:67], v[70:71] op_sel_hi:[1,0,1]
	v_pk_fma_f32 v[66:67], v[68:69], v[66:67], v[70:71] neg_lo:[0,0,1] neg_hi:[0,0,1]
	v_mov_b32_e32 v67, v73
	s_delay_alu instid0(VALU_DEP_1)
	v_pk_add_f32 v[62:63], v[62:63], v[66:67]
	s_and_not1_b32 exec_lo, exec_lo, s1
	s_cbranch_execnz .LBB28_272
; %bb.273:
	s_or_b32 exec_lo, exec_lo, s1
.LBB28_274:
	s_delay_alu instid0(SALU_CYCLE_1) | instskip(SKIP_4) | instid1(VALU_DEP_1)
	s_or_b32 exec_lo, exec_lo, s5
	v_mov_b32_e32 v64, 0
	ds_load_b64 v[64:65], v64 offset:8
	s_wait_dscnt 0x0
	v_pk_mul_f32 v[66:67], v[62:63], v[64:65] op_sel:[1,1] op_sel_hi:[0,1]
	v_pk_fma_f32 v[68:69], v[62:63], v[64:65], v[66:67] op_sel_hi:[1,0,1]
	v_pk_fma_f32 v[62:63], v[62:63], v[64:65], v[66:67] neg_lo:[0,0,1] neg_hi:[0,0,1]
	s_delay_alu instid0(VALU_DEP_2)
	v_mov_b32_e32 v63, v69
	scratch_store_b64 off, v[62:63], off offset:8
.LBB28_275:
	s_wait_xcnt 0x0
	s_or_b32 exec_lo, exec_lo, s2
	scratch_load_b64 v[62:63], off, off
	s_mov_b32 s2, 0
	s_mov_b32 s1, 0
	s_mov_b32 s5, exec_lo
                                        ; implicit-def: $vgpr78
                                        ; implicit-def: $sgpr4
	s_wait_loadcnt 0x0
	ds_store_b64 v1, v[62:63]
	s_wait_storecnt_dscnt 0x0
	s_barrier_signal -1
	s_barrier_wait -1
	s_wait_xcnt 0x0
	v_cmpx_ne_u32_e32 0, v0
	s_cbranch_execz .LBB28_285
; %bb.276:
	s_and_not1_b32 vcc_lo, exec_lo, s3
	s_cbranch_vccnz .LBB28_278
; %bb.277:
	scratch_load_b64 v[64:65], v39, off
	ds_load_b64 v[66:67], v1
	s_wait_loadcnt_dscnt 0x0
	v_dual_mul_f32 v62, v67, v65 :: v_dual_mul_f32 v63, v66, v65
	s_delay_alu instid0(VALU_DEP_1)
	v_dual_fma_f32 v62, v66, v64, -v62 :: v_dual_fmac_f32 v63, v67, v64
	s_and_not1_b32 vcc_lo, exec_lo, s1
	s_cbranch_vccz .LBB28_279
	s_branch .LBB28_280
.LBB28_278:
                                        ; implicit-def: $vgpr62
.LBB28_279:
	ds_load_b64 v[62:63], v1
.LBB28_280:
	s_and_saveexec_b32 s1, s0
	s_cbranch_execz .LBB28_284
; %bb.281:
	v_add_nc_u32_e32 v64, -1, v0
	s_or_b32 s0, 0, 8
	s_movk_i32 s8, 0xf8
	s_mov_b32 s4, 0
.LBB28_282:                             ; =>This Inner Loop Header: Depth=1
	scratch_load_b64 v[66:67], off, s0
	v_mov_b32_e32 v65, s8
	s_add_co_i32 s8, s8, 8
	s_wait_xcnt 0x0
	s_add_co_i32 s0, s0, 8
	v_add_nc_u32_e32 v64, -1, v64
	ds_load_b64 v[68:69], v65
	v_cmp_eq_u32_e32 vcc_lo, 0, v64
	s_or_b32 s4, vcc_lo, s4
	s_wait_loadcnt_dscnt 0x0
	v_dual_mul_f32 v65, v69, v67 :: v_dual_mul_f32 v67, v68, v67
	s_delay_alu instid0(VALU_DEP_1) | instskip(NEXT) | instid1(VALU_DEP_1)
	v_dual_fma_f32 v65, v68, v66, -v65 :: v_dual_fmac_f32 v67, v69, v66
	v_dual_add_f32 v62, v62, v65 :: v_dual_add_f32 v63, v63, v67
	s_and_not1_b32 exec_lo, exec_lo, s4
	s_cbranch_execnz .LBB28_282
; %bb.283:
	s_or_b32 exec_lo, exec_lo, s4
.LBB28_284:
	s_delay_alu instid0(SALU_CYCLE_1)
	s_or_b32 exec_lo, exec_lo, s1
	v_mov_b32_e32 v64, 0
	s_mov_b32 s1, exec_lo
	s_or_b32 s4, 0, 4
	ds_load_b64 v[64:65], v64
	s_wait_dscnt 0x0
	v_dual_mul_f32 v66, v63, v65 :: v_dual_mul_f32 v78, v62, v65
	s_delay_alu instid0(VALU_DEP_1) | instskip(NEXT) | instid1(VALU_DEP_2)
	v_fma_f32 v62, v62, v64, -v66
	v_fmac_f32_e32 v78, v63, v64
	scratch_store_b32 off, v62, off
.LBB28_285:
	s_wait_xcnt 0x0
	s_or_b32 exec_lo, exec_lo, s5
	s_delay_alu instid0(SALU_CYCLE_1)
	s_and_b32 vcc_lo, exec_lo, s2
	s_cbranch_vccz .LBB28_561
.LBB28_286:
	scratch_load_b64 v[62:63], off, off offset:8
	v_cmp_eq_u32_e64 s0, 0, v0
	s_wait_loadcnt 0x0
	ds_store_b64 v1, v[62:63]
	s_wait_storecnt_dscnt 0x0
	s_barrier_signal -1
	s_barrier_wait -1
	s_wait_xcnt 0x0
	s_and_saveexec_b32 s2, s0
	s_cbranch_execz .LBB28_292
; %bb.287:
	s_and_b32 vcc_lo, exec_lo, s3
	s_cbranch_vccz .LBB28_289
; %bb.288:
	scratch_load_b64 v[62:63], v39, off
	ds_load_b64 v[64:65], v1
	s_wait_loadcnt_dscnt 0x0
	v_pk_mul_f32 v[66:67], v[64:65], v[62:63] op_sel:[1,1] op_sel_hi:[0,1]
	v_pk_mul_f32 v[68:69], v[64:65], v[62:63] op_sel_hi:[1,0]
	s_delay_alu instid0(VALU_DEP_2) | instskip(NEXT) | instid1(VALU_DEP_2)
	v_pk_fma_f32 v[62:63], v[64:65], v[62:63], v[66:67] op_sel_hi:[1,0,1]
	v_sub_f32_e32 v62, v68, v66
	s_cbranch_execz .LBB28_290
	s_branch .LBB28_291
.LBB28_289:
                                        ; implicit-def: $vgpr63
.LBB28_290:
	ds_load_b64 v[62:63], v1
.LBB28_291:
	s_wait_dscnt 0x0
	v_dual_mov_b32 v64, 0 :: v_dual_mov_b32 v66, v63
	v_mov_b32_e32 v67, v62
	ds_load_b64 v[64:65], v64 offset:8
	s_wait_dscnt 0x0
	v_pk_mul_f32 v[66:67], v[66:67], v[64:65] op_sel:[0,1]
	s_delay_alu instid0(VALU_DEP_1) | instskip(SKIP_1) | instid1(VALU_DEP_2)
	v_pk_fma_f32 v[68:69], v[62:63], v[64:65], v[66:67] op_sel_hi:[1,0,1]
	v_pk_fma_f32 v[62:63], v[62:63], v[64:65], v[66:67] neg_lo:[0,0,1] neg_hi:[0,0,1]
	v_mov_b32_e32 v63, v69
	scratch_store_b64 off, v[62:63], off offset:8
.LBB28_292:
	s_wait_xcnt 0x0
	s_or_b32 exec_lo, exec_lo, s2
	scratch_load_b64 v[62:63], off, off offset:16
	v_cndmask_b32_e64 v64, 0, 1, s3
	s_mov_b32 s2, exec_lo
	s_wait_loadcnt 0x0
	ds_store_b64 v1, v[62:63]
	s_wait_storecnt_dscnt 0x0
	s_barrier_signal -1
	s_barrier_wait -1
	s_wait_xcnt 0x0
	v_cmpx_gt_u32_e32 2, v0
	s_cbranch_execz .LBB28_300
; %bb.293:
	s_and_not1_b32 vcc_lo, exec_lo, s3
	s_cbranch_vccnz .LBB28_295
; %bb.294:
	scratch_load_b64 v[62:63], v39, off
	ds_load_b64 v[66:67], v1
	s_wait_loadcnt_dscnt 0x0
	v_pk_mul_f32 v[68:69], v[66:67], v[62:63] op_sel:[1,1] op_sel_hi:[0,1]
	s_delay_alu instid0(VALU_DEP_1) | instskip(SKIP_1) | instid1(VALU_DEP_2)
	v_pk_fma_f32 v[70:71], v[66:67], v[62:63], v[68:69] op_sel_hi:[1,0,1]
	v_pk_fma_f32 v[62:63], v[66:67], v[62:63], v[68:69] neg_lo:[0,0,1] neg_hi:[0,0,1]
	v_mov_b32_e32 v63, v71
	s_cbranch_execz .LBB28_296
	s_branch .LBB28_297
.LBB28_295:
                                        ; implicit-def: $vgpr62_vgpr63
.LBB28_296:
	ds_load_b64 v[62:63], v1
.LBB28_297:
	s_and_saveexec_b32 s3, s0
	s_cbranch_execz .LBB28_299
; %bb.298:
	scratch_load_b64 v[66:67], off, off offset:8
	v_mov_b32_e32 v65, 0
	ds_load_b64 v[68:69], v65 offset:248
	s_wait_loadcnt_dscnt 0x0
	v_pk_mul_f32 v[70:71], v[68:69], v[66:67] op_sel:[1,1] op_sel_hi:[0,1]
	s_delay_alu instid0(VALU_DEP_1) | instskip(SKIP_1) | instid1(VALU_DEP_2)
	v_pk_fma_f32 v[72:73], v[68:69], v[66:67], v[70:71] op_sel_hi:[1,0,1]
	v_pk_fma_f32 v[66:67], v[68:69], v[66:67], v[70:71] neg_lo:[0,0,1] neg_hi:[0,0,1]
	v_mov_b32_e32 v67, v73
	s_delay_alu instid0(VALU_DEP_1)
	v_pk_add_f32 v[62:63], v[62:63], v[66:67]
.LBB28_299:
	s_or_b32 exec_lo, exec_lo, s3
	v_mov_b32_e32 v65, 0
	ds_load_b64 v[66:67], v65 offset:16
	s_wait_dscnt 0x0
	v_pk_mul_f32 v[68:69], v[62:63], v[66:67] op_sel:[1,1] op_sel_hi:[0,1]
	s_delay_alu instid0(VALU_DEP_1) | instskip(SKIP_1) | instid1(VALU_DEP_2)
	v_pk_fma_f32 v[70:71], v[62:63], v[66:67], v[68:69] op_sel_hi:[1,0,1]
	v_pk_fma_f32 v[62:63], v[62:63], v[66:67], v[68:69] neg_lo:[0,0,1] neg_hi:[0,0,1]
	v_mov_b32_e32 v63, v71
	scratch_store_b64 off, v[62:63], off offset:16
.LBB28_300:
	s_wait_xcnt 0x0
	s_or_b32 exec_lo, exec_lo, s2
	scratch_load_b64 v[62:63], off, off offset:24
	s_mov_b32 s2, exec_lo
	s_wait_loadcnt 0x0
	ds_store_b64 v1, v[62:63]
	s_wait_storecnt_dscnt 0x0
	s_barrier_signal -1
	s_barrier_wait -1
	s_wait_xcnt 0x0
	v_cmpx_gt_u32_e32 3, v0
	s_cbranch_execz .LBB28_310
; %bb.301:
	v_cmp_ne_u32_e32 vcc_lo, 1, v64
	s_cbranch_vccnz .LBB28_303
; %bb.302:
	scratch_load_b64 v[62:63], v39, off
	ds_load_b64 v[66:67], v1
	s_wait_loadcnt_dscnt 0x0
	v_pk_mul_f32 v[68:69], v[66:67], v[62:63] op_sel:[1,1] op_sel_hi:[0,1]
	s_delay_alu instid0(VALU_DEP_1) | instskip(SKIP_1) | instid1(VALU_DEP_2)
	v_pk_fma_f32 v[70:71], v[66:67], v[62:63], v[68:69] op_sel_hi:[1,0,1]
	v_pk_fma_f32 v[62:63], v[66:67], v[62:63], v[68:69] neg_lo:[0,0,1] neg_hi:[0,0,1]
	v_mov_b32_e32 v63, v71
	s_cbranch_execz .LBB28_304
	s_branch .LBB28_305
.LBB28_303:
                                        ; implicit-def: $vgpr62_vgpr63
.LBB28_304:
	ds_load_b64 v[62:63], v1
.LBB28_305:
	s_mov_b32 s3, exec_lo
	v_cmpx_ne_u32_e32 2, v0
	s_cbranch_execz .LBB28_309
; %bb.306:
	scratch_load_b64 v[66:67], v39, off offset:8
	ds_load_b64 v[68:69], v1 offset:8
	s_wait_loadcnt_dscnt 0x0
	v_pk_mul_f32 v[70:71], v[68:69], v[66:67] op_sel:[1,1] op_sel_hi:[0,1]
	s_delay_alu instid0(VALU_DEP_1) | instskip(SKIP_1) | instid1(VALU_DEP_2)
	v_pk_fma_f32 v[72:73], v[68:69], v[66:67], v[70:71] op_sel_hi:[1,0,1]
	v_pk_fma_f32 v[66:67], v[68:69], v[66:67], v[70:71] neg_lo:[0,0,1] neg_hi:[0,0,1]
	v_mov_b32_e32 v67, v73
	s_delay_alu instid0(VALU_DEP_1)
	v_pk_add_f32 v[62:63], v[62:63], v[66:67]
	s_and_saveexec_b32 s4, s0
	s_cbranch_execz .LBB28_308
; %bb.307:
	scratch_load_b64 v[66:67], off, off offset:16
	v_mov_b32_e32 v65, 0
	ds_load_b64 v[68:69], v65 offset:256
	s_wait_loadcnt_dscnt 0x0
	v_pk_mul_f32 v[70:71], v[68:69], v[66:67] op_sel:[1,1] op_sel_hi:[0,1]
	s_delay_alu instid0(VALU_DEP_1) | instskip(SKIP_1) | instid1(VALU_DEP_2)
	v_pk_fma_f32 v[72:73], v[68:69], v[66:67], v[70:71] op_sel_hi:[1,0,1]
	v_pk_fma_f32 v[66:67], v[68:69], v[66:67], v[70:71] neg_lo:[0,0,1] neg_hi:[0,0,1]
	v_mov_b32_e32 v67, v73
	s_delay_alu instid0(VALU_DEP_1)
	v_pk_add_f32 v[62:63], v[62:63], v[66:67]
.LBB28_308:
	s_or_b32 exec_lo, exec_lo, s4
.LBB28_309:
	s_delay_alu instid0(SALU_CYCLE_1) | instskip(SKIP_4) | instid1(VALU_DEP_1)
	s_or_b32 exec_lo, exec_lo, s3
	v_mov_b32_e32 v65, 0
	ds_load_b64 v[66:67], v65 offset:24
	s_wait_dscnt 0x0
	v_pk_mul_f32 v[68:69], v[62:63], v[66:67] op_sel:[1,1] op_sel_hi:[0,1]
	v_pk_fma_f32 v[70:71], v[62:63], v[66:67], v[68:69] op_sel_hi:[1,0,1]
	v_pk_fma_f32 v[62:63], v[62:63], v[66:67], v[68:69] neg_lo:[0,0,1] neg_hi:[0,0,1]
	s_delay_alu instid0(VALU_DEP_2)
	v_mov_b32_e32 v63, v71
	scratch_store_b64 off, v[62:63], off offset:24
.LBB28_310:
	s_wait_xcnt 0x0
	s_or_b32 exec_lo, exec_lo, s2
	scratch_load_b64 v[62:63], off, off offset:32
	s_mov_b32 s0, exec_lo
	s_wait_loadcnt 0x0
	ds_store_b64 v1, v[62:63]
	s_wait_storecnt_dscnt 0x0
	s_barrier_signal -1
	s_barrier_wait -1
	s_wait_xcnt 0x0
	v_cmpx_gt_u32_e32 4, v0
	s_cbranch_execz .LBB28_320
; %bb.311:
	v_cmp_ne_u32_e32 vcc_lo, 1, v64
	s_cbranch_vccnz .LBB28_313
; %bb.312:
	scratch_load_b64 v[62:63], v39, off
	ds_load_b64 v[66:67], v1
	s_wait_loadcnt_dscnt 0x0
	v_pk_mul_f32 v[68:69], v[66:67], v[62:63] op_sel:[1,1] op_sel_hi:[0,1]
	s_delay_alu instid0(VALU_DEP_1) | instskip(SKIP_1) | instid1(VALU_DEP_2)
	v_pk_fma_f32 v[70:71], v[66:67], v[62:63], v[68:69] op_sel_hi:[1,0,1]
	v_pk_fma_f32 v[62:63], v[66:67], v[62:63], v[68:69] neg_lo:[0,0,1] neg_hi:[0,0,1]
	v_mov_b32_e32 v63, v71
	s_cbranch_execz .LBB28_314
	s_branch .LBB28_315
.LBB28_313:
                                        ; implicit-def: $vgpr62_vgpr63
.LBB28_314:
	ds_load_b64 v[62:63], v1
.LBB28_315:
	s_mov_b32 s2, exec_lo
	v_cmpx_ne_u32_e32 3, v0
	s_cbranch_execz .LBB28_319
; %bb.316:
	v_add_nc_u32_e32 v65, 0xf8, v38
	v_add3_u32 v66, 0, v38, 8
	v_mov_b32_e32 v67, v0
	s_mov_b32 s3, 0
.LBB28_317:                             ; =>This Inner Loop Header: Depth=1
	scratch_load_b64 v[68:69], v66, off
	ds_load_b64 v[70:71], v65
	s_wait_xcnt 0x0
	v_dual_add_nc_u32 v65, 8, v65 :: v_dual_add_nc_u32 v66, 8, v66
	s_wait_loadcnt_dscnt 0x0
	v_pk_mul_f32 v[72:73], v[70:71], v[68:69] op_sel:[1,1] op_sel_hi:[0,1]
	s_delay_alu instid0(VALU_DEP_1) | instskip(SKIP_2) | instid1(VALU_DEP_3)
	v_pk_fma_f32 v[74:75], v[70:71], v[68:69], v[72:73] op_sel_hi:[1,0,1]
	v_add_nc_u32_e32 v67, 1, v67
	v_pk_fma_f32 v[68:69], v[70:71], v[68:69], v[72:73] neg_lo:[0,0,1] neg_hi:[0,0,1]
	v_mov_b32_e32 v69, v75
	s_delay_alu instid0(VALU_DEP_3) | instskip(NEXT) | instid1(VALU_DEP_2)
	v_cmp_lt_u32_e32 vcc_lo, 2, v67
	v_pk_add_f32 v[62:63], v[62:63], v[68:69]
	s_or_b32 s3, vcc_lo, s3
	s_delay_alu instid0(SALU_CYCLE_1)
	s_and_not1_b32 exec_lo, exec_lo, s3
	s_cbranch_execnz .LBB28_317
; %bb.318:
	s_or_b32 exec_lo, exec_lo, s3
.LBB28_319:
	s_delay_alu instid0(SALU_CYCLE_1) | instskip(SKIP_4) | instid1(VALU_DEP_1)
	s_or_b32 exec_lo, exec_lo, s2
	v_mov_b32_e32 v65, 0
	ds_load_b64 v[66:67], v65 offset:32
	s_wait_dscnt 0x0
	v_pk_mul_f32 v[68:69], v[62:63], v[66:67] op_sel:[1,1] op_sel_hi:[0,1]
	v_pk_fma_f32 v[70:71], v[62:63], v[66:67], v[68:69] op_sel_hi:[1,0,1]
	v_pk_fma_f32 v[62:63], v[62:63], v[66:67], v[68:69] neg_lo:[0,0,1] neg_hi:[0,0,1]
	s_delay_alu instid0(VALU_DEP_2)
	v_mov_b32_e32 v63, v71
	scratch_store_b64 off, v[62:63], off offset:32
.LBB28_320:
	s_wait_xcnt 0x0
	s_or_b32 exec_lo, exec_lo, s0
	scratch_load_b64 v[62:63], off, off offset:40
	s_mov_b32 s0, exec_lo
	s_wait_loadcnt 0x0
	ds_store_b64 v1, v[62:63]
	s_wait_storecnt_dscnt 0x0
	s_barrier_signal -1
	s_barrier_wait -1
	s_wait_xcnt 0x0
	v_cmpx_gt_u32_e32 5, v0
	s_cbranch_execz .LBB28_330
; %bb.321:
	v_cmp_ne_u32_e32 vcc_lo, 1, v64
	s_cbranch_vccnz .LBB28_323
; %bb.322:
	scratch_load_b64 v[62:63], v39, off
	ds_load_b64 v[66:67], v1
	s_wait_loadcnt_dscnt 0x0
	v_pk_mul_f32 v[68:69], v[66:67], v[62:63] op_sel:[1,1] op_sel_hi:[0,1]
	s_delay_alu instid0(VALU_DEP_1) | instskip(SKIP_1) | instid1(VALU_DEP_2)
	v_pk_fma_f32 v[70:71], v[66:67], v[62:63], v[68:69] op_sel_hi:[1,0,1]
	v_pk_fma_f32 v[62:63], v[66:67], v[62:63], v[68:69] neg_lo:[0,0,1] neg_hi:[0,0,1]
	v_mov_b32_e32 v63, v71
	s_cbranch_execz .LBB28_324
	s_branch .LBB28_325
.LBB28_323:
                                        ; implicit-def: $vgpr62_vgpr63
.LBB28_324:
	ds_load_b64 v[62:63], v1
.LBB28_325:
	s_mov_b32 s2, exec_lo
	v_cmpx_ne_u32_e32 4, v0
	s_cbranch_execz .LBB28_329
; %bb.326:
	v_add_nc_u32_e32 v65, 0xf8, v38
	v_add3_u32 v66, 0, v38, 8
	v_mov_b32_e32 v67, v0
	s_mov_b32 s3, 0
.LBB28_327:                             ; =>This Inner Loop Header: Depth=1
	scratch_load_b64 v[68:69], v66, off
	ds_load_b64 v[70:71], v65
	s_wait_xcnt 0x0
	v_dual_add_nc_u32 v65, 8, v65 :: v_dual_add_nc_u32 v66, 8, v66
	s_wait_loadcnt_dscnt 0x0
	v_pk_mul_f32 v[72:73], v[70:71], v[68:69] op_sel:[1,1] op_sel_hi:[0,1]
	s_delay_alu instid0(VALU_DEP_1) | instskip(SKIP_2) | instid1(VALU_DEP_3)
	v_pk_fma_f32 v[74:75], v[70:71], v[68:69], v[72:73] op_sel_hi:[1,0,1]
	v_add_nc_u32_e32 v67, 1, v67
	v_pk_fma_f32 v[68:69], v[70:71], v[68:69], v[72:73] neg_lo:[0,0,1] neg_hi:[0,0,1]
	v_mov_b32_e32 v69, v75
	s_delay_alu instid0(VALU_DEP_3) | instskip(NEXT) | instid1(VALU_DEP_2)
	v_cmp_lt_u32_e32 vcc_lo, 3, v67
	v_pk_add_f32 v[62:63], v[62:63], v[68:69]
	s_or_b32 s3, vcc_lo, s3
	s_delay_alu instid0(SALU_CYCLE_1)
	s_and_not1_b32 exec_lo, exec_lo, s3
	s_cbranch_execnz .LBB28_327
; %bb.328:
	s_or_b32 exec_lo, exec_lo, s3
.LBB28_329:
	s_delay_alu instid0(SALU_CYCLE_1) | instskip(SKIP_4) | instid1(VALU_DEP_1)
	s_or_b32 exec_lo, exec_lo, s2
	v_mov_b32_e32 v65, 0
	ds_load_b64 v[66:67], v65 offset:40
	s_wait_dscnt 0x0
	v_pk_mul_f32 v[68:69], v[62:63], v[66:67] op_sel:[1,1] op_sel_hi:[0,1]
	v_pk_fma_f32 v[70:71], v[62:63], v[66:67], v[68:69] op_sel_hi:[1,0,1]
	v_pk_fma_f32 v[62:63], v[62:63], v[66:67], v[68:69] neg_lo:[0,0,1] neg_hi:[0,0,1]
	s_delay_alu instid0(VALU_DEP_2)
	v_mov_b32_e32 v63, v71
	scratch_store_b64 off, v[62:63], off offset:40
.LBB28_330:
	s_wait_xcnt 0x0
	s_or_b32 exec_lo, exec_lo, s0
	scratch_load_b64 v[62:63], off, off offset:48
	s_mov_b32 s0, exec_lo
	s_wait_loadcnt 0x0
	ds_store_b64 v1, v[62:63]
	s_wait_storecnt_dscnt 0x0
	s_barrier_signal -1
	s_barrier_wait -1
	s_wait_xcnt 0x0
	v_cmpx_gt_u32_e32 6, v0
	s_cbranch_execz .LBB28_340
; %bb.331:
	v_cmp_ne_u32_e32 vcc_lo, 1, v64
	s_cbranch_vccnz .LBB28_333
; %bb.332:
	scratch_load_b64 v[62:63], v39, off
	ds_load_b64 v[66:67], v1
	s_wait_loadcnt_dscnt 0x0
	v_pk_mul_f32 v[68:69], v[66:67], v[62:63] op_sel:[1,1] op_sel_hi:[0,1]
	s_delay_alu instid0(VALU_DEP_1) | instskip(SKIP_1) | instid1(VALU_DEP_2)
	v_pk_fma_f32 v[70:71], v[66:67], v[62:63], v[68:69] op_sel_hi:[1,0,1]
	v_pk_fma_f32 v[62:63], v[66:67], v[62:63], v[68:69] neg_lo:[0,0,1] neg_hi:[0,0,1]
	v_mov_b32_e32 v63, v71
	s_cbranch_execz .LBB28_334
	s_branch .LBB28_335
.LBB28_333:
                                        ; implicit-def: $vgpr62_vgpr63
.LBB28_334:
	ds_load_b64 v[62:63], v1
.LBB28_335:
	s_mov_b32 s2, exec_lo
	v_cmpx_ne_u32_e32 5, v0
	s_cbranch_execz .LBB28_339
; %bb.336:
	v_add_nc_u32_e32 v65, 0xf8, v38
	v_add3_u32 v66, 0, v38, 8
	v_mov_b32_e32 v67, v0
	s_mov_b32 s3, 0
.LBB28_337:                             ; =>This Inner Loop Header: Depth=1
	scratch_load_b64 v[68:69], v66, off
	ds_load_b64 v[70:71], v65
	s_wait_xcnt 0x0
	v_dual_add_nc_u32 v65, 8, v65 :: v_dual_add_nc_u32 v66, 8, v66
	s_wait_loadcnt_dscnt 0x0
	v_pk_mul_f32 v[72:73], v[70:71], v[68:69] op_sel:[1,1] op_sel_hi:[0,1]
	s_delay_alu instid0(VALU_DEP_1) | instskip(SKIP_2) | instid1(VALU_DEP_3)
	v_pk_fma_f32 v[74:75], v[70:71], v[68:69], v[72:73] op_sel_hi:[1,0,1]
	v_add_nc_u32_e32 v67, 1, v67
	v_pk_fma_f32 v[68:69], v[70:71], v[68:69], v[72:73] neg_lo:[0,0,1] neg_hi:[0,0,1]
	v_mov_b32_e32 v69, v75
	s_delay_alu instid0(VALU_DEP_3) | instskip(NEXT) | instid1(VALU_DEP_2)
	v_cmp_lt_u32_e32 vcc_lo, 4, v67
	v_pk_add_f32 v[62:63], v[62:63], v[68:69]
	s_or_b32 s3, vcc_lo, s3
	s_delay_alu instid0(SALU_CYCLE_1)
	s_and_not1_b32 exec_lo, exec_lo, s3
	s_cbranch_execnz .LBB28_337
; %bb.338:
	s_or_b32 exec_lo, exec_lo, s3
.LBB28_339:
	s_delay_alu instid0(SALU_CYCLE_1) | instskip(SKIP_4) | instid1(VALU_DEP_1)
	s_or_b32 exec_lo, exec_lo, s2
	v_mov_b32_e32 v65, 0
	ds_load_b64 v[66:67], v65 offset:48
	s_wait_dscnt 0x0
	v_pk_mul_f32 v[68:69], v[62:63], v[66:67] op_sel:[1,1] op_sel_hi:[0,1]
	v_pk_fma_f32 v[70:71], v[62:63], v[66:67], v[68:69] op_sel_hi:[1,0,1]
	v_pk_fma_f32 v[62:63], v[62:63], v[66:67], v[68:69] neg_lo:[0,0,1] neg_hi:[0,0,1]
	s_delay_alu instid0(VALU_DEP_2)
	v_mov_b32_e32 v63, v71
	scratch_store_b64 off, v[62:63], off offset:48
.LBB28_340:
	s_wait_xcnt 0x0
	s_or_b32 exec_lo, exec_lo, s0
	scratch_load_b64 v[62:63], off, off offset:56
	s_mov_b32 s0, exec_lo
	s_wait_loadcnt 0x0
	ds_store_b64 v1, v[62:63]
	s_wait_storecnt_dscnt 0x0
	s_barrier_signal -1
	s_barrier_wait -1
	s_wait_xcnt 0x0
	v_cmpx_gt_u32_e32 7, v0
	s_cbranch_execz .LBB28_350
; %bb.341:
	v_cmp_ne_u32_e32 vcc_lo, 1, v64
	s_cbranch_vccnz .LBB28_343
; %bb.342:
	scratch_load_b64 v[62:63], v39, off
	ds_load_b64 v[66:67], v1
	s_wait_loadcnt_dscnt 0x0
	v_pk_mul_f32 v[68:69], v[66:67], v[62:63] op_sel:[1,1] op_sel_hi:[0,1]
	s_delay_alu instid0(VALU_DEP_1) | instskip(SKIP_1) | instid1(VALU_DEP_2)
	v_pk_fma_f32 v[70:71], v[66:67], v[62:63], v[68:69] op_sel_hi:[1,0,1]
	v_pk_fma_f32 v[62:63], v[66:67], v[62:63], v[68:69] neg_lo:[0,0,1] neg_hi:[0,0,1]
	v_mov_b32_e32 v63, v71
	s_cbranch_execz .LBB28_344
	s_branch .LBB28_345
.LBB28_343:
                                        ; implicit-def: $vgpr62_vgpr63
.LBB28_344:
	ds_load_b64 v[62:63], v1
.LBB28_345:
	s_mov_b32 s2, exec_lo
	v_cmpx_ne_u32_e32 6, v0
	s_cbranch_execz .LBB28_349
; %bb.346:
	v_add_nc_u32_e32 v65, 0xf8, v38
	v_add3_u32 v66, 0, v38, 8
	v_mov_b32_e32 v67, v0
	s_mov_b32 s3, 0
.LBB28_347:                             ; =>This Inner Loop Header: Depth=1
	scratch_load_b64 v[68:69], v66, off
	ds_load_b64 v[70:71], v65
	s_wait_xcnt 0x0
	v_dual_add_nc_u32 v65, 8, v65 :: v_dual_add_nc_u32 v66, 8, v66
	s_wait_loadcnt_dscnt 0x0
	v_pk_mul_f32 v[72:73], v[70:71], v[68:69] op_sel:[1,1] op_sel_hi:[0,1]
	s_delay_alu instid0(VALU_DEP_1) | instskip(SKIP_2) | instid1(VALU_DEP_3)
	v_pk_fma_f32 v[74:75], v[70:71], v[68:69], v[72:73] op_sel_hi:[1,0,1]
	v_add_nc_u32_e32 v67, 1, v67
	v_pk_fma_f32 v[68:69], v[70:71], v[68:69], v[72:73] neg_lo:[0,0,1] neg_hi:[0,0,1]
	v_mov_b32_e32 v69, v75
	s_delay_alu instid0(VALU_DEP_3) | instskip(NEXT) | instid1(VALU_DEP_2)
	v_cmp_lt_u32_e32 vcc_lo, 5, v67
	v_pk_add_f32 v[62:63], v[62:63], v[68:69]
	s_or_b32 s3, vcc_lo, s3
	s_delay_alu instid0(SALU_CYCLE_1)
	s_and_not1_b32 exec_lo, exec_lo, s3
	s_cbranch_execnz .LBB28_347
; %bb.348:
	s_or_b32 exec_lo, exec_lo, s3
.LBB28_349:
	s_delay_alu instid0(SALU_CYCLE_1) | instskip(SKIP_4) | instid1(VALU_DEP_1)
	s_or_b32 exec_lo, exec_lo, s2
	v_mov_b32_e32 v65, 0
	ds_load_b64 v[66:67], v65 offset:56
	s_wait_dscnt 0x0
	v_pk_mul_f32 v[68:69], v[62:63], v[66:67] op_sel:[1,1] op_sel_hi:[0,1]
	v_pk_fma_f32 v[70:71], v[62:63], v[66:67], v[68:69] op_sel_hi:[1,0,1]
	v_pk_fma_f32 v[62:63], v[62:63], v[66:67], v[68:69] neg_lo:[0,0,1] neg_hi:[0,0,1]
	s_delay_alu instid0(VALU_DEP_2)
	v_mov_b32_e32 v63, v71
	scratch_store_b64 off, v[62:63], off offset:56
.LBB28_350:
	s_wait_xcnt 0x0
	s_or_b32 exec_lo, exec_lo, s0
	scratch_load_b64 v[62:63], off, off offset:64
	s_mov_b32 s0, exec_lo
	s_wait_loadcnt 0x0
	ds_store_b64 v1, v[62:63]
	s_wait_storecnt_dscnt 0x0
	s_barrier_signal -1
	s_barrier_wait -1
	s_wait_xcnt 0x0
	v_cmpx_gt_u32_e32 8, v0
	s_cbranch_execz .LBB28_360
; %bb.351:
	v_cmp_ne_u32_e32 vcc_lo, 1, v64
	s_cbranch_vccnz .LBB28_353
; %bb.352:
	scratch_load_b64 v[62:63], v39, off
	ds_load_b64 v[66:67], v1
	s_wait_loadcnt_dscnt 0x0
	v_pk_mul_f32 v[68:69], v[66:67], v[62:63] op_sel:[1,1] op_sel_hi:[0,1]
	s_delay_alu instid0(VALU_DEP_1) | instskip(SKIP_1) | instid1(VALU_DEP_2)
	v_pk_fma_f32 v[70:71], v[66:67], v[62:63], v[68:69] op_sel_hi:[1,0,1]
	v_pk_fma_f32 v[62:63], v[66:67], v[62:63], v[68:69] neg_lo:[0,0,1] neg_hi:[0,0,1]
	v_mov_b32_e32 v63, v71
	s_cbranch_execz .LBB28_354
	s_branch .LBB28_355
.LBB28_353:
                                        ; implicit-def: $vgpr62_vgpr63
.LBB28_354:
	ds_load_b64 v[62:63], v1
.LBB28_355:
	s_mov_b32 s2, exec_lo
	v_cmpx_ne_u32_e32 7, v0
	s_cbranch_execz .LBB28_359
; %bb.356:
	v_add_nc_u32_e32 v65, 0xf8, v38
	v_add3_u32 v66, 0, v38, 8
	v_mov_b32_e32 v67, v0
	s_mov_b32 s3, 0
.LBB28_357:                             ; =>This Inner Loop Header: Depth=1
	scratch_load_b64 v[68:69], v66, off
	ds_load_b64 v[70:71], v65
	s_wait_xcnt 0x0
	v_dual_add_nc_u32 v65, 8, v65 :: v_dual_add_nc_u32 v66, 8, v66
	s_wait_loadcnt_dscnt 0x0
	v_pk_mul_f32 v[72:73], v[70:71], v[68:69] op_sel:[1,1] op_sel_hi:[0,1]
	s_delay_alu instid0(VALU_DEP_1) | instskip(SKIP_2) | instid1(VALU_DEP_3)
	v_pk_fma_f32 v[74:75], v[70:71], v[68:69], v[72:73] op_sel_hi:[1,0,1]
	v_add_nc_u32_e32 v67, 1, v67
	v_pk_fma_f32 v[68:69], v[70:71], v[68:69], v[72:73] neg_lo:[0,0,1] neg_hi:[0,0,1]
	v_mov_b32_e32 v69, v75
	s_delay_alu instid0(VALU_DEP_3) | instskip(NEXT) | instid1(VALU_DEP_2)
	v_cmp_lt_u32_e32 vcc_lo, 6, v67
	v_pk_add_f32 v[62:63], v[62:63], v[68:69]
	s_or_b32 s3, vcc_lo, s3
	s_delay_alu instid0(SALU_CYCLE_1)
	s_and_not1_b32 exec_lo, exec_lo, s3
	s_cbranch_execnz .LBB28_357
; %bb.358:
	s_or_b32 exec_lo, exec_lo, s3
.LBB28_359:
	s_delay_alu instid0(SALU_CYCLE_1) | instskip(SKIP_4) | instid1(VALU_DEP_1)
	s_or_b32 exec_lo, exec_lo, s2
	v_mov_b32_e32 v65, 0
	ds_load_b64 v[66:67], v65 offset:64
	s_wait_dscnt 0x0
	v_pk_mul_f32 v[68:69], v[62:63], v[66:67] op_sel:[1,1] op_sel_hi:[0,1]
	v_pk_fma_f32 v[70:71], v[62:63], v[66:67], v[68:69] op_sel_hi:[1,0,1]
	v_pk_fma_f32 v[62:63], v[62:63], v[66:67], v[68:69] neg_lo:[0,0,1] neg_hi:[0,0,1]
	s_delay_alu instid0(VALU_DEP_2)
	v_mov_b32_e32 v63, v71
	scratch_store_b64 off, v[62:63], off offset:64
.LBB28_360:
	s_wait_xcnt 0x0
	s_or_b32 exec_lo, exec_lo, s0
	scratch_load_b64 v[62:63], off, off offset:72
	s_mov_b32 s0, exec_lo
	s_wait_loadcnt 0x0
	ds_store_b64 v1, v[62:63]
	s_wait_storecnt_dscnt 0x0
	s_barrier_signal -1
	s_barrier_wait -1
	s_wait_xcnt 0x0
	v_cmpx_gt_u32_e32 9, v0
	s_cbranch_execz .LBB28_370
; %bb.361:
	v_cmp_ne_u32_e32 vcc_lo, 1, v64
	s_cbranch_vccnz .LBB28_363
; %bb.362:
	scratch_load_b64 v[62:63], v39, off
	ds_load_b64 v[66:67], v1
	s_wait_loadcnt_dscnt 0x0
	v_pk_mul_f32 v[68:69], v[66:67], v[62:63] op_sel:[1,1] op_sel_hi:[0,1]
	s_delay_alu instid0(VALU_DEP_1) | instskip(SKIP_1) | instid1(VALU_DEP_2)
	v_pk_fma_f32 v[70:71], v[66:67], v[62:63], v[68:69] op_sel_hi:[1,0,1]
	v_pk_fma_f32 v[62:63], v[66:67], v[62:63], v[68:69] neg_lo:[0,0,1] neg_hi:[0,0,1]
	v_mov_b32_e32 v63, v71
	s_cbranch_execz .LBB28_364
	s_branch .LBB28_365
.LBB28_363:
                                        ; implicit-def: $vgpr62_vgpr63
.LBB28_364:
	ds_load_b64 v[62:63], v1
.LBB28_365:
	s_mov_b32 s2, exec_lo
	v_cmpx_ne_u32_e32 8, v0
	s_cbranch_execz .LBB28_369
; %bb.366:
	v_add_nc_u32_e32 v65, 0xf8, v38
	v_add3_u32 v66, 0, v38, 8
	v_mov_b32_e32 v67, v0
	s_mov_b32 s3, 0
.LBB28_367:                             ; =>This Inner Loop Header: Depth=1
	scratch_load_b64 v[68:69], v66, off
	ds_load_b64 v[70:71], v65
	s_wait_xcnt 0x0
	v_dual_add_nc_u32 v65, 8, v65 :: v_dual_add_nc_u32 v66, 8, v66
	s_wait_loadcnt_dscnt 0x0
	v_pk_mul_f32 v[72:73], v[70:71], v[68:69] op_sel:[1,1] op_sel_hi:[0,1]
	s_delay_alu instid0(VALU_DEP_1) | instskip(SKIP_2) | instid1(VALU_DEP_3)
	v_pk_fma_f32 v[74:75], v[70:71], v[68:69], v[72:73] op_sel_hi:[1,0,1]
	v_add_nc_u32_e32 v67, 1, v67
	v_pk_fma_f32 v[68:69], v[70:71], v[68:69], v[72:73] neg_lo:[0,0,1] neg_hi:[0,0,1]
	v_mov_b32_e32 v69, v75
	s_delay_alu instid0(VALU_DEP_3) | instskip(NEXT) | instid1(VALU_DEP_2)
	v_cmp_lt_u32_e32 vcc_lo, 7, v67
	v_pk_add_f32 v[62:63], v[62:63], v[68:69]
	s_or_b32 s3, vcc_lo, s3
	s_delay_alu instid0(SALU_CYCLE_1)
	s_and_not1_b32 exec_lo, exec_lo, s3
	s_cbranch_execnz .LBB28_367
; %bb.368:
	s_or_b32 exec_lo, exec_lo, s3
.LBB28_369:
	s_delay_alu instid0(SALU_CYCLE_1) | instskip(SKIP_4) | instid1(VALU_DEP_1)
	s_or_b32 exec_lo, exec_lo, s2
	v_mov_b32_e32 v65, 0
	ds_load_b64 v[66:67], v65 offset:72
	s_wait_dscnt 0x0
	v_pk_mul_f32 v[68:69], v[62:63], v[66:67] op_sel:[1,1] op_sel_hi:[0,1]
	v_pk_fma_f32 v[70:71], v[62:63], v[66:67], v[68:69] op_sel_hi:[1,0,1]
	v_pk_fma_f32 v[62:63], v[62:63], v[66:67], v[68:69] neg_lo:[0,0,1] neg_hi:[0,0,1]
	s_delay_alu instid0(VALU_DEP_2)
	v_mov_b32_e32 v63, v71
	scratch_store_b64 off, v[62:63], off offset:72
.LBB28_370:
	s_wait_xcnt 0x0
	s_or_b32 exec_lo, exec_lo, s0
	scratch_load_b64 v[62:63], off, off offset:80
	s_mov_b32 s0, exec_lo
	s_wait_loadcnt 0x0
	ds_store_b64 v1, v[62:63]
	s_wait_storecnt_dscnt 0x0
	s_barrier_signal -1
	s_barrier_wait -1
	s_wait_xcnt 0x0
	v_cmpx_gt_u32_e32 10, v0
	s_cbranch_execz .LBB28_380
; %bb.371:
	v_cmp_ne_u32_e32 vcc_lo, 1, v64
	s_cbranch_vccnz .LBB28_373
; %bb.372:
	scratch_load_b64 v[62:63], v39, off
	ds_load_b64 v[66:67], v1
	s_wait_loadcnt_dscnt 0x0
	v_pk_mul_f32 v[68:69], v[66:67], v[62:63] op_sel:[1,1] op_sel_hi:[0,1]
	s_delay_alu instid0(VALU_DEP_1) | instskip(SKIP_1) | instid1(VALU_DEP_2)
	v_pk_fma_f32 v[70:71], v[66:67], v[62:63], v[68:69] op_sel_hi:[1,0,1]
	v_pk_fma_f32 v[62:63], v[66:67], v[62:63], v[68:69] neg_lo:[0,0,1] neg_hi:[0,0,1]
	v_mov_b32_e32 v63, v71
	s_cbranch_execz .LBB28_374
	s_branch .LBB28_375
.LBB28_373:
                                        ; implicit-def: $vgpr62_vgpr63
.LBB28_374:
	ds_load_b64 v[62:63], v1
.LBB28_375:
	s_mov_b32 s2, exec_lo
	v_cmpx_ne_u32_e32 9, v0
	s_cbranch_execz .LBB28_379
; %bb.376:
	v_add_nc_u32_e32 v65, 0xf8, v38
	v_add3_u32 v66, 0, v38, 8
	v_mov_b32_e32 v67, v0
	s_mov_b32 s3, 0
.LBB28_377:                             ; =>This Inner Loop Header: Depth=1
	scratch_load_b64 v[68:69], v66, off
	ds_load_b64 v[70:71], v65
	s_wait_xcnt 0x0
	v_dual_add_nc_u32 v65, 8, v65 :: v_dual_add_nc_u32 v66, 8, v66
	s_wait_loadcnt_dscnt 0x0
	v_pk_mul_f32 v[72:73], v[70:71], v[68:69] op_sel:[1,1] op_sel_hi:[0,1]
	s_delay_alu instid0(VALU_DEP_1) | instskip(SKIP_2) | instid1(VALU_DEP_3)
	v_pk_fma_f32 v[74:75], v[70:71], v[68:69], v[72:73] op_sel_hi:[1,0,1]
	v_add_nc_u32_e32 v67, 1, v67
	v_pk_fma_f32 v[68:69], v[70:71], v[68:69], v[72:73] neg_lo:[0,0,1] neg_hi:[0,0,1]
	v_mov_b32_e32 v69, v75
	s_delay_alu instid0(VALU_DEP_3) | instskip(NEXT) | instid1(VALU_DEP_2)
	v_cmp_lt_u32_e32 vcc_lo, 8, v67
	v_pk_add_f32 v[62:63], v[62:63], v[68:69]
	s_or_b32 s3, vcc_lo, s3
	s_delay_alu instid0(SALU_CYCLE_1)
	s_and_not1_b32 exec_lo, exec_lo, s3
	s_cbranch_execnz .LBB28_377
; %bb.378:
	s_or_b32 exec_lo, exec_lo, s3
.LBB28_379:
	s_delay_alu instid0(SALU_CYCLE_1) | instskip(SKIP_4) | instid1(VALU_DEP_1)
	s_or_b32 exec_lo, exec_lo, s2
	v_mov_b32_e32 v65, 0
	ds_load_b64 v[66:67], v65 offset:80
	s_wait_dscnt 0x0
	v_pk_mul_f32 v[68:69], v[62:63], v[66:67] op_sel:[1,1] op_sel_hi:[0,1]
	v_pk_fma_f32 v[70:71], v[62:63], v[66:67], v[68:69] op_sel_hi:[1,0,1]
	v_pk_fma_f32 v[62:63], v[62:63], v[66:67], v[68:69] neg_lo:[0,0,1] neg_hi:[0,0,1]
	s_delay_alu instid0(VALU_DEP_2)
	v_mov_b32_e32 v63, v71
	scratch_store_b64 off, v[62:63], off offset:80
.LBB28_380:
	s_wait_xcnt 0x0
	s_or_b32 exec_lo, exec_lo, s0
	scratch_load_b64 v[62:63], off, off offset:88
	s_mov_b32 s0, exec_lo
	s_wait_loadcnt 0x0
	ds_store_b64 v1, v[62:63]
	s_wait_storecnt_dscnt 0x0
	s_barrier_signal -1
	s_barrier_wait -1
	s_wait_xcnt 0x0
	v_cmpx_gt_u32_e32 11, v0
	s_cbranch_execz .LBB28_390
; %bb.381:
	v_cmp_ne_u32_e32 vcc_lo, 1, v64
	s_cbranch_vccnz .LBB28_383
; %bb.382:
	scratch_load_b64 v[62:63], v39, off
	ds_load_b64 v[66:67], v1
	s_wait_loadcnt_dscnt 0x0
	v_pk_mul_f32 v[68:69], v[66:67], v[62:63] op_sel:[1,1] op_sel_hi:[0,1]
	s_delay_alu instid0(VALU_DEP_1) | instskip(SKIP_1) | instid1(VALU_DEP_2)
	v_pk_fma_f32 v[70:71], v[66:67], v[62:63], v[68:69] op_sel_hi:[1,0,1]
	v_pk_fma_f32 v[62:63], v[66:67], v[62:63], v[68:69] neg_lo:[0,0,1] neg_hi:[0,0,1]
	v_mov_b32_e32 v63, v71
	s_cbranch_execz .LBB28_384
	s_branch .LBB28_385
.LBB28_383:
                                        ; implicit-def: $vgpr62_vgpr63
.LBB28_384:
	ds_load_b64 v[62:63], v1
.LBB28_385:
	s_mov_b32 s2, exec_lo
	v_cmpx_ne_u32_e32 10, v0
	s_cbranch_execz .LBB28_389
; %bb.386:
	v_add_nc_u32_e32 v65, 0xf8, v38
	v_add3_u32 v66, 0, v38, 8
	v_mov_b32_e32 v67, v0
	s_mov_b32 s3, 0
.LBB28_387:                             ; =>This Inner Loop Header: Depth=1
	scratch_load_b64 v[68:69], v66, off
	ds_load_b64 v[70:71], v65
	s_wait_xcnt 0x0
	v_dual_add_nc_u32 v65, 8, v65 :: v_dual_add_nc_u32 v66, 8, v66
	s_wait_loadcnt_dscnt 0x0
	v_pk_mul_f32 v[72:73], v[70:71], v[68:69] op_sel:[1,1] op_sel_hi:[0,1]
	s_delay_alu instid0(VALU_DEP_1) | instskip(SKIP_2) | instid1(VALU_DEP_3)
	v_pk_fma_f32 v[74:75], v[70:71], v[68:69], v[72:73] op_sel_hi:[1,0,1]
	v_add_nc_u32_e32 v67, 1, v67
	v_pk_fma_f32 v[68:69], v[70:71], v[68:69], v[72:73] neg_lo:[0,0,1] neg_hi:[0,0,1]
	v_mov_b32_e32 v69, v75
	s_delay_alu instid0(VALU_DEP_3) | instskip(NEXT) | instid1(VALU_DEP_2)
	v_cmp_lt_u32_e32 vcc_lo, 9, v67
	v_pk_add_f32 v[62:63], v[62:63], v[68:69]
	s_or_b32 s3, vcc_lo, s3
	s_delay_alu instid0(SALU_CYCLE_1)
	s_and_not1_b32 exec_lo, exec_lo, s3
	s_cbranch_execnz .LBB28_387
; %bb.388:
	s_or_b32 exec_lo, exec_lo, s3
.LBB28_389:
	s_delay_alu instid0(SALU_CYCLE_1) | instskip(SKIP_4) | instid1(VALU_DEP_1)
	s_or_b32 exec_lo, exec_lo, s2
	v_mov_b32_e32 v65, 0
	ds_load_b64 v[66:67], v65 offset:88
	s_wait_dscnt 0x0
	v_pk_mul_f32 v[68:69], v[62:63], v[66:67] op_sel:[1,1] op_sel_hi:[0,1]
	v_pk_fma_f32 v[70:71], v[62:63], v[66:67], v[68:69] op_sel_hi:[1,0,1]
	v_pk_fma_f32 v[62:63], v[62:63], v[66:67], v[68:69] neg_lo:[0,0,1] neg_hi:[0,0,1]
	s_delay_alu instid0(VALU_DEP_2)
	v_mov_b32_e32 v63, v71
	scratch_store_b64 off, v[62:63], off offset:88
.LBB28_390:
	s_wait_xcnt 0x0
	s_or_b32 exec_lo, exec_lo, s0
	scratch_load_b64 v[62:63], off, off offset:96
	s_mov_b32 s0, exec_lo
	s_wait_loadcnt 0x0
	ds_store_b64 v1, v[62:63]
	s_wait_storecnt_dscnt 0x0
	s_barrier_signal -1
	s_barrier_wait -1
	s_wait_xcnt 0x0
	v_cmpx_gt_u32_e32 12, v0
	s_cbranch_execz .LBB28_400
; %bb.391:
	v_cmp_ne_u32_e32 vcc_lo, 1, v64
	s_cbranch_vccnz .LBB28_393
; %bb.392:
	scratch_load_b64 v[62:63], v39, off
	ds_load_b64 v[66:67], v1
	s_wait_loadcnt_dscnt 0x0
	v_pk_mul_f32 v[68:69], v[66:67], v[62:63] op_sel:[1,1] op_sel_hi:[0,1]
	s_delay_alu instid0(VALU_DEP_1) | instskip(SKIP_1) | instid1(VALU_DEP_2)
	v_pk_fma_f32 v[70:71], v[66:67], v[62:63], v[68:69] op_sel_hi:[1,0,1]
	v_pk_fma_f32 v[62:63], v[66:67], v[62:63], v[68:69] neg_lo:[0,0,1] neg_hi:[0,0,1]
	v_mov_b32_e32 v63, v71
	s_cbranch_execz .LBB28_394
	s_branch .LBB28_395
.LBB28_393:
                                        ; implicit-def: $vgpr62_vgpr63
.LBB28_394:
	ds_load_b64 v[62:63], v1
.LBB28_395:
	s_mov_b32 s2, exec_lo
	v_cmpx_ne_u32_e32 11, v0
	s_cbranch_execz .LBB28_399
; %bb.396:
	v_add_nc_u32_e32 v65, 0xf8, v38
	v_add3_u32 v66, 0, v38, 8
	v_mov_b32_e32 v67, v0
	s_mov_b32 s3, 0
.LBB28_397:                             ; =>This Inner Loop Header: Depth=1
	scratch_load_b64 v[68:69], v66, off
	ds_load_b64 v[70:71], v65
	s_wait_xcnt 0x0
	v_dual_add_nc_u32 v65, 8, v65 :: v_dual_add_nc_u32 v66, 8, v66
	s_wait_loadcnt_dscnt 0x0
	v_pk_mul_f32 v[72:73], v[70:71], v[68:69] op_sel:[1,1] op_sel_hi:[0,1]
	s_delay_alu instid0(VALU_DEP_1) | instskip(SKIP_2) | instid1(VALU_DEP_3)
	v_pk_fma_f32 v[74:75], v[70:71], v[68:69], v[72:73] op_sel_hi:[1,0,1]
	v_add_nc_u32_e32 v67, 1, v67
	v_pk_fma_f32 v[68:69], v[70:71], v[68:69], v[72:73] neg_lo:[0,0,1] neg_hi:[0,0,1]
	v_mov_b32_e32 v69, v75
	s_delay_alu instid0(VALU_DEP_3) | instskip(NEXT) | instid1(VALU_DEP_2)
	v_cmp_lt_u32_e32 vcc_lo, 10, v67
	v_pk_add_f32 v[62:63], v[62:63], v[68:69]
	s_or_b32 s3, vcc_lo, s3
	s_delay_alu instid0(SALU_CYCLE_1)
	s_and_not1_b32 exec_lo, exec_lo, s3
	s_cbranch_execnz .LBB28_397
; %bb.398:
	s_or_b32 exec_lo, exec_lo, s3
.LBB28_399:
	s_delay_alu instid0(SALU_CYCLE_1) | instskip(SKIP_4) | instid1(VALU_DEP_1)
	s_or_b32 exec_lo, exec_lo, s2
	v_mov_b32_e32 v65, 0
	ds_load_b64 v[66:67], v65 offset:96
	s_wait_dscnt 0x0
	v_pk_mul_f32 v[68:69], v[62:63], v[66:67] op_sel:[1,1] op_sel_hi:[0,1]
	v_pk_fma_f32 v[70:71], v[62:63], v[66:67], v[68:69] op_sel_hi:[1,0,1]
	v_pk_fma_f32 v[62:63], v[62:63], v[66:67], v[68:69] neg_lo:[0,0,1] neg_hi:[0,0,1]
	s_delay_alu instid0(VALU_DEP_2)
	v_mov_b32_e32 v63, v71
	scratch_store_b64 off, v[62:63], off offset:96
.LBB28_400:
	s_wait_xcnt 0x0
	s_or_b32 exec_lo, exec_lo, s0
	scratch_load_b64 v[62:63], off, off offset:104
	s_mov_b32 s0, exec_lo
	s_wait_loadcnt 0x0
	ds_store_b64 v1, v[62:63]
	s_wait_storecnt_dscnt 0x0
	s_barrier_signal -1
	s_barrier_wait -1
	s_wait_xcnt 0x0
	v_cmpx_gt_u32_e32 13, v0
	s_cbranch_execz .LBB28_410
; %bb.401:
	v_cmp_ne_u32_e32 vcc_lo, 1, v64
	s_cbranch_vccnz .LBB28_403
; %bb.402:
	scratch_load_b64 v[62:63], v39, off
	ds_load_b64 v[66:67], v1
	s_wait_loadcnt_dscnt 0x0
	v_pk_mul_f32 v[68:69], v[66:67], v[62:63] op_sel:[1,1] op_sel_hi:[0,1]
	s_delay_alu instid0(VALU_DEP_1) | instskip(SKIP_1) | instid1(VALU_DEP_2)
	v_pk_fma_f32 v[70:71], v[66:67], v[62:63], v[68:69] op_sel_hi:[1,0,1]
	v_pk_fma_f32 v[62:63], v[66:67], v[62:63], v[68:69] neg_lo:[0,0,1] neg_hi:[0,0,1]
	v_mov_b32_e32 v63, v71
	s_cbranch_execz .LBB28_404
	s_branch .LBB28_405
.LBB28_403:
                                        ; implicit-def: $vgpr62_vgpr63
.LBB28_404:
	ds_load_b64 v[62:63], v1
.LBB28_405:
	s_mov_b32 s2, exec_lo
	v_cmpx_ne_u32_e32 12, v0
	s_cbranch_execz .LBB28_409
; %bb.406:
	v_add_nc_u32_e32 v65, 0xf8, v38
	v_add3_u32 v66, 0, v38, 8
	v_mov_b32_e32 v67, v0
	s_mov_b32 s3, 0
.LBB28_407:                             ; =>This Inner Loop Header: Depth=1
	scratch_load_b64 v[68:69], v66, off
	ds_load_b64 v[70:71], v65
	s_wait_xcnt 0x0
	v_dual_add_nc_u32 v65, 8, v65 :: v_dual_add_nc_u32 v66, 8, v66
	s_wait_loadcnt_dscnt 0x0
	v_pk_mul_f32 v[72:73], v[70:71], v[68:69] op_sel:[1,1] op_sel_hi:[0,1]
	s_delay_alu instid0(VALU_DEP_1) | instskip(SKIP_2) | instid1(VALU_DEP_3)
	v_pk_fma_f32 v[74:75], v[70:71], v[68:69], v[72:73] op_sel_hi:[1,0,1]
	v_add_nc_u32_e32 v67, 1, v67
	v_pk_fma_f32 v[68:69], v[70:71], v[68:69], v[72:73] neg_lo:[0,0,1] neg_hi:[0,0,1]
	v_mov_b32_e32 v69, v75
	s_delay_alu instid0(VALU_DEP_3) | instskip(NEXT) | instid1(VALU_DEP_2)
	v_cmp_lt_u32_e32 vcc_lo, 11, v67
	v_pk_add_f32 v[62:63], v[62:63], v[68:69]
	s_or_b32 s3, vcc_lo, s3
	s_delay_alu instid0(SALU_CYCLE_1)
	s_and_not1_b32 exec_lo, exec_lo, s3
	s_cbranch_execnz .LBB28_407
; %bb.408:
	s_or_b32 exec_lo, exec_lo, s3
.LBB28_409:
	s_delay_alu instid0(SALU_CYCLE_1) | instskip(SKIP_4) | instid1(VALU_DEP_1)
	s_or_b32 exec_lo, exec_lo, s2
	v_mov_b32_e32 v65, 0
	ds_load_b64 v[66:67], v65 offset:104
	s_wait_dscnt 0x0
	v_pk_mul_f32 v[68:69], v[62:63], v[66:67] op_sel:[1,1] op_sel_hi:[0,1]
	v_pk_fma_f32 v[70:71], v[62:63], v[66:67], v[68:69] op_sel_hi:[1,0,1]
	v_pk_fma_f32 v[62:63], v[62:63], v[66:67], v[68:69] neg_lo:[0,0,1] neg_hi:[0,0,1]
	s_delay_alu instid0(VALU_DEP_2)
	v_mov_b32_e32 v63, v71
	scratch_store_b64 off, v[62:63], off offset:104
.LBB28_410:
	s_wait_xcnt 0x0
	s_or_b32 exec_lo, exec_lo, s0
	scratch_load_b64 v[62:63], off, off offset:112
	s_mov_b32 s0, exec_lo
	s_wait_loadcnt 0x0
	ds_store_b64 v1, v[62:63]
	s_wait_storecnt_dscnt 0x0
	s_barrier_signal -1
	s_barrier_wait -1
	s_wait_xcnt 0x0
	v_cmpx_gt_u32_e32 14, v0
	s_cbranch_execz .LBB28_420
; %bb.411:
	v_cmp_ne_u32_e32 vcc_lo, 1, v64
	s_cbranch_vccnz .LBB28_413
; %bb.412:
	scratch_load_b64 v[62:63], v39, off
	ds_load_b64 v[66:67], v1
	s_wait_loadcnt_dscnt 0x0
	v_pk_mul_f32 v[68:69], v[66:67], v[62:63] op_sel:[1,1] op_sel_hi:[0,1]
	s_delay_alu instid0(VALU_DEP_1) | instskip(SKIP_1) | instid1(VALU_DEP_2)
	v_pk_fma_f32 v[70:71], v[66:67], v[62:63], v[68:69] op_sel_hi:[1,0,1]
	v_pk_fma_f32 v[62:63], v[66:67], v[62:63], v[68:69] neg_lo:[0,0,1] neg_hi:[0,0,1]
	v_mov_b32_e32 v63, v71
	s_cbranch_execz .LBB28_414
	s_branch .LBB28_415
.LBB28_413:
                                        ; implicit-def: $vgpr62_vgpr63
.LBB28_414:
	ds_load_b64 v[62:63], v1
.LBB28_415:
	s_mov_b32 s2, exec_lo
	v_cmpx_ne_u32_e32 13, v0
	s_cbranch_execz .LBB28_419
; %bb.416:
	v_add_nc_u32_e32 v65, 0xf8, v38
	v_add3_u32 v66, 0, v38, 8
	v_mov_b32_e32 v67, v0
	s_mov_b32 s3, 0
.LBB28_417:                             ; =>This Inner Loop Header: Depth=1
	scratch_load_b64 v[68:69], v66, off
	ds_load_b64 v[70:71], v65
	s_wait_xcnt 0x0
	v_dual_add_nc_u32 v65, 8, v65 :: v_dual_add_nc_u32 v66, 8, v66
	s_wait_loadcnt_dscnt 0x0
	v_pk_mul_f32 v[72:73], v[70:71], v[68:69] op_sel:[1,1] op_sel_hi:[0,1]
	s_delay_alu instid0(VALU_DEP_1) | instskip(SKIP_2) | instid1(VALU_DEP_3)
	v_pk_fma_f32 v[74:75], v[70:71], v[68:69], v[72:73] op_sel_hi:[1,0,1]
	v_add_nc_u32_e32 v67, 1, v67
	v_pk_fma_f32 v[68:69], v[70:71], v[68:69], v[72:73] neg_lo:[0,0,1] neg_hi:[0,0,1]
	v_mov_b32_e32 v69, v75
	s_delay_alu instid0(VALU_DEP_3) | instskip(NEXT) | instid1(VALU_DEP_2)
	v_cmp_lt_u32_e32 vcc_lo, 12, v67
	v_pk_add_f32 v[62:63], v[62:63], v[68:69]
	s_or_b32 s3, vcc_lo, s3
	s_delay_alu instid0(SALU_CYCLE_1)
	s_and_not1_b32 exec_lo, exec_lo, s3
	s_cbranch_execnz .LBB28_417
; %bb.418:
	s_or_b32 exec_lo, exec_lo, s3
.LBB28_419:
	s_delay_alu instid0(SALU_CYCLE_1) | instskip(SKIP_4) | instid1(VALU_DEP_1)
	s_or_b32 exec_lo, exec_lo, s2
	v_mov_b32_e32 v65, 0
	ds_load_b64 v[66:67], v65 offset:112
	s_wait_dscnt 0x0
	v_pk_mul_f32 v[68:69], v[62:63], v[66:67] op_sel:[1,1] op_sel_hi:[0,1]
	v_pk_fma_f32 v[70:71], v[62:63], v[66:67], v[68:69] op_sel_hi:[1,0,1]
	v_pk_fma_f32 v[62:63], v[62:63], v[66:67], v[68:69] neg_lo:[0,0,1] neg_hi:[0,0,1]
	s_delay_alu instid0(VALU_DEP_2)
	v_mov_b32_e32 v63, v71
	scratch_store_b64 off, v[62:63], off offset:112
.LBB28_420:
	s_wait_xcnt 0x0
	s_or_b32 exec_lo, exec_lo, s0
	scratch_load_b64 v[62:63], off, off offset:120
	s_mov_b32 s0, exec_lo
	s_wait_loadcnt 0x0
	ds_store_b64 v1, v[62:63]
	s_wait_storecnt_dscnt 0x0
	s_barrier_signal -1
	s_barrier_wait -1
	s_wait_xcnt 0x0
	v_cmpx_gt_u32_e32 15, v0
	s_cbranch_execz .LBB28_430
; %bb.421:
	v_cmp_ne_u32_e32 vcc_lo, 1, v64
	s_cbranch_vccnz .LBB28_423
; %bb.422:
	scratch_load_b64 v[62:63], v39, off
	ds_load_b64 v[66:67], v1
	s_wait_loadcnt_dscnt 0x0
	v_pk_mul_f32 v[68:69], v[66:67], v[62:63] op_sel:[1,1] op_sel_hi:[0,1]
	s_delay_alu instid0(VALU_DEP_1) | instskip(SKIP_1) | instid1(VALU_DEP_2)
	v_pk_fma_f32 v[70:71], v[66:67], v[62:63], v[68:69] op_sel_hi:[1,0,1]
	v_pk_fma_f32 v[62:63], v[66:67], v[62:63], v[68:69] neg_lo:[0,0,1] neg_hi:[0,0,1]
	v_mov_b32_e32 v63, v71
	s_cbranch_execz .LBB28_424
	s_branch .LBB28_425
.LBB28_423:
                                        ; implicit-def: $vgpr62_vgpr63
.LBB28_424:
	ds_load_b64 v[62:63], v1
.LBB28_425:
	s_mov_b32 s2, exec_lo
	v_cmpx_ne_u32_e32 14, v0
	s_cbranch_execz .LBB28_429
; %bb.426:
	v_add_nc_u32_e32 v65, 0xf8, v38
	v_add3_u32 v66, 0, v38, 8
	v_mov_b32_e32 v67, v0
	s_mov_b32 s3, 0
.LBB28_427:                             ; =>This Inner Loop Header: Depth=1
	scratch_load_b64 v[68:69], v66, off
	ds_load_b64 v[70:71], v65
	s_wait_xcnt 0x0
	v_dual_add_nc_u32 v65, 8, v65 :: v_dual_add_nc_u32 v66, 8, v66
	s_wait_loadcnt_dscnt 0x0
	v_pk_mul_f32 v[72:73], v[70:71], v[68:69] op_sel:[1,1] op_sel_hi:[0,1]
	s_delay_alu instid0(VALU_DEP_1) | instskip(SKIP_2) | instid1(VALU_DEP_3)
	v_pk_fma_f32 v[74:75], v[70:71], v[68:69], v[72:73] op_sel_hi:[1,0,1]
	v_add_nc_u32_e32 v67, 1, v67
	v_pk_fma_f32 v[68:69], v[70:71], v[68:69], v[72:73] neg_lo:[0,0,1] neg_hi:[0,0,1]
	v_mov_b32_e32 v69, v75
	s_delay_alu instid0(VALU_DEP_3) | instskip(NEXT) | instid1(VALU_DEP_2)
	v_cmp_lt_u32_e32 vcc_lo, 13, v67
	v_pk_add_f32 v[62:63], v[62:63], v[68:69]
	s_or_b32 s3, vcc_lo, s3
	s_delay_alu instid0(SALU_CYCLE_1)
	s_and_not1_b32 exec_lo, exec_lo, s3
	s_cbranch_execnz .LBB28_427
; %bb.428:
	s_or_b32 exec_lo, exec_lo, s3
.LBB28_429:
	s_delay_alu instid0(SALU_CYCLE_1) | instskip(SKIP_4) | instid1(VALU_DEP_1)
	s_or_b32 exec_lo, exec_lo, s2
	v_mov_b32_e32 v65, 0
	ds_load_b64 v[66:67], v65 offset:120
	s_wait_dscnt 0x0
	v_pk_mul_f32 v[68:69], v[62:63], v[66:67] op_sel:[1,1] op_sel_hi:[0,1]
	v_pk_fma_f32 v[70:71], v[62:63], v[66:67], v[68:69] op_sel_hi:[1,0,1]
	v_pk_fma_f32 v[62:63], v[62:63], v[66:67], v[68:69] neg_lo:[0,0,1] neg_hi:[0,0,1]
	s_delay_alu instid0(VALU_DEP_2)
	v_mov_b32_e32 v63, v71
	scratch_store_b64 off, v[62:63], off offset:120
.LBB28_430:
	s_wait_xcnt 0x0
	s_or_b32 exec_lo, exec_lo, s0
	scratch_load_b64 v[62:63], off, off offset:128
	s_mov_b32 s0, exec_lo
	s_wait_loadcnt 0x0
	ds_store_b64 v1, v[62:63]
	s_wait_storecnt_dscnt 0x0
	s_barrier_signal -1
	s_barrier_wait -1
	s_wait_xcnt 0x0
	v_cmpx_gt_u32_e32 16, v0
	s_cbranch_execz .LBB28_440
; %bb.431:
	v_cmp_ne_u32_e32 vcc_lo, 1, v64
	s_cbranch_vccnz .LBB28_433
; %bb.432:
	scratch_load_b64 v[62:63], v39, off
	ds_load_b64 v[66:67], v1
	s_wait_loadcnt_dscnt 0x0
	v_pk_mul_f32 v[68:69], v[66:67], v[62:63] op_sel:[1,1] op_sel_hi:[0,1]
	s_delay_alu instid0(VALU_DEP_1) | instskip(SKIP_1) | instid1(VALU_DEP_2)
	v_pk_fma_f32 v[70:71], v[66:67], v[62:63], v[68:69] op_sel_hi:[1,0,1]
	v_pk_fma_f32 v[62:63], v[66:67], v[62:63], v[68:69] neg_lo:[0,0,1] neg_hi:[0,0,1]
	v_mov_b32_e32 v63, v71
	s_cbranch_execz .LBB28_434
	s_branch .LBB28_435
.LBB28_433:
                                        ; implicit-def: $vgpr62_vgpr63
.LBB28_434:
	ds_load_b64 v[62:63], v1
.LBB28_435:
	s_mov_b32 s2, exec_lo
	v_cmpx_ne_u32_e32 15, v0
	s_cbranch_execz .LBB28_439
; %bb.436:
	v_add_nc_u32_e32 v65, 0xf8, v38
	v_add3_u32 v66, 0, v38, 8
	v_mov_b32_e32 v67, v0
	s_mov_b32 s3, 0
.LBB28_437:                             ; =>This Inner Loop Header: Depth=1
	scratch_load_b64 v[68:69], v66, off
	ds_load_b64 v[70:71], v65
	s_wait_xcnt 0x0
	v_dual_add_nc_u32 v65, 8, v65 :: v_dual_add_nc_u32 v66, 8, v66
	s_wait_loadcnt_dscnt 0x0
	v_pk_mul_f32 v[72:73], v[70:71], v[68:69] op_sel:[1,1] op_sel_hi:[0,1]
	s_delay_alu instid0(VALU_DEP_1) | instskip(SKIP_2) | instid1(VALU_DEP_3)
	v_pk_fma_f32 v[74:75], v[70:71], v[68:69], v[72:73] op_sel_hi:[1,0,1]
	v_add_nc_u32_e32 v67, 1, v67
	v_pk_fma_f32 v[68:69], v[70:71], v[68:69], v[72:73] neg_lo:[0,0,1] neg_hi:[0,0,1]
	v_mov_b32_e32 v69, v75
	s_delay_alu instid0(VALU_DEP_3) | instskip(NEXT) | instid1(VALU_DEP_2)
	v_cmp_lt_u32_e32 vcc_lo, 14, v67
	v_pk_add_f32 v[62:63], v[62:63], v[68:69]
	s_or_b32 s3, vcc_lo, s3
	s_delay_alu instid0(SALU_CYCLE_1)
	s_and_not1_b32 exec_lo, exec_lo, s3
	s_cbranch_execnz .LBB28_437
; %bb.438:
	s_or_b32 exec_lo, exec_lo, s3
.LBB28_439:
	s_delay_alu instid0(SALU_CYCLE_1) | instskip(SKIP_4) | instid1(VALU_DEP_1)
	s_or_b32 exec_lo, exec_lo, s2
	v_mov_b32_e32 v65, 0
	ds_load_b64 v[66:67], v65 offset:128
	s_wait_dscnt 0x0
	v_pk_mul_f32 v[68:69], v[62:63], v[66:67] op_sel:[1,1] op_sel_hi:[0,1]
	v_pk_fma_f32 v[70:71], v[62:63], v[66:67], v[68:69] op_sel_hi:[1,0,1]
	v_pk_fma_f32 v[62:63], v[62:63], v[66:67], v[68:69] neg_lo:[0,0,1] neg_hi:[0,0,1]
	s_delay_alu instid0(VALU_DEP_2)
	v_mov_b32_e32 v63, v71
	scratch_store_b64 off, v[62:63], off offset:128
.LBB28_440:
	s_wait_xcnt 0x0
	s_or_b32 exec_lo, exec_lo, s0
	scratch_load_b64 v[62:63], off, off offset:136
	s_mov_b32 s0, exec_lo
	s_wait_loadcnt 0x0
	ds_store_b64 v1, v[62:63]
	s_wait_storecnt_dscnt 0x0
	s_barrier_signal -1
	s_barrier_wait -1
	s_wait_xcnt 0x0
	v_cmpx_gt_u32_e32 17, v0
	s_cbranch_execz .LBB28_450
; %bb.441:
	v_cmp_ne_u32_e32 vcc_lo, 1, v64
	s_cbranch_vccnz .LBB28_443
; %bb.442:
	scratch_load_b64 v[62:63], v39, off
	ds_load_b64 v[66:67], v1
	s_wait_loadcnt_dscnt 0x0
	v_pk_mul_f32 v[68:69], v[66:67], v[62:63] op_sel:[1,1] op_sel_hi:[0,1]
	s_delay_alu instid0(VALU_DEP_1) | instskip(SKIP_1) | instid1(VALU_DEP_2)
	v_pk_fma_f32 v[70:71], v[66:67], v[62:63], v[68:69] op_sel_hi:[1,0,1]
	v_pk_fma_f32 v[62:63], v[66:67], v[62:63], v[68:69] neg_lo:[0,0,1] neg_hi:[0,0,1]
	v_mov_b32_e32 v63, v71
	s_cbranch_execz .LBB28_444
	s_branch .LBB28_445
.LBB28_443:
                                        ; implicit-def: $vgpr62_vgpr63
.LBB28_444:
	ds_load_b64 v[62:63], v1
.LBB28_445:
	s_mov_b32 s2, exec_lo
	v_cmpx_ne_u32_e32 16, v0
	s_cbranch_execz .LBB28_449
; %bb.446:
	v_add_nc_u32_e32 v65, 0xf8, v38
	v_add3_u32 v66, 0, v38, 8
	v_mov_b32_e32 v67, v0
	s_mov_b32 s3, 0
.LBB28_447:                             ; =>This Inner Loop Header: Depth=1
	scratch_load_b64 v[68:69], v66, off
	ds_load_b64 v[70:71], v65
	s_wait_xcnt 0x0
	v_dual_add_nc_u32 v65, 8, v65 :: v_dual_add_nc_u32 v66, 8, v66
	s_wait_loadcnt_dscnt 0x0
	v_pk_mul_f32 v[72:73], v[70:71], v[68:69] op_sel:[1,1] op_sel_hi:[0,1]
	s_delay_alu instid0(VALU_DEP_1) | instskip(SKIP_2) | instid1(VALU_DEP_3)
	v_pk_fma_f32 v[74:75], v[70:71], v[68:69], v[72:73] op_sel_hi:[1,0,1]
	v_add_nc_u32_e32 v67, 1, v67
	v_pk_fma_f32 v[68:69], v[70:71], v[68:69], v[72:73] neg_lo:[0,0,1] neg_hi:[0,0,1]
	v_mov_b32_e32 v69, v75
	s_delay_alu instid0(VALU_DEP_3) | instskip(NEXT) | instid1(VALU_DEP_2)
	v_cmp_lt_u32_e32 vcc_lo, 15, v67
	v_pk_add_f32 v[62:63], v[62:63], v[68:69]
	s_or_b32 s3, vcc_lo, s3
	s_delay_alu instid0(SALU_CYCLE_1)
	s_and_not1_b32 exec_lo, exec_lo, s3
	s_cbranch_execnz .LBB28_447
; %bb.448:
	s_or_b32 exec_lo, exec_lo, s3
.LBB28_449:
	s_delay_alu instid0(SALU_CYCLE_1) | instskip(SKIP_4) | instid1(VALU_DEP_1)
	s_or_b32 exec_lo, exec_lo, s2
	v_mov_b32_e32 v65, 0
	ds_load_b64 v[66:67], v65 offset:136
	s_wait_dscnt 0x0
	v_pk_mul_f32 v[68:69], v[62:63], v[66:67] op_sel:[1,1] op_sel_hi:[0,1]
	v_pk_fma_f32 v[70:71], v[62:63], v[66:67], v[68:69] op_sel_hi:[1,0,1]
	v_pk_fma_f32 v[62:63], v[62:63], v[66:67], v[68:69] neg_lo:[0,0,1] neg_hi:[0,0,1]
	s_delay_alu instid0(VALU_DEP_2)
	v_mov_b32_e32 v63, v71
	scratch_store_b64 off, v[62:63], off offset:136
.LBB28_450:
	s_wait_xcnt 0x0
	s_or_b32 exec_lo, exec_lo, s0
	scratch_load_b64 v[62:63], off, off offset:144
	s_mov_b32 s0, exec_lo
	s_wait_loadcnt 0x0
	ds_store_b64 v1, v[62:63]
	s_wait_storecnt_dscnt 0x0
	s_barrier_signal -1
	s_barrier_wait -1
	s_wait_xcnt 0x0
	v_cmpx_gt_u32_e32 18, v0
	s_cbranch_execz .LBB28_460
; %bb.451:
	v_cmp_ne_u32_e32 vcc_lo, 1, v64
	s_cbranch_vccnz .LBB28_453
; %bb.452:
	scratch_load_b64 v[62:63], v39, off
	ds_load_b64 v[66:67], v1
	s_wait_loadcnt_dscnt 0x0
	v_pk_mul_f32 v[68:69], v[66:67], v[62:63] op_sel:[1,1] op_sel_hi:[0,1]
	s_delay_alu instid0(VALU_DEP_1) | instskip(SKIP_1) | instid1(VALU_DEP_2)
	v_pk_fma_f32 v[70:71], v[66:67], v[62:63], v[68:69] op_sel_hi:[1,0,1]
	v_pk_fma_f32 v[62:63], v[66:67], v[62:63], v[68:69] neg_lo:[0,0,1] neg_hi:[0,0,1]
	v_mov_b32_e32 v63, v71
	s_cbranch_execz .LBB28_454
	s_branch .LBB28_455
.LBB28_453:
                                        ; implicit-def: $vgpr62_vgpr63
.LBB28_454:
	ds_load_b64 v[62:63], v1
.LBB28_455:
	s_mov_b32 s2, exec_lo
	v_cmpx_ne_u32_e32 17, v0
	s_cbranch_execz .LBB28_459
; %bb.456:
	v_add_nc_u32_e32 v65, 0xf8, v38
	v_add3_u32 v66, 0, v38, 8
	v_mov_b32_e32 v67, v0
	s_mov_b32 s3, 0
.LBB28_457:                             ; =>This Inner Loop Header: Depth=1
	scratch_load_b64 v[68:69], v66, off
	ds_load_b64 v[70:71], v65
	s_wait_xcnt 0x0
	v_dual_add_nc_u32 v65, 8, v65 :: v_dual_add_nc_u32 v66, 8, v66
	s_wait_loadcnt_dscnt 0x0
	v_pk_mul_f32 v[72:73], v[70:71], v[68:69] op_sel:[1,1] op_sel_hi:[0,1]
	s_delay_alu instid0(VALU_DEP_1) | instskip(SKIP_2) | instid1(VALU_DEP_3)
	v_pk_fma_f32 v[74:75], v[70:71], v[68:69], v[72:73] op_sel_hi:[1,0,1]
	v_add_nc_u32_e32 v67, 1, v67
	v_pk_fma_f32 v[68:69], v[70:71], v[68:69], v[72:73] neg_lo:[0,0,1] neg_hi:[0,0,1]
	v_mov_b32_e32 v69, v75
	s_delay_alu instid0(VALU_DEP_3) | instskip(NEXT) | instid1(VALU_DEP_2)
	v_cmp_lt_u32_e32 vcc_lo, 16, v67
	v_pk_add_f32 v[62:63], v[62:63], v[68:69]
	s_or_b32 s3, vcc_lo, s3
	s_delay_alu instid0(SALU_CYCLE_1)
	s_and_not1_b32 exec_lo, exec_lo, s3
	s_cbranch_execnz .LBB28_457
; %bb.458:
	s_or_b32 exec_lo, exec_lo, s3
.LBB28_459:
	s_delay_alu instid0(SALU_CYCLE_1) | instskip(SKIP_4) | instid1(VALU_DEP_1)
	s_or_b32 exec_lo, exec_lo, s2
	v_mov_b32_e32 v65, 0
	ds_load_b64 v[66:67], v65 offset:144
	s_wait_dscnt 0x0
	v_pk_mul_f32 v[68:69], v[62:63], v[66:67] op_sel:[1,1] op_sel_hi:[0,1]
	v_pk_fma_f32 v[70:71], v[62:63], v[66:67], v[68:69] op_sel_hi:[1,0,1]
	v_pk_fma_f32 v[62:63], v[62:63], v[66:67], v[68:69] neg_lo:[0,0,1] neg_hi:[0,0,1]
	s_delay_alu instid0(VALU_DEP_2)
	v_mov_b32_e32 v63, v71
	scratch_store_b64 off, v[62:63], off offset:144
.LBB28_460:
	s_wait_xcnt 0x0
	s_or_b32 exec_lo, exec_lo, s0
	scratch_load_b64 v[62:63], off, off offset:152
	s_mov_b32 s0, exec_lo
	s_wait_loadcnt 0x0
	ds_store_b64 v1, v[62:63]
	s_wait_storecnt_dscnt 0x0
	s_barrier_signal -1
	s_barrier_wait -1
	s_wait_xcnt 0x0
	v_cmpx_gt_u32_e32 19, v0
	s_cbranch_execz .LBB28_470
; %bb.461:
	v_cmp_ne_u32_e32 vcc_lo, 1, v64
	s_cbranch_vccnz .LBB28_463
; %bb.462:
	scratch_load_b64 v[62:63], v39, off
	ds_load_b64 v[66:67], v1
	s_wait_loadcnt_dscnt 0x0
	v_pk_mul_f32 v[68:69], v[66:67], v[62:63] op_sel:[1,1] op_sel_hi:[0,1]
	s_delay_alu instid0(VALU_DEP_1) | instskip(SKIP_1) | instid1(VALU_DEP_2)
	v_pk_fma_f32 v[70:71], v[66:67], v[62:63], v[68:69] op_sel_hi:[1,0,1]
	v_pk_fma_f32 v[62:63], v[66:67], v[62:63], v[68:69] neg_lo:[0,0,1] neg_hi:[0,0,1]
	v_mov_b32_e32 v63, v71
	s_cbranch_execz .LBB28_464
	s_branch .LBB28_465
.LBB28_463:
                                        ; implicit-def: $vgpr62_vgpr63
.LBB28_464:
	ds_load_b64 v[62:63], v1
.LBB28_465:
	s_mov_b32 s2, exec_lo
	v_cmpx_ne_u32_e32 18, v0
	s_cbranch_execz .LBB28_469
; %bb.466:
	v_add_nc_u32_e32 v65, 0xf8, v38
	v_add3_u32 v66, 0, v38, 8
	v_mov_b32_e32 v67, v0
	s_mov_b32 s3, 0
.LBB28_467:                             ; =>This Inner Loop Header: Depth=1
	scratch_load_b64 v[68:69], v66, off
	ds_load_b64 v[70:71], v65
	s_wait_xcnt 0x0
	v_dual_add_nc_u32 v65, 8, v65 :: v_dual_add_nc_u32 v66, 8, v66
	s_wait_loadcnt_dscnt 0x0
	v_pk_mul_f32 v[72:73], v[70:71], v[68:69] op_sel:[1,1] op_sel_hi:[0,1]
	s_delay_alu instid0(VALU_DEP_1) | instskip(SKIP_2) | instid1(VALU_DEP_3)
	v_pk_fma_f32 v[74:75], v[70:71], v[68:69], v[72:73] op_sel_hi:[1,0,1]
	v_add_nc_u32_e32 v67, 1, v67
	v_pk_fma_f32 v[68:69], v[70:71], v[68:69], v[72:73] neg_lo:[0,0,1] neg_hi:[0,0,1]
	v_mov_b32_e32 v69, v75
	s_delay_alu instid0(VALU_DEP_3) | instskip(NEXT) | instid1(VALU_DEP_2)
	v_cmp_lt_u32_e32 vcc_lo, 17, v67
	v_pk_add_f32 v[62:63], v[62:63], v[68:69]
	s_or_b32 s3, vcc_lo, s3
	s_delay_alu instid0(SALU_CYCLE_1)
	s_and_not1_b32 exec_lo, exec_lo, s3
	s_cbranch_execnz .LBB28_467
; %bb.468:
	s_or_b32 exec_lo, exec_lo, s3
.LBB28_469:
	s_delay_alu instid0(SALU_CYCLE_1) | instskip(SKIP_4) | instid1(VALU_DEP_1)
	s_or_b32 exec_lo, exec_lo, s2
	v_mov_b32_e32 v65, 0
	ds_load_b64 v[66:67], v65 offset:152
	s_wait_dscnt 0x0
	v_pk_mul_f32 v[68:69], v[62:63], v[66:67] op_sel:[1,1] op_sel_hi:[0,1]
	v_pk_fma_f32 v[70:71], v[62:63], v[66:67], v[68:69] op_sel_hi:[1,0,1]
	v_pk_fma_f32 v[62:63], v[62:63], v[66:67], v[68:69] neg_lo:[0,0,1] neg_hi:[0,0,1]
	s_delay_alu instid0(VALU_DEP_2)
	v_mov_b32_e32 v63, v71
	scratch_store_b64 off, v[62:63], off offset:152
.LBB28_470:
	s_wait_xcnt 0x0
	s_or_b32 exec_lo, exec_lo, s0
	scratch_load_b64 v[62:63], off, off offset:160
	s_mov_b32 s0, exec_lo
	s_wait_loadcnt 0x0
	ds_store_b64 v1, v[62:63]
	s_wait_storecnt_dscnt 0x0
	s_barrier_signal -1
	s_barrier_wait -1
	s_wait_xcnt 0x0
	v_cmpx_gt_u32_e32 20, v0
	s_cbranch_execz .LBB28_480
; %bb.471:
	v_cmp_ne_u32_e32 vcc_lo, 1, v64
	s_cbranch_vccnz .LBB28_473
; %bb.472:
	scratch_load_b64 v[62:63], v39, off
	ds_load_b64 v[66:67], v1
	s_wait_loadcnt_dscnt 0x0
	v_pk_mul_f32 v[68:69], v[66:67], v[62:63] op_sel:[1,1] op_sel_hi:[0,1]
	s_delay_alu instid0(VALU_DEP_1) | instskip(SKIP_1) | instid1(VALU_DEP_2)
	v_pk_fma_f32 v[70:71], v[66:67], v[62:63], v[68:69] op_sel_hi:[1,0,1]
	v_pk_fma_f32 v[62:63], v[66:67], v[62:63], v[68:69] neg_lo:[0,0,1] neg_hi:[0,0,1]
	v_mov_b32_e32 v63, v71
	s_cbranch_execz .LBB28_474
	s_branch .LBB28_475
.LBB28_473:
                                        ; implicit-def: $vgpr62_vgpr63
.LBB28_474:
	ds_load_b64 v[62:63], v1
.LBB28_475:
	s_mov_b32 s2, exec_lo
	v_cmpx_ne_u32_e32 19, v0
	s_cbranch_execz .LBB28_479
; %bb.476:
	v_add_nc_u32_e32 v65, 0xf8, v38
	v_add3_u32 v66, 0, v38, 8
	v_mov_b32_e32 v67, v0
	s_mov_b32 s3, 0
.LBB28_477:                             ; =>This Inner Loop Header: Depth=1
	scratch_load_b64 v[68:69], v66, off
	ds_load_b64 v[70:71], v65
	s_wait_xcnt 0x0
	v_dual_add_nc_u32 v65, 8, v65 :: v_dual_add_nc_u32 v66, 8, v66
	s_wait_loadcnt_dscnt 0x0
	v_pk_mul_f32 v[72:73], v[70:71], v[68:69] op_sel:[1,1] op_sel_hi:[0,1]
	s_delay_alu instid0(VALU_DEP_1) | instskip(SKIP_2) | instid1(VALU_DEP_3)
	v_pk_fma_f32 v[74:75], v[70:71], v[68:69], v[72:73] op_sel_hi:[1,0,1]
	v_add_nc_u32_e32 v67, 1, v67
	v_pk_fma_f32 v[68:69], v[70:71], v[68:69], v[72:73] neg_lo:[0,0,1] neg_hi:[0,0,1]
	v_mov_b32_e32 v69, v75
	s_delay_alu instid0(VALU_DEP_3) | instskip(NEXT) | instid1(VALU_DEP_2)
	v_cmp_lt_u32_e32 vcc_lo, 18, v67
	v_pk_add_f32 v[62:63], v[62:63], v[68:69]
	s_or_b32 s3, vcc_lo, s3
	s_delay_alu instid0(SALU_CYCLE_1)
	s_and_not1_b32 exec_lo, exec_lo, s3
	s_cbranch_execnz .LBB28_477
; %bb.478:
	s_or_b32 exec_lo, exec_lo, s3
.LBB28_479:
	s_delay_alu instid0(SALU_CYCLE_1) | instskip(SKIP_4) | instid1(VALU_DEP_1)
	s_or_b32 exec_lo, exec_lo, s2
	v_mov_b32_e32 v65, 0
	ds_load_b64 v[66:67], v65 offset:160
	s_wait_dscnt 0x0
	v_pk_mul_f32 v[68:69], v[62:63], v[66:67] op_sel:[1,1] op_sel_hi:[0,1]
	v_pk_fma_f32 v[70:71], v[62:63], v[66:67], v[68:69] op_sel_hi:[1,0,1]
	v_pk_fma_f32 v[62:63], v[62:63], v[66:67], v[68:69] neg_lo:[0,0,1] neg_hi:[0,0,1]
	s_delay_alu instid0(VALU_DEP_2)
	v_mov_b32_e32 v63, v71
	scratch_store_b64 off, v[62:63], off offset:160
.LBB28_480:
	s_wait_xcnt 0x0
	s_or_b32 exec_lo, exec_lo, s0
	scratch_load_b64 v[62:63], off, off offset:168
	s_mov_b32 s0, exec_lo
	s_wait_loadcnt 0x0
	ds_store_b64 v1, v[62:63]
	s_wait_storecnt_dscnt 0x0
	s_barrier_signal -1
	s_barrier_wait -1
	s_wait_xcnt 0x0
	v_cmpx_gt_u32_e32 21, v0
	s_cbranch_execz .LBB28_490
; %bb.481:
	v_cmp_ne_u32_e32 vcc_lo, 1, v64
	s_cbranch_vccnz .LBB28_483
; %bb.482:
	scratch_load_b64 v[62:63], v39, off
	ds_load_b64 v[66:67], v1
	s_wait_loadcnt_dscnt 0x0
	v_pk_mul_f32 v[68:69], v[66:67], v[62:63] op_sel:[1,1] op_sel_hi:[0,1]
	s_delay_alu instid0(VALU_DEP_1) | instskip(SKIP_1) | instid1(VALU_DEP_2)
	v_pk_fma_f32 v[70:71], v[66:67], v[62:63], v[68:69] op_sel_hi:[1,0,1]
	v_pk_fma_f32 v[62:63], v[66:67], v[62:63], v[68:69] neg_lo:[0,0,1] neg_hi:[0,0,1]
	v_mov_b32_e32 v63, v71
	s_cbranch_execz .LBB28_484
	s_branch .LBB28_485
.LBB28_483:
                                        ; implicit-def: $vgpr62_vgpr63
.LBB28_484:
	ds_load_b64 v[62:63], v1
.LBB28_485:
	s_mov_b32 s2, exec_lo
	v_cmpx_ne_u32_e32 20, v0
	s_cbranch_execz .LBB28_489
; %bb.486:
	v_add_nc_u32_e32 v65, 0xf8, v38
	v_add3_u32 v66, 0, v38, 8
	v_mov_b32_e32 v67, v0
	s_mov_b32 s3, 0
.LBB28_487:                             ; =>This Inner Loop Header: Depth=1
	scratch_load_b64 v[68:69], v66, off
	ds_load_b64 v[70:71], v65
	s_wait_xcnt 0x0
	v_dual_add_nc_u32 v65, 8, v65 :: v_dual_add_nc_u32 v66, 8, v66
	s_wait_loadcnt_dscnt 0x0
	v_pk_mul_f32 v[72:73], v[70:71], v[68:69] op_sel:[1,1] op_sel_hi:[0,1]
	s_delay_alu instid0(VALU_DEP_1) | instskip(SKIP_2) | instid1(VALU_DEP_3)
	v_pk_fma_f32 v[74:75], v[70:71], v[68:69], v[72:73] op_sel_hi:[1,0,1]
	v_add_nc_u32_e32 v67, 1, v67
	v_pk_fma_f32 v[68:69], v[70:71], v[68:69], v[72:73] neg_lo:[0,0,1] neg_hi:[0,0,1]
	v_mov_b32_e32 v69, v75
	s_delay_alu instid0(VALU_DEP_3) | instskip(NEXT) | instid1(VALU_DEP_2)
	v_cmp_lt_u32_e32 vcc_lo, 19, v67
	v_pk_add_f32 v[62:63], v[62:63], v[68:69]
	s_or_b32 s3, vcc_lo, s3
	s_delay_alu instid0(SALU_CYCLE_1)
	s_and_not1_b32 exec_lo, exec_lo, s3
	s_cbranch_execnz .LBB28_487
; %bb.488:
	s_or_b32 exec_lo, exec_lo, s3
.LBB28_489:
	s_delay_alu instid0(SALU_CYCLE_1) | instskip(SKIP_4) | instid1(VALU_DEP_1)
	s_or_b32 exec_lo, exec_lo, s2
	v_mov_b32_e32 v65, 0
	ds_load_b64 v[66:67], v65 offset:168
	s_wait_dscnt 0x0
	v_pk_mul_f32 v[68:69], v[62:63], v[66:67] op_sel:[1,1] op_sel_hi:[0,1]
	v_pk_fma_f32 v[70:71], v[62:63], v[66:67], v[68:69] op_sel_hi:[1,0,1]
	v_pk_fma_f32 v[62:63], v[62:63], v[66:67], v[68:69] neg_lo:[0,0,1] neg_hi:[0,0,1]
	s_delay_alu instid0(VALU_DEP_2)
	v_mov_b32_e32 v63, v71
	scratch_store_b64 off, v[62:63], off offset:168
.LBB28_490:
	s_wait_xcnt 0x0
	s_or_b32 exec_lo, exec_lo, s0
	scratch_load_b64 v[62:63], off, off offset:176
	s_mov_b32 s0, exec_lo
	s_wait_loadcnt 0x0
	ds_store_b64 v1, v[62:63]
	s_wait_storecnt_dscnt 0x0
	s_barrier_signal -1
	s_barrier_wait -1
	s_wait_xcnt 0x0
	v_cmpx_gt_u32_e32 22, v0
	s_cbranch_execz .LBB28_500
; %bb.491:
	v_cmp_ne_u32_e32 vcc_lo, 1, v64
	s_cbranch_vccnz .LBB28_493
; %bb.492:
	scratch_load_b64 v[62:63], v39, off
	ds_load_b64 v[66:67], v1
	s_wait_loadcnt_dscnt 0x0
	v_pk_mul_f32 v[68:69], v[66:67], v[62:63] op_sel:[1,1] op_sel_hi:[0,1]
	s_delay_alu instid0(VALU_DEP_1) | instskip(SKIP_1) | instid1(VALU_DEP_2)
	v_pk_fma_f32 v[70:71], v[66:67], v[62:63], v[68:69] op_sel_hi:[1,0,1]
	v_pk_fma_f32 v[62:63], v[66:67], v[62:63], v[68:69] neg_lo:[0,0,1] neg_hi:[0,0,1]
	v_mov_b32_e32 v63, v71
	s_cbranch_execz .LBB28_494
	s_branch .LBB28_495
.LBB28_493:
                                        ; implicit-def: $vgpr62_vgpr63
.LBB28_494:
	ds_load_b64 v[62:63], v1
.LBB28_495:
	s_mov_b32 s2, exec_lo
	v_cmpx_ne_u32_e32 21, v0
	s_cbranch_execz .LBB28_499
; %bb.496:
	v_add_nc_u32_e32 v65, 0xf8, v38
	v_add3_u32 v66, 0, v38, 8
	v_mov_b32_e32 v67, v0
	s_mov_b32 s3, 0
.LBB28_497:                             ; =>This Inner Loop Header: Depth=1
	scratch_load_b64 v[68:69], v66, off
	ds_load_b64 v[70:71], v65
	s_wait_xcnt 0x0
	v_dual_add_nc_u32 v65, 8, v65 :: v_dual_add_nc_u32 v66, 8, v66
	s_wait_loadcnt_dscnt 0x0
	v_pk_mul_f32 v[72:73], v[70:71], v[68:69] op_sel:[1,1] op_sel_hi:[0,1]
	s_delay_alu instid0(VALU_DEP_1) | instskip(SKIP_2) | instid1(VALU_DEP_3)
	v_pk_fma_f32 v[74:75], v[70:71], v[68:69], v[72:73] op_sel_hi:[1,0,1]
	v_add_nc_u32_e32 v67, 1, v67
	v_pk_fma_f32 v[68:69], v[70:71], v[68:69], v[72:73] neg_lo:[0,0,1] neg_hi:[0,0,1]
	v_mov_b32_e32 v69, v75
	s_delay_alu instid0(VALU_DEP_3) | instskip(NEXT) | instid1(VALU_DEP_2)
	v_cmp_lt_u32_e32 vcc_lo, 20, v67
	v_pk_add_f32 v[62:63], v[62:63], v[68:69]
	s_or_b32 s3, vcc_lo, s3
	s_delay_alu instid0(SALU_CYCLE_1)
	s_and_not1_b32 exec_lo, exec_lo, s3
	s_cbranch_execnz .LBB28_497
; %bb.498:
	s_or_b32 exec_lo, exec_lo, s3
.LBB28_499:
	s_delay_alu instid0(SALU_CYCLE_1) | instskip(SKIP_4) | instid1(VALU_DEP_1)
	s_or_b32 exec_lo, exec_lo, s2
	v_mov_b32_e32 v65, 0
	ds_load_b64 v[66:67], v65 offset:176
	s_wait_dscnt 0x0
	v_pk_mul_f32 v[68:69], v[62:63], v[66:67] op_sel:[1,1] op_sel_hi:[0,1]
	v_pk_fma_f32 v[70:71], v[62:63], v[66:67], v[68:69] op_sel_hi:[1,0,1]
	v_pk_fma_f32 v[62:63], v[62:63], v[66:67], v[68:69] neg_lo:[0,0,1] neg_hi:[0,0,1]
	s_delay_alu instid0(VALU_DEP_2)
	v_mov_b32_e32 v63, v71
	scratch_store_b64 off, v[62:63], off offset:176
.LBB28_500:
	s_wait_xcnt 0x0
	s_or_b32 exec_lo, exec_lo, s0
	scratch_load_b64 v[62:63], off, off offset:184
	s_mov_b32 s0, exec_lo
	s_wait_loadcnt 0x0
	ds_store_b64 v1, v[62:63]
	s_wait_storecnt_dscnt 0x0
	s_barrier_signal -1
	s_barrier_wait -1
	s_wait_xcnt 0x0
	v_cmpx_gt_u32_e32 23, v0
	s_cbranch_execz .LBB28_510
; %bb.501:
	v_cmp_ne_u32_e32 vcc_lo, 1, v64
	s_cbranch_vccnz .LBB28_503
; %bb.502:
	scratch_load_b64 v[62:63], v39, off
	ds_load_b64 v[66:67], v1
	s_wait_loadcnt_dscnt 0x0
	v_pk_mul_f32 v[68:69], v[66:67], v[62:63] op_sel:[1,1] op_sel_hi:[0,1]
	s_delay_alu instid0(VALU_DEP_1) | instskip(SKIP_1) | instid1(VALU_DEP_2)
	v_pk_fma_f32 v[70:71], v[66:67], v[62:63], v[68:69] op_sel_hi:[1,0,1]
	v_pk_fma_f32 v[62:63], v[66:67], v[62:63], v[68:69] neg_lo:[0,0,1] neg_hi:[0,0,1]
	v_mov_b32_e32 v63, v71
	s_cbranch_execz .LBB28_504
	s_branch .LBB28_505
.LBB28_503:
                                        ; implicit-def: $vgpr62_vgpr63
.LBB28_504:
	ds_load_b64 v[62:63], v1
.LBB28_505:
	s_mov_b32 s2, exec_lo
	v_cmpx_ne_u32_e32 22, v0
	s_cbranch_execz .LBB28_509
; %bb.506:
	v_add_nc_u32_e32 v65, 0xf8, v38
	v_add3_u32 v66, 0, v38, 8
	v_mov_b32_e32 v67, v0
	s_mov_b32 s3, 0
.LBB28_507:                             ; =>This Inner Loop Header: Depth=1
	scratch_load_b64 v[68:69], v66, off
	ds_load_b64 v[70:71], v65
	s_wait_xcnt 0x0
	v_dual_add_nc_u32 v65, 8, v65 :: v_dual_add_nc_u32 v66, 8, v66
	s_wait_loadcnt_dscnt 0x0
	v_pk_mul_f32 v[72:73], v[70:71], v[68:69] op_sel:[1,1] op_sel_hi:[0,1]
	s_delay_alu instid0(VALU_DEP_1) | instskip(SKIP_2) | instid1(VALU_DEP_3)
	v_pk_fma_f32 v[74:75], v[70:71], v[68:69], v[72:73] op_sel_hi:[1,0,1]
	v_add_nc_u32_e32 v67, 1, v67
	v_pk_fma_f32 v[68:69], v[70:71], v[68:69], v[72:73] neg_lo:[0,0,1] neg_hi:[0,0,1]
	v_mov_b32_e32 v69, v75
	s_delay_alu instid0(VALU_DEP_3) | instskip(NEXT) | instid1(VALU_DEP_2)
	v_cmp_lt_u32_e32 vcc_lo, 21, v67
	v_pk_add_f32 v[62:63], v[62:63], v[68:69]
	s_or_b32 s3, vcc_lo, s3
	s_delay_alu instid0(SALU_CYCLE_1)
	s_and_not1_b32 exec_lo, exec_lo, s3
	s_cbranch_execnz .LBB28_507
; %bb.508:
	s_or_b32 exec_lo, exec_lo, s3
.LBB28_509:
	s_delay_alu instid0(SALU_CYCLE_1) | instskip(SKIP_4) | instid1(VALU_DEP_1)
	s_or_b32 exec_lo, exec_lo, s2
	v_mov_b32_e32 v65, 0
	ds_load_b64 v[66:67], v65 offset:184
	s_wait_dscnt 0x0
	v_pk_mul_f32 v[68:69], v[62:63], v[66:67] op_sel:[1,1] op_sel_hi:[0,1]
	v_pk_fma_f32 v[70:71], v[62:63], v[66:67], v[68:69] op_sel_hi:[1,0,1]
	v_pk_fma_f32 v[62:63], v[62:63], v[66:67], v[68:69] neg_lo:[0,0,1] neg_hi:[0,0,1]
	s_delay_alu instid0(VALU_DEP_2)
	v_mov_b32_e32 v63, v71
	scratch_store_b64 off, v[62:63], off offset:184
.LBB28_510:
	s_wait_xcnt 0x0
	s_or_b32 exec_lo, exec_lo, s0
	scratch_load_b64 v[62:63], off, off offset:192
	s_mov_b32 s0, exec_lo
	s_wait_loadcnt 0x0
	ds_store_b64 v1, v[62:63]
	s_wait_storecnt_dscnt 0x0
	s_barrier_signal -1
	s_barrier_wait -1
	s_wait_xcnt 0x0
	v_cmpx_gt_u32_e32 24, v0
	s_cbranch_execz .LBB28_520
; %bb.511:
	v_cmp_ne_u32_e32 vcc_lo, 1, v64
	s_cbranch_vccnz .LBB28_513
; %bb.512:
	scratch_load_b64 v[62:63], v39, off
	ds_load_b64 v[66:67], v1
	s_wait_loadcnt_dscnt 0x0
	v_pk_mul_f32 v[68:69], v[66:67], v[62:63] op_sel:[1,1] op_sel_hi:[0,1]
	s_delay_alu instid0(VALU_DEP_1) | instskip(SKIP_1) | instid1(VALU_DEP_2)
	v_pk_fma_f32 v[70:71], v[66:67], v[62:63], v[68:69] op_sel_hi:[1,0,1]
	v_pk_fma_f32 v[62:63], v[66:67], v[62:63], v[68:69] neg_lo:[0,0,1] neg_hi:[0,0,1]
	v_mov_b32_e32 v63, v71
	s_cbranch_execz .LBB28_514
	s_branch .LBB28_515
.LBB28_513:
                                        ; implicit-def: $vgpr62_vgpr63
.LBB28_514:
	ds_load_b64 v[62:63], v1
.LBB28_515:
	s_mov_b32 s2, exec_lo
	v_cmpx_ne_u32_e32 23, v0
	s_cbranch_execz .LBB28_519
; %bb.516:
	v_add_nc_u32_e32 v65, 0xf8, v38
	v_add3_u32 v66, 0, v38, 8
	v_mov_b32_e32 v67, v0
	s_mov_b32 s3, 0
.LBB28_517:                             ; =>This Inner Loop Header: Depth=1
	scratch_load_b64 v[68:69], v66, off
	ds_load_b64 v[70:71], v65
	s_wait_xcnt 0x0
	v_dual_add_nc_u32 v65, 8, v65 :: v_dual_add_nc_u32 v66, 8, v66
	s_wait_loadcnt_dscnt 0x0
	v_pk_mul_f32 v[72:73], v[70:71], v[68:69] op_sel:[1,1] op_sel_hi:[0,1]
	s_delay_alu instid0(VALU_DEP_1) | instskip(SKIP_2) | instid1(VALU_DEP_3)
	v_pk_fma_f32 v[74:75], v[70:71], v[68:69], v[72:73] op_sel_hi:[1,0,1]
	v_add_nc_u32_e32 v67, 1, v67
	v_pk_fma_f32 v[68:69], v[70:71], v[68:69], v[72:73] neg_lo:[0,0,1] neg_hi:[0,0,1]
	v_mov_b32_e32 v69, v75
	s_delay_alu instid0(VALU_DEP_3) | instskip(NEXT) | instid1(VALU_DEP_2)
	v_cmp_lt_u32_e32 vcc_lo, 22, v67
	v_pk_add_f32 v[62:63], v[62:63], v[68:69]
	s_or_b32 s3, vcc_lo, s3
	s_delay_alu instid0(SALU_CYCLE_1)
	s_and_not1_b32 exec_lo, exec_lo, s3
	s_cbranch_execnz .LBB28_517
; %bb.518:
	s_or_b32 exec_lo, exec_lo, s3
.LBB28_519:
	s_delay_alu instid0(SALU_CYCLE_1) | instskip(SKIP_4) | instid1(VALU_DEP_1)
	s_or_b32 exec_lo, exec_lo, s2
	v_mov_b32_e32 v65, 0
	ds_load_b64 v[66:67], v65 offset:192
	s_wait_dscnt 0x0
	v_pk_mul_f32 v[68:69], v[62:63], v[66:67] op_sel:[1,1] op_sel_hi:[0,1]
	v_pk_fma_f32 v[70:71], v[62:63], v[66:67], v[68:69] op_sel_hi:[1,0,1]
	v_pk_fma_f32 v[62:63], v[62:63], v[66:67], v[68:69] neg_lo:[0,0,1] neg_hi:[0,0,1]
	s_delay_alu instid0(VALU_DEP_2)
	v_mov_b32_e32 v63, v71
	scratch_store_b64 off, v[62:63], off offset:192
.LBB28_520:
	s_wait_xcnt 0x0
	s_or_b32 exec_lo, exec_lo, s0
	scratch_load_b64 v[62:63], off, off offset:200
	s_mov_b32 s0, exec_lo
	s_wait_loadcnt 0x0
	ds_store_b64 v1, v[62:63]
	s_wait_storecnt_dscnt 0x0
	s_barrier_signal -1
	s_barrier_wait -1
	s_wait_xcnt 0x0
	v_cmpx_gt_u32_e32 25, v0
	s_cbranch_execz .LBB28_530
; %bb.521:
	v_cmp_ne_u32_e32 vcc_lo, 1, v64
	s_cbranch_vccnz .LBB28_523
; %bb.522:
	scratch_load_b64 v[62:63], v39, off
	ds_load_b64 v[66:67], v1
	s_wait_loadcnt_dscnt 0x0
	v_pk_mul_f32 v[68:69], v[66:67], v[62:63] op_sel:[1,1] op_sel_hi:[0,1]
	s_delay_alu instid0(VALU_DEP_1) | instskip(SKIP_1) | instid1(VALU_DEP_2)
	v_pk_fma_f32 v[70:71], v[66:67], v[62:63], v[68:69] op_sel_hi:[1,0,1]
	v_pk_fma_f32 v[62:63], v[66:67], v[62:63], v[68:69] neg_lo:[0,0,1] neg_hi:[0,0,1]
	v_mov_b32_e32 v63, v71
	s_cbranch_execz .LBB28_524
	s_branch .LBB28_525
.LBB28_523:
                                        ; implicit-def: $vgpr62_vgpr63
.LBB28_524:
	ds_load_b64 v[62:63], v1
.LBB28_525:
	s_mov_b32 s2, exec_lo
	v_cmpx_ne_u32_e32 24, v0
	s_cbranch_execz .LBB28_529
; %bb.526:
	v_add_nc_u32_e32 v65, 0xf8, v38
	v_add3_u32 v66, 0, v38, 8
	v_mov_b32_e32 v67, v0
	s_mov_b32 s3, 0
.LBB28_527:                             ; =>This Inner Loop Header: Depth=1
	scratch_load_b64 v[68:69], v66, off
	ds_load_b64 v[70:71], v65
	s_wait_xcnt 0x0
	v_dual_add_nc_u32 v65, 8, v65 :: v_dual_add_nc_u32 v66, 8, v66
	s_wait_loadcnt_dscnt 0x0
	v_pk_mul_f32 v[72:73], v[70:71], v[68:69] op_sel:[1,1] op_sel_hi:[0,1]
	s_delay_alu instid0(VALU_DEP_1) | instskip(SKIP_2) | instid1(VALU_DEP_3)
	v_pk_fma_f32 v[74:75], v[70:71], v[68:69], v[72:73] op_sel_hi:[1,0,1]
	v_add_nc_u32_e32 v67, 1, v67
	v_pk_fma_f32 v[68:69], v[70:71], v[68:69], v[72:73] neg_lo:[0,0,1] neg_hi:[0,0,1]
	v_mov_b32_e32 v69, v75
	s_delay_alu instid0(VALU_DEP_3) | instskip(NEXT) | instid1(VALU_DEP_2)
	v_cmp_lt_u32_e32 vcc_lo, 23, v67
	v_pk_add_f32 v[62:63], v[62:63], v[68:69]
	s_or_b32 s3, vcc_lo, s3
	s_delay_alu instid0(SALU_CYCLE_1)
	s_and_not1_b32 exec_lo, exec_lo, s3
	s_cbranch_execnz .LBB28_527
; %bb.528:
	s_or_b32 exec_lo, exec_lo, s3
.LBB28_529:
	s_delay_alu instid0(SALU_CYCLE_1) | instskip(SKIP_4) | instid1(VALU_DEP_1)
	s_or_b32 exec_lo, exec_lo, s2
	v_mov_b32_e32 v65, 0
	ds_load_b64 v[66:67], v65 offset:200
	s_wait_dscnt 0x0
	v_pk_mul_f32 v[68:69], v[62:63], v[66:67] op_sel:[1,1] op_sel_hi:[0,1]
	v_pk_fma_f32 v[70:71], v[62:63], v[66:67], v[68:69] op_sel_hi:[1,0,1]
	v_pk_fma_f32 v[62:63], v[62:63], v[66:67], v[68:69] neg_lo:[0,0,1] neg_hi:[0,0,1]
	s_delay_alu instid0(VALU_DEP_2)
	v_mov_b32_e32 v63, v71
	scratch_store_b64 off, v[62:63], off offset:200
.LBB28_530:
	s_wait_xcnt 0x0
	s_or_b32 exec_lo, exec_lo, s0
	scratch_load_b64 v[62:63], off, off offset:208
	s_mov_b32 s0, exec_lo
	s_wait_loadcnt 0x0
	ds_store_b64 v1, v[62:63]
	s_wait_storecnt_dscnt 0x0
	s_barrier_signal -1
	s_barrier_wait -1
	s_wait_xcnt 0x0
	v_cmpx_gt_u32_e32 26, v0
	s_cbranch_execz .LBB28_540
; %bb.531:
	v_cmp_ne_u32_e32 vcc_lo, 1, v64
	s_cbranch_vccnz .LBB28_533
; %bb.532:
	scratch_load_b64 v[62:63], v39, off
	ds_load_b64 v[66:67], v1
	s_wait_loadcnt_dscnt 0x0
	v_pk_mul_f32 v[68:69], v[66:67], v[62:63] op_sel:[1,1] op_sel_hi:[0,1]
	s_delay_alu instid0(VALU_DEP_1) | instskip(SKIP_1) | instid1(VALU_DEP_2)
	v_pk_fma_f32 v[70:71], v[66:67], v[62:63], v[68:69] op_sel_hi:[1,0,1]
	v_pk_fma_f32 v[62:63], v[66:67], v[62:63], v[68:69] neg_lo:[0,0,1] neg_hi:[0,0,1]
	v_mov_b32_e32 v63, v71
	s_cbranch_execz .LBB28_534
	s_branch .LBB28_535
.LBB28_533:
                                        ; implicit-def: $vgpr62_vgpr63
.LBB28_534:
	ds_load_b64 v[62:63], v1
.LBB28_535:
	s_mov_b32 s2, exec_lo
	v_cmpx_ne_u32_e32 25, v0
	s_cbranch_execz .LBB28_539
; %bb.536:
	v_add_nc_u32_e32 v65, 0xf8, v38
	v_add3_u32 v66, 0, v38, 8
	v_mov_b32_e32 v67, v0
	s_mov_b32 s3, 0
.LBB28_537:                             ; =>This Inner Loop Header: Depth=1
	scratch_load_b64 v[68:69], v66, off
	ds_load_b64 v[70:71], v65
	s_wait_xcnt 0x0
	v_dual_add_nc_u32 v65, 8, v65 :: v_dual_add_nc_u32 v66, 8, v66
	s_wait_loadcnt_dscnt 0x0
	v_pk_mul_f32 v[72:73], v[70:71], v[68:69] op_sel:[1,1] op_sel_hi:[0,1]
	s_delay_alu instid0(VALU_DEP_1) | instskip(SKIP_2) | instid1(VALU_DEP_3)
	v_pk_fma_f32 v[74:75], v[70:71], v[68:69], v[72:73] op_sel_hi:[1,0,1]
	v_add_nc_u32_e32 v67, 1, v67
	v_pk_fma_f32 v[68:69], v[70:71], v[68:69], v[72:73] neg_lo:[0,0,1] neg_hi:[0,0,1]
	v_mov_b32_e32 v69, v75
	s_delay_alu instid0(VALU_DEP_3) | instskip(NEXT) | instid1(VALU_DEP_2)
	v_cmp_lt_u32_e32 vcc_lo, 24, v67
	v_pk_add_f32 v[62:63], v[62:63], v[68:69]
	s_or_b32 s3, vcc_lo, s3
	s_delay_alu instid0(SALU_CYCLE_1)
	s_and_not1_b32 exec_lo, exec_lo, s3
	s_cbranch_execnz .LBB28_537
; %bb.538:
	s_or_b32 exec_lo, exec_lo, s3
.LBB28_539:
	s_delay_alu instid0(SALU_CYCLE_1) | instskip(SKIP_4) | instid1(VALU_DEP_1)
	s_or_b32 exec_lo, exec_lo, s2
	v_mov_b32_e32 v65, 0
	ds_load_b64 v[66:67], v65 offset:208
	s_wait_dscnt 0x0
	v_pk_mul_f32 v[68:69], v[62:63], v[66:67] op_sel:[1,1] op_sel_hi:[0,1]
	v_pk_fma_f32 v[70:71], v[62:63], v[66:67], v[68:69] op_sel_hi:[1,0,1]
	v_pk_fma_f32 v[62:63], v[62:63], v[66:67], v[68:69] neg_lo:[0,0,1] neg_hi:[0,0,1]
	s_delay_alu instid0(VALU_DEP_2)
	v_mov_b32_e32 v63, v71
	scratch_store_b64 off, v[62:63], off offset:208
.LBB28_540:
	s_wait_xcnt 0x0
	s_or_b32 exec_lo, exec_lo, s0
	scratch_load_b64 v[62:63], off, off offset:216
	v_cmp_gt_u32_e64 s0, 27, v0
	s_wait_loadcnt 0x0
	ds_store_b64 v1, v[62:63]
	s_wait_storecnt_dscnt 0x0
	s_barrier_signal -1
	s_barrier_wait -1
	s_wait_xcnt 0x0
	s_and_saveexec_b32 s2, s0
	s_cbranch_execz .LBB28_550
; %bb.541:
	v_cmp_ne_u32_e32 vcc_lo, 1, v64
	s_cbranch_vccnz .LBB28_543
; %bb.542:
	scratch_load_b64 v[62:63], v39, off
	ds_load_b64 v[66:67], v1
	s_wait_loadcnt_dscnt 0x0
	v_pk_mul_f32 v[68:69], v[66:67], v[62:63] op_sel:[1,1] op_sel_hi:[0,1]
	s_delay_alu instid0(VALU_DEP_1) | instskip(SKIP_1) | instid1(VALU_DEP_2)
	v_pk_fma_f32 v[70:71], v[66:67], v[62:63], v[68:69] op_sel_hi:[1,0,1]
	v_pk_fma_f32 v[62:63], v[66:67], v[62:63], v[68:69] neg_lo:[0,0,1] neg_hi:[0,0,1]
	v_mov_b32_e32 v63, v71
	s_cbranch_execz .LBB28_544
	s_branch .LBB28_545
.LBB28_543:
                                        ; implicit-def: $vgpr62_vgpr63
.LBB28_544:
	ds_load_b64 v[62:63], v1
.LBB28_545:
	s_mov_b32 s3, exec_lo
	v_cmpx_ne_u32_e32 26, v0
	s_cbranch_execz .LBB28_549
; %bb.546:
	v_add_nc_u32_e32 v65, 0xf8, v38
	v_add3_u32 v66, 0, v38, 8
	v_mov_b32_e32 v67, v0
	s_mov_b32 s4, 0
.LBB28_547:                             ; =>This Inner Loop Header: Depth=1
	scratch_load_b64 v[68:69], v66, off
	ds_load_b64 v[70:71], v65
	s_wait_xcnt 0x0
	v_dual_add_nc_u32 v65, 8, v65 :: v_dual_add_nc_u32 v66, 8, v66
	s_wait_loadcnt_dscnt 0x0
	v_pk_mul_f32 v[72:73], v[70:71], v[68:69] op_sel:[1,1] op_sel_hi:[0,1]
	s_delay_alu instid0(VALU_DEP_1) | instskip(SKIP_2) | instid1(VALU_DEP_3)
	v_pk_fma_f32 v[74:75], v[70:71], v[68:69], v[72:73] op_sel_hi:[1,0,1]
	v_add_nc_u32_e32 v67, 1, v67
	v_pk_fma_f32 v[68:69], v[70:71], v[68:69], v[72:73] neg_lo:[0,0,1] neg_hi:[0,0,1]
	v_mov_b32_e32 v69, v75
	s_delay_alu instid0(VALU_DEP_3) | instskip(NEXT) | instid1(VALU_DEP_2)
	v_cmp_lt_u32_e32 vcc_lo, 25, v67
	v_pk_add_f32 v[62:63], v[62:63], v[68:69]
	s_or_b32 s4, vcc_lo, s4
	s_delay_alu instid0(SALU_CYCLE_1)
	s_and_not1_b32 exec_lo, exec_lo, s4
	s_cbranch_execnz .LBB28_547
; %bb.548:
	s_or_b32 exec_lo, exec_lo, s4
.LBB28_549:
	s_delay_alu instid0(SALU_CYCLE_1) | instskip(SKIP_4) | instid1(VALU_DEP_1)
	s_or_b32 exec_lo, exec_lo, s3
	v_mov_b32_e32 v65, 0
	ds_load_b64 v[66:67], v65 offset:216
	s_wait_dscnt 0x0
	v_pk_mul_f32 v[68:69], v[62:63], v[66:67] op_sel:[1,1] op_sel_hi:[0,1]
	v_pk_fma_f32 v[70:71], v[62:63], v[66:67], v[68:69] op_sel_hi:[1,0,1]
	v_pk_fma_f32 v[62:63], v[62:63], v[66:67], v[68:69] neg_lo:[0,0,1] neg_hi:[0,0,1]
	s_delay_alu instid0(VALU_DEP_2)
	v_mov_b32_e32 v63, v71
	scratch_store_b64 off, v[62:63], off offset:216
.LBB28_550:
	s_wait_xcnt 0x0
	s_or_b32 exec_lo, exec_lo, s2
	scratch_load_b64 v[62:63], off, off offset:224
	s_mov_b32 s2, exec_lo
                                        ; implicit-def: $vgpr78
                                        ; implicit-def: $sgpr4
	s_wait_loadcnt 0x0
	ds_store_b64 v1, v[62:63]
	s_wait_storecnt_dscnt 0x0
	s_barrier_signal -1
	s_barrier_wait -1
	s_wait_xcnt 0x0
	v_cmpx_ne_u32_e32 28, v0
	s_cbranch_execz .LBB28_560
; %bb.551:
	v_cmp_ne_u32_e32 vcc_lo, 1, v64
	s_cbranch_vccnz .LBB28_553
; %bb.552:
	scratch_load_b64 v[64:65], v39, off
	ds_load_b64 v[66:67], v1
	s_wait_loadcnt_dscnt 0x0
	v_dual_mul_f32 v39, v67, v65 :: v_dual_mul_f32 v63, v66, v65
	s_delay_alu instid0(VALU_DEP_1) | instskip(NEXT) | instid1(VALU_DEP_2)
	v_fma_f32 v62, v66, v64, -v39
	v_fmac_f32_e32 v63, v67, v64
	s_cbranch_execz .LBB28_554
	s_branch .LBB28_555
.LBB28_553:
                                        ; implicit-def: $vgpr63
.LBB28_554:
	ds_load_b64 v[62:63], v1
.LBB28_555:
	s_and_saveexec_b32 s3, s0
	s_cbranch_execz .LBB28_559
; %bb.556:
	v_add_nc_u32_e32 v1, 0xf8, v38
	v_add3_u32 v38, 0, v38, 8
	s_mov_b32 s0, 0
.LBB28_557:                             ; =>This Inner Loop Header: Depth=1
	scratch_load_b64 v[64:65], v38, off
	ds_load_b64 v[66:67], v1
	v_dual_add_nc_u32 v0, 1, v0 :: v_dual_add_nc_u32 v1, 8, v1
	s_delay_alu instid0(VALU_DEP_1) | instskip(SKIP_3) | instid1(VALU_DEP_1)
	v_cmp_lt_u32_e32 vcc_lo, 26, v0
	s_or_b32 s0, vcc_lo, s0
	s_wait_loadcnt_dscnt 0x0
	v_dual_mul_f32 v39, v67, v65 :: v_dual_mul_f32 v65, v66, v65
	v_dual_fma_f32 v39, v66, v64, -v39 :: v_dual_fmac_f32 v65, v67, v64
	s_delay_alu instid0(VALU_DEP_1) | instskip(NEXT) | instid1(VALU_DEP_2)
	v_dual_add_nc_u32 v38, 8, v38 :: v_dual_add_f32 v62, v62, v39
	v_add_f32_e32 v63, v63, v65
	s_and_not1_b32 exec_lo, exec_lo, s0
	s_cbranch_execnz .LBB28_557
; %bb.558:
	s_or_b32 exec_lo, exec_lo, s0
.LBB28_559:
	s_delay_alu instid0(SALU_CYCLE_1)
	s_or_b32 exec_lo, exec_lo, s3
	v_mov_b32_e32 v0, 0
	s_movk_i32 s4, 0xe4
	s_or_b32 s1, s1, exec_lo
	ds_load_b64 v[0:1], v0 offset:224
	s_wait_dscnt 0x0
	v_dual_mul_f32 v38, v63, v1 :: v_dual_mul_f32 v78, v62, v1
	s_delay_alu instid0(VALU_DEP_1) | instskip(NEXT) | instid1(VALU_DEP_2)
	v_fma_f32 v1, v62, v0, -v38
	v_fmac_f32_e32 v78, v63, v0
	scratch_store_b32 off, v1, off offset:224
.LBB28_560:
	s_wait_xcnt 0x0
	s_or_b32 exec_lo, exec_lo, s2
.LBB28_561:
	v_lshl_add_u64 v[76:77], v[6:7], 3, s[6:7]
	v_lshl_add_u64 v[74:75], v[8:9], 3, s[6:7]
	;; [unrolled: 1-line block ×27, first 2 shown]
	s_and_saveexec_b32 s0, s1
	s_cbranch_execz .LBB28_563
; %bb.562:
	scratch_store_b32 off, v78, s4
.LBB28_563:
	s_wait_xcnt 0x0
	s_or_b32 exec_lo, exec_lo, s0
	s_clause 0x4
	scratch_load_b128 v[42:45], off, off
	scratch_load_b128 v[46:49], off, off offset:16
	scratch_load_b128 v[50:53], off, off offset:32
	;; [unrolled: 1-line block ×4, first 2 shown]
	s_wait_loadcnt 0x4
	s_clause 0x1
	global_store_b64 v[2:3], v[42:43], off
	global_store_b64 v[4:5], v[44:45], off
	scratch_load_b128 v[2:5], off, off offset:80
	s_wait_loadcnt 0x4
	s_clause 0x1
	global_store_b64 v[76:77], v[46:47], off
	global_store_b64 v[74:75], v[48:49], off
	s_wait_loadcnt 0x3
	s_clause 0x1
	global_store_b64 v[72:73], v[50:51], off
	global_store_b64 v[70:71], v[52:53], off
	;; [unrolled: 4-line block ×4, first 2 shown]
	s_clause 0x8
	scratch_load_b128 v[42:45], off, off offset:96
	scratch_load_b128 v[46:49], off, off offset:112
	;; [unrolled: 1-line block ×8, first 2 shown]
	scratch_load_b64 v[62:63], off, off offset:224
	s_wait_loadcnt 0x9
	s_clause 0x1
	global_store_b64 v[0:1], v[2:3], off
	global_store_b64 v[6:7], v[4:5], off
	s_wait_loadcnt 0x8
	s_clause 0x1
	global_store_b64 v[8:9], v[42:43], off
	global_store_b64 v[10:11], v[44:45], off
	;; [unrolled: 4-line block ×9, first 2 shown]
	s_wait_loadcnt 0x0
	global_store_b64 v[40:41], v[62:63], off
.LBB28_564:
	s_sendmsg sendmsg(MSG_DEALLOC_VGPRS)
	s_endpgm
	.section	.rodata,"a",@progbits
	.p2align	6, 0x0
	.amdhsa_kernel _ZN9rocsolver6v33100L18trti2_kernel_smallILi29E19rocblas_complex_numIfEPS3_EEv13rocblas_fill_17rocblas_diagonal_T1_iil
		.amdhsa_group_segment_fixed_size 472
		.amdhsa_private_segment_fixed_size 240
		.amdhsa_kernarg_size 32
		.amdhsa_user_sgpr_count 2
		.amdhsa_user_sgpr_dispatch_ptr 0
		.amdhsa_user_sgpr_queue_ptr 0
		.amdhsa_user_sgpr_kernarg_segment_ptr 1
		.amdhsa_user_sgpr_dispatch_id 0
		.amdhsa_user_sgpr_kernarg_preload_length 0
		.amdhsa_user_sgpr_kernarg_preload_offset 0
		.amdhsa_user_sgpr_private_segment_size 0
		.amdhsa_wavefront_size32 1
		.amdhsa_uses_dynamic_stack 0
		.amdhsa_enable_private_segment 1
		.amdhsa_system_sgpr_workgroup_id_x 1
		.amdhsa_system_sgpr_workgroup_id_y 0
		.amdhsa_system_sgpr_workgroup_id_z 0
		.amdhsa_system_sgpr_workgroup_info 0
		.amdhsa_system_vgpr_workitem_id 0
		.amdhsa_next_free_vgpr 90
		.amdhsa_next_free_sgpr 21
		.amdhsa_named_barrier_count 0
		.amdhsa_reserve_vcc 1
		.amdhsa_float_round_mode_32 0
		.amdhsa_float_round_mode_16_64 0
		.amdhsa_float_denorm_mode_32 3
		.amdhsa_float_denorm_mode_16_64 3
		.amdhsa_fp16_overflow 0
		.amdhsa_memory_ordered 1
		.amdhsa_forward_progress 1
		.amdhsa_inst_pref_size 171
		.amdhsa_round_robin_scheduling 0
		.amdhsa_exception_fp_ieee_invalid_op 0
		.amdhsa_exception_fp_denorm_src 0
		.amdhsa_exception_fp_ieee_div_zero 0
		.amdhsa_exception_fp_ieee_overflow 0
		.amdhsa_exception_fp_ieee_underflow 0
		.amdhsa_exception_fp_ieee_inexact 0
		.amdhsa_exception_int_div_zero 0
	.end_amdhsa_kernel
	.section	.text._ZN9rocsolver6v33100L18trti2_kernel_smallILi29E19rocblas_complex_numIfEPS3_EEv13rocblas_fill_17rocblas_diagonal_T1_iil,"axG",@progbits,_ZN9rocsolver6v33100L18trti2_kernel_smallILi29E19rocblas_complex_numIfEPS3_EEv13rocblas_fill_17rocblas_diagonal_T1_iil,comdat
.Lfunc_end28:
	.size	_ZN9rocsolver6v33100L18trti2_kernel_smallILi29E19rocblas_complex_numIfEPS3_EEv13rocblas_fill_17rocblas_diagonal_T1_iil, .Lfunc_end28-_ZN9rocsolver6v33100L18trti2_kernel_smallILi29E19rocblas_complex_numIfEPS3_EEv13rocblas_fill_17rocblas_diagonal_T1_iil
                                        ; -- End function
	.set _ZN9rocsolver6v33100L18trti2_kernel_smallILi29E19rocblas_complex_numIfEPS3_EEv13rocblas_fill_17rocblas_diagonal_T1_iil.num_vgpr, 90
	.set _ZN9rocsolver6v33100L18trti2_kernel_smallILi29E19rocblas_complex_numIfEPS3_EEv13rocblas_fill_17rocblas_diagonal_T1_iil.num_agpr, 0
	.set _ZN9rocsolver6v33100L18trti2_kernel_smallILi29E19rocblas_complex_numIfEPS3_EEv13rocblas_fill_17rocblas_diagonal_T1_iil.numbered_sgpr, 21
	.set _ZN9rocsolver6v33100L18trti2_kernel_smallILi29E19rocblas_complex_numIfEPS3_EEv13rocblas_fill_17rocblas_diagonal_T1_iil.num_named_barrier, 0
	.set _ZN9rocsolver6v33100L18trti2_kernel_smallILi29E19rocblas_complex_numIfEPS3_EEv13rocblas_fill_17rocblas_diagonal_T1_iil.private_seg_size, 240
	.set _ZN9rocsolver6v33100L18trti2_kernel_smallILi29E19rocblas_complex_numIfEPS3_EEv13rocblas_fill_17rocblas_diagonal_T1_iil.uses_vcc, 1
	.set _ZN9rocsolver6v33100L18trti2_kernel_smallILi29E19rocblas_complex_numIfEPS3_EEv13rocblas_fill_17rocblas_diagonal_T1_iil.uses_flat_scratch, 1
	.set _ZN9rocsolver6v33100L18trti2_kernel_smallILi29E19rocblas_complex_numIfEPS3_EEv13rocblas_fill_17rocblas_diagonal_T1_iil.has_dyn_sized_stack, 0
	.set _ZN9rocsolver6v33100L18trti2_kernel_smallILi29E19rocblas_complex_numIfEPS3_EEv13rocblas_fill_17rocblas_diagonal_T1_iil.has_recursion, 0
	.set _ZN9rocsolver6v33100L18trti2_kernel_smallILi29E19rocblas_complex_numIfEPS3_EEv13rocblas_fill_17rocblas_diagonal_T1_iil.has_indirect_call, 0
	.section	.AMDGPU.csdata,"",@progbits
; Kernel info:
; codeLenInByte = 21852
; TotalNumSgprs: 23
; NumVgprs: 90
; ScratchSize: 240
; MemoryBound: 0
; FloatMode: 240
; IeeeMode: 1
; LDSByteSize: 472 bytes/workgroup (compile time only)
; SGPRBlocks: 0
; VGPRBlocks: 5
; NumSGPRsForWavesPerEU: 23
; NumVGPRsForWavesPerEU: 90
; NamedBarCnt: 0
; Occupancy: 10
; WaveLimiterHint : 0
; COMPUTE_PGM_RSRC2:SCRATCH_EN: 1
; COMPUTE_PGM_RSRC2:USER_SGPR: 2
; COMPUTE_PGM_RSRC2:TRAP_HANDLER: 0
; COMPUTE_PGM_RSRC2:TGID_X_EN: 1
; COMPUTE_PGM_RSRC2:TGID_Y_EN: 0
; COMPUTE_PGM_RSRC2:TGID_Z_EN: 0
; COMPUTE_PGM_RSRC2:TIDIG_COMP_CNT: 0
	.section	.text._ZN9rocsolver6v33100L18trti2_kernel_smallILi30E19rocblas_complex_numIfEPS3_EEv13rocblas_fill_17rocblas_diagonal_T1_iil,"axG",@progbits,_ZN9rocsolver6v33100L18trti2_kernel_smallILi30E19rocblas_complex_numIfEPS3_EEv13rocblas_fill_17rocblas_diagonal_T1_iil,comdat
	.globl	_ZN9rocsolver6v33100L18trti2_kernel_smallILi30E19rocblas_complex_numIfEPS3_EEv13rocblas_fill_17rocblas_diagonal_T1_iil ; -- Begin function _ZN9rocsolver6v33100L18trti2_kernel_smallILi30E19rocblas_complex_numIfEPS3_EEv13rocblas_fill_17rocblas_diagonal_T1_iil
	.p2align	8
	.type	_ZN9rocsolver6v33100L18trti2_kernel_smallILi30E19rocblas_complex_numIfEPS3_EEv13rocblas_fill_17rocblas_diagonal_T1_iil,@function
_ZN9rocsolver6v33100L18trti2_kernel_smallILi30E19rocblas_complex_numIfEPS3_EEv13rocblas_fill_17rocblas_diagonal_T1_iil: ; @_ZN9rocsolver6v33100L18trti2_kernel_smallILi30E19rocblas_complex_numIfEPS3_EEv13rocblas_fill_17rocblas_diagonal_T1_iil
; %bb.0:
	s_mov_b32 s2, exec_lo
	v_cmpx_gt_u32_e32 30, v0
	s_cbranch_execz .LBB29_584
; %bb.1:
	s_load_b256 s[4:11], s[0:1], 0x0
	s_wait_xcnt 0x0
	s_bfe_u32 s0, ttmp6, 0x4000c
	s_and_b32 s1, ttmp6, 15
	s_add_co_i32 s0, s0, 1
	s_getreg_b32 s2, hwreg(HW_REG_IB_STS2, 6, 4)
	s_mul_i32 s0, ttmp9, s0
	v_mov_b32_e32 v39, 0
	s_add_co_i32 s0, s1, s0
	s_wait_kmcnt 0x0
	v_add3_u32 v4, s9, s9, v0
	s_ashr_i32 s1, s8, 31
	s_cmp_eq_u32 s2, 0
	s_cselect_b32 s2, ttmp9, s0
	s_delay_alu instid0(VALU_DEP_1)
	v_add_nc_u32_e32 v8, s9, v4
	s_ashr_i32 s3, s2, 31
	s_mov_b32 s0, s8
	s_mul_u64 s[2:3], s[10:11], s[2:3]
	s_lshl_b64 s[0:1], s[0:1], 3
	v_add_nc_u32_e32 v10, s9, v8
	v_lshlrev_b32_e32 v38, 3, v0
	s_lshl_b64 s[2:3], s[2:3], 3
	s_delay_alu instid0(SALU_CYCLE_1) | instskip(NEXT) | instid1(VALU_DEP_2)
	s_add_nc_u64 s[2:3], s[6:7], s[2:3]
	v_add_nc_u32_e32 v12, s9, v10
	s_add_nc_u64 s[6:7], s[2:3], s[0:1]
	s_mov_b32 s0, s9
	v_add_nc_u64_e32 v[2:3], s[6:7], v[38:39]
	s_ashr_i32 s1, s9, 31
	v_add_nc_u32_e32 v14, s9, v12
	s_cmp_lg_u32 s5, 0x84
	s_cselect_b32 s3, -1, 0
	s_delay_alu instid0(VALU_DEP_2) | instskip(NEXT) | instid1(VALU_DEP_2)
	v_lshl_add_u64 v[6:7], s[0:1], 3, v[2:3]
	v_add_nc_u32_e32 v16, s9, v14
	s_clause 0x5
	global_load_b64 v[44:45], v10, s[6:7] scale_offset
	global_load_b64 v[46:47], v12, s[6:7] scale_offset
	;; [unrolled: 1-line block ×3, first 2 shown]
	global_load_b64 v[50:51], v[6:7], off
	global_load_b64 v[52:53], v4, s[6:7] scale_offset
	global_load_b64 v[54:55], v8, s[6:7] scale_offset
	s_mov_b32 s0, -1
	v_add_nc_u32_e32 v18, s9, v16
	s_and_b32 vcc_lo, exec_lo, s3
	s_delay_alu instid0(VALU_DEP_1) | instskip(NEXT) | instid1(VALU_DEP_1)
	v_add_nc_u32_e32 v20, s9, v18
	v_add_nc_u32_e32 v22, s9, v20
	s_delay_alu instid0(VALU_DEP_1)
	v_add_nc_u32_e32 v24, s9, v22
	s_clause 0x3
	global_load_b64 v[56:57], v14, s[6:7] scale_offset
	global_load_b64 v[58:59], v16, s[6:7] scale_offset
	;; [unrolled: 1-line block ×4, first 2 shown]
	v_add_nc_u32_e32 v26, s9, v24
	s_delay_alu instid0(VALU_DEP_1) | instskip(SKIP_4) | instid1(VALU_DEP_1)
	v_add_nc_u32_e32 v28, s9, v26
	s_clause 0x1
	global_load_b64 v[64:65], v22, s[6:7] scale_offset
	global_load_b64 v[66:67], v24, s[6:7] scale_offset
	v_add_nc_u32_e32 v30, s9, v28
	v_add_nc_u32_e32 v32, s9, v30
	s_clause 0x1
	global_load_b64 v[68:69], v26, s[6:7] scale_offset
	global_load_b64 v[70:71], v28, s[6:7] scale_offset
	v_add_nc_u32_e32 v34, s9, v32
	s_delay_alu instid0(VALU_DEP_1) | instskip(SKIP_4) | instid1(VALU_DEP_1)
	v_add_nc_u32_e32 v36, s9, v34
	s_clause 0x1
	global_load_b64 v[72:73], v30, s[6:7] scale_offset
	global_load_b64 v[74:75], v32, s[6:7] scale_offset
	v_add_nc_u32_e32 v40, s9, v36
	v_add_nc_u32_e32 v42, s9, v40
	s_wait_loadcnt 0xe
	scratch_store_b128 off, v[44:47], off offset:32
	s_wait_loadcnt 0xc
	scratch_store_b128 off, v[48:51], off
	s_wait_xcnt 0x1
	v_add_nc_u32_e32 v44, s9, v42
	s_clause 0x1
	global_load_b64 v[76:77], v34, s[6:7] scale_offset
	global_load_b64 v[78:79], v36, s[6:7] scale_offset
	s_wait_loadcnt 0xc
	scratch_store_b128 off, v[52:55], off offset:16
	v_add_nc_u32_e32 v46, s9, v44
	s_wait_xcnt 0x3
	s_delay_alu instid0(VALU_DEP_1) | instskip(NEXT) | instid1(VALU_DEP_1)
	v_add_nc_u32_e32 v48, s9, v46
	v_add_nc_u32_e32 v50, s9, v48
	s_wait_loadcnt 0xa
	scratch_store_b128 off, v[56:59], off offset:48
	s_wait_xcnt 0x1
	v_add_nc_u32_e32 v52, s9, v50
	s_clause 0x1
	global_load_b64 v[80:81], v40, s[6:7] scale_offset
	global_load_b64 v[82:83], v42, s[6:7] scale_offset
	s_wait_loadcnt 0xa
	scratch_store_b128 off, v[60:63], off offset:64
	v_add_nc_u32_e32 v54, s9, v52
	s_wait_xcnt 0x3
	s_delay_alu instid0(VALU_DEP_1)
	v_add_nc_u32_e32 v56, s9, v54
	s_clause 0x1
	global_load_b64 v[84:85], v44, s[6:7] scale_offset
	global_load_b64 v[86:87], v46, s[6:7] scale_offset
	s_wait_loadcnt 0xa
	scratch_store_b128 off, v[64:67], off offset:80
	v_add_nc_u32_e32 v58, s9, v56
	s_wait_xcnt 0x3
	s_delay_alu instid0(VALU_DEP_1)
	v_add_nc_u32_e32 v60, s9, v58
	s_clause 0x1
	global_load_b64 v[64:65], v48, s[6:7] scale_offset
	global_load_b64 v[66:67], v50, s[6:7] scale_offset
	s_wait_loadcnt 0xa
	scratch_store_b128 off, v[68:71], off offset:96
	v_add_nc_u32_e32 v62, s9, v60
	s_wait_loadcnt 0x8
	scratch_store_b128 off, v[72:75], off offset:112
	s_wait_loadcnt 0x6
	scratch_store_b128 off, v[76:79], off offset:128
	;; [unrolled: 2-line block ×4, first 2 shown]
	s_clause 0x3
	global_load_b64 v[68:69], v52, s[6:7] scale_offset
	global_load_b64 v[70:71], v54, s[6:7] scale_offset
	global_load_b64 v[72:73], v56, s[6:7] scale_offset
	global_load_b64 v[74:75], v58, s[6:7] scale_offset
	s_wait_loadcnt 0x4
	scratch_store_b128 off, v[64:67], off offset:176
	s_clause 0x1
	global_load_b64 v[64:65], v60, s[6:7] scale_offset
	global_load_b64 v[66:67], v62, s[6:7] scale_offset
	s_wait_loadcnt 0x4
	scratch_store_b128 off, v[68:71], off offset:192
	s_wait_loadcnt 0x2
	scratch_store_b128 off, v[72:75], off offset:208
	;; [unrolled: 2-line block ×3, first 2 shown]
	s_cbranch_vccz .LBB29_7
; %bb.2:
	scratch_load_b64 v[64:65], v0, off scale_offset
                                        ; implicit-def: $vgpr69
                                        ; implicit-def: $vgpr66
	s_wait_loadcnt 0x0
	v_cmp_ngt_f32_e64 s0, |v64|, |v65|
	s_wait_xcnt 0x0
	s_and_saveexec_b32 s1, s0
	s_delay_alu instid0(SALU_CYCLE_1)
	s_xor_b32 s0, exec_lo, s1
	s_cbranch_execz .LBB29_4
; %bb.3:
	v_div_scale_f32 v1, null, v65, v65, v64
	v_div_scale_f32 v11, vcc_lo, v64, v65, v64
	s_delay_alu instid0(VALU_DEP_2) | instskip(SKIP_1) | instid1(TRANS32_DEP_1)
	v_rcp_f32_e32 v5, v1
	v_nop
	v_fma_f32 v9, -v1, v5, 1.0
	s_delay_alu instid0(VALU_DEP_1) | instskip(NEXT) | instid1(VALU_DEP_1)
	v_fmac_f32_e32 v5, v9, v5
	v_mul_f32_e32 v9, v11, v5
	s_delay_alu instid0(VALU_DEP_1) | instskip(NEXT) | instid1(VALU_DEP_1)
	v_fma_f32 v13, -v1, v9, v11
	v_fmac_f32_e32 v9, v13, v5
	s_delay_alu instid0(VALU_DEP_1) | instskip(NEXT) | instid1(VALU_DEP_1)
	v_fma_f32 v1, -v1, v9, v11
	v_div_fmas_f32 v1, v1, v5, v9
	s_delay_alu instid0(VALU_DEP_1) | instskip(NEXT) | instid1(VALU_DEP_1)
	v_div_fixup_f32 v1, v1, v65, v64
	v_fmac_f32_e32 v65, v64, v1
	s_delay_alu instid0(VALU_DEP_1) | instskip(NEXT) | instid1(VALU_DEP_1)
	v_div_scale_f32 v5, null, v65, v65, -1.0
	v_rcp_f32_e32 v9, v5
	v_nop
	s_delay_alu instid0(TRANS32_DEP_1) | instskip(NEXT) | instid1(VALU_DEP_1)
	v_fma_f32 v11, -v5, v9, 1.0
	v_fmac_f32_e32 v9, v11, v9
	v_div_scale_f32 v11, vcc_lo, -1.0, v65, -1.0
	s_delay_alu instid0(VALU_DEP_1) | instskip(NEXT) | instid1(VALU_DEP_1)
	v_mul_f32_e32 v13, v11, v9
	v_fma_f32 v15, -v5, v13, v11
	s_delay_alu instid0(VALU_DEP_1) | instskip(NEXT) | instid1(VALU_DEP_1)
	v_fmac_f32_e32 v13, v15, v9
	v_fma_f32 v5, -v5, v13, v11
	s_delay_alu instid0(VALU_DEP_1) | instskip(NEXT) | instid1(VALU_DEP_1)
	v_div_fmas_f32 v5, v5, v9, v13
	v_div_fixup_f32 v69, v5, v65, -1.0
                                        ; implicit-def: $vgpr64_vgpr65
	s_delay_alu instid0(VALU_DEP_1) | instskip(NEXT) | instid1(VALU_DEP_1)
	v_mul_f32_e32 v66, v1, v69
	v_xor_b32_e32 v68, 0x80000000, v66
.LBB29_4:
	s_or_saveexec_b32 s0, s0
	v_lshl_add_u32 v1, v0, 3, 0
	s_xor_b32 exec_lo, exec_lo, s0
	s_cbranch_execz .LBB29_6
; %bb.5:
	v_div_scale_f32 v5, null, v64, v64, v65
	v_div_scale_f32 v13, vcc_lo, v65, v64, v65
	s_delay_alu instid0(VALU_DEP_2) | instskip(SKIP_1) | instid1(TRANS32_DEP_1)
	v_rcp_f32_e32 v9, v5
	v_nop
	v_fma_f32 v11, -v5, v9, 1.0
	s_delay_alu instid0(VALU_DEP_1) | instskip(NEXT) | instid1(VALU_DEP_1)
	v_fmac_f32_e32 v9, v11, v9
	v_mul_f32_e32 v11, v13, v9
	s_delay_alu instid0(VALU_DEP_1) | instskip(NEXT) | instid1(VALU_DEP_1)
	v_fma_f32 v15, -v5, v11, v13
	v_fmac_f32_e32 v11, v15, v9
	s_delay_alu instid0(VALU_DEP_1) | instskip(NEXT) | instid1(VALU_DEP_1)
	v_fma_f32 v5, -v5, v11, v13
	v_div_fmas_f32 v5, v5, v9, v11
	s_delay_alu instid0(VALU_DEP_1) | instskip(NEXT) | instid1(VALU_DEP_1)
	v_div_fixup_f32 v5, v5, v64, v65
	v_fmac_f32_e32 v64, v65, v5
	s_delay_alu instid0(VALU_DEP_1) | instskip(SKIP_1) | instid1(VALU_DEP_2)
	v_div_scale_f32 v9, null, v64, v64, 1.0
	v_div_scale_f32 v15, vcc_lo, 1.0, v64, 1.0
	v_rcp_f32_e32 v11, v9
	v_nop
	s_delay_alu instid0(TRANS32_DEP_1) | instskip(NEXT) | instid1(VALU_DEP_1)
	v_fma_f32 v13, -v9, v11, 1.0
	v_fmac_f32_e32 v11, v13, v11
	s_delay_alu instid0(VALU_DEP_1) | instskip(NEXT) | instid1(VALU_DEP_1)
	v_mul_f32_e32 v13, v15, v11
	v_fma_f32 v17, -v9, v13, v15
	s_delay_alu instid0(VALU_DEP_1) | instskip(NEXT) | instid1(VALU_DEP_1)
	v_fmac_f32_e32 v13, v17, v11
	v_fma_f32 v9, -v9, v13, v15
	s_delay_alu instid0(VALU_DEP_1) | instskip(NEXT) | instid1(VALU_DEP_1)
	v_div_fmas_f32 v9, v9, v11, v13
	v_div_fixup_f32 v68, v9, v64, 1.0
	s_delay_alu instid0(VALU_DEP_1)
	v_xor_b32_e32 v66, 0x80000000, v68
	v_mul_f32_e64 v69, v5, -v68
.LBB29_6:
	s_or_b32 exec_lo, exec_lo, s0
	s_delay_alu instid0(VALU_DEP_1)
	v_xor_b32_e32 v67, 0x80000000, v69
	s_mov_b32 s0, 0
	scratch_store_b64 v1, v[68:69], off
	ds_store_b64 v38, v[66:67]
.LBB29_7:
	s_and_b32 vcc_lo, exec_lo, s0
	s_cbranch_vccz .LBB29_9
; %bb.8:
	s_mov_b64 s[0:1], 0xbf800000
	s_wait_xcnt 0x0
	v_mov_b64_e32 v[64:65], s[0:1]
	ds_store_b64 v38, v[64:65]
.LBB29_9:
	v_dual_ashrrev_i32 v5, 31, v4 :: v_dual_ashrrev_i32 v11, 31, v10
	v_dual_ashrrev_i32 v9, 31, v8 :: v_dual_ashrrev_i32 v15, 31, v14
	;; [unrolled: 1-line block ×13, first 2 shown]
	v_dual_ashrrev_i32 v57, 31, v56 :: v_dual_mov_b32 v39, v38
	v_ashrrev_i32_e32 v61, 31, v60
	s_wait_xcnt 0x0
	v_add_nc_u32_e32 v1, 0xf0, v38
	s_cmp_eq_u32 s4, 0x79
	s_cbranch_scc1 .LBB29_13
; %bb.10:
	scratch_load_b64 v[64:65], off, off offset:224
	v_cmp_eq_u32_e64 s0, 29, v0
	s_movk_i32 s1, 0x50
	s_movk_i32 s10, 0x60
	;; [unrolled: 1-line block ×9, first 2 shown]
	s_wait_loadcnt 0x0
	ds_store_b64 v1, v[64:65]
	s_wait_storecnt_dscnt 0x0
	s_barrier_signal -1
	s_barrier_wait -1
	s_wait_xcnt 0x0
	s_and_saveexec_b32 s2, s0
	s_cbranch_execz .LBB29_17
; %bb.11:
	s_and_b32 vcc_lo, exec_lo, s3
	s_cbranch_vccz .LBB29_14
; %bb.12:
	scratch_load_b64 v[64:65], v39, off
	ds_load_b64 v[66:67], v1
	s_wait_loadcnt_dscnt 0x0
	v_pk_mul_f32 v[68:69], v[66:67], v[64:65] op_sel:[1,1] op_sel_hi:[0,1]
	v_pk_mul_f32 v[70:71], v[66:67], v[64:65] op_sel_hi:[1,0]
	s_delay_alu instid0(VALU_DEP_2) | instskip(NEXT) | instid1(VALU_DEP_2)
	v_pk_fma_f32 v[64:65], v[66:67], v[64:65], v[68:69] op_sel_hi:[1,0,1]
	v_sub_f32_e32 v64, v70, v68
	s_cbranch_execz .LBB29_15
	s_branch .LBB29_16
.LBB29_13:
	s_mov_b32 s1, 0
                                        ; implicit-def: $vgpr84
                                        ; implicit-def: $sgpr4
	s_cbranch_execnz .LBB29_296
	s_branch .LBB29_581
.LBB29_14:
                                        ; implicit-def: $vgpr65
.LBB29_15:
	ds_load_b64 v[64:65], v1
.LBB29_16:
	s_wait_dscnt 0x0
	v_dual_mov_b32 v66, 0 :: v_dual_mov_b32 v68, v65
	v_mov_b32_e32 v69, v64
	ds_load_b64 v[66:67], v66 offset:224
	s_wait_dscnt 0x0
	v_pk_mul_f32 v[68:69], v[68:69], v[66:67] op_sel:[0,1]
	s_delay_alu instid0(VALU_DEP_1) | instskip(SKIP_1) | instid1(VALU_DEP_2)
	v_pk_fma_f32 v[70:71], v[64:65], v[66:67], v[68:69] op_sel_hi:[1,0,1]
	v_pk_fma_f32 v[64:65], v[64:65], v[66:67], v[68:69] neg_lo:[0,0,1] neg_hi:[0,0,1]
	v_mov_b32_e32 v65, v71
	scratch_store_b64 off, v[64:65], off offset:224
.LBB29_17:
	s_wait_xcnt 0x0
	s_or_b32 exec_lo, exec_lo, s2
	scratch_load_b64 v[64:65], off, off offset:216
	s_mov_b32 s9, s1
	v_cmp_lt_u32_e64 s1, 27, v0
	s_mov_b32 s4, 16
	s_mov_b32 s5, 32
	;; [unrolled: 1-line block ×4, first 2 shown]
	s_wait_loadcnt 0x0
	ds_store_b64 v1, v[64:65]
	s_wait_storecnt_dscnt 0x0
	s_barrier_signal -1
	s_barrier_wait -1
	s_wait_xcnt 0x0
	s_and_saveexec_b32 s18, s1
	s_cbranch_execz .LBB29_25
; %bb.18:
	s_and_not1_b32 vcc_lo, exec_lo, s3
	s_cbranch_vccnz .LBB29_20
; %bb.19:
	scratch_load_b64 v[64:65], v39, off
	ds_load_b64 v[66:67], v1
	s_wait_loadcnt_dscnt 0x0
	v_pk_mul_f32 v[68:69], v[66:67], v[64:65] op_sel:[1,1] op_sel_hi:[0,1]
	s_delay_alu instid0(VALU_DEP_1) | instskip(SKIP_1) | instid1(VALU_DEP_2)
	v_pk_fma_f32 v[70:71], v[66:67], v[64:65], v[68:69] op_sel_hi:[1,0,1]
	v_pk_fma_f32 v[64:65], v[66:67], v[64:65], v[68:69] neg_lo:[0,0,1] neg_hi:[0,0,1]
	v_mov_b32_e32 v65, v71
	s_cbranch_execz .LBB29_21
	s_branch .LBB29_22
.LBB29_20:
                                        ; implicit-def: $vgpr64_vgpr65
.LBB29_21:
	ds_load_b64 v[64:65], v1
.LBB29_22:
	s_and_saveexec_b32 s19, s0
	s_cbranch_execz .LBB29_24
; %bb.23:
	scratch_load_b64 v[66:67], off, off offset:224
	v_mov_b32_e32 v68, 0
	ds_load_b64 v[68:69], v68 offset:464
	s_wait_loadcnt_dscnt 0x0
	v_pk_mul_f32 v[70:71], v[68:69], v[66:67] op_sel:[1,1] op_sel_hi:[0,1]
	s_delay_alu instid0(VALU_DEP_1) | instskip(SKIP_1) | instid1(VALU_DEP_2)
	v_pk_fma_f32 v[72:73], v[68:69], v[66:67], v[70:71] op_sel_hi:[1,0,1]
	v_pk_fma_f32 v[66:67], v[68:69], v[66:67], v[70:71] neg_lo:[0,0,1] neg_hi:[0,0,1]
	v_mov_b32_e32 v67, v73
	s_delay_alu instid0(VALU_DEP_1)
	v_pk_add_f32 v[64:65], v[64:65], v[66:67]
.LBB29_24:
	s_or_b32 exec_lo, exec_lo, s19
	v_mov_b32_e32 v66, 0
	ds_load_b64 v[66:67], v66 offset:216
	s_wait_dscnt 0x0
	v_pk_mul_f32 v[68:69], v[64:65], v[66:67] op_sel:[1,1] op_sel_hi:[0,1]
	s_delay_alu instid0(VALU_DEP_1) | instskip(SKIP_1) | instid1(VALU_DEP_2)
	v_pk_fma_f32 v[70:71], v[64:65], v[66:67], v[68:69] op_sel_hi:[1,0,1]
	v_pk_fma_f32 v[64:65], v[64:65], v[66:67], v[68:69] neg_lo:[0,0,1] neg_hi:[0,0,1]
	v_mov_b32_e32 v65, v71
	scratch_store_b64 off, v[64:65], off offset:216
.LBB29_25:
	s_wait_xcnt 0x0
	s_or_b32 exec_lo, exec_lo, s18
	scratch_load_b64 v[64:65], off, off offset:208
	v_cmp_lt_u32_e64 s0, 26, v0
	s_wait_loadcnt 0x0
	ds_store_b64 v1, v[64:65]
	s_wait_storecnt_dscnt 0x0
	s_barrier_signal -1
	s_barrier_wait -1
	s_wait_xcnt 0x0
	s_and_saveexec_b32 s18, s0
	s_cbranch_execz .LBB29_35
; %bb.26:
	s_and_not1_b32 vcc_lo, exec_lo, s3
	s_cbranch_vccnz .LBB29_28
; %bb.27:
	scratch_load_b64 v[64:65], v39, off
	ds_load_b64 v[66:67], v1
	s_wait_loadcnt_dscnt 0x0
	v_pk_mul_f32 v[68:69], v[66:67], v[64:65] op_sel:[1,1] op_sel_hi:[0,1]
	s_delay_alu instid0(VALU_DEP_1) | instskip(SKIP_1) | instid1(VALU_DEP_2)
	v_pk_fma_f32 v[70:71], v[66:67], v[64:65], v[68:69] op_sel_hi:[1,0,1]
	v_pk_fma_f32 v[64:65], v[66:67], v[64:65], v[68:69] neg_lo:[0,0,1] neg_hi:[0,0,1]
	v_mov_b32_e32 v65, v71
	s_cbranch_execz .LBB29_29
	s_branch .LBB29_30
.LBB29_28:
                                        ; implicit-def: $vgpr64_vgpr65
.LBB29_29:
	ds_load_b64 v[64:65], v1
.LBB29_30:
	s_and_saveexec_b32 s19, s1
	s_cbranch_execz .LBB29_34
; %bb.31:
	v_subrev_nc_u32_e32 v66, 27, v0
	s_movk_i32 s1, 0xd8
	s_movk_i32 s21, 0x1c8
	s_mov_b32 s20, 0
.LBB29_32:                              ; =>This Inner Loop Header: Depth=1
	scratch_load_b64 v[68:69], off, s1
	v_dual_mov_b32 v67, s21 :: v_dual_add_nc_u32 v66, -1, v66
	s_add_co_i32 s21, s21, 8
	s_wait_xcnt 0x0
	s_add_co_i32 s1, s1, 8
	ds_load_b64 v[70:71], v67
	v_cmp_eq_u32_e32 vcc_lo, 0, v66
	s_or_b32 s20, vcc_lo, s20
	s_wait_loadcnt_dscnt 0x0
	v_pk_mul_f32 v[72:73], v[70:71], v[68:69] op_sel:[1,1] op_sel_hi:[0,1]
	s_delay_alu instid0(VALU_DEP_1) | instskip(SKIP_1) | instid1(VALU_DEP_2)
	v_pk_fma_f32 v[74:75], v[70:71], v[68:69], v[72:73] op_sel_hi:[1,0,1]
	v_pk_fma_f32 v[68:69], v[70:71], v[68:69], v[72:73] neg_lo:[0,0,1] neg_hi:[0,0,1]
	v_mov_b32_e32 v69, v75
	s_delay_alu instid0(VALU_DEP_1)
	v_pk_add_f32 v[64:65], v[64:65], v[68:69]
	s_and_not1_b32 exec_lo, exec_lo, s20
	s_cbranch_execnz .LBB29_32
; %bb.33:
	s_or_b32 exec_lo, exec_lo, s20
.LBB29_34:
	s_delay_alu instid0(SALU_CYCLE_1) | instskip(SKIP_4) | instid1(VALU_DEP_1)
	s_or_b32 exec_lo, exec_lo, s19
	v_mov_b32_e32 v66, 0
	ds_load_b64 v[66:67], v66 offset:208
	s_wait_dscnt 0x0
	v_pk_mul_f32 v[68:69], v[64:65], v[66:67] op_sel:[1,1] op_sel_hi:[0,1]
	v_pk_fma_f32 v[70:71], v[64:65], v[66:67], v[68:69] op_sel_hi:[1,0,1]
	v_pk_fma_f32 v[64:65], v[64:65], v[66:67], v[68:69] neg_lo:[0,0,1] neg_hi:[0,0,1]
	s_delay_alu instid0(VALU_DEP_2)
	v_mov_b32_e32 v65, v71
	scratch_store_b64 off, v[64:65], off offset:208
.LBB29_35:
	s_wait_xcnt 0x0
	s_or_b32 exec_lo, exec_lo, s18
	scratch_load_b64 v[64:65], off, off offset:200
	v_cmp_lt_u32_e64 s1, 25, v0
	s_wait_loadcnt 0x0
	ds_store_b64 v1, v[64:65]
	s_wait_storecnt_dscnt 0x0
	s_barrier_signal -1
	s_barrier_wait -1
	s_wait_xcnt 0x0
	s_and_saveexec_b32 s18, s1
	s_cbranch_execz .LBB29_45
; %bb.36:
	s_and_not1_b32 vcc_lo, exec_lo, s3
	s_cbranch_vccnz .LBB29_38
; %bb.37:
	scratch_load_b64 v[64:65], v39, off
	ds_load_b64 v[66:67], v1
	s_wait_loadcnt_dscnt 0x0
	v_pk_mul_f32 v[68:69], v[66:67], v[64:65] op_sel:[1,1] op_sel_hi:[0,1]
	s_delay_alu instid0(VALU_DEP_1) | instskip(SKIP_1) | instid1(VALU_DEP_2)
	v_pk_fma_f32 v[70:71], v[66:67], v[64:65], v[68:69] op_sel_hi:[1,0,1]
	v_pk_fma_f32 v[64:65], v[66:67], v[64:65], v[68:69] neg_lo:[0,0,1] neg_hi:[0,0,1]
	v_mov_b32_e32 v65, v71
	s_cbranch_execz .LBB29_39
	s_branch .LBB29_40
.LBB29_38:
                                        ; implicit-def: $vgpr64_vgpr65
.LBB29_39:
	ds_load_b64 v[64:65], v1
.LBB29_40:
	s_and_saveexec_b32 s19, s0
	s_cbranch_execz .LBB29_44
; %bb.41:
	v_subrev_nc_u32_e32 v66, 26, v0
	s_movk_i32 s20, 0x1c0
	s_mov_b32 s0, 0
.LBB29_42:                              ; =>This Inner Loop Header: Depth=1
	scratch_load_b64 v[68:69], off, s17
	v_dual_mov_b32 v67, s20 :: v_dual_add_nc_u32 v66, -1, v66
	s_add_co_i32 s20, s20, 8
	s_wait_xcnt 0x0
	s_add_co_i32 s17, s17, 8
	ds_load_b64 v[70:71], v67
	v_cmp_eq_u32_e32 vcc_lo, 0, v66
	s_or_b32 s0, vcc_lo, s0
	s_wait_loadcnt_dscnt 0x0
	v_pk_mul_f32 v[72:73], v[70:71], v[68:69] op_sel:[1,1] op_sel_hi:[0,1]
	s_delay_alu instid0(VALU_DEP_1) | instskip(SKIP_1) | instid1(VALU_DEP_2)
	v_pk_fma_f32 v[74:75], v[70:71], v[68:69], v[72:73] op_sel_hi:[1,0,1]
	v_pk_fma_f32 v[68:69], v[70:71], v[68:69], v[72:73] neg_lo:[0,0,1] neg_hi:[0,0,1]
	v_mov_b32_e32 v69, v75
	s_delay_alu instid0(VALU_DEP_1)
	v_pk_add_f32 v[64:65], v[64:65], v[68:69]
	s_and_not1_b32 exec_lo, exec_lo, s0
	s_cbranch_execnz .LBB29_42
; %bb.43:
	s_or_b32 exec_lo, exec_lo, s0
.LBB29_44:
	s_delay_alu instid0(SALU_CYCLE_1) | instskip(SKIP_4) | instid1(VALU_DEP_1)
	s_or_b32 exec_lo, exec_lo, s19
	v_mov_b32_e32 v66, 0
	ds_load_b64 v[66:67], v66 offset:200
	s_wait_dscnt 0x0
	v_pk_mul_f32 v[68:69], v[64:65], v[66:67] op_sel:[1,1] op_sel_hi:[0,1]
	v_pk_fma_f32 v[70:71], v[64:65], v[66:67], v[68:69] op_sel_hi:[1,0,1]
	v_pk_fma_f32 v[64:65], v[64:65], v[66:67], v[68:69] neg_lo:[0,0,1] neg_hi:[0,0,1]
	s_delay_alu instid0(VALU_DEP_2)
	v_mov_b32_e32 v65, v71
	scratch_store_b64 off, v[64:65], off offset:200
.LBB29_45:
	s_wait_xcnt 0x0
	s_or_b32 exec_lo, exec_lo, s18
	scratch_load_b64 v[64:65], off, off offset:192
	v_cmp_lt_u32_e64 s0, 24, v0
	s_wait_loadcnt 0x0
	ds_store_b64 v1, v[64:65]
	s_wait_storecnt_dscnt 0x0
	s_barrier_signal -1
	s_barrier_wait -1
	s_wait_xcnt 0x0
	s_and_saveexec_b32 s17, s0
	s_cbranch_execz .LBB29_55
; %bb.46:
	s_and_not1_b32 vcc_lo, exec_lo, s3
	s_cbranch_vccnz .LBB29_48
; %bb.47:
	scratch_load_b64 v[64:65], v39, off
	ds_load_b64 v[66:67], v1
	s_wait_loadcnt_dscnt 0x0
	v_pk_mul_f32 v[68:69], v[66:67], v[64:65] op_sel:[1,1] op_sel_hi:[0,1]
	s_delay_alu instid0(VALU_DEP_1) | instskip(SKIP_1) | instid1(VALU_DEP_2)
	v_pk_fma_f32 v[70:71], v[66:67], v[64:65], v[68:69] op_sel_hi:[1,0,1]
	v_pk_fma_f32 v[64:65], v[66:67], v[64:65], v[68:69] neg_lo:[0,0,1] neg_hi:[0,0,1]
	v_mov_b32_e32 v65, v71
	s_cbranch_execz .LBB29_49
	s_branch .LBB29_50
.LBB29_48:
                                        ; implicit-def: $vgpr64_vgpr65
.LBB29_49:
	ds_load_b64 v[64:65], v1
.LBB29_50:
	s_and_saveexec_b32 s18, s1
	s_cbranch_execz .LBB29_54
; %bb.51:
	v_subrev_nc_u32_e32 v66, 25, v0
	s_movk_i32 s1, 0xc8
	s_movk_i32 s20, 0x1b8
	s_mov_b32 s19, 0
.LBB29_52:                              ; =>This Inner Loop Header: Depth=1
	scratch_load_b64 v[68:69], off, s1
	v_dual_mov_b32 v67, s20 :: v_dual_add_nc_u32 v66, -1, v66
	s_add_co_i32 s20, s20, 8
	s_wait_xcnt 0x0
	s_add_co_i32 s1, s1, 8
	ds_load_b64 v[70:71], v67
	v_cmp_eq_u32_e32 vcc_lo, 0, v66
	s_or_b32 s19, vcc_lo, s19
	s_wait_loadcnt_dscnt 0x0
	v_pk_mul_f32 v[72:73], v[70:71], v[68:69] op_sel:[1,1] op_sel_hi:[0,1]
	s_delay_alu instid0(VALU_DEP_1) | instskip(SKIP_1) | instid1(VALU_DEP_2)
	v_pk_fma_f32 v[74:75], v[70:71], v[68:69], v[72:73] op_sel_hi:[1,0,1]
	v_pk_fma_f32 v[68:69], v[70:71], v[68:69], v[72:73] neg_lo:[0,0,1] neg_hi:[0,0,1]
	v_mov_b32_e32 v69, v75
	s_delay_alu instid0(VALU_DEP_1)
	v_pk_add_f32 v[64:65], v[64:65], v[68:69]
	s_and_not1_b32 exec_lo, exec_lo, s19
	s_cbranch_execnz .LBB29_52
; %bb.53:
	s_or_b32 exec_lo, exec_lo, s19
.LBB29_54:
	s_delay_alu instid0(SALU_CYCLE_1) | instskip(SKIP_4) | instid1(VALU_DEP_1)
	s_or_b32 exec_lo, exec_lo, s18
	v_mov_b32_e32 v66, 0
	ds_load_b64 v[66:67], v66 offset:192
	s_wait_dscnt 0x0
	v_pk_mul_f32 v[68:69], v[64:65], v[66:67] op_sel:[1,1] op_sel_hi:[0,1]
	v_pk_fma_f32 v[70:71], v[64:65], v[66:67], v[68:69] op_sel_hi:[1,0,1]
	v_pk_fma_f32 v[64:65], v[64:65], v[66:67], v[68:69] neg_lo:[0,0,1] neg_hi:[0,0,1]
	s_delay_alu instid0(VALU_DEP_2)
	v_mov_b32_e32 v65, v71
	scratch_store_b64 off, v[64:65], off offset:192
.LBB29_55:
	s_wait_xcnt 0x0
	s_or_b32 exec_lo, exec_lo, s17
	scratch_load_b64 v[64:65], off, off offset:184
	v_cmp_lt_u32_e64 s1, 23, v0
	s_wait_loadcnt 0x0
	ds_store_b64 v1, v[64:65]
	s_wait_storecnt_dscnt 0x0
	s_barrier_signal -1
	s_barrier_wait -1
	s_wait_xcnt 0x0
	s_and_saveexec_b32 s17, s1
	s_cbranch_execz .LBB29_65
; %bb.56:
	s_and_not1_b32 vcc_lo, exec_lo, s3
	s_cbranch_vccnz .LBB29_58
; %bb.57:
	scratch_load_b64 v[64:65], v39, off
	ds_load_b64 v[66:67], v1
	s_wait_loadcnt_dscnt 0x0
	v_pk_mul_f32 v[68:69], v[66:67], v[64:65] op_sel:[1,1] op_sel_hi:[0,1]
	s_delay_alu instid0(VALU_DEP_1) | instskip(SKIP_1) | instid1(VALU_DEP_2)
	v_pk_fma_f32 v[70:71], v[66:67], v[64:65], v[68:69] op_sel_hi:[1,0,1]
	v_pk_fma_f32 v[64:65], v[66:67], v[64:65], v[68:69] neg_lo:[0,0,1] neg_hi:[0,0,1]
	v_mov_b32_e32 v65, v71
	s_cbranch_execz .LBB29_59
	s_branch .LBB29_60
.LBB29_58:
                                        ; implicit-def: $vgpr64_vgpr65
.LBB29_59:
	ds_load_b64 v[64:65], v1
.LBB29_60:
	s_and_saveexec_b32 s18, s0
	s_cbranch_execz .LBB29_64
; %bb.61:
	v_subrev_nc_u32_e32 v66, 24, v0
	s_movk_i32 s19, 0x1b0
	s_mov_b32 s0, 0
.LBB29_62:                              ; =>This Inner Loop Header: Depth=1
	scratch_load_b64 v[68:69], off, s16
	v_dual_mov_b32 v67, s19 :: v_dual_add_nc_u32 v66, -1, v66
	s_add_co_i32 s19, s19, 8
	s_wait_xcnt 0x0
	s_add_co_i32 s16, s16, 8
	ds_load_b64 v[70:71], v67
	v_cmp_eq_u32_e32 vcc_lo, 0, v66
	s_or_b32 s0, vcc_lo, s0
	s_wait_loadcnt_dscnt 0x0
	v_pk_mul_f32 v[72:73], v[70:71], v[68:69] op_sel:[1,1] op_sel_hi:[0,1]
	s_delay_alu instid0(VALU_DEP_1) | instskip(SKIP_1) | instid1(VALU_DEP_2)
	v_pk_fma_f32 v[74:75], v[70:71], v[68:69], v[72:73] op_sel_hi:[1,0,1]
	v_pk_fma_f32 v[68:69], v[70:71], v[68:69], v[72:73] neg_lo:[0,0,1] neg_hi:[0,0,1]
	v_mov_b32_e32 v69, v75
	s_delay_alu instid0(VALU_DEP_1)
	v_pk_add_f32 v[64:65], v[64:65], v[68:69]
	s_and_not1_b32 exec_lo, exec_lo, s0
	s_cbranch_execnz .LBB29_62
; %bb.63:
	s_or_b32 exec_lo, exec_lo, s0
.LBB29_64:
	s_delay_alu instid0(SALU_CYCLE_1) | instskip(SKIP_4) | instid1(VALU_DEP_1)
	s_or_b32 exec_lo, exec_lo, s18
	v_mov_b32_e32 v66, 0
	ds_load_b64 v[66:67], v66 offset:184
	s_wait_dscnt 0x0
	v_pk_mul_f32 v[68:69], v[64:65], v[66:67] op_sel:[1,1] op_sel_hi:[0,1]
	v_pk_fma_f32 v[70:71], v[64:65], v[66:67], v[68:69] op_sel_hi:[1,0,1]
	v_pk_fma_f32 v[64:65], v[64:65], v[66:67], v[68:69] neg_lo:[0,0,1] neg_hi:[0,0,1]
	s_delay_alu instid0(VALU_DEP_2)
	v_mov_b32_e32 v65, v71
	scratch_store_b64 off, v[64:65], off offset:184
.LBB29_65:
	s_wait_xcnt 0x0
	s_or_b32 exec_lo, exec_lo, s17
	scratch_load_b64 v[64:65], off, off offset:176
	v_cmp_lt_u32_e64 s0, 22, v0
	s_wait_loadcnt 0x0
	ds_store_b64 v1, v[64:65]
	s_wait_storecnt_dscnt 0x0
	s_barrier_signal -1
	s_barrier_wait -1
	s_wait_xcnt 0x0
	s_and_saveexec_b32 s16, s0
	s_cbranch_execz .LBB29_75
; %bb.66:
	s_and_not1_b32 vcc_lo, exec_lo, s3
	s_cbranch_vccnz .LBB29_68
; %bb.67:
	scratch_load_b64 v[64:65], v39, off
	ds_load_b64 v[66:67], v1
	s_wait_loadcnt_dscnt 0x0
	v_pk_mul_f32 v[68:69], v[66:67], v[64:65] op_sel:[1,1] op_sel_hi:[0,1]
	s_delay_alu instid0(VALU_DEP_1) | instskip(SKIP_1) | instid1(VALU_DEP_2)
	v_pk_fma_f32 v[70:71], v[66:67], v[64:65], v[68:69] op_sel_hi:[1,0,1]
	v_pk_fma_f32 v[64:65], v[66:67], v[64:65], v[68:69] neg_lo:[0,0,1] neg_hi:[0,0,1]
	v_mov_b32_e32 v65, v71
	s_cbranch_execz .LBB29_69
	s_branch .LBB29_70
.LBB29_68:
                                        ; implicit-def: $vgpr64_vgpr65
.LBB29_69:
	ds_load_b64 v[64:65], v1
.LBB29_70:
	s_and_saveexec_b32 s17, s1
	s_cbranch_execz .LBB29_74
; %bb.71:
	v_subrev_nc_u32_e32 v66, 23, v0
	s_movk_i32 s1, 0xb8
	s_movk_i32 s19, 0x1a8
	s_mov_b32 s18, 0
.LBB29_72:                              ; =>This Inner Loop Header: Depth=1
	scratch_load_b64 v[68:69], off, s1
	v_dual_mov_b32 v67, s19 :: v_dual_add_nc_u32 v66, -1, v66
	s_add_co_i32 s19, s19, 8
	s_wait_xcnt 0x0
	s_add_co_i32 s1, s1, 8
	ds_load_b64 v[70:71], v67
	v_cmp_eq_u32_e32 vcc_lo, 0, v66
	s_or_b32 s18, vcc_lo, s18
	s_wait_loadcnt_dscnt 0x0
	v_pk_mul_f32 v[72:73], v[70:71], v[68:69] op_sel:[1,1] op_sel_hi:[0,1]
	s_delay_alu instid0(VALU_DEP_1) | instskip(SKIP_1) | instid1(VALU_DEP_2)
	v_pk_fma_f32 v[74:75], v[70:71], v[68:69], v[72:73] op_sel_hi:[1,0,1]
	v_pk_fma_f32 v[68:69], v[70:71], v[68:69], v[72:73] neg_lo:[0,0,1] neg_hi:[0,0,1]
	v_mov_b32_e32 v69, v75
	s_delay_alu instid0(VALU_DEP_1)
	v_pk_add_f32 v[64:65], v[64:65], v[68:69]
	s_and_not1_b32 exec_lo, exec_lo, s18
	s_cbranch_execnz .LBB29_72
; %bb.73:
	s_or_b32 exec_lo, exec_lo, s18
.LBB29_74:
	s_delay_alu instid0(SALU_CYCLE_1) | instskip(SKIP_4) | instid1(VALU_DEP_1)
	s_or_b32 exec_lo, exec_lo, s17
	v_mov_b32_e32 v66, 0
	ds_load_b64 v[66:67], v66 offset:176
	s_wait_dscnt 0x0
	v_pk_mul_f32 v[68:69], v[64:65], v[66:67] op_sel:[1,1] op_sel_hi:[0,1]
	v_pk_fma_f32 v[70:71], v[64:65], v[66:67], v[68:69] op_sel_hi:[1,0,1]
	v_pk_fma_f32 v[64:65], v[64:65], v[66:67], v[68:69] neg_lo:[0,0,1] neg_hi:[0,0,1]
	s_delay_alu instid0(VALU_DEP_2)
	v_mov_b32_e32 v65, v71
	scratch_store_b64 off, v[64:65], off offset:176
.LBB29_75:
	s_wait_xcnt 0x0
	s_or_b32 exec_lo, exec_lo, s16
	scratch_load_b64 v[64:65], off, off offset:168
	v_cmp_lt_u32_e64 s1, 21, v0
	s_wait_loadcnt 0x0
	ds_store_b64 v1, v[64:65]
	s_wait_storecnt_dscnt 0x0
	s_barrier_signal -1
	s_barrier_wait -1
	s_wait_xcnt 0x0
	s_and_saveexec_b32 s16, s1
	s_cbranch_execz .LBB29_85
; %bb.76:
	s_and_not1_b32 vcc_lo, exec_lo, s3
	s_cbranch_vccnz .LBB29_78
; %bb.77:
	scratch_load_b64 v[64:65], v39, off
	ds_load_b64 v[66:67], v1
	s_wait_loadcnt_dscnt 0x0
	v_pk_mul_f32 v[68:69], v[66:67], v[64:65] op_sel:[1,1] op_sel_hi:[0,1]
	s_delay_alu instid0(VALU_DEP_1) | instskip(SKIP_1) | instid1(VALU_DEP_2)
	v_pk_fma_f32 v[70:71], v[66:67], v[64:65], v[68:69] op_sel_hi:[1,0,1]
	v_pk_fma_f32 v[64:65], v[66:67], v[64:65], v[68:69] neg_lo:[0,0,1] neg_hi:[0,0,1]
	v_mov_b32_e32 v65, v71
	s_cbranch_execz .LBB29_79
	s_branch .LBB29_80
.LBB29_78:
                                        ; implicit-def: $vgpr64_vgpr65
.LBB29_79:
	ds_load_b64 v[64:65], v1
.LBB29_80:
	s_and_saveexec_b32 s17, s0
	s_cbranch_execz .LBB29_84
; %bb.81:
	v_subrev_nc_u32_e32 v66, 22, v0
	s_movk_i32 s18, 0x1a0
	s_mov_b32 s0, 0
.LBB29_82:                              ; =>This Inner Loop Header: Depth=1
	scratch_load_b64 v[68:69], off, s15
	v_dual_mov_b32 v67, s18 :: v_dual_add_nc_u32 v66, -1, v66
	s_add_co_i32 s18, s18, 8
	s_wait_xcnt 0x0
	s_add_co_i32 s15, s15, 8
	ds_load_b64 v[70:71], v67
	v_cmp_eq_u32_e32 vcc_lo, 0, v66
	s_or_b32 s0, vcc_lo, s0
	s_wait_loadcnt_dscnt 0x0
	v_pk_mul_f32 v[72:73], v[70:71], v[68:69] op_sel:[1,1] op_sel_hi:[0,1]
	s_delay_alu instid0(VALU_DEP_1) | instskip(SKIP_1) | instid1(VALU_DEP_2)
	v_pk_fma_f32 v[74:75], v[70:71], v[68:69], v[72:73] op_sel_hi:[1,0,1]
	v_pk_fma_f32 v[68:69], v[70:71], v[68:69], v[72:73] neg_lo:[0,0,1] neg_hi:[0,0,1]
	v_mov_b32_e32 v69, v75
	s_delay_alu instid0(VALU_DEP_1)
	v_pk_add_f32 v[64:65], v[64:65], v[68:69]
	s_and_not1_b32 exec_lo, exec_lo, s0
	s_cbranch_execnz .LBB29_82
; %bb.83:
	s_or_b32 exec_lo, exec_lo, s0
.LBB29_84:
	s_delay_alu instid0(SALU_CYCLE_1) | instskip(SKIP_4) | instid1(VALU_DEP_1)
	s_or_b32 exec_lo, exec_lo, s17
	v_mov_b32_e32 v66, 0
	ds_load_b64 v[66:67], v66 offset:168
	s_wait_dscnt 0x0
	v_pk_mul_f32 v[68:69], v[64:65], v[66:67] op_sel:[1,1] op_sel_hi:[0,1]
	v_pk_fma_f32 v[70:71], v[64:65], v[66:67], v[68:69] op_sel_hi:[1,0,1]
	v_pk_fma_f32 v[64:65], v[64:65], v[66:67], v[68:69] neg_lo:[0,0,1] neg_hi:[0,0,1]
	s_delay_alu instid0(VALU_DEP_2)
	v_mov_b32_e32 v65, v71
	scratch_store_b64 off, v[64:65], off offset:168
.LBB29_85:
	s_wait_xcnt 0x0
	s_or_b32 exec_lo, exec_lo, s16
	scratch_load_b64 v[64:65], off, off offset:160
	v_cmp_lt_u32_e64 s0, 20, v0
	s_wait_loadcnt 0x0
	ds_store_b64 v1, v[64:65]
	s_wait_storecnt_dscnt 0x0
	s_barrier_signal -1
	s_barrier_wait -1
	s_wait_xcnt 0x0
	s_and_saveexec_b32 s15, s0
	s_cbranch_execz .LBB29_95
; %bb.86:
	s_and_not1_b32 vcc_lo, exec_lo, s3
	s_cbranch_vccnz .LBB29_88
; %bb.87:
	scratch_load_b64 v[64:65], v39, off
	ds_load_b64 v[66:67], v1
	s_wait_loadcnt_dscnt 0x0
	v_pk_mul_f32 v[68:69], v[66:67], v[64:65] op_sel:[1,1] op_sel_hi:[0,1]
	s_delay_alu instid0(VALU_DEP_1) | instskip(SKIP_1) | instid1(VALU_DEP_2)
	v_pk_fma_f32 v[70:71], v[66:67], v[64:65], v[68:69] op_sel_hi:[1,0,1]
	v_pk_fma_f32 v[64:65], v[66:67], v[64:65], v[68:69] neg_lo:[0,0,1] neg_hi:[0,0,1]
	v_mov_b32_e32 v65, v71
	s_cbranch_execz .LBB29_89
	s_branch .LBB29_90
.LBB29_88:
                                        ; implicit-def: $vgpr64_vgpr65
.LBB29_89:
	ds_load_b64 v[64:65], v1
.LBB29_90:
	s_and_saveexec_b32 s16, s1
	s_cbranch_execz .LBB29_94
; %bb.91:
	v_subrev_nc_u32_e32 v66, 21, v0
	s_movk_i32 s1, 0xa8
	s_movk_i32 s18, 0x198
	s_mov_b32 s17, 0
.LBB29_92:                              ; =>This Inner Loop Header: Depth=1
	scratch_load_b64 v[68:69], off, s1
	v_dual_mov_b32 v67, s18 :: v_dual_add_nc_u32 v66, -1, v66
	s_add_co_i32 s18, s18, 8
	s_wait_xcnt 0x0
	s_add_co_i32 s1, s1, 8
	ds_load_b64 v[70:71], v67
	v_cmp_eq_u32_e32 vcc_lo, 0, v66
	s_or_b32 s17, vcc_lo, s17
	s_wait_loadcnt_dscnt 0x0
	v_pk_mul_f32 v[72:73], v[70:71], v[68:69] op_sel:[1,1] op_sel_hi:[0,1]
	s_delay_alu instid0(VALU_DEP_1) | instskip(SKIP_1) | instid1(VALU_DEP_2)
	v_pk_fma_f32 v[74:75], v[70:71], v[68:69], v[72:73] op_sel_hi:[1,0,1]
	v_pk_fma_f32 v[68:69], v[70:71], v[68:69], v[72:73] neg_lo:[0,0,1] neg_hi:[0,0,1]
	v_mov_b32_e32 v69, v75
	s_delay_alu instid0(VALU_DEP_1)
	v_pk_add_f32 v[64:65], v[64:65], v[68:69]
	s_and_not1_b32 exec_lo, exec_lo, s17
	s_cbranch_execnz .LBB29_92
; %bb.93:
	s_or_b32 exec_lo, exec_lo, s17
.LBB29_94:
	s_delay_alu instid0(SALU_CYCLE_1) | instskip(SKIP_4) | instid1(VALU_DEP_1)
	s_or_b32 exec_lo, exec_lo, s16
	v_mov_b32_e32 v66, 0
	ds_load_b64 v[66:67], v66 offset:160
	s_wait_dscnt 0x0
	v_pk_mul_f32 v[68:69], v[64:65], v[66:67] op_sel:[1,1] op_sel_hi:[0,1]
	v_pk_fma_f32 v[70:71], v[64:65], v[66:67], v[68:69] op_sel_hi:[1,0,1]
	v_pk_fma_f32 v[64:65], v[64:65], v[66:67], v[68:69] neg_lo:[0,0,1] neg_hi:[0,0,1]
	s_delay_alu instid0(VALU_DEP_2)
	v_mov_b32_e32 v65, v71
	scratch_store_b64 off, v[64:65], off offset:160
.LBB29_95:
	s_wait_xcnt 0x0
	s_or_b32 exec_lo, exec_lo, s15
	scratch_load_b64 v[64:65], off, off offset:152
	v_cmp_lt_u32_e64 s1, 19, v0
	s_wait_loadcnt 0x0
	ds_store_b64 v1, v[64:65]
	s_wait_storecnt_dscnt 0x0
	s_barrier_signal -1
	s_barrier_wait -1
	s_wait_xcnt 0x0
	s_and_saveexec_b32 s15, s1
	s_cbranch_execz .LBB29_105
; %bb.96:
	s_and_not1_b32 vcc_lo, exec_lo, s3
	s_cbranch_vccnz .LBB29_98
; %bb.97:
	scratch_load_b64 v[64:65], v39, off
	ds_load_b64 v[66:67], v1
	s_wait_loadcnt_dscnt 0x0
	v_pk_mul_f32 v[68:69], v[66:67], v[64:65] op_sel:[1,1] op_sel_hi:[0,1]
	s_delay_alu instid0(VALU_DEP_1) | instskip(SKIP_1) | instid1(VALU_DEP_2)
	v_pk_fma_f32 v[70:71], v[66:67], v[64:65], v[68:69] op_sel_hi:[1,0,1]
	v_pk_fma_f32 v[64:65], v[66:67], v[64:65], v[68:69] neg_lo:[0,0,1] neg_hi:[0,0,1]
	v_mov_b32_e32 v65, v71
	s_cbranch_execz .LBB29_99
	s_branch .LBB29_100
.LBB29_98:
                                        ; implicit-def: $vgpr64_vgpr65
.LBB29_99:
	ds_load_b64 v[64:65], v1
.LBB29_100:
	s_and_saveexec_b32 s16, s0
	s_cbranch_execz .LBB29_104
; %bb.101:
	v_subrev_nc_u32_e32 v66, 20, v0
	s_movk_i32 s17, 0x190
	s_mov_b32 s0, 0
.LBB29_102:                             ; =>This Inner Loop Header: Depth=1
	scratch_load_b64 v[68:69], off, s14
	v_dual_mov_b32 v67, s17 :: v_dual_add_nc_u32 v66, -1, v66
	s_add_co_i32 s17, s17, 8
	s_wait_xcnt 0x0
	s_add_co_i32 s14, s14, 8
	ds_load_b64 v[70:71], v67
	v_cmp_eq_u32_e32 vcc_lo, 0, v66
	s_or_b32 s0, vcc_lo, s0
	s_wait_loadcnt_dscnt 0x0
	v_pk_mul_f32 v[72:73], v[70:71], v[68:69] op_sel:[1,1] op_sel_hi:[0,1]
	s_delay_alu instid0(VALU_DEP_1) | instskip(SKIP_1) | instid1(VALU_DEP_2)
	v_pk_fma_f32 v[74:75], v[70:71], v[68:69], v[72:73] op_sel_hi:[1,0,1]
	v_pk_fma_f32 v[68:69], v[70:71], v[68:69], v[72:73] neg_lo:[0,0,1] neg_hi:[0,0,1]
	v_mov_b32_e32 v69, v75
	s_delay_alu instid0(VALU_DEP_1)
	v_pk_add_f32 v[64:65], v[64:65], v[68:69]
	s_and_not1_b32 exec_lo, exec_lo, s0
	s_cbranch_execnz .LBB29_102
; %bb.103:
	s_or_b32 exec_lo, exec_lo, s0
.LBB29_104:
	s_delay_alu instid0(SALU_CYCLE_1) | instskip(SKIP_4) | instid1(VALU_DEP_1)
	s_or_b32 exec_lo, exec_lo, s16
	v_mov_b32_e32 v66, 0
	ds_load_b64 v[66:67], v66 offset:152
	s_wait_dscnt 0x0
	v_pk_mul_f32 v[68:69], v[64:65], v[66:67] op_sel:[1,1] op_sel_hi:[0,1]
	v_pk_fma_f32 v[70:71], v[64:65], v[66:67], v[68:69] op_sel_hi:[1,0,1]
	v_pk_fma_f32 v[64:65], v[64:65], v[66:67], v[68:69] neg_lo:[0,0,1] neg_hi:[0,0,1]
	s_delay_alu instid0(VALU_DEP_2)
	v_mov_b32_e32 v65, v71
	scratch_store_b64 off, v[64:65], off offset:152
.LBB29_105:
	s_wait_xcnt 0x0
	s_or_b32 exec_lo, exec_lo, s15
	scratch_load_b64 v[64:65], off, off offset:144
	v_cmp_lt_u32_e64 s0, 18, v0
	s_wait_loadcnt 0x0
	ds_store_b64 v1, v[64:65]
	s_wait_storecnt_dscnt 0x0
	s_barrier_signal -1
	s_barrier_wait -1
	s_wait_xcnt 0x0
	s_and_saveexec_b32 s14, s0
	s_cbranch_execz .LBB29_115
; %bb.106:
	s_and_not1_b32 vcc_lo, exec_lo, s3
	s_cbranch_vccnz .LBB29_108
; %bb.107:
	scratch_load_b64 v[64:65], v39, off
	ds_load_b64 v[66:67], v1
	s_wait_loadcnt_dscnt 0x0
	v_pk_mul_f32 v[68:69], v[66:67], v[64:65] op_sel:[1,1] op_sel_hi:[0,1]
	s_delay_alu instid0(VALU_DEP_1) | instskip(SKIP_1) | instid1(VALU_DEP_2)
	v_pk_fma_f32 v[70:71], v[66:67], v[64:65], v[68:69] op_sel_hi:[1,0,1]
	v_pk_fma_f32 v[64:65], v[66:67], v[64:65], v[68:69] neg_lo:[0,0,1] neg_hi:[0,0,1]
	v_mov_b32_e32 v65, v71
	s_cbranch_execz .LBB29_109
	s_branch .LBB29_110
.LBB29_108:
                                        ; implicit-def: $vgpr64_vgpr65
.LBB29_109:
	ds_load_b64 v[64:65], v1
.LBB29_110:
	s_and_saveexec_b32 s15, s1
	s_cbranch_execz .LBB29_114
; %bb.111:
	v_subrev_nc_u32_e32 v66, 19, v0
	s_movk_i32 s1, 0x98
	s_movk_i32 s17, 0x188
	s_mov_b32 s16, 0
.LBB29_112:                             ; =>This Inner Loop Header: Depth=1
	scratch_load_b64 v[68:69], off, s1
	v_dual_mov_b32 v67, s17 :: v_dual_add_nc_u32 v66, -1, v66
	s_add_co_i32 s17, s17, 8
	s_wait_xcnt 0x0
	s_add_co_i32 s1, s1, 8
	ds_load_b64 v[70:71], v67
	v_cmp_eq_u32_e32 vcc_lo, 0, v66
	s_or_b32 s16, vcc_lo, s16
	s_wait_loadcnt_dscnt 0x0
	v_pk_mul_f32 v[72:73], v[70:71], v[68:69] op_sel:[1,1] op_sel_hi:[0,1]
	s_delay_alu instid0(VALU_DEP_1) | instskip(SKIP_1) | instid1(VALU_DEP_2)
	v_pk_fma_f32 v[74:75], v[70:71], v[68:69], v[72:73] op_sel_hi:[1,0,1]
	v_pk_fma_f32 v[68:69], v[70:71], v[68:69], v[72:73] neg_lo:[0,0,1] neg_hi:[0,0,1]
	v_mov_b32_e32 v69, v75
	s_delay_alu instid0(VALU_DEP_1)
	v_pk_add_f32 v[64:65], v[64:65], v[68:69]
	s_and_not1_b32 exec_lo, exec_lo, s16
	s_cbranch_execnz .LBB29_112
; %bb.113:
	s_or_b32 exec_lo, exec_lo, s16
.LBB29_114:
	s_delay_alu instid0(SALU_CYCLE_1) | instskip(SKIP_4) | instid1(VALU_DEP_1)
	s_or_b32 exec_lo, exec_lo, s15
	v_mov_b32_e32 v66, 0
	ds_load_b64 v[66:67], v66 offset:144
	s_wait_dscnt 0x0
	v_pk_mul_f32 v[68:69], v[64:65], v[66:67] op_sel:[1,1] op_sel_hi:[0,1]
	v_pk_fma_f32 v[70:71], v[64:65], v[66:67], v[68:69] op_sel_hi:[1,0,1]
	v_pk_fma_f32 v[64:65], v[64:65], v[66:67], v[68:69] neg_lo:[0,0,1] neg_hi:[0,0,1]
	s_delay_alu instid0(VALU_DEP_2)
	v_mov_b32_e32 v65, v71
	scratch_store_b64 off, v[64:65], off offset:144
.LBB29_115:
	s_wait_xcnt 0x0
	s_or_b32 exec_lo, exec_lo, s14
	scratch_load_b64 v[64:65], off, off offset:136
	v_cmp_lt_u32_e64 s1, 17, v0
	s_wait_loadcnt 0x0
	ds_store_b64 v1, v[64:65]
	s_wait_storecnt_dscnt 0x0
	s_barrier_signal -1
	s_barrier_wait -1
	s_wait_xcnt 0x0
	s_and_saveexec_b32 s14, s1
	s_cbranch_execz .LBB29_125
; %bb.116:
	s_and_not1_b32 vcc_lo, exec_lo, s3
	s_cbranch_vccnz .LBB29_118
; %bb.117:
	scratch_load_b64 v[64:65], v39, off
	ds_load_b64 v[66:67], v1
	s_wait_loadcnt_dscnt 0x0
	v_pk_mul_f32 v[68:69], v[66:67], v[64:65] op_sel:[1,1] op_sel_hi:[0,1]
	s_delay_alu instid0(VALU_DEP_1) | instskip(SKIP_1) | instid1(VALU_DEP_2)
	v_pk_fma_f32 v[70:71], v[66:67], v[64:65], v[68:69] op_sel_hi:[1,0,1]
	v_pk_fma_f32 v[64:65], v[66:67], v[64:65], v[68:69] neg_lo:[0,0,1] neg_hi:[0,0,1]
	v_mov_b32_e32 v65, v71
	s_cbranch_execz .LBB29_119
	s_branch .LBB29_120
.LBB29_118:
                                        ; implicit-def: $vgpr64_vgpr65
.LBB29_119:
	ds_load_b64 v[64:65], v1
.LBB29_120:
	s_and_saveexec_b32 s15, s0
	s_cbranch_execz .LBB29_124
; %bb.121:
	v_subrev_nc_u32_e32 v66, 18, v0
	s_movk_i32 s16, 0x180
	s_mov_b32 s0, 0
.LBB29_122:                             ; =>This Inner Loop Header: Depth=1
	scratch_load_b64 v[68:69], off, s13
	v_dual_mov_b32 v67, s16 :: v_dual_add_nc_u32 v66, -1, v66
	s_add_co_i32 s16, s16, 8
	s_wait_xcnt 0x0
	s_add_co_i32 s13, s13, 8
	ds_load_b64 v[70:71], v67
	v_cmp_eq_u32_e32 vcc_lo, 0, v66
	s_or_b32 s0, vcc_lo, s0
	s_wait_loadcnt_dscnt 0x0
	v_pk_mul_f32 v[72:73], v[70:71], v[68:69] op_sel:[1,1] op_sel_hi:[0,1]
	s_delay_alu instid0(VALU_DEP_1) | instskip(SKIP_1) | instid1(VALU_DEP_2)
	v_pk_fma_f32 v[74:75], v[70:71], v[68:69], v[72:73] op_sel_hi:[1,0,1]
	v_pk_fma_f32 v[68:69], v[70:71], v[68:69], v[72:73] neg_lo:[0,0,1] neg_hi:[0,0,1]
	v_mov_b32_e32 v69, v75
	s_delay_alu instid0(VALU_DEP_1)
	v_pk_add_f32 v[64:65], v[64:65], v[68:69]
	s_and_not1_b32 exec_lo, exec_lo, s0
	s_cbranch_execnz .LBB29_122
; %bb.123:
	s_or_b32 exec_lo, exec_lo, s0
.LBB29_124:
	s_delay_alu instid0(SALU_CYCLE_1) | instskip(SKIP_4) | instid1(VALU_DEP_1)
	s_or_b32 exec_lo, exec_lo, s15
	v_mov_b32_e32 v66, 0
	ds_load_b64 v[66:67], v66 offset:136
	s_wait_dscnt 0x0
	v_pk_mul_f32 v[68:69], v[64:65], v[66:67] op_sel:[1,1] op_sel_hi:[0,1]
	v_pk_fma_f32 v[70:71], v[64:65], v[66:67], v[68:69] op_sel_hi:[1,0,1]
	v_pk_fma_f32 v[64:65], v[64:65], v[66:67], v[68:69] neg_lo:[0,0,1] neg_hi:[0,0,1]
	s_delay_alu instid0(VALU_DEP_2)
	v_mov_b32_e32 v65, v71
	scratch_store_b64 off, v[64:65], off offset:136
.LBB29_125:
	s_wait_xcnt 0x0
	s_or_b32 exec_lo, exec_lo, s14
	scratch_load_b64 v[64:65], off, off offset:128
	v_cmp_lt_u32_e64 s0, 16, v0
	s_wait_loadcnt 0x0
	ds_store_b64 v1, v[64:65]
	s_wait_storecnt_dscnt 0x0
	s_barrier_signal -1
	s_barrier_wait -1
	s_wait_xcnt 0x0
	s_and_saveexec_b32 s13, s0
	s_cbranch_execz .LBB29_135
; %bb.126:
	s_and_not1_b32 vcc_lo, exec_lo, s3
	s_cbranch_vccnz .LBB29_128
; %bb.127:
	scratch_load_b64 v[64:65], v39, off
	ds_load_b64 v[66:67], v1
	s_wait_loadcnt_dscnt 0x0
	v_pk_mul_f32 v[68:69], v[66:67], v[64:65] op_sel:[1,1] op_sel_hi:[0,1]
	s_delay_alu instid0(VALU_DEP_1) | instskip(SKIP_1) | instid1(VALU_DEP_2)
	v_pk_fma_f32 v[70:71], v[66:67], v[64:65], v[68:69] op_sel_hi:[1,0,1]
	v_pk_fma_f32 v[64:65], v[66:67], v[64:65], v[68:69] neg_lo:[0,0,1] neg_hi:[0,0,1]
	v_mov_b32_e32 v65, v71
	s_cbranch_execz .LBB29_129
	s_branch .LBB29_130
.LBB29_128:
                                        ; implicit-def: $vgpr64_vgpr65
.LBB29_129:
	ds_load_b64 v[64:65], v1
.LBB29_130:
	s_and_saveexec_b32 s14, s1
	s_cbranch_execz .LBB29_134
; %bb.131:
	v_subrev_nc_u32_e32 v66, 17, v0
	s_movk_i32 s1, 0x88
	s_movk_i32 s16, 0x178
	s_mov_b32 s15, 0
.LBB29_132:                             ; =>This Inner Loop Header: Depth=1
	scratch_load_b64 v[68:69], off, s1
	v_dual_mov_b32 v67, s16 :: v_dual_add_nc_u32 v66, -1, v66
	s_add_co_i32 s16, s16, 8
	s_wait_xcnt 0x0
	s_add_co_i32 s1, s1, 8
	ds_load_b64 v[70:71], v67
	v_cmp_eq_u32_e32 vcc_lo, 0, v66
	s_or_b32 s15, vcc_lo, s15
	s_wait_loadcnt_dscnt 0x0
	v_pk_mul_f32 v[72:73], v[70:71], v[68:69] op_sel:[1,1] op_sel_hi:[0,1]
	s_delay_alu instid0(VALU_DEP_1) | instskip(SKIP_1) | instid1(VALU_DEP_2)
	v_pk_fma_f32 v[74:75], v[70:71], v[68:69], v[72:73] op_sel_hi:[1,0,1]
	v_pk_fma_f32 v[68:69], v[70:71], v[68:69], v[72:73] neg_lo:[0,0,1] neg_hi:[0,0,1]
	v_mov_b32_e32 v69, v75
	s_delay_alu instid0(VALU_DEP_1)
	v_pk_add_f32 v[64:65], v[64:65], v[68:69]
	s_and_not1_b32 exec_lo, exec_lo, s15
	s_cbranch_execnz .LBB29_132
; %bb.133:
	s_or_b32 exec_lo, exec_lo, s15
.LBB29_134:
	s_delay_alu instid0(SALU_CYCLE_1) | instskip(SKIP_4) | instid1(VALU_DEP_1)
	s_or_b32 exec_lo, exec_lo, s14
	v_mov_b32_e32 v66, 0
	ds_load_b64 v[66:67], v66 offset:128
	s_wait_dscnt 0x0
	v_pk_mul_f32 v[68:69], v[64:65], v[66:67] op_sel:[1,1] op_sel_hi:[0,1]
	v_pk_fma_f32 v[70:71], v[64:65], v[66:67], v[68:69] op_sel_hi:[1,0,1]
	v_pk_fma_f32 v[64:65], v[64:65], v[66:67], v[68:69] neg_lo:[0,0,1] neg_hi:[0,0,1]
	s_delay_alu instid0(VALU_DEP_2)
	v_mov_b32_e32 v65, v71
	scratch_store_b64 off, v[64:65], off offset:128
.LBB29_135:
	s_wait_xcnt 0x0
	s_or_b32 exec_lo, exec_lo, s13
	scratch_load_b64 v[64:65], off, off offset:120
	v_cmp_lt_u32_e64 s1, 15, v0
	s_wait_loadcnt 0x0
	ds_store_b64 v1, v[64:65]
	s_wait_storecnt_dscnt 0x0
	s_barrier_signal -1
	s_barrier_wait -1
	s_wait_xcnt 0x0
	s_and_saveexec_b32 s13, s1
	s_cbranch_execz .LBB29_145
; %bb.136:
	s_and_not1_b32 vcc_lo, exec_lo, s3
	s_cbranch_vccnz .LBB29_138
; %bb.137:
	scratch_load_b64 v[64:65], v39, off
	ds_load_b64 v[66:67], v1
	s_wait_loadcnt_dscnt 0x0
	v_pk_mul_f32 v[68:69], v[66:67], v[64:65] op_sel:[1,1] op_sel_hi:[0,1]
	s_delay_alu instid0(VALU_DEP_1) | instskip(SKIP_1) | instid1(VALU_DEP_2)
	v_pk_fma_f32 v[70:71], v[66:67], v[64:65], v[68:69] op_sel_hi:[1,0,1]
	v_pk_fma_f32 v[64:65], v[66:67], v[64:65], v[68:69] neg_lo:[0,0,1] neg_hi:[0,0,1]
	v_mov_b32_e32 v65, v71
	s_cbranch_execz .LBB29_139
	s_branch .LBB29_140
.LBB29_138:
                                        ; implicit-def: $vgpr64_vgpr65
.LBB29_139:
	ds_load_b64 v[64:65], v1
.LBB29_140:
	s_and_saveexec_b32 s14, s0
	s_cbranch_execz .LBB29_144
; %bb.141:
	v_add_nc_u32_e32 v66, -16, v0
	s_movk_i32 s15, 0x170
	s_mov_b32 s0, 0
.LBB29_142:                             ; =>This Inner Loop Header: Depth=1
	scratch_load_b64 v[68:69], off, s12
	v_dual_mov_b32 v67, s15 :: v_dual_add_nc_u32 v66, -1, v66
	s_add_co_i32 s15, s15, 8
	s_wait_xcnt 0x0
	s_add_co_i32 s12, s12, 8
	ds_load_b64 v[70:71], v67
	v_cmp_eq_u32_e32 vcc_lo, 0, v66
	s_or_b32 s0, vcc_lo, s0
	s_wait_loadcnt_dscnt 0x0
	v_pk_mul_f32 v[72:73], v[70:71], v[68:69] op_sel:[1,1] op_sel_hi:[0,1]
	s_delay_alu instid0(VALU_DEP_1) | instskip(SKIP_1) | instid1(VALU_DEP_2)
	v_pk_fma_f32 v[74:75], v[70:71], v[68:69], v[72:73] op_sel_hi:[1,0,1]
	v_pk_fma_f32 v[68:69], v[70:71], v[68:69], v[72:73] neg_lo:[0,0,1] neg_hi:[0,0,1]
	v_mov_b32_e32 v69, v75
	s_delay_alu instid0(VALU_DEP_1)
	v_pk_add_f32 v[64:65], v[64:65], v[68:69]
	s_and_not1_b32 exec_lo, exec_lo, s0
	s_cbranch_execnz .LBB29_142
; %bb.143:
	s_or_b32 exec_lo, exec_lo, s0
.LBB29_144:
	s_delay_alu instid0(SALU_CYCLE_1) | instskip(SKIP_4) | instid1(VALU_DEP_1)
	s_or_b32 exec_lo, exec_lo, s14
	v_mov_b32_e32 v66, 0
	ds_load_b64 v[66:67], v66 offset:120
	s_wait_dscnt 0x0
	v_pk_mul_f32 v[68:69], v[64:65], v[66:67] op_sel:[1,1] op_sel_hi:[0,1]
	v_pk_fma_f32 v[70:71], v[64:65], v[66:67], v[68:69] op_sel_hi:[1,0,1]
	v_pk_fma_f32 v[64:65], v[64:65], v[66:67], v[68:69] neg_lo:[0,0,1] neg_hi:[0,0,1]
	s_delay_alu instid0(VALU_DEP_2)
	v_mov_b32_e32 v65, v71
	scratch_store_b64 off, v[64:65], off offset:120
.LBB29_145:
	s_wait_xcnt 0x0
	s_or_b32 exec_lo, exec_lo, s13
	scratch_load_b64 v[64:65], off, off offset:112
	v_cmp_lt_u32_e64 s0, 14, v0
	s_wait_loadcnt 0x0
	ds_store_b64 v1, v[64:65]
	s_wait_storecnt_dscnt 0x0
	s_barrier_signal -1
	s_barrier_wait -1
	s_wait_xcnt 0x0
	s_and_saveexec_b32 s12, s0
	s_cbranch_execz .LBB29_155
; %bb.146:
	s_and_not1_b32 vcc_lo, exec_lo, s3
	s_cbranch_vccnz .LBB29_148
; %bb.147:
	scratch_load_b64 v[64:65], v39, off
	ds_load_b64 v[66:67], v1
	s_wait_loadcnt_dscnt 0x0
	v_pk_mul_f32 v[68:69], v[66:67], v[64:65] op_sel:[1,1] op_sel_hi:[0,1]
	s_delay_alu instid0(VALU_DEP_1) | instskip(SKIP_1) | instid1(VALU_DEP_2)
	v_pk_fma_f32 v[70:71], v[66:67], v[64:65], v[68:69] op_sel_hi:[1,0,1]
	v_pk_fma_f32 v[64:65], v[66:67], v[64:65], v[68:69] neg_lo:[0,0,1] neg_hi:[0,0,1]
	v_mov_b32_e32 v65, v71
	s_cbranch_execz .LBB29_149
	s_branch .LBB29_150
.LBB29_148:
                                        ; implicit-def: $vgpr64_vgpr65
.LBB29_149:
	ds_load_b64 v[64:65], v1
.LBB29_150:
	s_and_saveexec_b32 s13, s1
	s_cbranch_execz .LBB29_154
; %bb.151:
	v_add_nc_u32_e32 v66, -15, v0
	s_movk_i32 s1, 0x78
	s_movk_i32 s15, 0x168
	s_mov_b32 s14, 0
.LBB29_152:                             ; =>This Inner Loop Header: Depth=1
	scratch_load_b64 v[68:69], off, s1
	v_dual_mov_b32 v67, s15 :: v_dual_add_nc_u32 v66, -1, v66
	s_add_co_i32 s15, s15, 8
	s_wait_xcnt 0x0
	s_add_co_i32 s1, s1, 8
	ds_load_b64 v[70:71], v67
	v_cmp_eq_u32_e32 vcc_lo, 0, v66
	s_or_b32 s14, vcc_lo, s14
	s_wait_loadcnt_dscnt 0x0
	v_pk_mul_f32 v[72:73], v[70:71], v[68:69] op_sel:[1,1] op_sel_hi:[0,1]
	s_delay_alu instid0(VALU_DEP_1) | instskip(SKIP_1) | instid1(VALU_DEP_2)
	v_pk_fma_f32 v[74:75], v[70:71], v[68:69], v[72:73] op_sel_hi:[1,0,1]
	v_pk_fma_f32 v[68:69], v[70:71], v[68:69], v[72:73] neg_lo:[0,0,1] neg_hi:[0,0,1]
	v_mov_b32_e32 v69, v75
	s_delay_alu instid0(VALU_DEP_1)
	v_pk_add_f32 v[64:65], v[64:65], v[68:69]
	s_and_not1_b32 exec_lo, exec_lo, s14
	s_cbranch_execnz .LBB29_152
; %bb.153:
	s_or_b32 exec_lo, exec_lo, s14
.LBB29_154:
	s_delay_alu instid0(SALU_CYCLE_1) | instskip(SKIP_4) | instid1(VALU_DEP_1)
	s_or_b32 exec_lo, exec_lo, s13
	v_mov_b32_e32 v66, 0
	ds_load_b64 v[66:67], v66 offset:112
	s_wait_dscnt 0x0
	v_pk_mul_f32 v[68:69], v[64:65], v[66:67] op_sel:[1,1] op_sel_hi:[0,1]
	v_pk_fma_f32 v[70:71], v[64:65], v[66:67], v[68:69] op_sel_hi:[1,0,1]
	v_pk_fma_f32 v[64:65], v[64:65], v[66:67], v[68:69] neg_lo:[0,0,1] neg_hi:[0,0,1]
	s_delay_alu instid0(VALU_DEP_2)
	v_mov_b32_e32 v65, v71
	scratch_store_b64 off, v[64:65], off offset:112
.LBB29_155:
	s_wait_xcnt 0x0
	s_or_b32 exec_lo, exec_lo, s12
	scratch_load_b64 v[64:65], off, off offset:104
	v_cmp_lt_u32_e64 s1, 13, v0
	s_wait_loadcnt 0x0
	ds_store_b64 v1, v[64:65]
	s_wait_storecnt_dscnt 0x0
	s_barrier_signal -1
	s_barrier_wait -1
	s_wait_xcnt 0x0
	s_and_saveexec_b32 s12, s1
	s_cbranch_execz .LBB29_165
; %bb.156:
	s_and_not1_b32 vcc_lo, exec_lo, s3
	s_cbranch_vccnz .LBB29_158
; %bb.157:
	scratch_load_b64 v[64:65], v39, off
	ds_load_b64 v[66:67], v1
	s_wait_loadcnt_dscnt 0x0
	v_pk_mul_f32 v[68:69], v[66:67], v[64:65] op_sel:[1,1] op_sel_hi:[0,1]
	s_delay_alu instid0(VALU_DEP_1) | instskip(SKIP_1) | instid1(VALU_DEP_2)
	v_pk_fma_f32 v[70:71], v[66:67], v[64:65], v[68:69] op_sel_hi:[1,0,1]
	v_pk_fma_f32 v[64:65], v[66:67], v[64:65], v[68:69] neg_lo:[0,0,1] neg_hi:[0,0,1]
	v_mov_b32_e32 v65, v71
	s_cbranch_execz .LBB29_159
	s_branch .LBB29_160
.LBB29_158:
                                        ; implicit-def: $vgpr64_vgpr65
.LBB29_159:
	ds_load_b64 v[64:65], v1
.LBB29_160:
	s_and_saveexec_b32 s13, s0
	s_cbranch_execz .LBB29_164
; %bb.161:
	v_add_nc_u32_e32 v66, -14, v0
	s_movk_i32 s14, 0x160
	s_mov_b32 s0, 0
.LBB29_162:                             ; =>This Inner Loop Header: Depth=1
	scratch_load_b64 v[68:69], off, s11
	v_dual_mov_b32 v67, s14 :: v_dual_add_nc_u32 v66, -1, v66
	s_add_co_i32 s14, s14, 8
	s_wait_xcnt 0x0
	s_add_co_i32 s11, s11, 8
	ds_load_b64 v[70:71], v67
	v_cmp_eq_u32_e32 vcc_lo, 0, v66
	s_or_b32 s0, vcc_lo, s0
	s_wait_loadcnt_dscnt 0x0
	v_pk_mul_f32 v[72:73], v[70:71], v[68:69] op_sel:[1,1] op_sel_hi:[0,1]
	s_delay_alu instid0(VALU_DEP_1) | instskip(SKIP_1) | instid1(VALU_DEP_2)
	v_pk_fma_f32 v[74:75], v[70:71], v[68:69], v[72:73] op_sel_hi:[1,0,1]
	v_pk_fma_f32 v[68:69], v[70:71], v[68:69], v[72:73] neg_lo:[0,0,1] neg_hi:[0,0,1]
	v_mov_b32_e32 v69, v75
	s_delay_alu instid0(VALU_DEP_1)
	v_pk_add_f32 v[64:65], v[64:65], v[68:69]
	s_and_not1_b32 exec_lo, exec_lo, s0
	s_cbranch_execnz .LBB29_162
; %bb.163:
	s_or_b32 exec_lo, exec_lo, s0
.LBB29_164:
	s_delay_alu instid0(SALU_CYCLE_1) | instskip(SKIP_4) | instid1(VALU_DEP_1)
	s_or_b32 exec_lo, exec_lo, s13
	v_mov_b32_e32 v66, 0
	ds_load_b64 v[66:67], v66 offset:104
	s_wait_dscnt 0x0
	v_pk_mul_f32 v[68:69], v[64:65], v[66:67] op_sel:[1,1] op_sel_hi:[0,1]
	v_pk_fma_f32 v[70:71], v[64:65], v[66:67], v[68:69] op_sel_hi:[1,0,1]
	v_pk_fma_f32 v[64:65], v[64:65], v[66:67], v[68:69] neg_lo:[0,0,1] neg_hi:[0,0,1]
	s_delay_alu instid0(VALU_DEP_2)
	v_mov_b32_e32 v65, v71
	scratch_store_b64 off, v[64:65], off offset:104
.LBB29_165:
	s_wait_xcnt 0x0
	s_or_b32 exec_lo, exec_lo, s12
	scratch_load_b64 v[64:65], off, off offset:96
	v_cmp_lt_u32_e64 s0, 12, v0
	s_wait_loadcnt 0x0
	ds_store_b64 v1, v[64:65]
	s_wait_storecnt_dscnt 0x0
	s_barrier_signal -1
	s_barrier_wait -1
	s_wait_xcnt 0x0
	s_and_saveexec_b32 s11, s0
	s_cbranch_execz .LBB29_175
; %bb.166:
	s_and_not1_b32 vcc_lo, exec_lo, s3
	s_cbranch_vccnz .LBB29_168
; %bb.167:
	scratch_load_b64 v[64:65], v39, off
	ds_load_b64 v[66:67], v1
	s_wait_loadcnt_dscnt 0x0
	v_pk_mul_f32 v[68:69], v[66:67], v[64:65] op_sel:[1,1] op_sel_hi:[0,1]
	s_delay_alu instid0(VALU_DEP_1) | instskip(SKIP_1) | instid1(VALU_DEP_2)
	v_pk_fma_f32 v[70:71], v[66:67], v[64:65], v[68:69] op_sel_hi:[1,0,1]
	v_pk_fma_f32 v[64:65], v[66:67], v[64:65], v[68:69] neg_lo:[0,0,1] neg_hi:[0,0,1]
	v_mov_b32_e32 v65, v71
	s_cbranch_execz .LBB29_169
	s_branch .LBB29_170
.LBB29_168:
                                        ; implicit-def: $vgpr64_vgpr65
.LBB29_169:
	ds_load_b64 v[64:65], v1
.LBB29_170:
	s_and_saveexec_b32 s12, s1
	s_cbranch_execz .LBB29_174
; %bb.171:
	v_add_nc_u32_e32 v66, -13, v0
	s_movk_i32 s1, 0x68
	s_movk_i32 s14, 0x158
	s_mov_b32 s13, 0
.LBB29_172:                             ; =>This Inner Loop Header: Depth=1
	scratch_load_b64 v[68:69], off, s1
	v_dual_mov_b32 v67, s14 :: v_dual_add_nc_u32 v66, -1, v66
	s_add_co_i32 s14, s14, 8
	s_wait_xcnt 0x0
	s_add_co_i32 s1, s1, 8
	ds_load_b64 v[70:71], v67
	v_cmp_eq_u32_e32 vcc_lo, 0, v66
	s_or_b32 s13, vcc_lo, s13
	s_wait_loadcnt_dscnt 0x0
	v_pk_mul_f32 v[72:73], v[70:71], v[68:69] op_sel:[1,1] op_sel_hi:[0,1]
	s_delay_alu instid0(VALU_DEP_1) | instskip(SKIP_1) | instid1(VALU_DEP_2)
	v_pk_fma_f32 v[74:75], v[70:71], v[68:69], v[72:73] op_sel_hi:[1,0,1]
	v_pk_fma_f32 v[68:69], v[70:71], v[68:69], v[72:73] neg_lo:[0,0,1] neg_hi:[0,0,1]
	v_mov_b32_e32 v69, v75
	s_delay_alu instid0(VALU_DEP_1)
	v_pk_add_f32 v[64:65], v[64:65], v[68:69]
	s_and_not1_b32 exec_lo, exec_lo, s13
	s_cbranch_execnz .LBB29_172
; %bb.173:
	s_or_b32 exec_lo, exec_lo, s13
.LBB29_174:
	s_delay_alu instid0(SALU_CYCLE_1) | instskip(SKIP_4) | instid1(VALU_DEP_1)
	s_or_b32 exec_lo, exec_lo, s12
	v_mov_b32_e32 v66, 0
	ds_load_b64 v[66:67], v66 offset:96
	s_wait_dscnt 0x0
	v_pk_mul_f32 v[68:69], v[64:65], v[66:67] op_sel:[1,1] op_sel_hi:[0,1]
	v_pk_fma_f32 v[70:71], v[64:65], v[66:67], v[68:69] op_sel_hi:[1,0,1]
	v_pk_fma_f32 v[64:65], v[64:65], v[66:67], v[68:69] neg_lo:[0,0,1] neg_hi:[0,0,1]
	s_delay_alu instid0(VALU_DEP_2)
	v_mov_b32_e32 v65, v71
	scratch_store_b64 off, v[64:65], off offset:96
.LBB29_175:
	s_wait_xcnt 0x0
	s_or_b32 exec_lo, exec_lo, s11
	scratch_load_b64 v[64:65], off, off offset:88
	v_cmp_lt_u32_e64 s1, 11, v0
	s_wait_loadcnt 0x0
	ds_store_b64 v1, v[64:65]
	s_wait_storecnt_dscnt 0x0
	s_barrier_signal -1
	s_barrier_wait -1
	s_wait_xcnt 0x0
	s_and_saveexec_b32 s11, s1
	s_cbranch_execz .LBB29_185
; %bb.176:
	s_and_not1_b32 vcc_lo, exec_lo, s3
	s_cbranch_vccnz .LBB29_178
; %bb.177:
	scratch_load_b64 v[64:65], v39, off
	ds_load_b64 v[66:67], v1
	s_wait_loadcnt_dscnt 0x0
	v_pk_mul_f32 v[68:69], v[66:67], v[64:65] op_sel:[1,1] op_sel_hi:[0,1]
	s_delay_alu instid0(VALU_DEP_1) | instskip(SKIP_1) | instid1(VALU_DEP_2)
	v_pk_fma_f32 v[70:71], v[66:67], v[64:65], v[68:69] op_sel_hi:[1,0,1]
	v_pk_fma_f32 v[64:65], v[66:67], v[64:65], v[68:69] neg_lo:[0,0,1] neg_hi:[0,0,1]
	v_mov_b32_e32 v65, v71
	s_cbranch_execz .LBB29_179
	s_branch .LBB29_180
.LBB29_178:
                                        ; implicit-def: $vgpr64_vgpr65
.LBB29_179:
	ds_load_b64 v[64:65], v1
.LBB29_180:
	s_and_saveexec_b32 s12, s0
	s_cbranch_execz .LBB29_184
; %bb.181:
	v_add_nc_u32_e32 v66, -12, v0
	s_movk_i32 s13, 0x150
	s_mov_b32 s0, 0
.LBB29_182:                             ; =>This Inner Loop Header: Depth=1
	scratch_load_b64 v[68:69], off, s10
	v_dual_mov_b32 v67, s13 :: v_dual_add_nc_u32 v66, -1, v66
	s_add_co_i32 s13, s13, 8
	s_wait_xcnt 0x0
	s_add_co_i32 s10, s10, 8
	ds_load_b64 v[70:71], v67
	v_cmp_eq_u32_e32 vcc_lo, 0, v66
	s_or_b32 s0, vcc_lo, s0
	s_wait_loadcnt_dscnt 0x0
	v_pk_mul_f32 v[72:73], v[70:71], v[68:69] op_sel:[1,1] op_sel_hi:[0,1]
	s_delay_alu instid0(VALU_DEP_1) | instskip(SKIP_1) | instid1(VALU_DEP_2)
	v_pk_fma_f32 v[74:75], v[70:71], v[68:69], v[72:73] op_sel_hi:[1,0,1]
	v_pk_fma_f32 v[68:69], v[70:71], v[68:69], v[72:73] neg_lo:[0,0,1] neg_hi:[0,0,1]
	v_mov_b32_e32 v69, v75
	s_delay_alu instid0(VALU_DEP_1)
	v_pk_add_f32 v[64:65], v[64:65], v[68:69]
	s_and_not1_b32 exec_lo, exec_lo, s0
	s_cbranch_execnz .LBB29_182
; %bb.183:
	s_or_b32 exec_lo, exec_lo, s0
.LBB29_184:
	s_delay_alu instid0(SALU_CYCLE_1) | instskip(SKIP_4) | instid1(VALU_DEP_1)
	s_or_b32 exec_lo, exec_lo, s12
	v_mov_b32_e32 v66, 0
	ds_load_b64 v[66:67], v66 offset:88
	s_wait_dscnt 0x0
	v_pk_mul_f32 v[68:69], v[64:65], v[66:67] op_sel:[1,1] op_sel_hi:[0,1]
	v_pk_fma_f32 v[70:71], v[64:65], v[66:67], v[68:69] op_sel_hi:[1,0,1]
	v_pk_fma_f32 v[64:65], v[64:65], v[66:67], v[68:69] neg_lo:[0,0,1] neg_hi:[0,0,1]
	s_delay_alu instid0(VALU_DEP_2)
	v_mov_b32_e32 v65, v71
	scratch_store_b64 off, v[64:65], off offset:88
.LBB29_185:
	s_wait_xcnt 0x0
	s_or_b32 exec_lo, exec_lo, s11
	scratch_load_b64 v[64:65], off, off offset:80
	v_cmp_lt_u32_e64 s0, 10, v0
	s_wait_loadcnt 0x0
	ds_store_b64 v1, v[64:65]
	s_wait_storecnt_dscnt 0x0
	s_barrier_signal -1
	s_barrier_wait -1
	s_wait_xcnt 0x0
	s_and_saveexec_b32 s10, s0
	s_cbranch_execz .LBB29_195
; %bb.186:
	s_and_not1_b32 vcc_lo, exec_lo, s3
	s_cbranch_vccnz .LBB29_188
; %bb.187:
	scratch_load_b64 v[64:65], v39, off
	ds_load_b64 v[66:67], v1
	s_wait_loadcnt_dscnt 0x0
	v_pk_mul_f32 v[68:69], v[66:67], v[64:65] op_sel:[1,1] op_sel_hi:[0,1]
	s_delay_alu instid0(VALU_DEP_1) | instskip(SKIP_1) | instid1(VALU_DEP_2)
	v_pk_fma_f32 v[70:71], v[66:67], v[64:65], v[68:69] op_sel_hi:[1,0,1]
	v_pk_fma_f32 v[64:65], v[66:67], v[64:65], v[68:69] neg_lo:[0,0,1] neg_hi:[0,0,1]
	v_mov_b32_e32 v65, v71
	s_cbranch_execz .LBB29_189
	s_branch .LBB29_190
.LBB29_188:
                                        ; implicit-def: $vgpr64_vgpr65
.LBB29_189:
	ds_load_b64 v[64:65], v1
.LBB29_190:
	s_and_saveexec_b32 s11, s1
	s_cbranch_execz .LBB29_194
; %bb.191:
	v_add_nc_u32_e32 v66, -11, v0
	s_movk_i32 s1, 0x58
	s_movk_i32 s13, 0x148
	s_mov_b32 s12, 0
.LBB29_192:                             ; =>This Inner Loop Header: Depth=1
	scratch_load_b64 v[68:69], off, s1
	v_dual_mov_b32 v67, s13 :: v_dual_add_nc_u32 v66, -1, v66
	s_add_co_i32 s13, s13, 8
	s_wait_xcnt 0x0
	s_add_co_i32 s1, s1, 8
	ds_load_b64 v[70:71], v67
	v_cmp_eq_u32_e32 vcc_lo, 0, v66
	s_or_b32 s12, vcc_lo, s12
	s_wait_loadcnt_dscnt 0x0
	v_pk_mul_f32 v[72:73], v[70:71], v[68:69] op_sel:[1,1] op_sel_hi:[0,1]
	s_delay_alu instid0(VALU_DEP_1) | instskip(SKIP_1) | instid1(VALU_DEP_2)
	v_pk_fma_f32 v[74:75], v[70:71], v[68:69], v[72:73] op_sel_hi:[1,0,1]
	v_pk_fma_f32 v[68:69], v[70:71], v[68:69], v[72:73] neg_lo:[0,0,1] neg_hi:[0,0,1]
	v_mov_b32_e32 v69, v75
	s_delay_alu instid0(VALU_DEP_1)
	v_pk_add_f32 v[64:65], v[64:65], v[68:69]
	s_and_not1_b32 exec_lo, exec_lo, s12
	s_cbranch_execnz .LBB29_192
; %bb.193:
	s_or_b32 exec_lo, exec_lo, s12
.LBB29_194:
	s_delay_alu instid0(SALU_CYCLE_1) | instskip(SKIP_4) | instid1(VALU_DEP_1)
	s_or_b32 exec_lo, exec_lo, s11
	v_mov_b32_e32 v66, 0
	ds_load_b64 v[66:67], v66 offset:80
	s_wait_dscnt 0x0
	v_pk_mul_f32 v[68:69], v[64:65], v[66:67] op_sel:[1,1] op_sel_hi:[0,1]
	v_pk_fma_f32 v[70:71], v[64:65], v[66:67], v[68:69] op_sel_hi:[1,0,1]
	v_pk_fma_f32 v[64:65], v[64:65], v[66:67], v[68:69] neg_lo:[0,0,1] neg_hi:[0,0,1]
	s_delay_alu instid0(VALU_DEP_2)
	v_mov_b32_e32 v65, v71
	scratch_store_b64 off, v[64:65], off offset:80
.LBB29_195:
	s_wait_xcnt 0x0
	s_or_b32 exec_lo, exec_lo, s10
	scratch_load_b64 v[64:65], off, off offset:72
	v_cmp_lt_u32_e64 s1, 9, v0
	s_wait_loadcnt 0x0
	ds_store_b64 v1, v[64:65]
	s_wait_storecnt_dscnt 0x0
	s_barrier_signal -1
	s_barrier_wait -1
	s_wait_xcnt 0x0
	s_and_saveexec_b32 s10, s1
	s_cbranch_execz .LBB29_205
; %bb.196:
	s_and_not1_b32 vcc_lo, exec_lo, s3
	s_cbranch_vccnz .LBB29_198
; %bb.197:
	scratch_load_b64 v[64:65], v39, off
	ds_load_b64 v[66:67], v1
	s_wait_loadcnt_dscnt 0x0
	v_pk_mul_f32 v[68:69], v[66:67], v[64:65] op_sel:[1,1] op_sel_hi:[0,1]
	s_delay_alu instid0(VALU_DEP_1) | instskip(SKIP_1) | instid1(VALU_DEP_2)
	v_pk_fma_f32 v[70:71], v[66:67], v[64:65], v[68:69] op_sel_hi:[1,0,1]
	v_pk_fma_f32 v[64:65], v[66:67], v[64:65], v[68:69] neg_lo:[0,0,1] neg_hi:[0,0,1]
	v_mov_b32_e32 v65, v71
	s_cbranch_execz .LBB29_199
	s_branch .LBB29_200
.LBB29_198:
                                        ; implicit-def: $vgpr64_vgpr65
.LBB29_199:
	ds_load_b64 v[64:65], v1
.LBB29_200:
	s_and_saveexec_b32 s11, s0
	s_cbranch_execz .LBB29_204
; %bb.201:
	v_add_nc_u32_e32 v66, -10, v0
	s_movk_i32 s12, 0x140
	s_mov_b32 s0, 0
.LBB29_202:                             ; =>This Inner Loop Header: Depth=1
	scratch_load_b64 v[68:69], off, s9
	v_dual_mov_b32 v67, s12 :: v_dual_add_nc_u32 v66, -1, v66
	s_add_co_i32 s12, s12, 8
	s_wait_xcnt 0x0
	s_add_co_i32 s9, s9, 8
	ds_load_b64 v[70:71], v67
	v_cmp_eq_u32_e32 vcc_lo, 0, v66
	s_or_b32 s0, vcc_lo, s0
	s_wait_loadcnt_dscnt 0x0
	v_pk_mul_f32 v[72:73], v[70:71], v[68:69] op_sel:[1,1] op_sel_hi:[0,1]
	s_delay_alu instid0(VALU_DEP_1) | instskip(SKIP_1) | instid1(VALU_DEP_2)
	v_pk_fma_f32 v[74:75], v[70:71], v[68:69], v[72:73] op_sel_hi:[1,0,1]
	v_pk_fma_f32 v[68:69], v[70:71], v[68:69], v[72:73] neg_lo:[0,0,1] neg_hi:[0,0,1]
	v_mov_b32_e32 v69, v75
	s_delay_alu instid0(VALU_DEP_1)
	v_pk_add_f32 v[64:65], v[64:65], v[68:69]
	s_and_not1_b32 exec_lo, exec_lo, s0
	s_cbranch_execnz .LBB29_202
; %bb.203:
	s_or_b32 exec_lo, exec_lo, s0
.LBB29_204:
	s_delay_alu instid0(SALU_CYCLE_1) | instskip(SKIP_4) | instid1(VALU_DEP_1)
	s_or_b32 exec_lo, exec_lo, s11
	v_mov_b32_e32 v66, 0
	ds_load_b64 v[66:67], v66 offset:72
	s_wait_dscnt 0x0
	v_pk_mul_f32 v[68:69], v[64:65], v[66:67] op_sel:[1,1] op_sel_hi:[0,1]
	v_pk_fma_f32 v[70:71], v[64:65], v[66:67], v[68:69] op_sel_hi:[1,0,1]
	v_pk_fma_f32 v[64:65], v[64:65], v[66:67], v[68:69] neg_lo:[0,0,1] neg_hi:[0,0,1]
	s_delay_alu instid0(VALU_DEP_2)
	v_mov_b32_e32 v65, v71
	scratch_store_b64 off, v[64:65], off offset:72
.LBB29_205:
	s_wait_xcnt 0x0
	s_or_b32 exec_lo, exec_lo, s10
	scratch_load_b64 v[64:65], off, off offset:64
	v_cmp_lt_u32_e64 s0, 8, v0
	s_wait_loadcnt 0x0
	ds_store_b64 v1, v[64:65]
	s_wait_storecnt_dscnt 0x0
	s_barrier_signal -1
	s_barrier_wait -1
	s_wait_xcnt 0x0
	s_and_saveexec_b32 s9, s0
	s_cbranch_execz .LBB29_215
; %bb.206:
	s_and_not1_b32 vcc_lo, exec_lo, s3
	s_cbranch_vccnz .LBB29_208
; %bb.207:
	scratch_load_b64 v[64:65], v39, off
	ds_load_b64 v[66:67], v1
	s_wait_loadcnt_dscnt 0x0
	v_pk_mul_f32 v[68:69], v[66:67], v[64:65] op_sel:[1,1] op_sel_hi:[0,1]
	s_delay_alu instid0(VALU_DEP_1) | instskip(SKIP_1) | instid1(VALU_DEP_2)
	v_pk_fma_f32 v[70:71], v[66:67], v[64:65], v[68:69] op_sel_hi:[1,0,1]
	v_pk_fma_f32 v[64:65], v[66:67], v[64:65], v[68:69] neg_lo:[0,0,1] neg_hi:[0,0,1]
	v_mov_b32_e32 v65, v71
	s_cbranch_execz .LBB29_209
	s_branch .LBB29_210
.LBB29_208:
                                        ; implicit-def: $vgpr64_vgpr65
.LBB29_209:
	ds_load_b64 v[64:65], v1
.LBB29_210:
	s_and_saveexec_b32 s10, s1
	s_cbranch_execz .LBB29_214
; %bb.211:
	v_add_nc_u32_e32 v66, -9, v0
	s_movk_i32 s1, 0x48
	s_movk_i32 s12, 0x138
	s_mov_b32 s11, 0
.LBB29_212:                             ; =>This Inner Loop Header: Depth=1
	scratch_load_b64 v[68:69], off, s1
	v_dual_mov_b32 v67, s12 :: v_dual_add_nc_u32 v66, -1, v66
	s_add_co_i32 s12, s12, 8
	s_wait_xcnt 0x0
	s_add_co_i32 s1, s1, 8
	ds_load_b64 v[70:71], v67
	v_cmp_eq_u32_e32 vcc_lo, 0, v66
	s_or_b32 s11, vcc_lo, s11
	s_wait_loadcnt_dscnt 0x0
	v_pk_mul_f32 v[72:73], v[70:71], v[68:69] op_sel:[1,1] op_sel_hi:[0,1]
	s_delay_alu instid0(VALU_DEP_1) | instskip(SKIP_1) | instid1(VALU_DEP_2)
	v_pk_fma_f32 v[74:75], v[70:71], v[68:69], v[72:73] op_sel_hi:[1,0,1]
	v_pk_fma_f32 v[68:69], v[70:71], v[68:69], v[72:73] neg_lo:[0,0,1] neg_hi:[0,0,1]
	v_mov_b32_e32 v69, v75
	s_delay_alu instid0(VALU_DEP_1)
	v_pk_add_f32 v[64:65], v[64:65], v[68:69]
	s_and_not1_b32 exec_lo, exec_lo, s11
	s_cbranch_execnz .LBB29_212
; %bb.213:
	s_or_b32 exec_lo, exec_lo, s11
.LBB29_214:
	s_delay_alu instid0(SALU_CYCLE_1) | instskip(SKIP_4) | instid1(VALU_DEP_1)
	s_or_b32 exec_lo, exec_lo, s10
	v_mov_b32_e32 v66, 0
	ds_load_b64 v[66:67], v66 offset:64
	s_wait_dscnt 0x0
	v_pk_mul_f32 v[68:69], v[64:65], v[66:67] op_sel:[1,1] op_sel_hi:[0,1]
	v_pk_fma_f32 v[70:71], v[64:65], v[66:67], v[68:69] op_sel_hi:[1,0,1]
	v_pk_fma_f32 v[64:65], v[64:65], v[66:67], v[68:69] neg_lo:[0,0,1] neg_hi:[0,0,1]
	s_delay_alu instid0(VALU_DEP_2)
	v_mov_b32_e32 v65, v71
	scratch_store_b64 off, v[64:65], off offset:64
.LBB29_215:
	s_wait_xcnt 0x0
	s_or_b32 exec_lo, exec_lo, s9
	scratch_load_b64 v[64:65], off, off offset:56
	v_cmp_lt_u32_e64 s1, 7, v0
	s_wait_loadcnt 0x0
	ds_store_b64 v1, v[64:65]
	s_wait_storecnt_dscnt 0x0
	s_barrier_signal -1
	s_barrier_wait -1
	s_wait_xcnt 0x0
	s_and_saveexec_b32 s9, s1
	s_cbranch_execz .LBB29_225
; %bb.216:
	s_and_not1_b32 vcc_lo, exec_lo, s3
	s_cbranch_vccnz .LBB29_218
; %bb.217:
	scratch_load_b64 v[64:65], v39, off
	ds_load_b64 v[66:67], v1
	s_wait_loadcnt_dscnt 0x0
	v_pk_mul_f32 v[68:69], v[66:67], v[64:65] op_sel:[1,1] op_sel_hi:[0,1]
	s_delay_alu instid0(VALU_DEP_1) | instskip(SKIP_1) | instid1(VALU_DEP_2)
	v_pk_fma_f32 v[70:71], v[66:67], v[64:65], v[68:69] op_sel_hi:[1,0,1]
	v_pk_fma_f32 v[64:65], v[66:67], v[64:65], v[68:69] neg_lo:[0,0,1] neg_hi:[0,0,1]
	v_mov_b32_e32 v65, v71
	s_cbranch_execz .LBB29_219
	s_branch .LBB29_220
.LBB29_218:
                                        ; implicit-def: $vgpr64_vgpr65
.LBB29_219:
	ds_load_b64 v[64:65], v1
.LBB29_220:
	s_and_saveexec_b32 s10, s0
	s_cbranch_execz .LBB29_224
; %bb.221:
	v_add_nc_u32_e32 v66, -8, v0
	s_movk_i32 s11, 0x130
	s_mov_b32 s0, 0
.LBB29_222:                             ; =>This Inner Loop Header: Depth=1
	scratch_load_b64 v[68:69], off, s8
	v_dual_mov_b32 v67, s11 :: v_dual_add_nc_u32 v66, -1, v66
	s_add_co_i32 s11, s11, 8
	s_wait_xcnt 0x0
	s_add_co_i32 s8, s8, 8
	ds_load_b64 v[70:71], v67
	v_cmp_eq_u32_e32 vcc_lo, 0, v66
	s_or_b32 s0, vcc_lo, s0
	s_wait_loadcnt_dscnt 0x0
	v_pk_mul_f32 v[72:73], v[70:71], v[68:69] op_sel:[1,1] op_sel_hi:[0,1]
	s_delay_alu instid0(VALU_DEP_1) | instskip(SKIP_1) | instid1(VALU_DEP_2)
	v_pk_fma_f32 v[74:75], v[70:71], v[68:69], v[72:73] op_sel_hi:[1,0,1]
	v_pk_fma_f32 v[68:69], v[70:71], v[68:69], v[72:73] neg_lo:[0,0,1] neg_hi:[0,0,1]
	v_mov_b32_e32 v69, v75
	s_delay_alu instid0(VALU_DEP_1)
	v_pk_add_f32 v[64:65], v[64:65], v[68:69]
	s_and_not1_b32 exec_lo, exec_lo, s0
	s_cbranch_execnz .LBB29_222
; %bb.223:
	s_or_b32 exec_lo, exec_lo, s0
.LBB29_224:
	s_delay_alu instid0(SALU_CYCLE_1) | instskip(SKIP_4) | instid1(VALU_DEP_1)
	s_or_b32 exec_lo, exec_lo, s10
	v_mov_b32_e32 v66, 0
	ds_load_b64 v[66:67], v66 offset:56
	s_wait_dscnt 0x0
	v_pk_mul_f32 v[68:69], v[64:65], v[66:67] op_sel:[1,1] op_sel_hi:[0,1]
	v_pk_fma_f32 v[70:71], v[64:65], v[66:67], v[68:69] op_sel_hi:[1,0,1]
	v_pk_fma_f32 v[64:65], v[64:65], v[66:67], v[68:69] neg_lo:[0,0,1] neg_hi:[0,0,1]
	s_delay_alu instid0(VALU_DEP_2)
	v_mov_b32_e32 v65, v71
	scratch_store_b64 off, v[64:65], off offset:56
.LBB29_225:
	s_wait_xcnt 0x0
	s_or_b32 exec_lo, exec_lo, s9
	scratch_load_b64 v[64:65], off, off offset:48
	v_cmp_lt_u32_e64 s0, 6, v0
	s_wait_loadcnt 0x0
	ds_store_b64 v1, v[64:65]
	s_wait_storecnt_dscnt 0x0
	s_barrier_signal -1
	s_barrier_wait -1
	s_wait_xcnt 0x0
	s_and_saveexec_b32 s8, s0
	s_cbranch_execz .LBB29_235
; %bb.226:
	s_and_not1_b32 vcc_lo, exec_lo, s3
	s_cbranch_vccnz .LBB29_228
; %bb.227:
	scratch_load_b64 v[64:65], v39, off
	ds_load_b64 v[66:67], v1
	s_wait_loadcnt_dscnt 0x0
	v_pk_mul_f32 v[68:69], v[66:67], v[64:65] op_sel:[1,1] op_sel_hi:[0,1]
	s_delay_alu instid0(VALU_DEP_1) | instskip(SKIP_1) | instid1(VALU_DEP_2)
	v_pk_fma_f32 v[70:71], v[66:67], v[64:65], v[68:69] op_sel_hi:[1,0,1]
	v_pk_fma_f32 v[64:65], v[66:67], v[64:65], v[68:69] neg_lo:[0,0,1] neg_hi:[0,0,1]
	v_mov_b32_e32 v65, v71
	s_cbranch_execz .LBB29_229
	s_branch .LBB29_230
.LBB29_228:
                                        ; implicit-def: $vgpr64_vgpr65
.LBB29_229:
	ds_load_b64 v[64:65], v1
.LBB29_230:
	s_and_saveexec_b32 s9, s1
	s_cbranch_execz .LBB29_234
; %bb.231:
	v_add_nc_u32_e32 v66, -7, v0
	s_mov_b32 s1, 56
	s_movk_i32 s11, 0x128
	s_mov_b32 s10, 0
.LBB29_232:                             ; =>This Inner Loop Header: Depth=1
	scratch_load_b64 v[68:69], off, s1
	v_dual_mov_b32 v67, s11 :: v_dual_add_nc_u32 v66, -1, v66
	s_add_co_i32 s11, s11, 8
	s_wait_xcnt 0x0
	s_add_co_i32 s1, s1, 8
	ds_load_b64 v[70:71], v67
	v_cmp_eq_u32_e32 vcc_lo, 0, v66
	s_or_b32 s10, vcc_lo, s10
	s_wait_loadcnt_dscnt 0x0
	v_pk_mul_f32 v[72:73], v[70:71], v[68:69] op_sel:[1,1] op_sel_hi:[0,1]
	s_delay_alu instid0(VALU_DEP_1) | instskip(SKIP_1) | instid1(VALU_DEP_2)
	v_pk_fma_f32 v[74:75], v[70:71], v[68:69], v[72:73] op_sel_hi:[1,0,1]
	v_pk_fma_f32 v[68:69], v[70:71], v[68:69], v[72:73] neg_lo:[0,0,1] neg_hi:[0,0,1]
	v_mov_b32_e32 v69, v75
	s_delay_alu instid0(VALU_DEP_1)
	v_pk_add_f32 v[64:65], v[64:65], v[68:69]
	s_and_not1_b32 exec_lo, exec_lo, s10
	s_cbranch_execnz .LBB29_232
; %bb.233:
	s_or_b32 exec_lo, exec_lo, s10
.LBB29_234:
	s_delay_alu instid0(SALU_CYCLE_1) | instskip(SKIP_4) | instid1(VALU_DEP_1)
	s_or_b32 exec_lo, exec_lo, s9
	v_mov_b32_e32 v66, 0
	ds_load_b64 v[66:67], v66 offset:48
	s_wait_dscnt 0x0
	v_pk_mul_f32 v[68:69], v[64:65], v[66:67] op_sel:[1,1] op_sel_hi:[0,1]
	v_pk_fma_f32 v[70:71], v[64:65], v[66:67], v[68:69] op_sel_hi:[1,0,1]
	v_pk_fma_f32 v[64:65], v[64:65], v[66:67], v[68:69] neg_lo:[0,0,1] neg_hi:[0,0,1]
	s_delay_alu instid0(VALU_DEP_2)
	v_mov_b32_e32 v65, v71
	scratch_store_b64 off, v[64:65], off offset:48
.LBB29_235:
	s_wait_xcnt 0x0
	s_or_b32 exec_lo, exec_lo, s8
	scratch_load_b64 v[64:65], off, off offset:40
	v_cmp_lt_u32_e64 s1, 5, v0
	s_wait_loadcnt 0x0
	ds_store_b64 v1, v[64:65]
	s_wait_storecnt_dscnt 0x0
	s_barrier_signal -1
	s_barrier_wait -1
	s_wait_xcnt 0x0
	s_and_saveexec_b32 s8, s1
	s_cbranch_execz .LBB29_245
; %bb.236:
	s_and_not1_b32 vcc_lo, exec_lo, s3
	s_cbranch_vccnz .LBB29_238
; %bb.237:
	scratch_load_b64 v[64:65], v39, off
	ds_load_b64 v[66:67], v1
	s_wait_loadcnt_dscnt 0x0
	v_pk_mul_f32 v[68:69], v[66:67], v[64:65] op_sel:[1,1] op_sel_hi:[0,1]
	s_delay_alu instid0(VALU_DEP_1) | instskip(SKIP_1) | instid1(VALU_DEP_2)
	v_pk_fma_f32 v[70:71], v[66:67], v[64:65], v[68:69] op_sel_hi:[1,0,1]
	v_pk_fma_f32 v[64:65], v[66:67], v[64:65], v[68:69] neg_lo:[0,0,1] neg_hi:[0,0,1]
	v_mov_b32_e32 v65, v71
	s_cbranch_execz .LBB29_239
	s_branch .LBB29_240
.LBB29_238:
                                        ; implicit-def: $vgpr64_vgpr65
.LBB29_239:
	ds_load_b64 v[64:65], v1
.LBB29_240:
	s_and_saveexec_b32 s9, s0
	s_cbranch_execz .LBB29_244
; %bb.241:
	v_add_nc_u32_e32 v66, -6, v0
	s_movk_i32 s10, 0x120
	s_mov_b32 s0, 0
.LBB29_242:                             ; =>This Inner Loop Header: Depth=1
	scratch_load_b64 v[68:69], off, s2
	v_dual_mov_b32 v67, s10 :: v_dual_add_nc_u32 v66, -1, v66
	s_add_co_i32 s10, s10, 8
	s_wait_xcnt 0x0
	s_add_co_i32 s2, s2, 8
	ds_load_b64 v[70:71], v67
	v_cmp_eq_u32_e32 vcc_lo, 0, v66
	s_or_b32 s0, vcc_lo, s0
	s_wait_loadcnt_dscnt 0x0
	v_pk_mul_f32 v[72:73], v[70:71], v[68:69] op_sel:[1,1] op_sel_hi:[0,1]
	s_delay_alu instid0(VALU_DEP_1) | instskip(SKIP_1) | instid1(VALU_DEP_2)
	v_pk_fma_f32 v[74:75], v[70:71], v[68:69], v[72:73] op_sel_hi:[1,0,1]
	v_pk_fma_f32 v[68:69], v[70:71], v[68:69], v[72:73] neg_lo:[0,0,1] neg_hi:[0,0,1]
	v_mov_b32_e32 v69, v75
	s_delay_alu instid0(VALU_DEP_1)
	v_pk_add_f32 v[64:65], v[64:65], v[68:69]
	s_and_not1_b32 exec_lo, exec_lo, s0
	s_cbranch_execnz .LBB29_242
; %bb.243:
	s_or_b32 exec_lo, exec_lo, s0
.LBB29_244:
	s_delay_alu instid0(SALU_CYCLE_1) | instskip(SKIP_4) | instid1(VALU_DEP_1)
	s_or_b32 exec_lo, exec_lo, s9
	v_mov_b32_e32 v66, 0
	ds_load_b64 v[66:67], v66 offset:40
	s_wait_dscnt 0x0
	v_pk_mul_f32 v[68:69], v[64:65], v[66:67] op_sel:[1,1] op_sel_hi:[0,1]
	v_pk_fma_f32 v[70:71], v[64:65], v[66:67], v[68:69] op_sel_hi:[1,0,1]
	v_pk_fma_f32 v[64:65], v[64:65], v[66:67], v[68:69] neg_lo:[0,0,1] neg_hi:[0,0,1]
	s_delay_alu instid0(VALU_DEP_2)
	v_mov_b32_e32 v65, v71
	scratch_store_b64 off, v[64:65], off offset:40
.LBB29_245:
	s_wait_xcnt 0x0
	s_or_b32 exec_lo, exec_lo, s8
	scratch_load_b64 v[64:65], off, off offset:32
	v_cmp_lt_u32_e64 s0, 4, v0
	s_wait_loadcnt 0x0
	ds_store_b64 v1, v[64:65]
	s_wait_storecnt_dscnt 0x0
	s_barrier_signal -1
	s_barrier_wait -1
	s_wait_xcnt 0x0
	s_and_saveexec_b32 s2, s0
	s_cbranch_execz .LBB29_255
; %bb.246:
	s_and_not1_b32 vcc_lo, exec_lo, s3
	s_cbranch_vccnz .LBB29_248
; %bb.247:
	scratch_load_b64 v[64:65], v39, off
	ds_load_b64 v[66:67], v1
	s_wait_loadcnt_dscnt 0x0
	v_pk_mul_f32 v[68:69], v[66:67], v[64:65] op_sel:[1,1] op_sel_hi:[0,1]
	s_delay_alu instid0(VALU_DEP_1) | instskip(SKIP_1) | instid1(VALU_DEP_2)
	v_pk_fma_f32 v[70:71], v[66:67], v[64:65], v[68:69] op_sel_hi:[1,0,1]
	v_pk_fma_f32 v[64:65], v[66:67], v[64:65], v[68:69] neg_lo:[0,0,1] neg_hi:[0,0,1]
	v_mov_b32_e32 v65, v71
	s_cbranch_execz .LBB29_249
	s_branch .LBB29_250
.LBB29_248:
                                        ; implicit-def: $vgpr64_vgpr65
.LBB29_249:
	ds_load_b64 v[64:65], v1
.LBB29_250:
	s_and_saveexec_b32 s8, s1
	s_cbranch_execz .LBB29_254
; %bb.251:
	v_add_nc_u32_e32 v66, -5, v0
	s_mov_b32 s1, 40
	s_movk_i32 s10, 0x118
	s_mov_b32 s9, 0
.LBB29_252:                             ; =>This Inner Loop Header: Depth=1
	scratch_load_b64 v[68:69], off, s1
	v_dual_mov_b32 v67, s10 :: v_dual_add_nc_u32 v66, -1, v66
	s_add_co_i32 s10, s10, 8
	s_wait_xcnt 0x0
	s_add_co_i32 s1, s1, 8
	ds_load_b64 v[70:71], v67
	v_cmp_eq_u32_e32 vcc_lo, 0, v66
	s_or_b32 s9, vcc_lo, s9
	s_wait_loadcnt_dscnt 0x0
	v_pk_mul_f32 v[72:73], v[70:71], v[68:69] op_sel:[1,1] op_sel_hi:[0,1]
	s_delay_alu instid0(VALU_DEP_1) | instskip(SKIP_1) | instid1(VALU_DEP_2)
	v_pk_fma_f32 v[74:75], v[70:71], v[68:69], v[72:73] op_sel_hi:[1,0,1]
	v_pk_fma_f32 v[68:69], v[70:71], v[68:69], v[72:73] neg_lo:[0,0,1] neg_hi:[0,0,1]
	v_mov_b32_e32 v69, v75
	s_delay_alu instid0(VALU_DEP_1)
	v_pk_add_f32 v[64:65], v[64:65], v[68:69]
	s_and_not1_b32 exec_lo, exec_lo, s9
	s_cbranch_execnz .LBB29_252
; %bb.253:
	s_or_b32 exec_lo, exec_lo, s9
.LBB29_254:
	s_delay_alu instid0(SALU_CYCLE_1) | instskip(SKIP_4) | instid1(VALU_DEP_1)
	s_or_b32 exec_lo, exec_lo, s8
	v_mov_b32_e32 v66, 0
	ds_load_b64 v[66:67], v66 offset:32
	s_wait_dscnt 0x0
	v_pk_mul_f32 v[68:69], v[64:65], v[66:67] op_sel:[1,1] op_sel_hi:[0,1]
	v_pk_fma_f32 v[70:71], v[64:65], v[66:67], v[68:69] op_sel_hi:[1,0,1]
	v_pk_fma_f32 v[64:65], v[64:65], v[66:67], v[68:69] neg_lo:[0,0,1] neg_hi:[0,0,1]
	s_delay_alu instid0(VALU_DEP_2)
	v_mov_b32_e32 v65, v71
	scratch_store_b64 off, v[64:65], off offset:32
.LBB29_255:
	s_wait_xcnt 0x0
	s_or_b32 exec_lo, exec_lo, s2
	scratch_load_b64 v[64:65], off, off offset:24
	v_cmp_lt_u32_e64 s2, 3, v0
	s_wait_loadcnt 0x0
	ds_store_b64 v1, v[64:65]
	s_wait_storecnt_dscnt 0x0
	s_barrier_signal -1
	s_barrier_wait -1
	s_wait_xcnt 0x0
	s_and_saveexec_b32 s1, s2
	s_cbranch_execz .LBB29_265
; %bb.256:
	s_and_not1_b32 vcc_lo, exec_lo, s3
	s_cbranch_vccnz .LBB29_258
; %bb.257:
	scratch_load_b64 v[64:65], v39, off
	ds_load_b64 v[66:67], v1
	s_wait_loadcnt_dscnt 0x0
	v_pk_mul_f32 v[68:69], v[66:67], v[64:65] op_sel:[1,1] op_sel_hi:[0,1]
	s_delay_alu instid0(VALU_DEP_1) | instskip(SKIP_1) | instid1(VALU_DEP_2)
	v_pk_fma_f32 v[70:71], v[66:67], v[64:65], v[68:69] op_sel_hi:[1,0,1]
	v_pk_fma_f32 v[64:65], v[66:67], v[64:65], v[68:69] neg_lo:[0,0,1] neg_hi:[0,0,1]
	v_mov_b32_e32 v65, v71
	s_cbranch_execz .LBB29_259
	s_branch .LBB29_260
.LBB29_258:
                                        ; implicit-def: $vgpr64_vgpr65
.LBB29_259:
	ds_load_b64 v[64:65], v1
.LBB29_260:
	s_and_saveexec_b32 s8, s0
	s_cbranch_execz .LBB29_264
; %bb.261:
	v_add_nc_u32_e32 v66, -4, v0
	s_movk_i32 s9, 0x110
	s_mov_b32 s0, 0
.LBB29_262:                             ; =>This Inner Loop Header: Depth=1
	scratch_load_b64 v[68:69], off, s5
	v_dual_mov_b32 v67, s9 :: v_dual_add_nc_u32 v66, -1, v66
	s_add_co_i32 s9, s9, 8
	s_wait_xcnt 0x0
	s_add_co_i32 s5, s5, 8
	ds_load_b64 v[70:71], v67
	v_cmp_eq_u32_e32 vcc_lo, 0, v66
	s_or_b32 s0, vcc_lo, s0
	s_wait_loadcnt_dscnt 0x0
	v_pk_mul_f32 v[72:73], v[70:71], v[68:69] op_sel:[1,1] op_sel_hi:[0,1]
	s_delay_alu instid0(VALU_DEP_1) | instskip(SKIP_1) | instid1(VALU_DEP_2)
	v_pk_fma_f32 v[74:75], v[70:71], v[68:69], v[72:73] op_sel_hi:[1,0,1]
	v_pk_fma_f32 v[68:69], v[70:71], v[68:69], v[72:73] neg_lo:[0,0,1] neg_hi:[0,0,1]
	v_mov_b32_e32 v69, v75
	s_delay_alu instid0(VALU_DEP_1)
	v_pk_add_f32 v[64:65], v[64:65], v[68:69]
	s_and_not1_b32 exec_lo, exec_lo, s0
	s_cbranch_execnz .LBB29_262
; %bb.263:
	s_or_b32 exec_lo, exec_lo, s0
.LBB29_264:
	s_delay_alu instid0(SALU_CYCLE_1) | instskip(SKIP_4) | instid1(VALU_DEP_1)
	s_or_b32 exec_lo, exec_lo, s8
	v_mov_b32_e32 v66, 0
	ds_load_b64 v[66:67], v66 offset:24
	s_wait_dscnt 0x0
	v_pk_mul_f32 v[68:69], v[64:65], v[66:67] op_sel:[1,1] op_sel_hi:[0,1]
	v_pk_fma_f32 v[70:71], v[64:65], v[66:67], v[68:69] op_sel_hi:[1,0,1]
	v_pk_fma_f32 v[64:65], v[64:65], v[66:67], v[68:69] neg_lo:[0,0,1] neg_hi:[0,0,1]
	s_delay_alu instid0(VALU_DEP_2)
	v_mov_b32_e32 v65, v71
	scratch_store_b64 off, v[64:65], off offset:24
.LBB29_265:
	s_wait_xcnt 0x0
	s_or_b32 exec_lo, exec_lo, s1
	scratch_load_b64 v[64:65], off, off offset:16
	v_cmp_lt_u32_e64 s1, 2, v0
	s_wait_loadcnt 0x0
	ds_store_b64 v1, v[64:65]
	s_wait_storecnt_dscnt 0x0
	s_barrier_signal -1
	s_barrier_wait -1
	s_wait_xcnt 0x0
	s_and_saveexec_b32 s0, s1
	s_cbranch_execz .LBB29_275
; %bb.266:
	s_and_not1_b32 vcc_lo, exec_lo, s3
	s_cbranch_vccnz .LBB29_268
; %bb.267:
	scratch_load_b64 v[64:65], v39, off
	ds_load_b64 v[66:67], v1
	s_wait_loadcnt_dscnt 0x0
	v_pk_mul_f32 v[68:69], v[66:67], v[64:65] op_sel:[1,1] op_sel_hi:[0,1]
	s_delay_alu instid0(VALU_DEP_1) | instskip(SKIP_1) | instid1(VALU_DEP_2)
	v_pk_fma_f32 v[70:71], v[66:67], v[64:65], v[68:69] op_sel_hi:[1,0,1]
	v_pk_fma_f32 v[64:65], v[66:67], v[64:65], v[68:69] neg_lo:[0,0,1] neg_hi:[0,0,1]
	v_mov_b32_e32 v65, v71
	s_cbranch_execz .LBB29_269
	s_branch .LBB29_270
.LBB29_268:
                                        ; implicit-def: $vgpr64_vgpr65
.LBB29_269:
	ds_load_b64 v[64:65], v1
.LBB29_270:
	s_and_saveexec_b32 s5, s2
	s_cbranch_execz .LBB29_274
; %bb.271:
	v_add_nc_u32_e32 v66, -3, v0
	s_mov_b32 s2, 24
	s_movk_i32 s9, 0x108
	s_mov_b32 s8, 0
.LBB29_272:                             ; =>This Inner Loop Header: Depth=1
	scratch_load_b64 v[68:69], off, s2
	v_dual_mov_b32 v67, s9 :: v_dual_add_nc_u32 v66, -1, v66
	s_add_co_i32 s9, s9, 8
	s_wait_xcnt 0x0
	s_add_co_i32 s2, s2, 8
	ds_load_b64 v[70:71], v67
	v_cmp_eq_u32_e32 vcc_lo, 0, v66
	s_or_b32 s8, vcc_lo, s8
	s_wait_loadcnt_dscnt 0x0
	v_pk_mul_f32 v[72:73], v[70:71], v[68:69] op_sel:[1,1] op_sel_hi:[0,1]
	s_delay_alu instid0(VALU_DEP_1) | instskip(SKIP_1) | instid1(VALU_DEP_2)
	v_pk_fma_f32 v[74:75], v[70:71], v[68:69], v[72:73] op_sel_hi:[1,0,1]
	v_pk_fma_f32 v[68:69], v[70:71], v[68:69], v[72:73] neg_lo:[0,0,1] neg_hi:[0,0,1]
	v_mov_b32_e32 v69, v75
	s_delay_alu instid0(VALU_DEP_1)
	v_pk_add_f32 v[64:65], v[64:65], v[68:69]
	s_and_not1_b32 exec_lo, exec_lo, s8
	s_cbranch_execnz .LBB29_272
; %bb.273:
	s_or_b32 exec_lo, exec_lo, s8
.LBB29_274:
	s_delay_alu instid0(SALU_CYCLE_1) | instskip(SKIP_4) | instid1(VALU_DEP_1)
	s_or_b32 exec_lo, exec_lo, s5
	v_mov_b32_e32 v66, 0
	ds_load_b64 v[66:67], v66 offset:16
	s_wait_dscnt 0x0
	v_pk_mul_f32 v[68:69], v[64:65], v[66:67] op_sel:[1,1] op_sel_hi:[0,1]
	v_pk_fma_f32 v[70:71], v[64:65], v[66:67], v[68:69] op_sel_hi:[1,0,1]
	v_pk_fma_f32 v[64:65], v[64:65], v[66:67], v[68:69] neg_lo:[0,0,1] neg_hi:[0,0,1]
	s_delay_alu instid0(VALU_DEP_2)
	v_mov_b32_e32 v65, v71
	scratch_store_b64 off, v[64:65], off offset:16
.LBB29_275:
	s_wait_xcnt 0x0
	s_or_b32 exec_lo, exec_lo, s0
	scratch_load_b64 v[64:65], off, off offset:8
	v_cmp_lt_u32_e64 s0, 1, v0
	s_wait_loadcnt 0x0
	ds_store_b64 v1, v[64:65]
	s_wait_storecnt_dscnt 0x0
	s_barrier_signal -1
	s_barrier_wait -1
	s_wait_xcnt 0x0
	s_and_saveexec_b32 s2, s0
	s_cbranch_execz .LBB29_285
; %bb.276:
	s_and_not1_b32 vcc_lo, exec_lo, s3
	s_cbranch_vccnz .LBB29_278
; %bb.277:
	scratch_load_b64 v[64:65], v39, off
	ds_load_b64 v[66:67], v1
	s_wait_loadcnt_dscnt 0x0
	v_pk_mul_f32 v[68:69], v[66:67], v[64:65] op_sel:[1,1] op_sel_hi:[0,1]
	s_delay_alu instid0(VALU_DEP_1) | instskip(SKIP_1) | instid1(VALU_DEP_2)
	v_pk_fma_f32 v[70:71], v[66:67], v[64:65], v[68:69] op_sel_hi:[1,0,1]
	v_pk_fma_f32 v[64:65], v[66:67], v[64:65], v[68:69] neg_lo:[0,0,1] neg_hi:[0,0,1]
	v_mov_b32_e32 v65, v71
	s_cbranch_execz .LBB29_279
	s_branch .LBB29_280
.LBB29_278:
                                        ; implicit-def: $vgpr64_vgpr65
.LBB29_279:
	ds_load_b64 v[64:65], v1
.LBB29_280:
	s_and_saveexec_b32 s5, s1
	s_cbranch_execz .LBB29_284
; %bb.281:
	v_add_nc_u32_e32 v66, -2, v0
	s_movk_i32 s8, 0x100
	s_mov_b32 s1, 0
.LBB29_282:                             ; =>This Inner Loop Header: Depth=1
	scratch_load_b64 v[68:69], off, s4
	v_dual_mov_b32 v67, s8 :: v_dual_add_nc_u32 v66, -1, v66
	s_add_co_i32 s8, s8, 8
	s_wait_xcnt 0x0
	s_add_co_i32 s4, s4, 8
	ds_load_b64 v[70:71], v67
	v_cmp_eq_u32_e32 vcc_lo, 0, v66
	s_or_b32 s1, vcc_lo, s1
	s_wait_loadcnt_dscnt 0x0
	v_pk_mul_f32 v[72:73], v[70:71], v[68:69] op_sel:[1,1] op_sel_hi:[0,1]
	s_delay_alu instid0(VALU_DEP_1) | instskip(SKIP_1) | instid1(VALU_DEP_2)
	v_pk_fma_f32 v[74:75], v[70:71], v[68:69], v[72:73] op_sel_hi:[1,0,1]
	v_pk_fma_f32 v[68:69], v[70:71], v[68:69], v[72:73] neg_lo:[0,0,1] neg_hi:[0,0,1]
	v_mov_b32_e32 v69, v75
	s_delay_alu instid0(VALU_DEP_1)
	v_pk_add_f32 v[64:65], v[64:65], v[68:69]
	s_and_not1_b32 exec_lo, exec_lo, s1
	s_cbranch_execnz .LBB29_282
; %bb.283:
	s_or_b32 exec_lo, exec_lo, s1
.LBB29_284:
	s_delay_alu instid0(SALU_CYCLE_1) | instskip(SKIP_4) | instid1(VALU_DEP_1)
	s_or_b32 exec_lo, exec_lo, s5
	v_mov_b32_e32 v66, 0
	ds_load_b64 v[66:67], v66 offset:8
	s_wait_dscnt 0x0
	v_pk_mul_f32 v[68:69], v[64:65], v[66:67] op_sel:[1,1] op_sel_hi:[0,1]
	v_pk_fma_f32 v[70:71], v[64:65], v[66:67], v[68:69] op_sel_hi:[1,0,1]
	v_pk_fma_f32 v[64:65], v[64:65], v[66:67], v[68:69] neg_lo:[0,0,1] neg_hi:[0,0,1]
	s_delay_alu instid0(VALU_DEP_2)
	v_mov_b32_e32 v65, v71
	scratch_store_b64 off, v[64:65], off offset:8
.LBB29_285:
	s_wait_xcnt 0x0
	s_or_b32 exec_lo, exec_lo, s2
	scratch_load_b64 v[64:65], off, off
	s_mov_b32 s2, 0
	s_mov_b32 s1, 0
	s_mov_b32 s5, exec_lo
                                        ; implicit-def: $vgpr84
                                        ; implicit-def: $sgpr4
	s_wait_loadcnt 0x0
	ds_store_b64 v1, v[64:65]
	s_wait_storecnt_dscnt 0x0
	s_barrier_signal -1
	s_barrier_wait -1
	s_wait_xcnt 0x0
	v_cmpx_ne_u32_e32 0, v0
	s_cbranch_execz .LBB29_295
; %bb.286:
	s_and_not1_b32 vcc_lo, exec_lo, s3
	s_cbranch_vccnz .LBB29_288
; %bb.287:
	scratch_load_b64 v[66:67], v39, off
	ds_load_b64 v[68:69], v1
	s_wait_loadcnt_dscnt 0x0
	v_dual_mul_f32 v64, v69, v67 :: v_dual_mul_f32 v65, v68, v67
	s_delay_alu instid0(VALU_DEP_1)
	v_dual_fma_f32 v64, v68, v66, -v64 :: v_dual_fmac_f32 v65, v69, v66
	s_and_not1_b32 vcc_lo, exec_lo, s1
	s_cbranch_vccz .LBB29_289
	s_branch .LBB29_290
.LBB29_288:
                                        ; implicit-def: $vgpr64
.LBB29_289:
	ds_load_b64 v[64:65], v1
.LBB29_290:
	s_and_saveexec_b32 s1, s0
	s_cbranch_execz .LBB29_294
; %bb.291:
	v_add_nc_u32_e32 v66, -1, v0
	s_or_b32 s0, 0, 8
	s_movk_i32 s8, 0xf8
	s_mov_b32 s4, 0
.LBB29_292:                             ; =>This Inner Loop Header: Depth=1
	scratch_load_b64 v[68:69], off, s0
	v_mov_b32_e32 v67, s8
	s_add_co_i32 s8, s8, 8
	s_wait_xcnt 0x0
	s_add_co_i32 s0, s0, 8
	v_add_nc_u32_e32 v66, -1, v66
	ds_load_b64 v[70:71], v67
	v_cmp_eq_u32_e32 vcc_lo, 0, v66
	s_or_b32 s4, vcc_lo, s4
	s_wait_loadcnt_dscnt 0x0
	v_dual_mul_f32 v67, v71, v69 :: v_dual_mul_f32 v69, v70, v69
	s_delay_alu instid0(VALU_DEP_1) | instskip(NEXT) | instid1(VALU_DEP_1)
	v_dual_fma_f32 v67, v70, v68, -v67 :: v_dual_fmac_f32 v69, v71, v68
	v_dual_add_f32 v64, v64, v67 :: v_dual_add_f32 v65, v65, v69
	s_and_not1_b32 exec_lo, exec_lo, s4
	s_cbranch_execnz .LBB29_292
; %bb.293:
	s_or_b32 exec_lo, exec_lo, s4
.LBB29_294:
	s_delay_alu instid0(SALU_CYCLE_1)
	s_or_b32 exec_lo, exec_lo, s1
	v_mov_b32_e32 v66, 0
	s_mov_b32 s1, exec_lo
	s_or_b32 s4, 0, 4
	ds_load_b64 v[66:67], v66
	s_wait_dscnt 0x0
	v_dual_mul_f32 v68, v65, v67 :: v_dual_mul_f32 v84, v64, v67
	s_delay_alu instid0(VALU_DEP_1) | instskip(NEXT) | instid1(VALU_DEP_2)
	v_fma_f32 v64, v64, v66, -v68
	v_fmac_f32_e32 v84, v65, v66
	scratch_store_b32 off, v64, off
.LBB29_295:
	s_wait_xcnt 0x0
	s_or_b32 exec_lo, exec_lo, s5
	s_delay_alu instid0(SALU_CYCLE_1)
	s_and_b32 vcc_lo, exec_lo, s2
	s_cbranch_vccz .LBB29_581
.LBB29_296:
	scratch_load_b64 v[64:65], off, off offset:8
	v_cmp_eq_u32_e64 s0, 0, v0
	s_wait_loadcnt 0x0
	ds_store_b64 v1, v[64:65]
	s_wait_storecnt_dscnt 0x0
	s_barrier_signal -1
	s_barrier_wait -1
	s_wait_xcnt 0x0
	s_and_saveexec_b32 s2, s0
	s_cbranch_execz .LBB29_302
; %bb.297:
	s_and_b32 vcc_lo, exec_lo, s3
	s_cbranch_vccz .LBB29_299
; %bb.298:
	scratch_load_b64 v[64:65], v39, off
	ds_load_b64 v[66:67], v1
	s_wait_loadcnt_dscnt 0x0
	v_pk_mul_f32 v[68:69], v[66:67], v[64:65] op_sel:[1,1] op_sel_hi:[0,1]
	v_pk_mul_f32 v[70:71], v[66:67], v[64:65] op_sel_hi:[1,0]
	s_delay_alu instid0(VALU_DEP_2) | instskip(NEXT) | instid1(VALU_DEP_2)
	v_pk_fma_f32 v[64:65], v[66:67], v[64:65], v[68:69] op_sel_hi:[1,0,1]
	v_sub_f32_e32 v64, v70, v68
	s_cbranch_execz .LBB29_300
	s_branch .LBB29_301
.LBB29_299:
                                        ; implicit-def: $vgpr65
.LBB29_300:
	ds_load_b64 v[64:65], v1
.LBB29_301:
	s_wait_dscnt 0x0
	v_dual_mov_b32 v66, 0 :: v_dual_mov_b32 v68, v65
	v_mov_b32_e32 v69, v64
	ds_load_b64 v[66:67], v66 offset:8
	s_wait_dscnt 0x0
	v_pk_mul_f32 v[68:69], v[68:69], v[66:67] op_sel:[0,1]
	s_delay_alu instid0(VALU_DEP_1) | instskip(SKIP_1) | instid1(VALU_DEP_2)
	v_pk_fma_f32 v[70:71], v[64:65], v[66:67], v[68:69] op_sel_hi:[1,0,1]
	v_pk_fma_f32 v[64:65], v[64:65], v[66:67], v[68:69] neg_lo:[0,0,1] neg_hi:[0,0,1]
	v_mov_b32_e32 v65, v71
	scratch_store_b64 off, v[64:65], off offset:8
.LBB29_302:
	s_wait_xcnt 0x0
	s_or_b32 exec_lo, exec_lo, s2
	scratch_load_b64 v[64:65], off, off offset:16
	v_cndmask_b32_e64 v66, 0, 1, s3
	s_mov_b32 s2, exec_lo
	s_wait_loadcnt 0x0
	ds_store_b64 v1, v[64:65]
	s_wait_storecnt_dscnt 0x0
	s_barrier_signal -1
	s_barrier_wait -1
	s_wait_xcnt 0x0
	v_cmpx_gt_u32_e32 2, v0
	s_cbranch_execz .LBB29_310
; %bb.303:
	s_and_not1_b32 vcc_lo, exec_lo, s3
	s_cbranch_vccnz .LBB29_305
; %bb.304:
	scratch_load_b64 v[64:65], v39, off
	ds_load_b64 v[68:69], v1
	s_wait_loadcnt_dscnt 0x0
	v_pk_mul_f32 v[70:71], v[68:69], v[64:65] op_sel:[1,1] op_sel_hi:[0,1]
	s_delay_alu instid0(VALU_DEP_1) | instskip(SKIP_1) | instid1(VALU_DEP_2)
	v_pk_fma_f32 v[72:73], v[68:69], v[64:65], v[70:71] op_sel_hi:[1,0,1]
	v_pk_fma_f32 v[64:65], v[68:69], v[64:65], v[70:71] neg_lo:[0,0,1] neg_hi:[0,0,1]
	v_mov_b32_e32 v65, v73
	s_cbranch_execz .LBB29_306
	s_branch .LBB29_307
.LBB29_305:
                                        ; implicit-def: $vgpr64_vgpr65
.LBB29_306:
	ds_load_b64 v[64:65], v1
.LBB29_307:
	s_and_saveexec_b32 s3, s0
	s_cbranch_execz .LBB29_309
; %bb.308:
	scratch_load_b64 v[68:69], off, off offset:8
	v_mov_b32_e32 v67, 0
	ds_load_b64 v[70:71], v67 offset:248
	s_wait_loadcnt_dscnt 0x0
	v_pk_mul_f32 v[72:73], v[70:71], v[68:69] op_sel:[1,1] op_sel_hi:[0,1]
	s_delay_alu instid0(VALU_DEP_1) | instskip(SKIP_1) | instid1(VALU_DEP_2)
	v_pk_fma_f32 v[74:75], v[70:71], v[68:69], v[72:73] op_sel_hi:[1,0,1]
	v_pk_fma_f32 v[68:69], v[70:71], v[68:69], v[72:73] neg_lo:[0,0,1] neg_hi:[0,0,1]
	v_mov_b32_e32 v69, v75
	s_delay_alu instid0(VALU_DEP_1)
	v_pk_add_f32 v[64:65], v[64:65], v[68:69]
.LBB29_309:
	s_or_b32 exec_lo, exec_lo, s3
	v_mov_b32_e32 v67, 0
	ds_load_b64 v[68:69], v67 offset:16
	s_wait_dscnt 0x0
	v_pk_mul_f32 v[70:71], v[64:65], v[68:69] op_sel:[1,1] op_sel_hi:[0,1]
	s_delay_alu instid0(VALU_DEP_1) | instskip(SKIP_1) | instid1(VALU_DEP_2)
	v_pk_fma_f32 v[72:73], v[64:65], v[68:69], v[70:71] op_sel_hi:[1,0,1]
	v_pk_fma_f32 v[64:65], v[64:65], v[68:69], v[70:71] neg_lo:[0,0,1] neg_hi:[0,0,1]
	v_mov_b32_e32 v65, v73
	scratch_store_b64 off, v[64:65], off offset:16
.LBB29_310:
	s_wait_xcnt 0x0
	s_or_b32 exec_lo, exec_lo, s2
	scratch_load_b64 v[64:65], off, off offset:24
	s_mov_b32 s2, exec_lo
	s_wait_loadcnt 0x0
	ds_store_b64 v1, v[64:65]
	s_wait_storecnt_dscnt 0x0
	s_barrier_signal -1
	s_barrier_wait -1
	s_wait_xcnt 0x0
	v_cmpx_gt_u32_e32 3, v0
	s_cbranch_execz .LBB29_320
; %bb.311:
	v_cmp_ne_u32_e32 vcc_lo, 1, v66
	s_cbranch_vccnz .LBB29_313
; %bb.312:
	scratch_load_b64 v[64:65], v39, off
	ds_load_b64 v[68:69], v1
	s_wait_loadcnt_dscnt 0x0
	v_pk_mul_f32 v[70:71], v[68:69], v[64:65] op_sel:[1,1] op_sel_hi:[0,1]
	s_delay_alu instid0(VALU_DEP_1) | instskip(SKIP_1) | instid1(VALU_DEP_2)
	v_pk_fma_f32 v[72:73], v[68:69], v[64:65], v[70:71] op_sel_hi:[1,0,1]
	v_pk_fma_f32 v[64:65], v[68:69], v[64:65], v[70:71] neg_lo:[0,0,1] neg_hi:[0,0,1]
	v_mov_b32_e32 v65, v73
	s_cbranch_execz .LBB29_314
	s_branch .LBB29_315
.LBB29_313:
                                        ; implicit-def: $vgpr64_vgpr65
.LBB29_314:
	ds_load_b64 v[64:65], v1
.LBB29_315:
	s_mov_b32 s3, exec_lo
	v_cmpx_ne_u32_e32 2, v0
	s_cbranch_execz .LBB29_319
; %bb.316:
	scratch_load_b64 v[68:69], v39, off offset:8
	ds_load_b64 v[70:71], v1 offset:8
	s_wait_loadcnt_dscnt 0x0
	v_pk_mul_f32 v[72:73], v[70:71], v[68:69] op_sel:[1,1] op_sel_hi:[0,1]
	s_delay_alu instid0(VALU_DEP_1) | instskip(SKIP_1) | instid1(VALU_DEP_2)
	v_pk_fma_f32 v[74:75], v[70:71], v[68:69], v[72:73] op_sel_hi:[1,0,1]
	v_pk_fma_f32 v[68:69], v[70:71], v[68:69], v[72:73] neg_lo:[0,0,1] neg_hi:[0,0,1]
	v_mov_b32_e32 v69, v75
	s_delay_alu instid0(VALU_DEP_1)
	v_pk_add_f32 v[64:65], v[64:65], v[68:69]
	s_and_saveexec_b32 s4, s0
	s_cbranch_execz .LBB29_318
; %bb.317:
	scratch_load_b64 v[68:69], off, off offset:16
	v_mov_b32_e32 v67, 0
	ds_load_b64 v[70:71], v67 offset:256
	s_wait_loadcnt_dscnt 0x0
	v_pk_mul_f32 v[72:73], v[70:71], v[68:69] op_sel:[1,1] op_sel_hi:[0,1]
	s_delay_alu instid0(VALU_DEP_1) | instskip(SKIP_1) | instid1(VALU_DEP_2)
	v_pk_fma_f32 v[74:75], v[70:71], v[68:69], v[72:73] op_sel_hi:[1,0,1]
	v_pk_fma_f32 v[68:69], v[70:71], v[68:69], v[72:73] neg_lo:[0,0,1] neg_hi:[0,0,1]
	v_mov_b32_e32 v69, v75
	s_delay_alu instid0(VALU_DEP_1)
	v_pk_add_f32 v[64:65], v[64:65], v[68:69]
.LBB29_318:
	s_or_b32 exec_lo, exec_lo, s4
.LBB29_319:
	s_delay_alu instid0(SALU_CYCLE_1) | instskip(SKIP_4) | instid1(VALU_DEP_1)
	s_or_b32 exec_lo, exec_lo, s3
	v_mov_b32_e32 v67, 0
	ds_load_b64 v[68:69], v67 offset:24
	s_wait_dscnt 0x0
	v_pk_mul_f32 v[70:71], v[64:65], v[68:69] op_sel:[1,1] op_sel_hi:[0,1]
	v_pk_fma_f32 v[72:73], v[64:65], v[68:69], v[70:71] op_sel_hi:[1,0,1]
	v_pk_fma_f32 v[64:65], v[64:65], v[68:69], v[70:71] neg_lo:[0,0,1] neg_hi:[0,0,1]
	s_delay_alu instid0(VALU_DEP_2)
	v_mov_b32_e32 v65, v73
	scratch_store_b64 off, v[64:65], off offset:24
.LBB29_320:
	s_wait_xcnt 0x0
	s_or_b32 exec_lo, exec_lo, s2
	scratch_load_b64 v[64:65], off, off offset:32
	s_mov_b32 s0, exec_lo
	s_wait_loadcnt 0x0
	ds_store_b64 v1, v[64:65]
	s_wait_storecnt_dscnt 0x0
	s_barrier_signal -1
	s_barrier_wait -1
	s_wait_xcnt 0x0
	v_cmpx_gt_u32_e32 4, v0
	s_cbranch_execz .LBB29_330
; %bb.321:
	v_cmp_ne_u32_e32 vcc_lo, 1, v66
	s_cbranch_vccnz .LBB29_323
; %bb.322:
	scratch_load_b64 v[64:65], v39, off
	ds_load_b64 v[68:69], v1
	s_wait_loadcnt_dscnt 0x0
	v_pk_mul_f32 v[70:71], v[68:69], v[64:65] op_sel:[1,1] op_sel_hi:[0,1]
	s_delay_alu instid0(VALU_DEP_1) | instskip(SKIP_1) | instid1(VALU_DEP_2)
	v_pk_fma_f32 v[72:73], v[68:69], v[64:65], v[70:71] op_sel_hi:[1,0,1]
	v_pk_fma_f32 v[64:65], v[68:69], v[64:65], v[70:71] neg_lo:[0,0,1] neg_hi:[0,0,1]
	v_mov_b32_e32 v65, v73
	s_cbranch_execz .LBB29_324
	s_branch .LBB29_325
.LBB29_323:
                                        ; implicit-def: $vgpr64_vgpr65
.LBB29_324:
	ds_load_b64 v[64:65], v1
.LBB29_325:
	s_mov_b32 s2, exec_lo
	v_cmpx_ne_u32_e32 3, v0
	s_cbranch_execz .LBB29_329
; %bb.326:
	v_add_nc_u32_e32 v67, 0xf8, v38
	v_add3_u32 v68, 0, v38, 8
	v_mov_b32_e32 v69, v0
	s_mov_b32 s3, 0
.LBB29_327:                             ; =>This Inner Loop Header: Depth=1
	scratch_load_b64 v[70:71], v68, off
	ds_load_b64 v[72:73], v67
	s_wait_xcnt 0x0
	v_dual_add_nc_u32 v67, 8, v67 :: v_dual_add_nc_u32 v68, 8, v68
	s_wait_loadcnt_dscnt 0x0
	v_pk_mul_f32 v[74:75], v[72:73], v[70:71] op_sel:[1,1] op_sel_hi:[0,1]
	s_delay_alu instid0(VALU_DEP_1) | instskip(SKIP_2) | instid1(VALU_DEP_3)
	v_pk_fma_f32 v[76:77], v[72:73], v[70:71], v[74:75] op_sel_hi:[1,0,1]
	v_add_nc_u32_e32 v69, 1, v69
	v_pk_fma_f32 v[70:71], v[72:73], v[70:71], v[74:75] neg_lo:[0,0,1] neg_hi:[0,0,1]
	v_mov_b32_e32 v71, v77
	s_delay_alu instid0(VALU_DEP_3) | instskip(NEXT) | instid1(VALU_DEP_2)
	v_cmp_lt_u32_e32 vcc_lo, 2, v69
	v_pk_add_f32 v[64:65], v[64:65], v[70:71]
	s_or_b32 s3, vcc_lo, s3
	s_delay_alu instid0(SALU_CYCLE_1)
	s_and_not1_b32 exec_lo, exec_lo, s3
	s_cbranch_execnz .LBB29_327
; %bb.328:
	s_or_b32 exec_lo, exec_lo, s3
.LBB29_329:
	s_delay_alu instid0(SALU_CYCLE_1) | instskip(SKIP_4) | instid1(VALU_DEP_1)
	s_or_b32 exec_lo, exec_lo, s2
	v_mov_b32_e32 v67, 0
	ds_load_b64 v[68:69], v67 offset:32
	s_wait_dscnt 0x0
	v_pk_mul_f32 v[70:71], v[64:65], v[68:69] op_sel:[1,1] op_sel_hi:[0,1]
	v_pk_fma_f32 v[72:73], v[64:65], v[68:69], v[70:71] op_sel_hi:[1,0,1]
	v_pk_fma_f32 v[64:65], v[64:65], v[68:69], v[70:71] neg_lo:[0,0,1] neg_hi:[0,0,1]
	s_delay_alu instid0(VALU_DEP_2)
	v_mov_b32_e32 v65, v73
	scratch_store_b64 off, v[64:65], off offset:32
.LBB29_330:
	s_wait_xcnt 0x0
	s_or_b32 exec_lo, exec_lo, s0
	scratch_load_b64 v[64:65], off, off offset:40
	s_mov_b32 s0, exec_lo
	s_wait_loadcnt 0x0
	ds_store_b64 v1, v[64:65]
	s_wait_storecnt_dscnt 0x0
	s_barrier_signal -1
	s_barrier_wait -1
	s_wait_xcnt 0x0
	v_cmpx_gt_u32_e32 5, v0
	s_cbranch_execz .LBB29_340
; %bb.331:
	v_cmp_ne_u32_e32 vcc_lo, 1, v66
	s_cbranch_vccnz .LBB29_333
; %bb.332:
	scratch_load_b64 v[64:65], v39, off
	ds_load_b64 v[68:69], v1
	s_wait_loadcnt_dscnt 0x0
	v_pk_mul_f32 v[70:71], v[68:69], v[64:65] op_sel:[1,1] op_sel_hi:[0,1]
	s_delay_alu instid0(VALU_DEP_1) | instskip(SKIP_1) | instid1(VALU_DEP_2)
	v_pk_fma_f32 v[72:73], v[68:69], v[64:65], v[70:71] op_sel_hi:[1,0,1]
	v_pk_fma_f32 v[64:65], v[68:69], v[64:65], v[70:71] neg_lo:[0,0,1] neg_hi:[0,0,1]
	v_mov_b32_e32 v65, v73
	s_cbranch_execz .LBB29_334
	s_branch .LBB29_335
.LBB29_333:
                                        ; implicit-def: $vgpr64_vgpr65
.LBB29_334:
	ds_load_b64 v[64:65], v1
.LBB29_335:
	s_mov_b32 s2, exec_lo
	v_cmpx_ne_u32_e32 4, v0
	s_cbranch_execz .LBB29_339
; %bb.336:
	v_add_nc_u32_e32 v67, 0xf8, v38
	v_add3_u32 v68, 0, v38, 8
	v_mov_b32_e32 v69, v0
	s_mov_b32 s3, 0
.LBB29_337:                             ; =>This Inner Loop Header: Depth=1
	scratch_load_b64 v[70:71], v68, off
	ds_load_b64 v[72:73], v67
	s_wait_xcnt 0x0
	v_dual_add_nc_u32 v67, 8, v67 :: v_dual_add_nc_u32 v68, 8, v68
	s_wait_loadcnt_dscnt 0x0
	v_pk_mul_f32 v[74:75], v[72:73], v[70:71] op_sel:[1,1] op_sel_hi:[0,1]
	s_delay_alu instid0(VALU_DEP_1) | instskip(SKIP_2) | instid1(VALU_DEP_3)
	v_pk_fma_f32 v[76:77], v[72:73], v[70:71], v[74:75] op_sel_hi:[1,0,1]
	v_add_nc_u32_e32 v69, 1, v69
	v_pk_fma_f32 v[70:71], v[72:73], v[70:71], v[74:75] neg_lo:[0,0,1] neg_hi:[0,0,1]
	v_mov_b32_e32 v71, v77
	s_delay_alu instid0(VALU_DEP_3) | instskip(NEXT) | instid1(VALU_DEP_2)
	v_cmp_lt_u32_e32 vcc_lo, 3, v69
	v_pk_add_f32 v[64:65], v[64:65], v[70:71]
	s_or_b32 s3, vcc_lo, s3
	s_delay_alu instid0(SALU_CYCLE_1)
	s_and_not1_b32 exec_lo, exec_lo, s3
	s_cbranch_execnz .LBB29_337
; %bb.338:
	s_or_b32 exec_lo, exec_lo, s3
.LBB29_339:
	s_delay_alu instid0(SALU_CYCLE_1) | instskip(SKIP_4) | instid1(VALU_DEP_1)
	s_or_b32 exec_lo, exec_lo, s2
	v_mov_b32_e32 v67, 0
	ds_load_b64 v[68:69], v67 offset:40
	s_wait_dscnt 0x0
	v_pk_mul_f32 v[70:71], v[64:65], v[68:69] op_sel:[1,1] op_sel_hi:[0,1]
	v_pk_fma_f32 v[72:73], v[64:65], v[68:69], v[70:71] op_sel_hi:[1,0,1]
	v_pk_fma_f32 v[64:65], v[64:65], v[68:69], v[70:71] neg_lo:[0,0,1] neg_hi:[0,0,1]
	s_delay_alu instid0(VALU_DEP_2)
	v_mov_b32_e32 v65, v73
	scratch_store_b64 off, v[64:65], off offset:40
.LBB29_340:
	s_wait_xcnt 0x0
	s_or_b32 exec_lo, exec_lo, s0
	scratch_load_b64 v[64:65], off, off offset:48
	s_mov_b32 s0, exec_lo
	s_wait_loadcnt 0x0
	ds_store_b64 v1, v[64:65]
	s_wait_storecnt_dscnt 0x0
	s_barrier_signal -1
	s_barrier_wait -1
	s_wait_xcnt 0x0
	v_cmpx_gt_u32_e32 6, v0
	s_cbranch_execz .LBB29_350
; %bb.341:
	v_cmp_ne_u32_e32 vcc_lo, 1, v66
	s_cbranch_vccnz .LBB29_343
; %bb.342:
	scratch_load_b64 v[64:65], v39, off
	ds_load_b64 v[68:69], v1
	s_wait_loadcnt_dscnt 0x0
	v_pk_mul_f32 v[70:71], v[68:69], v[64:65] op_sel:[1,1] op_sel_hi:[0,1]
	s_delay_alu instid0(VALU_DEP_1) | instskip(SKIP_1) | instid1(VALU_DEP_2)
	v_pk_fma_f32 v[72:73], v[68:69], v[64:65], v[70:71] op_sel_hi:[1,0,1]
	v_pk_fma_f32 v[64:65], v[68:69], v[64:65], v[70:71] neg_lo:[0,0,1] neg_hi:[0,0,1]
	v_mov_b32_e32 v65, v73
	s_cbranch_execz .LBB29_344
	s_branch .LBB29_345
.LBB29_343:
                                        ; implicit-def: $vgpr64_vgpr65
.LBB29_344:
	ds_load_b64 v[64:65], v1
.LBB29_345:
	s_mov_b32 s2, exec_lo
	v_cmpx_ne_u32_e32 5, v0
	s_cbranch_execz .LBB29_349
; %bb.346:
	v_add_nc_u32_e32 v67, 0xf8, v38
	v_add3_u32 v68, 0, v38, 8
	v_mov_b32_e32 v69, v0
	s_mov_b32 s3, 0
.LBB29_347:                             ; =>This Inner Loop Header: Depth=1
	scratch_load_b64 v[70:71], v68, off
	ds_load_b64 v[72:73], v67
	s_wait_xcnt 0x0
	v_dual_add_nc_u32 v67, 8, v67 :: v_dual_add_nc_u32 v68, 8, v68
	s_wait_loadcnt_dscnt 0x0
	v_pk_mul_f32 v[74:75], v[72:73], v[70:71] op_sel:[1,1] op_sel_hi:[0,1]
	s_delay_alu instid0(VALU_DEP_1) | instskip(SKIP_2) | instid1(VALU_DEP_3)
	v_pk_fma_f32 v[76:77], v[72:73], v[70:71], v[74:75] op_sel_hi:[1,0,1]
	v_add_nc_u32_e32 v69, 1, v69
	v_pk_fma_f32 v[70:71], v[72:73], v[70:71], v[74:75] neg_lo:[0,0,1] neg_hi:[0,0,1]
	v_mov_b32_e32 v71, v77
	s_delay_alu instid0(VALU_DEP_3) | instskip(NEXT) | instid1(VALU_DEP_2)
	v_cmp_lt_u32_e32 vcc_lo, 4, v69
	v_pk_add_f32 v[64:65], v[64:65], v[70:71]
	s_or_b32 s3, vcc_lo, s3
	s_delay_alu instid0(SALU_CYCLE_1)
	s_and_not1_b32 exec_lo, exec_lo, s3
	s_cbranch_execnz .LBB29_347
; %bb.348:
	s_or_b32 exec_lo, exec_lo, s3
.LBB29_349:
	s_delay_alu instid0(SALU_CYCLE_1) | instskip(SKIP_4) | instid1(VALU_DEP_1)
	s_or_b32 exec_lo, exec_lo, s2
	v_mov_b32_e32 v67, 0
	ds_load_b64 v[68:69], v67 offset:48
	s_wait_dscnt 0x0
	v_pk_mul_f32 v[70:71], v[64:65], v[68:69] op_sel:[1,1] op_sel_hi:[0,1]
	v_pk_fma_f32 v[72:73], v[64:65], v[68:69], v[70:71] op_sel_hi:[1,0,1]
	v_pk_fma_f32 v[64:65], v[64:65], v[68:69], v[70:71] neg_lo:[0,0,1] neg_hi:[0,0,1]
	s_delay_alu instid0(VALU_DEP_2)
	v_mov_b32_e32 v65, v73
	scratch_store_b64 off, v[64:65], off offset:48
.LBB29_350:
	s_wait_xcnt 0x0
	s_or_b32 exec_lo, exec_lo, s0
	scratch_load_b64 v[64:65], off, off offset:56
	s_mov_b32 s0, exec_lo
	s_wait_loadcnt 0x0
	ds_store_b64 v1, v[64:65]
	s_wait_storecnt_dscnt 0x0
	s_barrier_signal -1
	s_barrier_wait -1
	s_wait_xcnt 0x0
	v_cmpx_gt_u32_e32 7, v0
	s_cbranch_execz .LBB29_360
; %bb.351:
	v_cmp_ne_u32_e32 vcc_lo, 1, v66
	s_cbranch_vccnz .LBB29_353
; %bb.352:
	scratch_load_b64 v[64:65], v39, off
	ds_load_b64 v[68:69], v1
	s_wait_loadcnt_dscnt 0x0
	v_pk_mul_f32 v[70:71], v[68:69], v[64:65] op_sel:[1,1] op_sel_hi:[0,1]
	s_delay_alu instid0(VALU_DEP_1) | instskip(SKIP_1) | instid1(VALU_DEP_2)
	v_pk_fma_f32 v[72:73], v[68:69], v[64:65], v[70:71] op_sel_hi:[1,0,1]
	v_pk_fma_f32 v[64:65], v[68:69], v[64:65], v[70:71] neg_lo:[0,0,1] neg_hi:[0,0,1]
	v_mov_b32_e32 v65, v73
	s_cbranch_execz .LBB29_354
	s_branch .LBB29_355
.LBB29_353:
                                        ; implicit-def: $vgpr64_vgpr65
.LBB29_354:
	ds_load_b64 v[64:65], v1
.LBB29_355:
	s_mov_b32 s2, exec_lo
	v_cmpx_ne_u32_e32 6, v0
	s_cbranch_execz .LBB29_359
; %bb.356:
	v_add_nc_u32_e32 v67, 0xf8, v38
	v_add3_u32 v68, 0, v38, 8
	v_mov_b32_e32 v69, v0
	s_mov_b32 s3, 0
.LBB29_357:                             ; =>This Inner Loop Header: Depth=1
	scratch_load_b64 v[70:71], v68, off
	ds_load_b64 v[72:73], v67
	s_wait_xcnt 0x0
	v_dual_add_nc_u32 v67, 8, v67 :: v_dual_add_nc_u32 v68, 8, v68
	s_wait_loadcnt_dscnt 0x0
	v_pk_mul_f32 v[74:75], v[72:73], v[70:71] op_sel:[1,1] op_sel_hi:[0,1]
	s_delay_alu instid0(VALU_DEP_1) | instskip(SKIP_2) | instid1(VALU_DEP_3)
	v_pk_fma_f32 v[76:77], v[72:73], v[70:71], v[74:75] op_sel_hi:[1,0,1]
	v_add_nc_u32_e32 v69, 1, v69
	v_pk_fma_f32 v[70:71], v[72:73], v[70:71], v[74:75] neg_lo:[0,0,1] neg_hi:[0,0,1]
	v_mov_b32_e32 v71, v77
	s_delay_alu instid0(VALU_DEP_3) | instskip(NEXT) | instid1(VALU_DEP_2)
	v_cmp_lt_u32_e32 vcc_lo, 5, v69
	v_pk_add_f32 v[64:65], v[64:65], v[70:71]
	s_or_b32 s3, vcc_lo, s3
	s_delay_alu instid0(SALU_CYCLE_1)
	s_and_not1_b32 exec_lo, exec_lo, s3
	s_cbranch_execnz .LBB29_357
; %bb.358:
	s_or_b32 exec_lo, exec_lo, s3
.LBB29_359:
	s_delay_alu instid0(SALU_CYCLE_1) | instskip(SKIP_4) | instid1(VALU_DEP_1)
	s_or_b32 exec_lo, exec_lo, s2
	v_mov_b32_e32 v67, 0
	ds_load_b64 v[68:69], v67 offset:56
	s_wait_dscnt 0x0
	v_pk_mul_f32 v[70:71], v[64:65], v[68:69] op_sel:[1,1] op_sel_hi:[0,1]
	v_pk_fma_f32 v[72:73], v[64:65], v[68:69], v[70:71] op_sel_hi:[1,0,1]
	v_pk_fma_f32 v[64:65], v[64:65], v[68:69], v[70:71] neg_lo:[0,0,1] neg_hi:[0,0,1]
	s_delay_alu instid0(VALU_DEP_2)
	v_mov_b32_e32 v65, v73
	scratch_store_b64 off, v[64:65], off offset:56
.LBB29_360:
	s_wait_xcnt 0x0
	s_or_b32 exec_lo, exec_lo, s0
	scratch_load_b64 v[64:65], off, off offset:64
	s_mov_b32 s0, exec_lo
	s_wait_loadcnt 0x0
	ds_store_b64 v1, v[64:65]
	s_wait_storecnt_dscnt 0x0
	s_barrier_signal -1
	s_barrier_wait -1
	s_wait_xcnt 0x0
	v_cmpx_gt_u32_e32 8, v0
	s_cbranch_execz .LBB29_370
; %bb.361:
	v_cmp_ne_u32_e32 vcc_lo, 1, v66
	s_cbranch_vccnz .LBB29_363
; %bb.362:
	scratch_load_b64 v[64:65], v39, off
	ds_load_b64 v[68:69], v1
	s_wait_loadcnt_dscnt 0x0
	v_pk_mul_f32 v[70:71], v[68:69], v[64:65] op_sel:[1,1] op_sel_hi:[0,1]
	s_delay_alu instid0(VALU_DEP_1) | instskip(SKIP_1) | instid1(VALU_DEP_2)
	v_pk_fma_f32 v[72:73], v[68:69], v[64:65], v[70:71] op_sel_hi:[1,0,1]
	v_pk_fma_f32 v[64:65], v[68:69], v[64:65], v[70:71] neg_lo:[0,0,1] neg_hi:[0,0,1]
	v_mov_b32_e32 v65, v73
	s_cbranch_execz .LBB29_364
	s_branch .LBB29_365
.LBB29_363:
                                        ; implicit-def: $vgpr64_vgpr65
.LBB29_364:
	ds_load_b64 v[64:65], v1
.LBB29_365:
	s_mov_b32 s2, exec_lo
	v_cmpx_ne_u32_e32 7, v0
	s_cbranch_execz .LBB29_369
; %bb.366:
	v_add_nc_u32_e32 v67, 0xf8, v38
	v_add3_u32 v68, 0, v38, 8
	v_mov_b32_e32 v69, v0
	s_mov_b32 s3, 0
.LBB29_367:                             ; =>This Inner Loop Header: Depth=1
	scratch_load_b64 v[70:71], v68, off
	ds_load_b64 v[72:73], v67
	s_wait_xcnt 0x0
	v_dual_add_nc_u32 v67, 8, v67 :: v_dual_add_nc_u32 v68, 8, v68
	s_wait_loadcnt_dscnt 0x0
	v_pk_mul_f32 v[74:75], v[72:73], v[70:71] op_sel:[1,1] op_sel_hi:[0,1]
	s_delay_alu instid0(VALU_DEP_1) | instskip(SKIP_2) | instid1(VALU_DEP_3)
	v_pk_fma_f32 v[76:77], v[72:73], v[70:71], v[74:75] op_sel_hi:[1,0,1]
	v_add_nc_u32_e32 v69, 1, v69
	v_pk_fma_f32 v[70:71], v[72:73], v[70:71], v[74:75] neg_lo:[0,0,1] neg_hi:[0,0,1]
	v_mov_b32_e32 v71, v77
	s_delay_alu instid0(VALU_DEP_3) | instskip(NEXT) | instid1(VALU_DEP_2)
	v_cmp_lt_u32_e32 vcc_lo, 6, v69
	v_pk_add_f32 v[64:65], v[64:65], v[70:71]
	s_or_b32 s3, vcc_lo, s3
	s_delay_alu instid0(SALU_CYCLE_1)
	s_and_not1_b32 exec_lo, exec_lo, s3
	s_cbranch_execnz .LBB29_367
; %bb.368:
	s_or_b32 exec_lo, exec_lo, s3
.LBB29_369:
	s_delay_alu instid0(SALU_CYCLE_1) | instskip(SKIP_4) | instid1(VALU_DEP_1)
	s_or_b32 exec_lo, exec_lo, s2
	v_mov_b32_e32 v67, 0
	ds_load_b64 v[68:69], v67 offset:64
	s_wait_dscnt 0x0
	v_pk_mul_f32 v[70:71], v[64:65], v[68:69] op_sel:[1,1] op_sel_hi:[0,1]
	v_pk_fma_f32 v[72:73], v[64:65], v[68:69], v[70:71] op_sel_hi:[1,0,1]
	v_pk_fma_f32 v[64:65], v[64:65], v[68:69], v[70:71] neg_lo:[0,0,1] neg_hi:[0,0,1]
	s_delay_alu instid0(VALU_DEP_2)
	v_mov_b32_e32 v65, v73
	scratch_store_b64 off, v[64:65], off offset:64
.LBB29_370:
	s_wait_xcnt 0x0
	s_or_b32 exec_lo, exec_lo, s0
	scratch_load_b64 v[64:65], off, off offset:72
	s_mov_b32 s0, exec_lo
	s_wait_loadcnt 0x0
	ds_store_b64 v1, v[64:65]
	s_wait_storecnt_dscnt 0x0
	s_barrier_signal -1
	s_barrier_wait -1
	s_wait_xcnt 0x0
	v_cmpx_gt_u32_e32 9, v0
	s_cbranch_execz .LBB29_380
; %bb.371:
	v_cmp_ne_u32_e32 vcc_lo, 1, v66
	s_cbranch_vccnz .LBB29_373
; %bb.372:
	scratch_load_b64 v[64:65], v39, off
	ds_load_b64 v[68:69], v1
	s_wait_loadcnt_dscnt 0x0
	v_pk_mul_f32 v[70:71], v[68:69], v[64:65] op_sel:[1,1] op_sel_hi:[0,1]
	s_delay_alu instid0(VALU_DEP_1) | instskip(SKIP_1) | instid1(VALU_DEP_2)
	v_pk_fma_f32 v[72:73], v[68:69], v[64:65], v[70:71] op_sel_hi:[1,0,1]
	v_pk_fma_f32 v[64:65], v[68:69], v[64:65], v[70:71] neg_lo:[0,0,1] neg_hi:[0,0,1]
	v_mov_b32_e32 v65, v73
	s_cbranch_execz .LBB29_374
	s_branch .LBB29_375
.LBB29_373:
                                        ; implicit-def: $vgpr64_vgpr65
.LBB29_374:
	ds_load_b64 v[64:65], v1
.LBB29_375:
	s_mov_b32 s2, exec_lo
	v_cmpx_ne_u32_e32 8, v0
	s_cbranch_execz .LBB29_379
; %bb.376:
	v_add_nc_u32_e32 v67, 0xf8, v38
	v_add3_u32 v68, 0, v38, 8
	v_mov_b32_e32 v69, v0
	s_mov_b32 s3, 0
.LBB29_377:                             ; =>This Inner Loop Header: Depth=1
	scratch_load_b64 v[70:71], v68, off
	ds_load_b64 v[72:73], v67
	s_wait_xcnt 0x0
	v_dual_add_nc_u32 v67, 8, v67 :: v_dual_add_nc_u32 v68, 8, v68
	s_wait_loadcnt_dscnt 0x0
	v_pk_mul_f32 v[74:75], v[72:73], v[70:71] op_sel:[1,1] op_sel_hi:[0,1]
	s_delay_alu instid0(VALU_DEP_1) | instskip(SKIP_2) | instid1(VALU_DEP_3)
	v_pk_fma_f32 v[76:77], v[72:73], v[70:71], v[74:75] op_sel_hi:[1,0,1]
	v_add_nc_u32_e32 v69, 1, v69
	v_pk_fma_f32 v[70:71], v[72:73], v[70:71], v[74:75] neg_lo:[0,0,1] neg_hi:[0,0,1]
	v_mov_b32_e32 v71, v77
	s_delay_alu instid0(VALU_DEP_3) | instskip(NEXT) | instid1(VALU_DEP_2)
	v_cmp_lt_u32_e32 vcc_lo, 7, v69
	v_pk_add_f32 v[64:65], v[64:65], v[70:71]
	s_or_b32 s3, vcc_lo, s3
	s_delay_alu instid0(SALU_CYCLE_1)
	s_and_not1_b32 exec_lo, exec_lo, s3
	s_cbranch_execnz .LBB29_377
; %bb.378:
	s_or_b32 exec_lo, exec_lo, s3
.LBB29_379:
	s_delay_alu instid0(SALU_CYCLE_1) | instskip(SKIP_4) | instid1(VALU_DEP_1)
	s_or_b32 exec_lo, exec_lo, s2
	v_mov_b32_e32 v67, 0
	ds_load_b64 v[68:69], v67 offset:72
	s_wait_dscnt 0x0
	v_pk_mul_f32 v[70:71], v[64:65], v[68:69] op_sel:[1,1] op_sel_hi:[0,1]
	v_pk_fma_f32 v[72:73], v[64:65], v[68:69], v[70:71] op_sel_hi:[1,0,1]
	v_pk_fma_f32 v[64:65], v[64:65], v[68:69], v[70:71] neg_lo:[0,0,1] neg_hi:[0,0,1]
	s_delay_alu instid0(VALU_DEP_2)
	v_mov_b32_e32 v65, v73
	scratch_store_b64 off, v[64:65], off offset:72
.LBB29_380:
	s_wait_xcnt 0x0
	s_or_b32 exec_lo, exec_lo, s0
	scratch_load_b64 v[64:65], off, off offset:80
	s_mov_b32 s0, exec_lo
	s_wait_loadcnt 0x0
	ds_store_b64 v1, v[64:65]
	s_wait_storecnt_dscnt 0x0
	s_barrier_signal -1
	s_barrier_wait -1
	s_wait_xcnt 0x0
	v_cmpx_gt_u32_e32 10, v0
	s_cbranch_execz .LBB29_390
; %bb.381:
	v_cmp_ne_u32_e32 vcc_lo, 1, v66
	s_cbranch_vccnz .LBB29_383
; %bb.382:
	scratch_load_b64 v[64:65], v39, off
	ds_load_b64 v[68:69], v1
	s_wait_loadcnt_dscnt 0x0
	v_pk_mul_f32 v[70:71], v[68:69], v[64:65] op_sel:[1,1] op_sel_hi:[0,1]
	s_delay_alu instid0(VALU_DEP_1) | instskip(SKIP_1) | instid1(VALU_DEP_2)
	v_pk_fma_f32 v[72:73], v[68:69], v[64:65], v[70:71] op_sel_hi:[1,0,1]
	v_pk_fma_f32 v[64:65], v[68:69], v[64:65], v[70:71] neg_lo:[0,0,1] neg_hi:[0,0,1]
	v_mov_b32_e32 v65, v73
	s_cbranch_execz .LBB29_384
	s_branch .LBB29_385
.LBB29_383:
                                        ; implicit-def: $vgpr64_vgpr65
.LBB29_384:
	ds_load_b64 v[64:65], v1
.LBB29_385:
	s_mov_b32 s2, exec_lo
	v_cmpx_ne_u32_e32 9, v0
	s_cbranch_execz .LBB29_389
; %bb.386:
	v_add_nc_u32_e32 v67, 0xf8, v38
	v_add3_u32 v68, 0, v38, 8
	v_mov_b32_e32 v69, v0
	s_mov_b32 s3, 0
.LBB29_387:                             ; =>This Inner Loop Header: Depth=1
	scratch_load_b64 v[70:71], v68, off
	ds_load_b64 v[72:73], v67
	s_wait_xcnt 0x0
	v_dual_add_nc_u32 v67, 8, v67 :: v_dual_add_nc_u32 v68, 8, v68
	s_wait_loadcnt_dscnt 0x0
	v_pk_mul_f32 v[74:75], v[72:73], v[70:71] op_sel:[1,1] op_sel_hi:[0,1]
	s_delay_alu instid0(VALU_DEP_1) | instskip(SKIP_2) | instid1(VALU_DEP_3)
	v_pk_fma_f32 v[76:77], v[72:73], v[70:71], v[74:75] op_sel_hi:[1,0,1]
	v_add_nc_u32_e32 v69, 1, v69
	v_pk_fma_f32 v[70:71], v[72:73], v[70:71], v[74:75] neg_lo:[0,0,1] neg_hi:[0,0,1]
	v_mov_b32_e32 v71, v77
	s_delay_alu instid0(VALU_DEP_3) | instskip(NEXT) | instid1(VALU_DEP_2)
	v_cmp_lt_u32_e32 vcc_lo, 8, v69
	v_pk_add_f32 v[64:65], v[64:65], v[70:71]
	s_or_b32 s3, vcc_lo, s3
	s_delay_alu instid0(SALU_CYCLE_1)
	s_and_not1_b32 exec_lo, exec_lo, s3
	s_cbranch_execnz .LBB29_387
; %bb.388:
	s_or_b32 exec_lo, exec_lo, s3
.LBB29_389:
	s_delay_alu instid0(SALU_CYCLE_1) | instskip(SKIP_4) | instid1(VALU_DEP_1)
	s_or_b32 exec_lo, exec_lo, s2
	v_mov_b32_e32 v67, 0
	ds_load_b64 v[68:69], v67 offset:80
	s_wait_dscnt 0x0
	v_pk_mul_f32 v[70:71], v[64:65], v[68:69] op_sel:[1,1] op_sel_hi:[0,1]
	v_pk_fma_f32 v[72:73], v[64:65], v[68:69], v[70:71] op_sel_hi:[1,0,1]
	v_pk_fma_f32 v[64:65], v[64:65], v[68:69], v[70:71] neg_lo:[0,0,1] neg_hi:[0,0,1]
	s_delay_alu instid0(VALU_DEP_2)
	v_mov_b32_e32 v65, v73
	scratch_store_b64 off, v[64:65], off offset:80
.LBB29_390:
	s_wait_xcnt 0x0
	s_or_b32 exec_lo, exec_lo, s0
	scratch_load_b64 v[64:65], off, off offset:88
	s_mov_b32 s0, exec_lo
	s_wait_loadcnt 0x0
	ds_store_b64 v1, v[64:65]
	s_wait_storecnt_dscnt 0x0
	s_barrier_signal -1
	s_barrier_wait -1
	s_wait_xcnt 0x0
	v_cmpx_gt_u32_e32 11, v0
	s_cbranch_execz .LBB29_400
; %bb.391:
	v_cmp_ne_u32_e32 vcc_lo, 1, v66
	s_cbranch_vccnz .LBB29_393
; %bb.392:
	scratch_load_b64 v[64:65], v39, off
	ds_load_b64 v[68:69], v1
	s_wait_loadcnt_dscnt 0x0
	v_pk_mul_f32 v[70:71], v[68:69], v[64:65] op_sel:[1,1] op_sel_hi:[0,1]
	s_delay_alu instid0(VALU_DEP_1) | instskip(SKIP_1) | instid1(VALU_DEP_2)
	v_pk_fma_f32 v[72:73], v[68:69], v[64:65], v[70:71] op_sel_hi:[1,0,1]
	v_pk_fma_f32 v[64:65], v[68:69], v[64:65], v[70:71] neg_lo:[0,0,1] neg_hi:[0,0,1]
	v_mov_b32_e32 v65, v73
	s_cbranch_execz .LBB29_394
	s_branch .LBB29_395
.LBB29_393:
                                        ; implicit-def: $vgpr64_vgpr65
.LBB29_394:
	ds_load_b64 v[64:65], v1
.LBB29_395:
	s_mov_b32 s2, exec_lo
	v_cmpx_ne_u32_e32 10, v0
	s_cbranch_execz .LBB29_399
; %bb.396:
	v_add_nc_u32_e32 v67, 0xf8, v38
	v_add3_u32 v68, 0, v38, 8
	v_mov_b32_e32 v69, v0
	s_mov_b32 s3, 0
.LBB29_397:                             ; =>This Inner Loop Header: Depth=1
	scratch_load_b64 v[70:71], v68, off
	ds_load_b64 v[72:73], v67
	s_wait_xcnt 0x0
	v_dual_add_nc_u32 v67, 8, v67 :: v_dual_add_nc_u32 v68, 8, v68
	s_wait_loadcnt_dscnt 0x0
	v_pk_mul_f32 v[74:75], v[72:73], v[70:71] op_sel:[1,1] op_sel_hi:[0,1]
	s_delay_alu instid0(VALU_DEP_1) | instskip(SKIP_2) | instid1(VALU_DEP_3)
	v_pk_fma_f32 v[76:77], v[72:73], v[70:71], v[74:75] op_sel_hi:[1,0,1]
	v_add_nc_u32_e32 v69, 1, v69
	v_pk_fma_f32 v[70:71], v[72:73], v[70:71], v[74:75] neg_lo:[0,0,1] neg_hi:[0,0,1]
	v_mov_b32_e32 v71, v77
	s_delay_alu instid0(VALU_DEP_3) | instskip(NEXT) | instid1(VALU_DEP_2)
	v_cmp_lt_u32_e32 vcc_lo, 9, v69
	v_pk_add_f32 v[64:65], v[64:65], v[70:71]
	s_or_b32 s3, vcc_lo, s3
	s_delay_alu instid0(SALU_CYCLE_1)
	s_and_not1_b32 exec_lo, exec_lo, s3
	s_cbranch_execnz .LBB29_397
; %bb.398:
	s_or_b32 exec_lo, exec_lo, s3
.LBB29_399:
	s_delay_alu instid0(SALU_CYCLE_1) | instskip(SKIP_4) | instid1(VALU_DEP_1)
	s_or_b32 exec_lo, exec_lo, s2
	v_mov_b32_e32 v67, 0
	ds_load_b64 v[68:69], v67 offset:88
	s_wait_dscnt 0x0
	v_pk_mul_f32 v[70:71], v[64:65], v[68:69] op_sel:[1,1] op_sel_hi:[0,1]
	v_pk_fma_f32 v[72:73], v[64:65], v[68:69], v[70:71] op_sel_hi:[1,0,1]
	v_pk_fma_f32 v[64:65], v[64:65], v[68:69], v[70:71] neg_lo:[0,0,1] neg_hi:[0,0,1]
	s_delay_alu instid0(VALU_DEP_2)
	v_mov_b32_e32 v65, v73
	scratch_store_b64 off, v[64:65], off offset:88
.LBB29_400:
	s_wait_xcnt 0x0
	s_or_b32 exec_lo, exec_lo, s0
	scratch_load_b64 v[64:65], off, off offset:96
	s_mov_b32 s0, exec_lo
	s_wait_loadcnt 0x0
	ds_store_b64 v1, v[64:65]
	s_wait_storecnt_dscnt 0x0
	s_barrier_signal -1
	s_barrier_wait -1
	s_wait_xcnt 0x0
	v_cmpx_gt_u32_e32 12, v0
	s_cbranch_execz .LBB29_410
; %bb.401:
	v_cmp_ne_u32_e32 vcc_lo, 1, v66
	s_cbranch_vccnz .LBB29_403
; %bb.402:
	scratch_load_b64 v[64:65], v39, off
	ds_load_b64 v[68:69], v1
	s_wait_loadcnt_dscnt 0x0
	v_pk_mul_f32 v[70:71], v[68:69], v[64:65] op_sel:[1,1] op_sel_hi:[0,1]
	s_delay_alu instid0(VALU_DEP_1) | instskip(SKIP_1) | instid1(VALU_DEP_2)
	v_pk_fma_f32 v[72:73], v[68:69], v[64:65], v[70:71] op_sel_hi:[1,0,1]
	v_pk_fma_f32 v[64:65], v[68:69], v[64:65], v[70:71] neg_lo:[0,0,1] neg_hi:[0,0,1]
	v_mov_b32_e32 v65, v73
	s_cbranch_execz .LBB29_404
	s_branch .LBB29_405
.LBB29_403:
                                        ; implicit-def: $vgpr64_vgpr65
.LBB29_404:
	ds_load_b64 v[64:65], v1
.LBB29_405:
	s_mov_b32 s2, exec_lo
	v_cmpx_ne_u32_e32 11, v0
	s_cbranch_execz .LBB29_409
; %bb.406:
	v_add_nc_u32_e32 v67, 0xf8, v38
	v_add3_u32 v68, 0, v38, 8
	v_mov_b32_e32 v69, v0
	s_mov_b32 s3, 0
.LBB29_407:                             ; =>This Inner Loop Header: Depth=1
	scratch_load_b64 v[70:71], v68, off
	ds_load_b64 v[72:73], v67
	s_wait_xcnt 0x0
	v_dual_add_nc_u32 v67, 8, v67 :: v_dual_add_nc_u32 v68, 8, v68
	s_wait_loadcnt_dscnt 0x0
	v_pk_mul_f32 v[74:75], v[72:73], v[70:71] op_sel:[1,1] op_sel_hi:[0,1]
	s_delay_alu instid0(VALU_DEP_1) | instskip(SKIP_2) | instid1(VALU_DEP_3)
	v_pk_fma_f32 v[76:77], v[72:73], v[70:71], v[74:75] op_sel_hi:[1,0,1]
	v_add_nc_u32_e32 v69, 1, v69
	v_pk_fma_f32 v[70:71], v[72:73], v[70:71], v[74:75] neg_lo:[0,0,1] neg_hi:[0,0,1]
	v_mov_b32_e32 v71, v77
	s_delay_alu instid0(VALU_DEP_3) | instskip(NEXT) | instid1(VALU_DEP_2)
	v_cmp_lt_u32_e32 vcc_lo, 10, v69
	v_pk_add_f32 v[64:65], v[64:65], v[70:71]
	s_or_b32 s3, vcc_lo, s3
	s_delay_alu instid0(SALU_CYCLE_1)
	s_and_not1_b32 exec_lo, exec_lo, s3
	s_cbranch_execnz .LBB29_407
; %bb.408:
	s_or_b32 exec_lo, exec_lo, s3
.LBB29_409:
	s_delay_alu instid0(SALU_CYCLE_1) | instskip(SKIP_4) | instid1(VALU_DEP_1)
	s_or_b32 exec_lo, exec_lo, s2
	v_mov_b32_e32 v67, 0
	ds_load_b64 v[68:69], v67 offset:96
	s_wait_dscnt 0x0
	v_pk_mul_f32 v[70:71], v[64:65], v[68:69] op_sel:[1,1] op_sel_hi:[0,1]
	v_pk_fma_f32 v[72:73], v[64:65], v[68:69], v[70:71] op_sel_hi:[1,0,1]
	v_pk_fma_f32 v[64:65], v[64:65], v[68:69], v[70:71] neg_lo:[0,0,1] neg_hi:[0,0,1]
	s_delay_alu instid0(VALU_DEP_2)
	v_mov_b32_e32 v65, v73
	scratch_store_b64 off, v[64:65], off offset:96
.LBB29_410:
	s_wait_xcnt 0x0
	s_or_b32 exec_lo, exec_lo, s0
	scratch_load_b64 v[64:65], off, off offset:104
	s_mov_b32 s0, exec_lo
	s_wait_loadcnt 0x0
	ds_store_b64 v1, v[64:65]
	s_wait_storecnt_dscnt 0x0
	s_barrier_signal -1
	s_barrier_wait -1
	s_wait_xcnt 0x0
	v_cmpx_gt_u32_e32 13, v0
	s_cbranch_execz .LBB29_420
; %bb.411:
	v_cmp_ne_u32_e32 vcc_lo, 1, v66
	s_cbranch_vccnz .LBB29_413
; %bb.412:
	scratch_load_b64 v[64:65], v39, off
	ds_load_b64 v[68:69], v1
	s_wait_loadcnt_dscnt 0x0
	v_pk_mul_f32 v[70:71], v[68:69], v[64:65] op_sel:[1,1] op_sel_hi:[0,1]
	s_delay_alu instid0(VALU_DEP_1) | instskip(SKIP_1) | instid1(VALU_DEP_2)
	v_pk_fma_f32 v[72:73], v[68:69], v[64:65], v[70:71] op_sel_hi:[1,0,1]
	v_pk_fma_f32 v[64:65], v[68:69], v[64:65], v[70:71] neg_lo:[0,0,1] neg_hi:[0,0,1]
	v_mov_b32_e32 v65, v73
	s_cbranch_execz .LBB29_414
	s_branch .LBB29_415
.LBB29_413:
                                        ; implicit-def: $vgpr64_vgpr65
.LBB29_414:
	ds_load_b64 v[64:65], v1
.LBB29_415:
	s_mov_b32 s2, exec_lo
	v_cmpx_ne_u32_e32 12, v0
	s_cbranch_execz .LBB29_419
; %bb.416:
	v_add_nc_u32_e32 v67, 0xf8, v38
	v_add3_u32 v68, 0, v38, 8
	v_mov_b32_e32 v69, v0
	s_mov_b32 s3, 0
.LBB29_417:                             ; =>This Inner Loop Header: Depth=1
	scratch_load_b64 v[70:71], v68, off
	ds_load_b64 v[72:73], v67
	s_wait_xcnt 0x0
	v_dual_add_nc_u32 v67, 8, v67 :: v_dual_add_nc_u32 v68, 8, v68
	s_wait_loadcnt_dscnt 0x0
	v_pk_mul_f32 v[74:75], v[72:73], v[70:71] op_sel:[1,1] op_sel_hi:[0,1]
	s_delay_alu instid0(VALU_DEP_1) | instskip(SKIP_2) | instid1(VALU_DEP_3)
	v_pk_fma_f32 v[76:77], v[72:73], v[70:71], v[74:75] op_sel_hi:[1,0,1]
	v_add_nc_u32_e32 v69, 1, v69
	v_pk_fma_f32 v[70:71], v[72:73], v[70:71], v[74:75] neg_lo:[0,0,1] neg_hi:[0,0,1]
	v_mov_b32_e32 v71, v77
	s_delay_alu instid0(VALU_DEP_3) | instskip(NEXT) | instid1(VALU_DEP_2)
	v_cmp_lt_u32_e32 vcc_lo, 11, v69
	v_pk_add_f32 v[64:65], v[64:65], v[70:71]
	s_or_b32 s3, vcc_lo, s3
	s_delay_alu instid0(SALU_CYCLE_1)
	s_and_not1_b32 exec_lo, exec_lo, s3
	s_cbranch_execnz .LBB29_417
; %bb.418:
	s_or_b32 exec_lo, exec_lo, s3
.LBB29_419:
	s_delay_alu instid0(SALU_CYCLE_1) | instskip(SKIP_4) | instid1(VALU_DEP_1)
	s_or_b32 exec_lo, exec_lo, s2
	v_mov_b32_e32 v67, 0
	ds_load_b64 v[68:69], v67 offset:104
	s_wait_dscnt 0x0
	v_pk_mul_f32 v[70:71], v[64:65], v[68:69] op_sel:[1,1] op_sel_hi:[0,1]
	v_pk_fma_f32 v[72:73], v[64:65], v[68:69], v[70:71] op_sel_hi:[1,0,1]
	v_pk_fma_f32 v[64:65], v[64:65], v[68:69], v[70:71] neg_lo:[0,0,1] neg_hi:[0,0,1]
	s_delay_alu instid0(VALU_DEP_2)
	v_mov_b32_e32 v65, v73
	scratch_store_b64 off, v[64:65], off offset:104
.LBB29_420:
	s_wait_xcnt 0x0
	s_or_b32 exec_lo, exec_lo, s0
	scratch_load_b64 v[64:65], off, off offset:112
	s_mov_b32 s0, exec_lo
	s_wait_loadcnt 0x0
	ds_store_b64 v1, v[64:65]
	s_wait_storecnt_dscnt 0x0
	s_barrier_signal -1
	s_barrier_wait -1
	s_wait_xcnt 0x0
	v_cmpx_gt_u32_e32 14, v0
	s_cbranch_execz .LBB29_430
; %bb.421:
	v_cmp_ne_u32_e32 vcc_lo, 1, v66
	s_cbranch_vccnz .LBB29_423
; %bb.422:
	scratch_load_b64 v[64:65], v39, off
	ds_load_b64 v[68:69], v1
	s_wait_loadcnt_dscnt 0x0
	v_pk_mul_f32 v[70:71], v[68:69], v[64:65] op_sel:[1,1] op_sel_hi:[0,1]
	s_delay_alu instid0(VALU_DEP_1) | instskip(SKIP_1) | instid1(VALU_DEP_2)
	v_pk_fma_f32 v[72:73], v[68:69], v[64:65], v[70:71] op_sel_hi:[1,0,1]
	v_pk_fma_f32 v[64:65], v[68:69], v[64:65], v[70:71] neg_lo:[0,0,1] neg_hi:[0,0,1]
	v_mov_b32_e32 v65, v73
	s_cbranch_execz .LBB29_424
	s_branch .LBB29_425
.LBB29_423:
                                        ; implicit-def: $vgpr64_vgpr65
.LBB29_424:
	ds_load_b64 v[64:65], v1
.LBB29_425:
	s_mov_b32 s2, exec_lo
	v_cmpx_ne_u32_e32 13, v0
	s_cbranch_execz .LBB29_429
; %bb.426:
	v_add_nc_u32_e32 v67, 0xf8, v38
	v_add3_u32 v68, 0, v38, 8
	v_mov_b32_e32 v69, v0
	s_mov_b32 s3, 0
.LBB29_427:                             ; =>This Inner Loop Header: Depth=1
	scratch_load_b64 v[70:71], v68, off
	ds_load_b64 v[72:73], v67
	s_wait_xcnt 0x0
	v_dual_add_nc_u32 v67, 8, v67 :: v_dual_add_nc_u32 v68, 8, v68
	s_wait_loadcnt_dscnt 0x0
	v_pk_mul_f32 v[74:75], v[72:73], v[70:71] op_sel:[1,1] op_sel_hi:[0,1]
	s_delay_alu instid0(VALU_DEP_1) | instskip(SKIP_2) | instid1(VALU_DEP_3)
	v_pk_fma_f32 v[76:77], v[72:73], v[70:71], v[74:75] op_sel_hi:[1,0,1]
	v_add_nc_u32_e32 v69, 1, v69
	v_pk_fma_f32 v[70:71], v[72:73], v[70:71], v[74:75] neg_lo:[0,0,1] neg_hi:[0,0,1]
	v_mov_b32_e32 v71, v77
	s_delay_alu instid0(VALU_DEP_3) | instskip(NEXT) | instid1(VALU_DEP_2)
	v_cmp_lt_u32_e32 vcc_lo, 12, v69
	v_pk_add_f32 v[64:65], v[64:65], v[70:71]
	s_or_b32 s3, vcc_lo, s3
	s_delay_alu instid0(SALU_CYCLE_1)
	s_and_not1_b32 exec_lo, exec_lo, s3
	s_cbranch_execnz .LBB29_427
; %bb.428:
	s_or_b32 exec_lo, exec_lo, s3
.LBB29_429:
	s_delay_alu instid0(SALU_CYCLE_1) | instskip(SKIP_4) | instid1(VALU_DEP_1)
	s_or_b32 exec_lo, exec_lo, s2
	v_mov_b32_e32 v67, 0
	ds_load_b64 v[68:69], v67 offset:112
	s_wait_dscnt 0x0
	v_pk_mul_f32 v[70:71], v[64:65], v[68:69] op_sel:[1,1] op_sel_hi:[0,1]
	v_pk_fma_f32 v[72:73], v[64:65], v[68:69], v[70:71] op_sel_hi:[1,0,1]
	v_pk_fma_f32 v[64:65], v[64:65], v[68:69], v[70:71] neg_lo:[0,0,1] neg_hi:[0,0,1]
	s_delay_alu instid0(VALU_DEP_2)
	v_mov_b32_e32 v65, v73
	scratch_store_b64 off, v[64:65], off offset:112
.LBB29_430:
	s_wait_xcnt 0x0
	s_or_b32 exec_lo, exec_lo, s0
	scratch_load_b64 v[64:65], off, off offset:120
	s_mov_b32 s0, exec_lo
	s_wait_loadcnt 0x0
	ds_store_b64 v1, v[64:65]
	s_wait_storecnt_dscnt 0x0
	s_barrier_signal -1
	s_barrier_wait -1
	s_wait_xcnt 0x0
	v_cmpx_gt_u32_e32 15, v0
	s_cbranch_execz .LBB29_440
; %bb.431:
	v_cmp_ne_u32_e32 vcc_lo, 1, v66
	s_cbranch_vccnz .LBB29_433
; %bb.432:
	scratch_load_b64 v[64:65], v39, off
	ds_load_b64 v[68:69], v1
	s_wait_loadcnt_dscnt 0x0
	v_pk_mul_f32 v[70:71], v[68:69], v[64:65] op_sel:[1,1] op_sel_hi:[0,1]
	s_delay_alu instid0(VALU_DEP_1) | instskip(SKIP_1) | instid1(VALU_DEP_2)
	v_pk_fma_f32 v[72:73], v[68:69], v[64:65], v[70:71] op_sel_hi:[1,0,1]
	v_pk_fma_f32 v[64:65], v[68:69], v[64:65], v[70:71] neg_lo:[0,0,1] neg_hi:[0,0,1]
	v_mov_b32_e32 v65, v73
	s_cbranch_execz .LBB29_434
	s_branch .LBB29_435
.LBB29_433:
                                        ; implicit-def: $vgpr64_vgpr65
.LBB29_434:
	ds_load_b64 v[64:65], v1
.LBB29_435:
	s_mov_b32 s2, exec_lo
	v_cmpx_ne_u32_e32 14, v0
	s_cbranch_execz .LBB29_439
; %bb.436:
	v_add_nc_u32_e32 v67, 0xf8, v38
	v_add3_u32 v68, 0, v38, 8
	v_mov_b32_e32 v69, v0
	s_mov_b32 s3, 0
.LBB29_437:                             ; =>This Inner Loop Header: Depth=1
	scratch_load_b64 v[70:71], v68, off
	ds_load_b64 v[72:73], v67
	s_wait_xcnt 0x0
	v_dual_add_nc_u32 v67, 8, v67 :: v_dual_add_nc_u32 v68, 8, v68
	s_wait_loadcnt_dscnt 0x0
	v_pk_mul_f32 v[74:75], v[72:73], v[70:71] op_sel:[1,1] op_sel_hi:[0,1]
	s_delay_alu instid0(VALU_DEP_1) | instskip(SKIP_2) | instid1(VALU_DEP_3)
	v_pk_fma_f32 v[76:77], v[72:73], v[70:71], v[74:75] op_sel_hi:[1,0,1]
	v_add_nc_u32_e32 v69, 1, v69
	v_pk_fma_f32 v[70:71], v[72:73], v[70:71], v[74:75] neg_lo:[0,0,1] neg_hi:[0,0,1]
	v_mov_b32_e32 v71, v77
	s_delay_alu instid0(VALU_DEP_3) | instskip(NEXT) | instid1(VALU_DEP_2)
	v_cmp_lt_u32_e32 vcc_lo, 13, v69
	v_pk_add_f32 v[64:65], v[64:65], v[70:71]
	s_or_b32 s3, vcc_lo, s3
	s_delay_alu instid0(SALU_CYCLE_1)
	s_and_not1_b32 exec_lo, exec_lo, s3
	s_cbranch_execnz .LBB29_437
; %bb.438:
	s_or_b32 exec_lo, exec_lo, s3
.LBB29_439:
	s_delay_alu instid0(SALU_CYCLE_1) | instskip(SKIP_4) | instid1(VALU_DEP_1)
	s_or_b32 exec_lo, exec_lo, s2
	v_mov_b32_e32 v67, 0
	ds_load_b64 v[68:69], v67 offset:120
	s_wait_dscnt 0x0
	v_pk_mul_f32 v[70:71], v[64:65], v[68:69] op_sel:[1,1] op_sel_hi:[0,1]
	v_pk_fma_f32 v[72:73], v[64:65], v[68:69], v[70:71] op_sel_hi:[1,0,1]
	v_pk_fma_f32 v[64:65], v[64:65], v[68:69], v[70:71] neg_lo:[0,0,1] neg_hi:[0,0,1]
	s_delay_alu instid0(VALU_DEP_2)
	v_mov_b32_e32 v65, v73
	scratch_store_b64 off, v[64:65], off offset:120
.LBB29_440:
	s_wait_xcnt 0x0
	s_or_b32 exec_lo, exec_lo, s0
	scratch_load_b64 v[64:65], off, off offset:128
	s_mov_b32 s0, exec_lo
	s_wait_loadcnt 0x0
	ds_store_b64 v1, v[64:65]
	s_wait_storecnt_dscnt 0x0
	s_barrier_signal -1
	s_barrier_wait -1
	s_wait_xcnt 0x0
	v_cmpx_gt_u32_e32 16, v0
	s_cbranch_execz .LBB29_450
; %bb.441:
	v_cmp_ne_u32_e32 vcc_lo, 1, v66
	s_cbranch_vccnz .LBB29_443
; %bb.442:
	scratch_load_b64 v[64:65], v39, off
	ds_load_b64 v[68:69], v1
	s_wait_loadcnt_dscnt 0x0
	v_pk_mul_f32 v[70:71], v[68:69], v[64:65] op_sel:[1,1] op_sel_hi:[0,1]
	s_delay_alu instid0(VALU_DEP_1) | instskip(SKIP_1) | instid1(VALU_DEP_2)
	v_pk_fma_f32 v[72:73], v[68:69], v[64:65], v[70:71] op_sel_hi:[1,0,1]
	v_pk_fma_f32 v[64:65], v[68:69], v[64:65], v[70:71] neg_lo:[0,0,1] neg_hi:[0,0,1]
	v_mov_b32_e32 v65, v73
	s_cbranch_execz .LBB29_444
	s_branch .LBB29_445
.LBB29_443:
                                        ; implicit-def: $vgpr64_vgpr65
.LBB29_444:
	ds_load_b64 v[64:65], v1
.LBB29_445:
	s_mov_b32 s2, exec_lo
	v_cmpx_ne_u32_e32 15, v0
	s_cbranch_execz .LBB29_449
; %bb.446:
	v_add_nc_u32_e32 v67, 0xf8, v38
	v_add3_u32 v68, 0, v38, 8
	v_mov_b32_e32 v69, v0
	s_mov_b32 s3, 0
.LBB29_447:                             ; =>This Inner Loop Header: Depth=1
	scratch_load_b64 v[70:71], v68, off
	ds_load_b64 v[72:73], v67
	s_wait_xcnt 0x0
	v_dual_add_nc_u32 v67, 8, v67 :: v_dual_add_nc_u32 v68, 8, v68
	s_wait_loadcnt_dscnt 0x0
	v_pk_mul_f32 v[74:75], v[72:73], v[70:71] op_sel:[1,1] op_sel_hi:[0,1]
	s_delay_alu instid0(VALU_DEP_1) | instskip(SKIP_2) | instid1(VALU_DEP_3)
	v_pk_fma_f32 v[76:77], v[72:73], v[70:71], v[74:75] op_sel_hi:[1,0,1]
	v_add_nc_u32_e32 v69, 1, v69
	v_pk_fma_f32 v[70:71], v[72:73], v[70:71], v[74:75] neg_lo:[0,0,1] neg_hi:[0,0,1]
	v_mov_b32_e32 v71, v77
	s_delay_alu instid0(VALU_DEP_3) | instskip(NEXT) | instid1(VALU_DEP_2)
	v_cmp_lt_u32_e32 vcc_lo, 14, v69
	v_pk_add_f32 v[64:65], v[64:65], v[70:71]
	s_or_b32 s3, vcc_lo, s3
	s_delay_alu instid0(SALU_CYCLE_1)
	s_and_not1_b32 exec_lo, exec_lo, s3
	s_cbranch_execnz .LBB29_447
; %bb.448:
	s_or_b32 exec_lo, exec_lo, s3
.LBB29_449:
	s_delay_alu instid0(SALU_CYCLE_1) | instskip(SKIP_4) | instid1(VALU_DEP_1)
	s_or_b32 exec_lo, exec_lo, s2
	v_mov_b32_e32 v67, 0
	ds_load_b64 v[68:69], v67 offset:128
	s_wait_dscnt 0x0
	v_pk_mul_f32 v[70:71], v[64:65], v[68:69] op_sel:[1,1] op_sel_hi:[0,1]
	v_pk_fma_f32 v[72:73], v[64:65], v[68:69], v[70:71] op_sel_hi:[1,0,1]
	v_pk_fma_f32 v[64:65], v[64:65], v[68:69], v[70:71] neg_lo:[0,0,1] neg_hi:[0,0,1]
	s_delay_alu instid0(VALU_DEP_2)
	v_mov_b32_e32 v65, v73
	scratch_store_b64 off, v[64:65], off offset:128
.LBB29_450:
	s_wait_xcnt 0x0
	s_or_b32 exec_lo, exec_lo, s0
	scratch_load_b64 v[64:65], off, off offset:136
	s_mov_b32 s0, exec_lo
	s_wait_loadcnt 0x0
	ds_store_b64 v1, v[64:65]
	s_wait_storecnt_dscnt 0x0
	s_barrier_signal -1
	s_barrier_wait -1
	s_wait_xcnt 0x0
	v_cmpx_gt_u32_e32 17, v0
	s_cbranch_execz .LBB29_460
; %bb.451:
	v_cmp_ne_u32_e32 vcc_lo, 1, v66
	s_cbranch_vccnz .LBB29_453
; %bb.452:
	scratch_load_b64 v[64:65], v39, off
	ds_load_b64 v[68:69], v1
	s_wait_loadcnt_dscnt 0x0
	v_pk_mul_f32 v[70:71], v[68:69], v[64:65] op_sel:[1,1] op_sel_hi:[0,1]
	s_delay_alu instid0(VALU_DEP_1) | instskip(SKIP_1) | instid1(VALU_DEP_2)
	v_pk_fma_f32 v[72:73], v[68:69], v[64:65], v[70:71] op_sel_hi:[1,0,1]
	v_pk_fma_f32 v[64:65], v[68:69], v[64:65], v[70:71] neg_lo:[0,0,1] neg_hi:[0,0,1]
	v_mov_b32_e32 v65, v73
	s_cbranch_execz .LBB29_454
	s_branch .LBB29_455
.LBB29_453:
                                        ; implicit-def: $vgpr64_vgpr65
.LBB29_454:
	ds_load_b64 v[64:65], v1
.LBB29_455:
	s_mov_b32 s2, exec_lo
	v_cmpx_ne_u32_e32 16, v0
	s_cbranch_execz .LBB29_459
; %bb.456:
	v_add_nc_u32_e32 v67, 0xf8, v38
	v_add3_u32 v68, 0, v38, 8
	v_mov_b32_e32 v69, v0
	s_mov_b32 s3, 0
.LBB29_457:                             ; =>This Inner Loop Header: Depth=1
	scratch_load_b64 v[70:71], v68, off
	ds_load_b64 v[72:73], v67
	s_wait_xcnt 0x0
	v_dual_add_nc_u32 v67, 8, v67 :: v_dual_add_nc_u32 v68, 8, v68
	s_wait_loadcnt_dscnt 0x0
	v_pk_mul_f32 v[74:75], v[72:73], v[70:71] op_sel:[1,1] op_sel_hi:[0,1]
	s_delay_alu instid0(VALU_DEP_1) | instskip(SKIP_2) | instid1(VALU_DEP_3)
	v_pk_fma_f32 v[76:77], v[72:73], v[70:71], v[74:75] op_sel_hi:[1,0,1]
	v_add_nc_u32_e32 v69, 1, v69
	v_pk_fma_f32 v[70:71], v[72:73], v[70:71], v[74:75] neg_lo:[0,0,1] neg_hi:[0,0,1]
	v_mov_b32_e32 v71, v77
	s_delay_alu instid0(VALU_DEP_3) | instskip(NEXT) | instid1(VALU_DEP_2)
	v_cmp_lt_u32_e32 vcc_lo, 15, v69
	v_pk_add_f32 v[64:65], v[64:65], v[70:71]
	s_or_b32 s3, vcc_lo, s3
	s_delay_alu instid0(SALU_CYCLE_1)
	s_and_not1_b32 exec_lo, exec_lo, s3
	s_cbranch_execnz .LBB29_457
; %bb.458:
	s_or_b32 exec_lo, exec_lo, s3
.LBB29_459:
	s_delay_alu instid0(SALU_CYCLE_1) | instskip(SKIP_4) | instid1(VALU_DEP_1)
	s_or_b32 exec_lo, exec_lo, s2
	v_mov_b32_e32 v67, 0
	ds_load_b64 v[68:69], v67 offset:136
	s_wait_dscnt 0x0
	v_pk_mul_f32 v[70:71], v[64:65], v[68:69] op_sel:[1,1] op_sel_hi:[0,1]
	v_pk_fma_f32 v[72:73], v[64:65], v[68:69], v[70:71] op_sel_hi:[1,0,1]
	v_pk_fma_f32 v[64:65], v[64:65], v[68:69], v[70:71] neg_lo:[0,0,1] neg_hi:[0,0,1]
	s_delay_alu instid0(VALU_DEP_2)
	v_mov_b32_e32 v65, v73
	scratch_store_b64 off, v[64:65], off offset:136
.LBB29_460:
	s_wait_xcnt 0x0
	s_or_b32 exec_lo, exec_lo, s0
	scratch_load_b64 v[64:65], off, off offset:144
	s_mov_b32 s0, exec_lo
	s_wait_loadcnt 0x0
	ds_store_b64 v1, v[64:65]
	s_wait_storecnt_dscnt 0x0
	s_barrier_signal -1
	s_barrier_wait -1
	s_wait_xcnt 0x0
	v_cmpx_gt_u32_e32 18, v0
	s_cbranch_execz .LBB29_470
; %bb.461:
	v_cmp_ne_u32_e32 vcc_lo, 1, v66
	s_cbranch_vccnz .LBB29_463
; %bb.462:
	scratch_load_b64 v[64:65], v39, off
	ds_load_b64 v[68:69], v1
	s_wait_loadcnt_dscnt 0x0
	v_pk_mul_f32 v[70:71], v[68:69], v[64:65] op_sel:[1,1] op_sel_hi:[0,1]
	s_delay_alu instid0(VALU_DEP_1) | instskip(SKIP_1) | instid1(VALU_DEP_2)
	v_pk_fma_f32 v[72:73], v[68:69], v[64:65], v[70:71] op_sel_hi:[1,0,1]
	v_pk_fma_f32 v[64:65], v[68:69], v[64:65], v[70:71] neg_lo:[0,0,1] neg_hi:[0,0,1]
	v_mov_b32_e32 v65, v73
	s_cbranch_execz .LBB29_464
	s_branch .LBB29_465
.LBB29_463:
                                        ; implicit-def: $vgpr64_vgpr65
.LBB29_464:
	ds_load_b64 v[64:65], v1
.LBB29_465:
	s_mov_b32 s2, exec_lo
	v_cmpx_ne_u32_e32 17, v0
	s_cbranch_execz .LBB29_469
; %bb.466:
	v_add_nc_u32_e32 v67, 0xf8, v38
	v_add3_u32 v68, 0, v38, 8
	v_mov_b32_e32 v69, v0
	s_mov_b32 s3, 0
.LBB29_467:                             ; =>This Inner Loop Header: Depth=1
	scratch_load_b64 v[70:71], v68, off
	ds_load_b64 v[72:73], v67
	s_wait_xcnt 0x0
	v_dual_add_nc_u32 v67, 8, v67 :: v_dual_add_nc_u32 v68, 8, v68
	s_wait_loadcnt_dscnt 0x0
	v_pk_mul_f32 v[74:75], v[72:73], v[70:71] op_sel:[1,1] op_sel_hi:[0,1]
	s_delay_alu instid0(VALU_DEP_1) | instskip(SKIP_2) | instid1(VALU_DEP_3)
	v_pk_fma_f32 v[76:77], v[72:73], v[70:71], v[74:75] op_sel_hi:[1,0,1]
	v_add_nc_u32_e32 v69, 1, v69
	v_pk_fma_f32 v[70:71], v[72:73], v[70:71], v[74:75] neg_lo:[0,0,1] neg_hi:[0,0,1]
	v_mov_b32_e32 v71, v77
	s_delay_alu instid0(VALU_DEP_3) | instskip(NEXT) | instid1(VALU_DEP_2)
	v_cmp_lt_u32_e32 vcc_lo, 16, v69
	v_pk_add_f32 v[64:65], v[64:65], v[70:71]
	s_or_b32 s3, vcc_lo, s3
	s_delay_alu instid0(SALU_CYCLE_1)
	s_and_not1_b32 exec_lo, exec_lo, s3
	s_cbranch_execnz .LBB29_467
; %bb.468:
	s_or_b32 exec_lo, exec_lo, s3
.LBB29_469:
	s_delay_alu instid0(SALU_CYCLE_1) | instskip(SKIP_4) | instid1(VALU_DEP_1)
	s_or_b32 exec_lo, exec_lo, s2
	v_mov_b32_e32 v67, 0
	ds_load_b64 v[68:69], v67 offset:144
	s_wait_dscnt 0x0
	v_pk_mul_f32 v[70:71], v[64:65], v[68:69] op_sel:[1,1] op_sel_hi:[0,1]
	v_pk_fma_f32 v[72:73], v[64:65], v[68:69], v[70:71] op_sel_hi:[1,0,1]
	v_pk_fma_f32 v[64:65], v[64:65], v[68:69], v[70:71] neg_lo:[0,0,1] neg_hi:[0,0,1]
	s_delay_alu instid0(VALU_DEP_2)
	v_mov_b32_e32 v65, v73
	scratch_store_b64 off, v[64:65], off offset:144
.LBB29_470:
	s_wait_xcnt 0x0
	s_or_b32 exec_lo, exec_lo, s0
	scratch_load_b64 v[64:65], off, off offset:152
	s_mov_b32 s0, exec_lo
	s_wait_loadcnt 0x0
	ds_store_b64 v1, v[64:65]
	s_wait_storecnt_dscnt 0x0
	s_barrier_signal -1
	s_barrier_wait -1
	s_wait_xcnt 0x0
	v_cmpx_gt_u32_e32 19, v0
	s_cbranch_execz .LBB29_480
; %bb.471:
	v_cmp_ne_u32_e32 vcc_lo, 1, v66
	s_cbranch_vccnz .LBB29_473
; %bb.472:
	scratch_load_b64 v[64:65], v39, off
	ds_load_b64 v[68:69], v1
	s_wait_loadcnt_dscnt 0x0
	v_pk_mul_f32 v[70:71], v[68:69], v[64:65] op_sel:[1,1] op_sel_hi:[0,1]
	s_delay_alu instid0(VALU_DEP_1) | instskip(SKIP_1) | instid1(VALU_DEP_2)
	v_pk_fma_f32 v[72:73], v[68:69], v[64:65], v[70:71] op_sel_hi:[1,0,1]
	v_pk_fma_f32 v[64:65], v[68:69], v[64:65], v[70:71] neg_lo:[0,0,1] neg_hi:[0,0,1]
	v_mov_b32_e32 v65, v73
	s_cbranch_execz .LBB29_474
	s_branch .LBB29_475
.LBB29_473:
                                        ; implicit-def: $vgpr64_vgpr65
.LBB29_474:
	ds_load_b64 v[64:65], v1
.LBB29_475:
	s_mov_b32 s2, exec_lo
	v_cmpx_ne_u32_e32 18, v0
	s_cbranch_execz .LBB29_479
; %bb.476:
	v_add_nc_u32_e32 v67, 0xf8, v38
	v_add3_u32 v68, 0, v38, 8
	v_mov_b32_e32 v69, v0
	s_mov_b32 s3, 0
.LBB29_477:                             ; =>This Inner Loop Header: Depth=1
	scratch_load_b64 v[70:71], v68, off
	ds_load_b64 v[72:73], v67
	s_wait_xcnt 0x0
	v_dual_add_nc_u32 v67, 8, v67 :: v_dual_add_nc_u32 v68, 8, v68
	s_wait_loadcnt_dscnt 0x0
	v_pk_mul_f32 v[74:75], v[72:73], v[70:71] op_sel:[1,1] op_sel_hi:[0,1]
	s_delay_alu instid0(VALU_DEP_1) | instskip(SKIP_2) | instid1(VALU_DEP_3)
	v_pk_fma_f32 v[76:77], v[72:73], v[70:71], v[74:75] op_sel_hi:[1,0,1]
	v_add_nc_u32_e32 v69, 1, v69
	v_pk_fma_f32 v[70:71], v[72:73], v[70:71], v[74:75] neg_lo:[0,0,1] neg_hi:[0,0,1]
	v_mov_b32_e32 v71, v77
	s_delay_alu instid0(VALU_DEP_3) | instskip(NEXT) | instid1(VALU_DEP_2)
	v_cmp_lt_u32_e32 vcc_lo, 17, v69
	v_pk_add_f32 v[64:65], v[64:65], v[70:71]
	s_or_b32 s3, vcc_lo, s3
	s_delay_alu instid0(SALU_CYCLE_1)
	s_and_not1_b32 exec_lo, exec_lo, s3
	s_cbranch_execnz .LBB29_477
; %bb.478:
	s_or_b32 exec_lo, exec_lo, s3
.LBB29_479:
	s_delay_alu instid0(SALU_CYCLE_1) | instskip(SKIP_4) | instid1(VALU_DEP_1)
	s_or_b32 exec_lo, exec_lo, s2
	v_mov_b32_e32 v67, 0
	ds_load_b64 v[68:69], v67 offset:152
	s_wait_dscnt 0x0
	v_pk_mul_f32 v[70:71], v[64:65], v[68:69] op_sel:[1,1] op_sel_hi:[0,1]
	v_pk_fma_f32 v[72:73], v[64:65], v[68:69], v[70:71] op_sel_hi:[1,0,1]
	v_pk_fma_f32 v[64:65], v[64:65], v[68:69], v[70:71] neg_lo:[0,0,1] neg_hi:[0,0,1]
	s_delay_alu instid0(VALU_DEP_2)
	v_mov_b32_e32 v65, v73
	scratch_store_b64 off, v[64:65], off offset:152
.LBB29_480:
	s_wait_xcnt 0x0
	s_or_b32 exec_lo, exec_lo, s0
	scratch_load_b64 v[64:65], off, off offset:160
	s_mov_b32 s0, exec_lo
	s_wait_loadcnt 0x0
	ds_store_b64 v1, v[64:65]
	s_wait_storecnt_dscnt 0x0
	s_barrier_signal -1
	s_barrier_wait -1
	s_wait_xcnt 0x0
	v_cmpx_gt_u32_e32 20, v0
	s_cbranch_execz .LBB29_490
; %bb.481:
	v_cmp_ne_u32_e32 vcc_lo, 1, v66
	s_cbranch_vccnz .LBB29_483
; %bb.482:
	scratch_load_b64 v[64:65], v39, off
	ds_load_b64 v[68:69], v1
	s_wait_loadcnt_dscnt 0x0
	v_pk_mul_f32 v[70:71], v[68:69], v[64:65] op_sel:[1,1] op_sel_hi:[0,1]
	s_delay_alu instid0(VALU_DEP_1) | instskip(SKIP_1) | instid1(VALU_DEP_2)
	v_pk_fma_f32 v[72:73], v[68:69], v[64:65], v[70:71] op_sel_hi:[1,0,1]
	v_pk_fma_f32 v[64:65], v[68:69], v[64:65], v[70:71] neg_lo:[0,0,1] neg_hi:[0,0,1]
	v_mov_b32_e32 v65, v73
	s_cbranch_execz .LBB29_484
	s_branch .LBB29_485
.LBB29_483:
                                        ; implicit-def: $vgpr64_vgpr65
.LBB29_484:
	ds_load_b64 v[64:65], v1
.LBB29_485:
	s_mov_b32 s2, exec_lo
	v_cmpx_ne_u32_e32 19, v0
	s_cbranch_execz .LBB29_489
; %bb.486:
	v_add_nc_u32_e32 v67, 0xf8, v38
	v_add3_u32 v68, 0, v38, 8
	v_mov_b32_e32 v69, v0
	s_mov_b32 s3, 0
.LBB29_487:                             ; =>This Inner Loop Header: Depth=1
	scratch_load_b64 v[70:71], v68, off
	ds_load_b64 v[72:73], v67
	s_wait_xcnt 0x0
	v_dual_add_nc_u32 v67, 8, v67 :: v_dual_add_nc_u32 v68, 8, v68
	s_wait_loadcnt_dscnt 0x0
	v_pk_mul_f32 v[74:75], v[72:73], v[70:71] op_sel:[1,1] op_sel_hi:[0,1]
	s_delay_alu instid0(VALU_DEP_1) | instskip(SKIP_2) | instid1(VALU_DEP_3)
	v_pk_fma_f32 v[76:77], v[72:73], v[70:71], v[74:75] op_sel_hi:[1,0,1]
	v_add_nc_u32_e32 v69, 1, v69
	v_pk_fma_f32 v[70:71], v[72:73], v[70:71], v[74:75] neg_lo:[0,0,1] neg_hi:[0,0,1]
	v_mov_b32_e32 v71, v77
	s_delay_alu instid0(VALU_DEP_3) | instskip(NEXT) | instid1(VALU_DEP_2)
	v_cmp_lt_u32_e32 vcc_lo, 18, v69
	v_pk_add_f32 v[64:65], v[64:65], v[70:71]
	s_or_b32 s3, vcc_lo, s3
	s_delay_alu instid0(SALU_CYCLE_1)
	s_and_not1_b32 exec_lo, exec_lo, s3
	s_cbranch_execnz .LBB29_487
; %bb.488:
	s_or_b32 exec_lo, exec_lo, s3
.LBB29_489:
	s_delay_alu instid0(SALU_CYCLE_1) | instskip(SKIP_4) | instid1(VALU_DEP_1)
	s_or_b32 exec_lo, exec_lo, s2
	v_mov_b32_e32 v67, 0
	ds_load_b64 v[68:69], v67 offset:160
	s_wait_dscnt 0x0
	v_pk_mul_f32 v[70:71], v[64:65], v[68:69] op_sel:[1,1] op_sel_hi:[0,1]
	v_pk_fma_f32 v[72:73], v[64:65], v[68:69], v[70:71] op_sel_hi:[1,0,1]
	v_pk_fma_f32 v[64:65], v[64:65], v[68:69], v[70:71] neg_lo:[0,0,1] neg_hi:[0,0,1]
	s_delay_alu instid0(VALU_DEP_2)
	v_mov_b32_e32 v65, v73
	scratch_store_b64 off, v[64:65], off offset:160
.LBB29_490:
	s_wait_xcnt 0x0
	s_or_b32 exec_lo, exec_lo, s0
	scratch_load_b64 v[64:65], off, off offset:168
	s_mov_b32 s0, exec_lo
	s_wait_loadcnt 0x0
	ds_store_b64 v1, v[64:65]
	s_wait_storecnt_dscnt 0x0
	s_barrier_signal -1
	s_barrier_wait -1
	s_wait_xcnt 0x0
	v_cmpx_gt_u32_e32 21, v0
	s_cbranch_execz .LBB29_500
; %bb.491:
	v_cmp_ne_u32_e32 vcc_lo, 1, v66
	s_cbranch_vccnz .LBB29_493
; %bb.492:
	scratch_load_b64 v[64:65], v39, off
	ds_load_b64 v[68:69], v1
	s_wait_loadcnt_dscnt 0x0
	v_pk_mul_f32 v[70:71], v[68:69], v[64:65] op_sel:[1,1] op_sel_hi:[0,1]
	s_delay_alu instid0(VALU_DEP_1) | instskip(SKIP_1) | instid1(VALU_DEP_2)
	v_pk_fma_f32 v[72:73], v[68:69], v[64:65], v[70:71] op_sel_hi:[1,0,1]
	v_pk_fma_f32 v[64:65], v[68:69], v[64:65], v[70:71] neg_lo:[0,0,1] neg_hi:[0,0,1]
	v_mov_b32_e32 v65, v73
	s_cbranch_execz .LBB29_494
	s_branch .LBB29_495
.LBB29_493:
                                        ; implicit-def: $vgpr64_vgpr65
.LBB29_494:
	ds_load_b64 v[64:65], v1
.LBB29_495:
	s_mov_b32 s2, exec_lo
	v_cmpx_ne_u32_e32 20, v0
	s_cbranch_execz .LBB29_499
; %bb.496:
	v_add_nc_u32_e32 v67, 0xf8, v38
	v_add3_u32 v68, 0, v38, 8
	v_mov_b32_e32 v69, v0
	s_mov_b32 s3, 0
.LBB29_497:                             ; =>This Inner Loop Header: Depth=1
	scratch_load_b64 v[70:71], v68, off
	ds_load_b64 v[72:73], v67
	s_wait_xcnt 0x0
	v_dual_add_nc_u32 v67, 8, v67 :: v_dual_add_nc_u32 v68, 8, v68
	s_wait_loadcnt_dscnt 0x0
	v_pk_mul_f32 v[74:75], v[72:73], v[70:71] op_sel:[1,1] op_sel_hi:[0,1]
	s_delay_alu instid0(VALU_DEP_1) | instskip(SKIP_2) | instid1(VALU_DEP_3)
	v_pk_fma_f32 v[76:77], v[72:73], v[70:71], v[74:75] op_sel_hi:[1,0,1]
	v_add_nc_u32_e32 v69, 1, v69
	v_pk_fma_f32 v[70:71], v[72:73], v[70:71], v[74:75] neg_lo:[0,0,1] neg_hi:[0,0,1]
	v_mov_b32_e32 v71, v77
	s_delay_alu instid0(VALU_DEP_3) | instskip(NEXT) | instid1(VALU_DEP_2)
	v_cmp_lt_u32_e32 vcc_lo, 19, v69
	v_pk_add_f32 v[64:65], v[64:65], v[70:71]
	s_or_b32 s3, vcc_lo, s3
	s_delay_alu instid0(SALU_CYCLE_1)
	s_and_not1_b32 exec_lo, exec_lo, s3
	s_cbranch_execnz .LBB29_497
; %bb.498:
	s_or_b32 exec_lo, exec_lo, s3
.LBB29_499:
	s_delay_alu instid0(SALU_CYCLE_1) | instskip(SKIP_4) | instid1(VALU_DEP_1)
	s_or_b32 exec_lo, exec_lo, s2
	v_mov_b32_e32 v67, 0
	ds_load_b64 v[68:69], v67 offset:168
	s_wait_dscnt 0x0
	v_pk_mul_f32 v[70:71], v[64:65], v[68:69] op_sel:[1,1] op_sel_hi:[0,1]
	v_pk_fma_f32 v[72:73], v[64:65], v[68:69], v[70:71] op_sel_hi:[1,0,1]
	v_pk_fma_f32 v[64:65], v[64:65], v[68:69], v[70:71] neg_lo:[0,0,1] neg_hi:[0,0,1]
	s_delay_alu instid0(VALU_DEP_2)
	v_mov_b32_e32 v65, v73
	scratch_store_b64 off, v[64:65], off offset:168
.LBB29_500:
	s_wait_xcnt 0x0
	s_or_b32 exec_lo, exec_lo, s0
	scratch_load_b64 v[64:65], off, off offset:176
	s_mov_b32 s0, exec_lo
	s_wait_loadcnt 0x0
	ds_store_b64 v1, v[64:65]
	s_wait_storecnt_dscnt 0x0
	s_barrier_signal -1
	s_barrier_wait -1
	s_wait_xcnt 0x0
	v_cmpx_gt_u32_e32 22, v0
	s_cbranch_execz .LBB29_510
; %bb.501:
	v_cmp_ne_u32_e32 vcc_lo, 1, v66
	s_cbranch_vccnz .LBB29_503
; %bb.502:
	scratch_load_b64 v[64:65], v39, off
	ds_load_b64 v[68:69], v1
	s_wait_loadcnt_dscnt 0x0
	v_pk_mul_f32 v[70:71], v[68:69], v[64:65] op_sel:[1,1] op_sel_hi:[0,1]
	s_delay_alu instid0(VALU_DEP_1) | instskip(SKIP_1) | instid1(VALU_DEP_2)
	v_pk_fma_f32 v[72:73], v[68:69], v[64:65], v[70:71] op_sel_hi:[1,0,1]
	v_pk_fma_f32 v[64:65], v[68:69], v[64:65], v[70:71] neg_lo:[0,0,1] neg_hi:[0,0,1]
	v_mov_b32_e32 v65, v73
	s_cbranch_execz .LBB29_504
	s_branch .LBB29_505
.LBB29_503:
                                        ; implicit-def: $vgpr64_vgpr65
.LBB29_504:
	ds_load_b64 v[64:65], v1
.LBB29_505:
	s_mov_b32 s2, exec_lo
	v_cmpx_ne_u32_e32 21, v0
	s_cbranch_execz .LBB29_509
; %bb.506:
	v_add_nc_u32_e32 v67, 0xf8, v38
	v_add3_u32 v68, 0, v38, 8
	v_mov_b32_e32 v69, v0
	s_mov_b32 s3, 0
.LBB29_507:                             ; =>This Inner Loop Header: Depth=1
	scratch_load_b64 v[70:71], v68, off
	ds_load_b64 v[72:73], v67
	s_wait_xcnt 0x0
	v_dual_add_nc_u32 v67, 8, v67 :: v_dual_add_nc_u32 v68, 8, v68
	s_wait_loadcnt_dscnt 0x0
	v_pk_mul_f32 v[74:75], v[72:73], v[70:71] op_sel:[1,1] op_sel_hi:[0,1]
	s_delay_alu instid0(VALU_DEP_1) | instskip(SKIP_2) | instid1(VALU_DEP_3)
	v_pk_fma_f32 v[76:77], v[72:73], v[70:71], v[74:75] op_sel_hi:[1,0,1]
	v_add_nc_u32_e32 v69, 1, v69
	v_pk_fma_f32 v[70:71], v[72:73], v[70:71], v[74:75] neg_lo:[0,0,1] neg_hi:[0,0,1]
	v_mov_b32_e32 v71, v77
	s_delay_alu instid0(VALU_DEP_3) | instskip(NEXT) | instid1(VALU_DEP_2)
	v_cmp_lt_u32_e32 vcc_lo, 20, v69
	v_pk_add_f32 v[64:65], v[64:65], v[70:71]
	s_or_b32 s3, vcc_lo, s3
	s_delay_alu instid0(SALU_CYCLE_1)
	s_and_not1_b32 exec_lo, exec_lo, s3
	s_cbranch_execnz .LBB29_507
; %bb.508:
	s_or_b32 exec_lo, exec_lo, s3
.LBB29_509:
	s_delay_alu instid0(SALU_CYCLE_1) | instskip(SKIP_4) | instid1(VALU_DEP_1)
	s_or_b32 exec_lo, exec_lo, s2
	v_mov_b32_e32 v67, 0
	ds_load_b64 v[68:69], v67 offset:176
	s_wait_dscnt 0x0
	v_pk_mul_f32 v[70:71], v[64:65], v[68:69] op_sel:[1,1] op_sel_hi:[0,1]
	v_pk_fma_f32 v[72:73], v[64:65], v[68:69], v[70:71] op_sel_hi:[1,0,1]
	v_pk_fma_f32 v[64:65], v[64:65], v[68:69], v[70:71] neg_lo:[0,0,1] neg_hi:[0,0,1]
	s_delay_alu instid0(VALU_DEP_2)
	v_mov_b32_e32 v65, v73
	scratch_store_b64 off, v[64:65], off offset:176
.LBB29_510:
	s_wait_xcnt 0x0
	s_or_b32 exec_lo, exec_lo, s0
	scratch_load_b64 v[64:65], off, off offset:184
	s_mov_b32 s0, exec_lo
	s_wait_loadcnt 0x0
	ds_store_b64 v1, v[64:65]
	s_wait_storecnt_dscnt 0x0
	s_barrier_signal -1
	s_barrier_wait -1
	s_wait_xcnt 0x0
	v_cmpx_gt_u32_e32 23, v0
	s_cbranch_execz .LBB29_520
; %bb.511:
	v_cmp_ne_u32_e32 vcc_lo, 1, v66
	s_cbranch_vccnz .LBB29_513
; %bb.512:
	scratch_load_b64 v[64:65], v39, off
	ds_load_b64 v[68:69], v1
	s_wait_loadcnt_dscnt 0x0
	v_pk_mul_f32 v[70:71], v[68:69], v[64:65] op_sel:[1,1] op_sel_hi:[0,1]
	s_delay_alu instid0(VALU_DEP_1) | instskip(SKIP_1) | instid1(VALU_DEP_2)
	v_pk_fma_f32 v[72:73], v[68:69], v[64:65], v[70:71] op_sel_hi:[1,0,1]
	v_pk_fma_f32 v[64:65], v[68:69], v[64:65], v[70:71] neg_lo:[0,0,1] neg_hi:[0,0,1]
	v_mov_b32_e32 v65, v73
	s_cbranch_execz .LBB29_514
	s_branch .LBB29_515
.LBB29_513:
                                        ; implicit-def: $vgpr64_vgpr65
.LBB29_514:
	ds_load_b64 v[64:65], v1
.LBB29_515:
	s_mov_b32 s2, exec_lo
	v_cmpx_ne_u32_e32 22, v0
	s_cbranch_execz .LBB29_519
; %bb.516:
	v_add_nc_u32_e32 v67, 0xf8, v38
	v_add3_u32 v68, 0, v38, 8
	v_mov_b32_e32 v69, v0
	s_mov_b32 s3, 0
.LBB29_517:                             ; =>This Inner Loop Header: Depth=1
	scratch_load_b64 v[70:71], v68, off
	ds_load_b64 v[72:73], v67
	s_wait_xcnt 0x0
	v_dual_add_nc_u32 v67, 8, v67 :: v_dual_add_nc_u32 v68, 8, v68
	s_wait_loadcnt_dscnt 0x0
	v_pk_mul_f32 v[74:75], v[72:73], v[70:71] op_sel:[1,1] op_sel_hi:[0,1]
	s_delay_alu instid0(VALU_DEP_1) | instskip(SKIP_2) | instid1(VALU_DEP_3)
	v_pk_fma_f32 v[76:77], v[72:73], v[70:71], v[74:75] op_sel_hi:[1,0,1]
	v_add_nc_u32_e32 v69, 1, v69
	v_pk_fma_f32 v[70:71], v[72:73], v[70:71], v[74:75] neg_lo:[0,0,1] neg_hi:[0,0,1]
	v_mov_b32_e32 v71, v77
	s_delay_alu instid0(VALU_DEP_3) | instskip(NEXT) | instid1(VALU_DEP_2)
	v_cmp_lt_u32_e32 vcc_lo, 21, v69
	v_pk_add_f32 v[64:65], v[64:65], v[70:71]
	s_or_b32 s3, vcc_lo, s3
	s_delay_alu instid0(SALU_CYCLE_1)
	s_and_not1_b32 exec_lo, exec_lo, s3
	s_cbranch_execnz .LBB29_517
; %bb.518:
	s_or_b32 exec_lo, exec_lo, s3
.LBB29_519:
	s_delay_alu instid0(SALU_CYCLE_1) | instskip(SKIP_4) | instid1(VALU_DEP_1)
	s_or_b32 exec_lo, exec_lo, s2
	v_mov_b32_e32 v67, 0
	ds_load_b64 v[68:69], v67 offset:184
	s_wait_dscnt 0x0
	v_pk_mul_f32 v[70:71], v[64:65], v[68:69] op_sel:[1,1] op_sel_hi:[0,1]
	v_pk_fma_f32 v[72:73], v[64:65], v[68:69], v[70:71] op_sel_hi:[1,0,1]
	v_pk_fma_f32 v[64:65], v[64:65], v[68:69], v[70:71] neg_lo:[0,0,1] neg_hi:[0,0,1]
	s_delay_alu instid0(VALU_DEP_2)
	v_mov_b32_e32 v65, v73
	scratch_store_b64 off, v[64:65], off offset:184
.LBB29_520:
	s_wait_xcnt 0x0
	s_or_b32 exec_lo, exec_lo, s0
	scratch_load_b64 v[64:65], off, off offset:192
	s_mov_b32 s0, exec_lo
	s_wait_loadcnt 0x0
	ds_store_b64 v1, v[64:65]
	s_wait_storecnt_dscnt 0x0
	s_barrier_signal -1
	s_barrier_wait -1
	s_wait_xcnt 0x0
	v_cmpx_gt_u32_e32 24, v0
	s_cbranch_execz .LBB29_530
; %bb.521:
	v_cmp_ne_u32_e32 vcc_lo, 1, v66
	s_cbranch_vccnz .LBB29_523
; %bb.522:
	scratch_load_b64 v[64:65], v39, off
	ds_load_b64 v[68:69], v1
	s_wait_loadcnt_dscnt 0x0
	v_pk_mul_f32 v[70:71], v[68:69], v[64:65] op_sel:[1,1] op_sel_hi:[0,1]
	s_delay_alu instid0(VALU_DEP_1) | instskip(SKIP_1) | instid1(VALU_DEP_2)
	v_pk_fma_f32 v[72:73], v[68:69], v[64:65], v[70:71] op_sel_hi:[1,0,1]
	v_pk_fma_f32 v[64:65], v[68:69], v[64:65], v[70:71] neg_lo:[0,0,1] neg_hi:[0,0,1]
	v_mov_b32_e32 v65, v73
	s_cbranch_execz .LBB29_524
	s_branch .LBB29_525
.LBB29_523:
                                        ; implicit-def: $vgpr64_vgpr65
.LBB29_524:
	ds_load_b64 v[64:65], v1
.LBB29_525:
	s_mov_b32 s2, exec_lo
	v_cmpx_ne_u32_e32 23, v0
	s_cbranch_execz .LBB29_529
; %bb.526:
	v_add_nc_u32_e32 v67, 0xf8, v38
	v_add3_u32 v68, 0, v38, 8
	v_mov_b32_e32 v69, v0
	s_mov_b32 s3, 0
.LBB29_527:                             ; =>This Inner Loop Header: Depth=1
	scratch_load_b64 v[70:71], v68, off
	ds_load_b64 v[72:73], v67
	s_wait_xcnt 0x0
	v_dual_add_nc_u32 v67, 8, v67 :: v_dual_add_nc_u32 v68, 8, v68
	s_wait_loadcnt_dscnt 0x0
	v_pk_mul_f32 v[74:75], v[72:73], v[70:71] op_sel:[1,1] op_sel_hi:[0,1]
	s_delay_alu instid0(VALU_DEP_1) | instskip(SKIP_2) | instid1(VALU_DEP_3)
	v_pk_fma_f32 v[76:77], v[72:73], v[70:71], v[74:75] op_sel_hi:[1,0,1]
	v_add_nc_u32_e32 v69, 1, v69
	v_pk_fma_f32 v[70:71], v[72:73], v[70:71], v[74:75] neg_lo:[0,0,1] neg_hi:[0,0,1]
	v_mov_b32_e32 v71, v77
	s_delay_alu instid0(VALU_DEP_3) | instskip(NEXT) | instid1(VALU_DEP_2)
	v_cmp_lt_u32_e32 vcc_lo, 22, v69
	v_pk_add_f32 v[64:65], v[64:65], v[70:71]
	s_or_b32 s3, vcc_lo, s3
	s_delay_alu instid0(SALU_CYCLE_1)
	s_and_not1_b32 exec_lo, exec_lo, s3
	s_cbranch_execnz .LBB29_527
; %bb.528:
	s_or_b32 exec_lo, exec_lo, s3
.LBB29_529:
	s_delay_alu instid0(SALU_CYCLE_1) | instskip(SKIP_4) | instid1(VALU_DEP_1)
	s_or_b32 exec_lo, exec_lo, s2
	v_mov_b32_e32 v67, 0
	ds_load_b64 v[68:69], v67 offset:192
	s_wait_dscnt 0x0
	v_pk_mul_f32 v[70:71], v[64:65], v[68:69] op_sel:[1,1] op_sel_hi:[0,1]
	v_pk_fma_f32 v[72:73], v[64:65], v[68:69], v[70:71] op_sel_hi:[1,0,1]
	v_pk_fma_f32 v[64:65], v[64:65], v[68:69], v[70:71] neg_lo:[0,0,1] neg_hi:[0,0,1]
	s_delay_alu instid0(VALU_DEP_2)
	v_mov_b32_e32 v65, v73
	scratch_store_b64 off, v[64:65], off offset:192
.LBB29_530:
	s_wait_xcnt 0x0
	s_or_b32 exec_lo, exec_lo, s0
	scratch_load_b64 v[64:65], off, off offset:200
	s_mov_b32 s0, exec_lo
	s_wait_loadcnt 0x0
	ds_store_b64 v1, v[64:65]
	s_wait_storecnt_dscnt 0x0
	s_barrier_signal -1
	s_barrier_wait -1
	s_wait_xcnt 0x0
	v_cmpx_gt_u32_e32 25, v0
	s_cbranch_execz .LBB29_540
; %bb.531:
	v_cmp_ne_u32_e32 vcc_lo, 1, v66
	s_cbranch_vccnz .LBB29_533
; %bb.532:
	scratch_load_b64 v[64:65], v39, off
	ds_load_b64 v[68:69], v1
	s_wait_loadcnt_dscnt 0x0
	v_pk_mul_f32 v[70:71], v[68:69], v[64:65] op_sel:[1,1] op_sel_hi:[0,1]
	s_delay_alu instid0(VALU_DEP_1) | instskip(SKIP_1) | instid1(VALU_DEP_2)
	v_pk_fma_f32 v[72:73], v[68:69], v[64:65], v[70:71] op_sel_hi:[1,0,1]
	v_pk_fma_f32 v[64:65], v[68:69], v[64:65], v[70:71] neg_lo:[0,0,1] neg_hi:[0,0,1]
	v_mov_b32_e32 v65, v73
	s_cbranch_execz .LBB29_534
	s_branch .LBB29_535
.LBB29_533:
                                        ; implicit-def: $vgpr64_vgpr65
.LBB29_534:
	ds_load_b64 v[64:65], v1
.LBB29_535:
	s_mov_b32 s2, exec_lo
	v_cmpx_ne_u32_e32 24, v0
	s_cbranch_execz .LBB29_539
; %bb.536:
	v_add_nc_u32_e32 v67, 0xf8, v38
	v_add3_u32 v68, 0, v38, 8
	v_mov_b32_e32 v69, v0
	s_mov_b32 s3, 0
.LBB29_537:                             ; =>This Inner Loop Header: Depth=1
	scratch_load_b64 v[70:71], v68, off
	ds_load_b64 v[72:73], v67
	s_wait_xcnt 0x0
	v_dual_add_nc_u32 v67, 8, v67 :: v_dual_add_nc_u32 v68, 8, v68
	s_wait_loadcnt_dscnt 0x0
	v_pk_mul_f32 v[74:75], v[72:73], v[70:71] op_sel:[1,1] op_sel_hi:[0,1]
	s_delay_alu instid0(VALU_DEP_1) | instskip(SKIP_2) | instid1(VALU_DEP_3)
	v_pk_fma_f32 v[76:77], v[72:73], v[70:71], v[74:75] op_sel_hi:[1,0,1]
	v_add_nc_u32_e32 v69, 1, v69
	v_pk_fma_f32 v[70:71], v[72:73], v[70:71], v[74:75] neg_lo:[0,0,1] neg_hi:[0,0,1]
	v_mov_b32_e32 v71, v77
	s_delay_alu instid0(VALU_DEP_3) | instskip(NEXT) | instid1(VALU_DEP_2)
	v_cmp_lt_u32_e32 vcc_lo, 23, v69
	v_pk_add_f32 v[64:65], v[64:65], v[70:71]
	s_or_b32 s3, vcc_lo, s3
	s_delay_alu instid0(SALU_CYCLE_1)
	s_and_not1_b32 exec_lo, exec_lo, s3
	s_cbranch_execnz .LBB29_537
; %bb.538:
	s_or_b32 exec_lo, exec_lo, s3
.LBB29_539:
	s_delay_alu instid0(SALU_CYCLE_1) | instskip(SKIP_4) | instid1(VALU_DEP_1)
	s_or_b32 exec_lo, exec_lo, s2
	v_mov_b32_e32 v67, 0
	ds_load_b64 v[68:69], v67 offset:200
	s_wait_dscnt 0x0
	v_pk_mul_f32 v[70:71], v[64:65], v[68:69] op_sel:[1,1] op_sel_hi:[0,1]
	v_pk_fma_f32 v[72:73], v[64:65], v[68:69], v[70:71] op_sel_hi:[1,0,1]
	v_pk_fma_f32 v[64:65], v[64:65], v[68:69], v[70:71] neg_lo:[0,0,1] neg_hi:[0,0,1]
	s_delay_alu instid0(VALU_DEP_2)
	v_mov_b32_e32 v65, v73
	scratch_store_b64 off, v[64:65], off offset:200
.LBB29_540:
	s_wait_xcnt 0x0
	s_or_b32 exec_lo, exec_lo, s0
	scratch_load_b64 v[64:65], off, off offset:208
	s_mov_b32 s0, exec_lo
	s_wait_loadcnt 0x0
	ds_store_b64 v1, v[64:65]
	s_wait_storecnt_dscnt 0x0
	s_barrier_signal -1
	s_barrier_wait -1
	s_wait_xcnt 0x0
	v_cmpx_gt_u32_e32 26, v0
	s_cbranch_execz .LBB29_550
; %bb.541:
	v_cmp_ne_u32_e32 vcc_lo, 1, v66
	s_cbranch_vccnz .LBB29_543
; %bb.542:
	scratch_load_b64 v[64:65], v39, off
	ds_load_b64 v[68:69], v1
	s_wait_loadcnt_dscnt 0x0
	v_pk_mul_f32 v[70:71], v[68:69], v[64:65] op_sel:[1,1] op_sel_hi:[0,1]
	s_delay_alu instid0(VALU_DEP_1) | instskip(SKIP_1) | instid1(VALU_DEP_2)
	v_pk_fma_f32 v[72:73], v[68:69], v[64:65], v[70:71] op_sel_hi:[1,0,1]
	v_pk_fma_f32 v[64:65], v[68:69], v[64:65], v[70:71] neg_lo:[0,0,1] neg_hi:[0,0,1]
	v_mov_b32_e32 v65, v73
	s_cbranch_execz .LBB29_544
	s_branch .LBB29_545
.LBB29_543:
                                        ; implicit-def: $vgpr64_vgpr65
.LBB29_544:
	ds_load_b64 v[64:65], v1
.LBB29_545:
	s_mov_b32 s2, exec_lo
	v_cmpx_ne_u32_e32 25, v0
	s_cbranch_execz .LBB29_549
; %bb.546:
	v_add_nc_u32_e32 v67, 0xf8, v38
	v_add3_u32 v68, 0, v38, 8
	v_mov_b32_e32 v69, v0
	s_mov_b32 s3, 0
.LBB29_547:                             ; =>This Inner Loop Header: Depth=1
	scratch_load_b64 v[70:71], v68, off
	ds_load_b64 v[72:73], v67
	s_wait_xcnt 0x0
	v_dual_add_nc_u32 v67, 8, v67 :: v_dual_add_nc_u32 v68, 8, v68
	s_wait_loadcnt_dscnt 0x0
	v_pk_mul_f32 v[74:75], v[72:73], v[70:71] op_sel:[1,1] op_sel_hi:[0,1]
	s_delay_alu instid0(VALU_DEP_1) | instskip(SKIP_2) | instid1(VALU_DEP_3)
	v_pk_fma_f32 v[76:77], v[72:73], v[70:71], v[74:75] op_sel_hi:[1,0,1]
	v_add_nc_u32_e32 v69, 1, v69
	v_pk_fma_f32 v[70:71], v[72:73], v[70:71], v[74:75] neg_lo:[0,0,1] neg_hi:[0,0,1]
	v_mov_b32_e32 v71, v77
	s_delay_alu instid0(VALU_DEP_3) | instskip(NEXT) | instid1(VALU_DEP_2)
	v_cmp_lt_u32_e32 vcc_lo, 24, v69
	v_pk_add_f32 v[64:65], v[64:65], v[70:71]
	s_or_b32 s3, vcc_lo, s3
	s_delay_alu instid0(SALU_CYCLE_1)
	s_and_not1_b32 exec_lo, exec_lo, s3
	s_cbranch_execnz .LBB29_547
; %bb.548:
	s_or_b32 exec_lo, exec_lo, s3
.LBB29_549:
	s_delay_alu instid0(SALU_CYCLE_1) | instskip(SKIP_4) | instid1(VALU_DEP_1)
	s_or_b32 exec_lo, exec_lo, s2
	v_mov_b32_e32 v67, 0
	ds_load_b64 v[68:69], v67 offset:208
	s_wait_dscnt 0x0
	v_pk_mul_f32 v[70:71], v[64:65], v[68:69] op_sel:[1,1] op_sel_hi:[0,1]
	v_pk_fma_f32 v[72:73], v[64:65], v[68:69], v[70:71] op_sel_hi:[1,0,1]
	v_pk_fma_f32 v[64:65], v[64:65], v[68:69], v[70:71] neg_lo:[0,0,1] neg_hi:[0,0,1]
	s_delay_alu instid0(VALU_DEP_2)
	v_mov_b32_e32 v65, v73
	scratch_store_b64 off, v[64:65], off offset:208
.LBB29_550:
	s_wait_xcnt 0x0
	s_or_b32 exec_lo, exec_lo, s0
	scratch_load_b64 v[64:65], off, off offset:216
	s_mov_b32 s0, exec_lo
	s_wait_loadcnt 0x0
	ds_store_b64 v1, v[64:65]
	s_wait_storecnt_dscnt 0x0
	s_barrier_signal -1
	s_barrier_wait -1
	s_wait_xcnt 0x0
	v_cmpx_gt_u32_e32 27, v0
	s_cbranch_execz .LBB29_560
; %bb.551:
	v_cmp_ne_u32_e32 vcc_lo, 1, v66
	s_cbranch_vccnz .LBB29_553
; %bb.552:
	scratch_load_b64 v[64:65], v39, off
	ds_load_b64 v[68:69], v1
	s_wait_loadcnt_dscnt 0x0
	v_pk_mul_f32 v[70:71], v[68:69], v[64:65] op_sel:[1,1] op_sel_hi:[0,1]
	s_delay_alu instid0(VALU_DEP_1) | instskip(SKIP_1) | instid1(VALU_DEP_2)
	v_pk_fma_f32 v[72:73], v[68:69], v[64:65], v[70:71] op_sel_hi:[1,0,1]
	v_pk_fma_f32 v[64:65], v[68:69], v[64:65], v[70:71] neg_lo:[0,0,1] neg_hi:[0,0,1]
	v_mov_b32_e32 v65, v73
	s_cbranch_execz .LBB29_554
	s_branch .LBB29_555
.LBB29_553:
                                        ; implicit-def: $vgpr64_vgpr65
.LBB29_554:
	ds_load_b64 v[64:65], v1
.LBB29_555:
	s_mov_b32 s2, exec_lo
	v_cmpx_ne_u32_e32 26, v0
	s_cbranch_execz .LBB29_559
; %bb.556:
	v_add_nc_u32_e32 v67, 0xf8, v38
	v_add3_u32 v68, 0, v38, 8
	v_mov_b32_e32 v69, v0
	s_mov_b32 s3, 0
.LBB29_557:                             ; =>This Inner Loop Header: Depth=1
	scratch_load_b64 v[70:71], v68, off
	ds_load_b64 v[72:73], v67
	s_wait_xcnt 0x0
	v_dual_add_nc_u32 v67, 8, v67 :: v_dual_add_nc_u32 v68, 8, v68
	s_wait_loadcnt_dscnt 0x0
	v_pk_mul_f32 v[74:75], v[72:73], v[70:71] op_sel:[1,1] op_sel_hi:[0,1]
	s_delay_alu instid0(VALU_DEP_1) | instskip(SKIP_2) | instid1(VALU_DEP_3)
	v_pk_fma_f32 v[76:77], v[72:73], v[70:71], v[74:75] op_sel_hi:[1,0,1]
	v_add_nc_u32_e32 v69, 1, v69
	v_pk_fma_f32 v[70:71], v[72:73], v[70:71], v[74:75] neg_lo:[0,0,1] neg_hi:[0,0,1]
	v_mov_b32_e32 v71, v77
	s_delay_alu instid0(VALU_DEP_3) | instskip(NEXT) | instid1(VALU_DEP_2)
	v_cmp_lt_u32_e32 vcc_lo, 25, v69
	v_pk_add_f32 v[64:65], v[64:65], v[70:71]
	s_or_b32 s3, vcc_lo, s3
	s_delay_alu instid0(SALU_CYCLE_1)
	s_and_not1_b32 exec_lo, exec_lo, s3
	s_cbranch_execnz .LBB29_557
; %bb.558:
	s_or_b32 exec_lo, exec_lo, s3
.LBB29_559:
	s_delay_alu instid0(SALU_CYCLE_1) | instskip(SKIP_4) | instid1(VALU_DEP_1)
	s_or_b32 exec_lo, exec_lo, s2
	v_mov_b32_e32 v67, 0
	ds_load_b64 v[68:69], v67 offset:216
	s_wait_dscnt 0x0
	v_pk_mul_f32 v[70:71], v[64:65], v[68:69] op_sel:[1,1] op_sel_hi:[0,1]
	v_pk_fma_f32 v[72:73], v[64:65], v[68:69], v[70:71] op_sel_hi:[1,0,1]
	v_pk_fma_f32 v[64:65], v[64:65], v[68:69], v[70:71] neg_lo:[0,0,1] neg_hi:[0,0,1]
	s_delay_alu instid0(VALU_DEP_2)
	v_mov_b32_e32 v65, v73
	scratch_store_b64 off, v[64:65], off offset:216
.LBB29_560:
	s_wait_xcnt 0x0
	s_or_b32 exec_lo, exec_lo, s0
	scratch_load_b64 v[64:65], off, off offset:224
	v_cmp_gt_u32_e64 s0, 28, v0
	s_wait_loadcnt 0x0
	ds_store_b64 v1, v[64:65]
	s_wait_storecnt_dscnt 0x0
	s_barrier_signal -1
	s_barrier_wait -1
	s_wait_xcnt 0x0
	s_and_saveexec_b32 s2, s0
	s_cbranch_execz .LBB29_570
; %bb.561:
	v_cmp_ne_u32_e32 vcc_lo, 1, v66
	s_cbranch_vccnz .LBB29_563
; %bb.562:
	scratch_load_b64 v[64:65], v39, off
	ds_load_b64 v[68:69], v1
	s_wait_loadcnt_dscnt 0x0
	v_pk_mul_f32 v[70:71], v[68:69], v[64:65] op_sel:[1,1] op_sel_hi:[0,1]
	s_delay_alu instid0(VALU_DEP_1) | instskip(SKIP_1) | instid1(VALU_DEP_2)
	v_pk_fma_f32 v[72:73], v[68:69], v[64:65], v[70:71] op_sel_hi:[1,0,1]
	v_pk_fma_f32 v[64:65], v[68:69], v[64:65], v[70:71] neg_lo:[0,0,1] neg_hi:[0,0,1]
	v_mov_b32_e32 v65, v73
	s_cbranch_execz .LBB29_564
	s_branch .LBB29_565
.LBB29_563:
                                        ; implicit-def: $vgpr64_vgpr65
.LBB29_564:
	ds_load_b64 v[64:65], v1
.LBB29_565:
	s_mov_b32 s3, exec_lo
	v_cmpx_ne_u32_e32 27, v0
	s_cbranch_execz .LBB29_569
; %bb.566:
	v_add_nc_u32_e32 v67, 0xf8, v38
	v_add3_u32 v68, 0, v38, 8
	v_mov_b32_e32 v69, v0
	s_mov_b32 s4, 0
.LBB29_567:                             ; =>This Inner Loop Header: Depth=1
	scratch_load_b64 v[70:71], v68, off
	ds_load_b64 v[72:73], v67
	s_wait_xcnt 0x0
	v_dual_add_nc_u32 v67, 8, v67 :: v_dual_add_nc_u32 v68, 8, v68
	s_wait_loadcnt_dscnt 0x0
	v_pk_mul_f32 v[74:75], v[72:73], v[70:71] op_sel:[1,1] op_sel_hi:[0,1]
	s_delay_alu instid0(VALU_DEP_1) | instskip(SKIP_2) | instid1(VALU_DEP_3)
	v_pk_fma_f32 v[76:77], v[72:73], v[70:71], v[74:75] op_sel_hi:[1,0,1]
	v_add_nc_u32_e32 v69, 1, v69
	v_pk_fma_f32 v[70:71], v[72:73], v[70:71], v[74:75] neg_lo:[0,0,1] neg_hi:[0,0,1]
	v_mov_b32_e32 v71, v77
	s_delay_alu instid0(VALU_DEP_3) | instskip(NEXT) | instid1(VALU_DEP_2)
	v_cmp_lt_u32_e32 vcc_lo, 26, v69
	v_pk_add_f32 v[64:65], v[64:65], v[70:71]
	s_or_b32 s4, vcc_lo, s4
	s_delay_alu instid0(SALU_CYCLE_1)
	s_and_not1_b32 exec_lo, exec_lo, s4
	s_cbranch_execnz .LBB29_567
; %bb.568:
	s_or_b32 exec_lo, exec_lo, s4
.LBB29_569:
	s_delay_alu instid0(SALU_CYCLE_1) | instskip(SKIP_4) | instid1(VALU_DEP_1)
	s_or_b32 exec_lo, exec_lo, s3
	v_mov_b32_e32 v67, 0
	ds_load_b64 v[68:69], v67 offset:224
	s_wait_dscnt 0x0
	v_pk_mul_f32 v[70:71], v[64:65], v[68:69] op_sel:[1,1] op_sel_hi:[0,1]
	v_pk_fma_f32 v[72:73], v[64:65], v[68:69], v[70:71] op_sel_hi:[1,0,1]
	v_pk_fma_f32 v[64:65], v[64:65], v[68:69], v[70:71] neg_lo:[0,0,1] neg_hi:[0,0,1]
	s_delay_alu instid0(VALU_DEP_2)
	v_mov_b32_e32 v65, v73
	scratch_store_b64 off, v[64:65], off offset:224
.LBB29_570:
	s_wait_xcnt 0x0
	s_or_b32 exec_lo, exec_lo, s2
	scratch_load_b64 v[64:65], off, off offset:232
	s_mov_b32 s2, exec_lo
                                        ; implicit-def: $vgpr84
                                        ; implicit-def: $sgpr4
	s_wait_loadcnt 0x0
	ds_store_b64 v1, v[64:65]
	s_wait_storecnt_dscnt 0x0
	s_barrier_signal -1
	s_barrier_wait -1
	s_wait_xcnt 0x0
	v_cmpx_ne_u32_e32 29, v0
	s_cbranch_execz .LBB29_580
; %bb.571:
	v_cmp_ne_u32_e32 vcc_lo, 1, v66
	s_cbranch_vccnz .LBB29_573
; %bb.572:
	scratch_load_b64 v[66:67], v39, off
	ds_load_b64 v[68:69], v1
	s_wait_loadcnt_dscnt 0x0
	v_dual_mul_f32 v39, v69, v67 :: v_dual_mul_f32 v65, v68, v67
	s_delay_alu instid0(VALU_DEP_1)
	v_dual_fma_f32 v64, v68, v66, -v39 :: v_dual_fmac_f32 v65, v69, v66
	s_cbranch_execz .LBB29_574
	s_branch .LBB29_575
.LBB29_573:
                                        ; implicit-def: $vgpr65
.LBB29_574:
	ds_load_b64 v[64:65], v1
.LBB29_575:
	s_and_saveexec_b32 s3, s0
	s_cbranch_execz .LBB29_579
; %bb.576:
	v_add_nc_u32_e32 v1, 0xf8, v38
	v_add3_u32 v38, 0, v38, 8
	s_mov_b32 s0, 0
.LBB29_577:                             ; =>This Inner Loop Header: Depth=1
	scratch_load_b64 v[66:67], v38, off
	ds_load_b64 v[68:69], v1
	s_wait_loadcnt_dscnt 0x0
	v_dual_add_nc_u32 v1, 8, v1 :: v_dual_mul_f32 v39, v69, v67
	v_dual_mul_f32 v67, v68, v67 :: v_dual_add_nc_u32 v0, 1, v0
	s_delay_alu instid0(VALU_DEP_2) | instskip(NEXT) | instid1(VALU_DEP_2)
	v_fma_f32 v39, v68, v66, -v39
	v_fmac_f32_e32 v67, v69, v66
	s_delay_alu instid0(VALU_DEP_3) | instskip(NEXT) | instid1(VALU_DEP_3)
	v_cmp_lt_u32_e32 vcc_lo, 27, v0
	v_dual_add_nc_u32 v38, 8, v38 :: v_dual_add_f32 v64, v64, v39
	s_delay_alu instid0(VALU_DEP_3) | instskip(SKIP_1) | instid1(SALU_CYCLE_1)
	v_add_f32_e32 v65, v65, v67
	s_or_b32 s0, vcc_lo, s0
	s_and_not1_b32 exec_lo, exec_lo, s0
	s_cbranch_execnz .LBB29_577
; %bb.578:
	s_or_b32 exec_lo, exec_lo, s0
.LBB29_579:
	s_delay_alu instid0(SALU_CYCLE_1)
	s_or_b32 exec_lo, exec_lo, s3
	v_mov_b32_e32 v0, 0
	s_movk_i32 s4, 0xec
	s_or_b32 s1, s1, exec_lo
	ds_load_b64 v[0:1], v0 offset:232
	s_wait_dscnt 0x0
	v_dual_mul_f32 v38, v65, v1 :: v_dual_mul_f32 v84, v64, v1
	s_delay_alu instid0(VALU_DEP_1)
	v_dual_fma_f32 v1, v64, v0, -v38 :: v_dual_fmac_f32 v84, v65, v0
	scratch_store_b32 off, v1, off offset:232
.LBB29_580:
	s_wait_xcnt 0x0
	s_or_b32 exec_lo, exec_lo, s2
.LBB29_581:
	v_lshl_add_u64 v[80:81], v[4:5], 3, s[6:7]
	v_lshl_add_u64 v[82:83], v[8:9], 3, s[6:7]
	;; [unrolled: 1-line block ×28, first 2 shown]
	s_and_saveexec_b32 s0, s1
	s_cbranch_execz .LBB29_583
; %bb.582:
	scratch_store_b32 off, v84, s4
.LBB29_583:
	s_wait_xcnt 0x0
	s_or_b32 exec_lo, exec_lo, s0
	s_clause 0x3
	scratch_load_b128 v[40:43], off, off
	scratch_load_b128 v[44:47], off, off offset:16
	scratch_load_b128 v[48:51], off, off offset:32
	;; [unrolled: 1-line block ×3, first 2 shown]
	s_wait_loadcnt 0x3
	s_clause 0x1
	global_store_b64 v[2:3], v[40:41], off
	global_store_b64 v[6:7], v[42:43], off
	s_clause 0x1
	scratch_load_b128 v[40:43], off, off offset:64
	scratch_load_b128 v[56:59], off, off offset:80
	s_wait_loadcnt 0x4
	s_clause 0x1
	global_store_b64 v[80:81], v[44:45], off
	global_store_b64 v[82:83], v[46:47], off
	s_clause 0x1
	scratch_load_b128 v[44:47], off, off offset:96
	scratch_load_b128 v[60:63], off, off offset:112
	;; [unrolled: 7-line block ×5, first 2 shown]
	s_wait_loadcnt 0x8
	s_clause 0x1
	global_store_b64 v[64:65], v[56:57], off
	global_store_b64 v[66:67], v[58:59], off
	scratch_load_b128 v[56:59], off, off offset:224
	s_wait_loadcnt 0x8
	s_clause 0x1
	global_store_b64 v[8:9], v[44:45], off
	global_store_b64 v[10:11], v[46:47], off
	s_wait_loadcnt 0x7
	s_clause 0x1
	global_store_b64 v[12:13], v[60:61], off
	global_store_b64 v[14:15], v[62:63], off
	;; [unrolled: 4-line block ×9, first 2 shown]
.LBB29_584:
	s_sendmsg sendmsg(MSG_DEALLOC_VGPRS)
	s_endpgm
	.section	.rodata,"a",@progbits
	.p2align	6, 0x0
	.amdhsa_kernel _ZN9rocsolver6v33100L18trti2_kernel_smallILi30E19rocblas_complex_numIfEPS3_EEv13rocblas_fill_17rocblas_diagonal_T1_iil
		.amdhsa_group_segment_fixed_size 480
		.amdhsa_private_segment_fixed_size 256
		.amdhsa_kernarg_size 32
		.amdhsa_user_sgpr_count 2
		.amdhsa_user_sgpr_dispatch_ptr 0
		.amdhsa_user_sgpr_queue_ptr 0
		.amdhsa_user_sgpr_kernarg_segment_ptr 1
		.amdhsa_user_sgpr_dispatch_id 0
		.amdhsa_user_sgpr_kernarg_preload_length 0
		.amdhsa_user_sgpr_kernarg_preload_offset 0
		.amdhsa_user_sgpr_private_segment_size 0
		.amdhsa_wavefront_size32 1
		.amdhsa_uses_dynamic_stack 0
		.amdhsa_enable_private_segment 1
		.amdhsa_system_sgpr_workgroup_id_x 1
		.amdhsa_system_sgpr_workgroup_id_y 0
		.amdhsa_system_sgpr_workgroup_id_z 0
		.amdhsa_system_sgpr_workgroup_info 0
		.amdhsa_system_vgpr_workitem_id 0
		.amdhsa_next_free_vgpr 88
		.amdhsa_next_free_sgpr 22
		.amdhsa_named_barrier_count 0
		.amdhsa_reserve_vcc 1
		.amdhsa_float_round_mode_32 0
		.amdhsa_float_round_mode_16_64 0
		.amdhsa_float_denorm_mode_32 3
		.amdhsa_float_denorm_mode_16_64 3
		.amdhsa_fp16_overflow 0
		.amdhsa_memory_ordered 1
		.amdhsa_forward_progress 1
		.amdhsa_inst_pref_size 177
		.amdhsa_round_robin_scheduling 0
		.amdhsa_exception_fp_ieee_invalid_op 0
		.amdhsa_exception_fp_denorm_src 0
		.amdhsa_exception_fp_ieee_div_zero 0
		.amdhsa_exception_fp_ieee_overflow 0
		.amdhsa_exception_fp_ieee_underflow 0
		.amdhsa_exception_fp_ieee_inexact 0
		.amdhsa_exception_int_div_zero 0
	.end_amdhsa_kernel
	.section	.text._ZN9rocsolver6v33100L18trti2_kernel_smallILi30E19rocblas_complex_numIfEPS3_EEv13rocblas_fill_17rocblas_diagonal_T1_iil,"axG",@progbits,_ZN9rocsolver6v33100L18trti2_kernel_smallILi30E19rocblas_complex_numIfEPS3_EEv13rocblas_fill_17rocblas_diagonal_T1_iil,comdat
.Lfunc_end29:
	.size	_ZN9rocsolver6v33100L18trti2_kernel_smallILi30E19rocblas_complex_numIfEPS3_EEv13rocblas_fill_17rocblas_diagonal_T1_iil, .Lfunc_end29-_ZN9rocsolver6v33100L18trti2_kernel_smallILi30E19rocblas_complex_numIfEPS3_EEv13rocblas_fill_17rocblas_diagonal_T1_iil
                                        ; -- End function
	.set _ZN9rocsolver6v33100L18trti2_kernel_smallILi30E19rocblas_complex_numIfEPS3_EEv13rocblas_fill_17rocblas_diagonal_T1_iil.num_vgpr, 88
	.set _ZN9rocsolver6v33100L18trti2_kernel_smallILi30E19rocblas_complex_numIfEPS3_EEv13rocblas_fill_17rocblas_diagonal_T1_iil.num_agpr, 0
	.set _ZN9rocsolver6v33100L18trti2_kernel_smallILi30E19rocblas_complex_numIfEPS3_EEv13rocblas_fill_17rocblas_diagonal_T1_iil.numbered_sgpr, 22
	.set _ZN9rocsolver6v33100L18trti2_kernel_smallILi30E19rocblas_complex_numIfEPS3_EEv13rocblas_fill_17rocblas_diagonal_T1_iil.num_named_barrier, 0
	.set _ZN9rocsolver6v33100L18trti2_kernel_smallILi30E19rocblas_complex_numIfEPS3_EEv13rocblas_fill_17rocblas_diagonal_T1_iil.private_seg_size, 256
	.set _ZN9rocsolver6v33100L18trti2_kernel_smallILi30E19rocblas_complex_numIfEPS3_EEv13rocblas_fill_17rocblas_diagonal_T1_iil.uses_vcc, 1
	.set _ZN9rocsolver6v33100L18trti2_kernel_smallILi30E19rocblas_complex_numIfEPS3_EEv13rocblas_fill_17rocblas_diagonal_T1_iil.uses_flat_scratch, 1
	.set _ZN9rocsolver6v33100L18trti2_kernel_smallILi30E19rocblas_complex_numIfEPS3_EEv13rocblas_fill_17rocblas_diagonal_T1_iil.has_dyn_sized_stack, 0
	.set _ZN9rocsolver6v33100L18trti2_kernel_smallILi30E19rocblas_complex_numIfEPS3_EEv13rocblas_fill_17rocblas_diagonal_T1_iil.has_recursion, 0
	.set _ZN9rocsolver6v33100L18trti2_kernel_smallILi30E19rocblas_complex_numIfEPS3_EEv13rocblas_fill_17rocblas_diagonal_T1_iil.has_indirect_call, 0
	.section	.AMDGPU.csdata,"",@progbits
; Kernel info:
; codeLenInByte = 22620
; TotalNumSgprs: 24
; NumVgprs: 88
; ScratchSize: 256
; MemoryBound: 0
; FloatMode: 240
; IeeeMode: 1
; LDSByteSize: 480 bytes/workgroup (compile time only)
; SGPRBlocks: 0
; VGPRBlocks: 5
; NumSGPRsForWavesPerEU: 24
; NumVGPRsForWavesPerEU: 88
; NamedBarCnt: 0
; Occupancy: 10
; WaveLimiterHint : 0
; COMPUTE_PGM_RSRC2:SCRATCH_EN: 1
; COMPUTE_PGM_RSRC2:USER_SGPR: 2
; COMPUTE_PGM_RSRC2:TRAP_HANDLER: 0
; COMPUTE_PGM_RSRC2:TGID_X_EN: 1
; COMPUTE_PGM_RSRC2:TGID_Y_EN: 0
; COMPUTE_PGM_RSRC2:TGID_Z_EN: 0
; COMPUTE_PGM_RSRC2:TIDIG_COMP_CNT: 0
	.section	.text._ZN9rocsolver6v33100L18trti2_kernel_smallILi31E19rocblas_complex_numIfEPS3_EEv13rocblas_fill_17rocblas_diagonal_T1_iil,"axG",@progbits,_ZN9rocsolver6v33100L18trti2_kernel_smallILi31E19rocblas_complex_numIfEPS3_EEv13rocblas_fill_17rocblas_diagonal_T1_iil,comdat
	.globl	_ZN9rocsolver6v33100L18trti2_kernel_smallILi31E19rocblas_complex_numIfEPS3_EEv13rocblas_fill_17rocblas_diagonal_T1_iil ; -- Begin function _ZN9rocsolver6v33100L18trti2_kernel_smallILi31E19rocblas_complex_numIfEPS3_EEv13rocblas_fill_17rocblas_diagonal_T1_iil
	.p2align	8
	.type	_ZN9rocsolver6v33100L18trti2_kernel_smallILi31E19rocblas_complex_numIfEPS3_EEv13rocblas_fill_17rocblas_diagonal_T1_iil,@function
_ZN9rocsolver6v33100L18trti2_kernel_smallILi31E19rocblas_complex_numIfEPS3_EEv13rocblas_fill_17rocblas_diagonal_T1_iil: ; @_ZN9rocsolver6v33100L18trti2_kernel_smallILi31E19rocblas_complex_numIfEPS3_EEv13rocblas_fill_17rocblas_diagonal_T1_iil
; %bb.0:
	s_mov_b32 s2, exec_lo
	v_cmpx_gt_u32_e32 31, v0
	s_cbranch_execz .LBB30_604
; %bb.1:
	s_load_b256 s[4:11], s[0:1], 0x0
	s_wait_xcnt 0x0
	s_bfe_u32 s0, ttmp6, 0x4000c
	s_and_b32 s1, ttmp6, 15
	s_add_co_i32 s0, s0, 1
	s_getreg_b32 s2, hwreg(HW_REG_IB_STS2, 6, 4)
	s_mul_i32 s0, ttmp9, s0
	v_mov_b32_e32 v47, 0
	s_add_co_i32 s0, s1, s0
	s_wait_kmcnt 0x0
	v_add3_u32 v4, s9, s9, v0
	s_ashr_i32 s1, s8, 31
	s_cmp_eq_u32 s2, 0
	s_cselect_b32 s2, ttmp9, s0
	s_delay_alu instid0(VALU_DEP_1)
	v_add_nc_u32_e32 v8, s9, v4
	s_ashr_i32 s3, s2, 31
	s_mov_b32 s0, s8
	s_mul_u64 s[2:3], s[10:11], s[2:3]
	s_lshl_b64 s[0:1], s[0:1], 3
	v_add_nc_u32_e32 v10, s9, v8
	s_lshl_b64 s[2:3], s[2:3], 3
	s_delay_alu instid0(SALU_CYCLE_1) | instskip(NEXT) | instid1(VALU_DEP_1)
	s_add_nc_u64 s[2:3], s[6:7], s[2:3]
	v_add_nc_u32_e32 v12, s9, v10
	s_add_nc_u64 s[6:7], s[2:3], s[0:1]
	s_mov_b32 s0, s9
	s_ashr_i32 s1, s9, 31
	s_cmp_lg_u32 s5, 0x84
	v_add_nc_u32_e32 v14, s9, v12
	s_cselect_b32 s3, -1, 0
	s_delay_alu instid0(SALU_CYCLE_1) | instskip(NEXT) | instid1(VALU_DEP_1)
	s_and_b32 vcc_lo, exec_lo, s3
	v_add_nc_u32_e32 v16, s9, v14
	s_clause 0x1
	global_load_b64 v[56:57], v10, s[6:7] scale_offset
	global_load_b64 v[58:59], v12, s[6:7] scale_offset
	v_add_nc_u32_e32 v18, s9, v16
	s_delay_alu instid0(VALU_DEP_1) | instskip(NEXT) | instid1(VALU_DEP_1)
	v_add_nc_u32_e32 v20, s9, v18
	v_add_nc_u32_e32 v22, s9, v20
	s_delay_alu instid0(VALU_DEP_1) | instskip(NEXT) | instid1(VALU_DEP_1)
	v_dual_lshlrev_b32 v46, 3, v0 :: v_dual_add_nc_u32 v24, s9, v22
	v_add_nc_u64_e32 v[2:3], s[6:7], v[46:47]
	s_delay_alu instid0(VALU_DEP_2) | instskip(NEXT) | instid1(VALU_DEP_2)
	v_add_nc_u32_e32 v26, s9, v24
	v_lshl_add_u64 v[6:7], s[0:1], 3, v[2:3]
	s_mov_b32 s0, -1
	s_delay_alu instid0(VALU_DEP_2)
	v_add_nc_u32_e32 v28, s9, v26
	s_clause 0x9
	global_load_b64 v[60:61], v0, s[6:7] scale_offset
	global_load_b64 v[62:63], v[6:7], off
	global_load_b64 v[64:65], v4, s[6:7] scale_offset
	global_load_b64 v[66:67], v8, s[6:7] scale_offset
	global_load_b64 v[68:69], v14, s[6:7] scale_offset
	global_load_b64 v[70:71], v16, s[6:7] scale_offset
	global_load_b64 v[72:73], v18, s[6:7] scale_offset
	global_load_b64 v[74:75], v20, s[6:7] scale_offset
	global_load_b64 v[76:77], v22, s[6:7] scale_offset
	global_load_b64 v[78:79], v24, s[6:7] scale_offset
	v_add_nc_u32_e32 v30, s9, v28
	s_delay_alu instid0(VALU_DEP_1) | instskip(NEXT) | instid1(VALU_DEP_1)
	v_add_nc_u32_e32 v32, s9, v30
	v_add_nc_u32_e32 v34, s9, v32
	s_delay_alu instid0(VALU_DEP_1)
	v_add_nc_u32_e32 v36, s9, v34
	s_clause 0x3
	global_load_b64 v[80:81], v26, s[6:7] scale_offset
	global_load_b64 v[82:83], v28, s[6:7] scale_offset
	;; [unrolled: 1-line block ×4, first 2 shown]
	v_add_nc_u32_e32 v38, s9, v36
	s_delay_alu instid0(VALU_DEP_1) | instskip(SKIP_4) | instid1(VALU_DEP_1)
	v_add_nc_u32_e32 v40, s9, v38
	s_clause 0x1
	global_load_b64 v[88:89], v34, s[6:7] scale_offset
	global_load_b64 v[90:91], v36, s[6:7] scale_offset
	v_add_nc_u32_e32 v42, s9, v40
	v_add_nc_u32_e32 v44, s9, v42
	s_delay_alu instid0(VALU_DEP_1) | instskip(NEXT) | instid1(VALU_DEP_1)
	v_add_nc_u32_e32 v48, s9, v44
	v_add_nc_u32_e32 v50, s9, v48
	s_delay_alu instid0(VALU_DEP_1) | instskip(NEXT) | instid1(VALU_DEP_1)
	v_add_nc_u32_e32 v52, s9, v50
	v_add_nc_u32_e32 v54, s9, v52
	s_wait_loadcnt 0x10
	scratch_store_b128 off, v[56:59], off offset:32
	s_wait_xcnt 0x0
	v_add_nc_u32_e32 v56, s9, v54
	s_delay_alu instid0(VALU_DEP_1)
	v_add_nc_u32_e32 v58, s9, v56
	s_wait_loadcnt 0xc
	s_clause 0x1
	scratch_store_b128 off, v[64:67], off offset:16
	scratch_store_b128 off, v[60:63], off
	s_wait_xcnt 0x0
	v_add_nc_u32_e32 v60, s9, v58
	s_clause 0x1
	global_load_b64 v[92:93], v38, s[6:7] scale_offset
	global_load_b64 v[94:95], v40, s[6:7] scale_offset
	s_wait_loadcnt 0xc
	scratch_store_b128 off, v[68:71], off offset:48
	s_wait_loadcnt 0xa
	scratch_store_b128 off, v[72:75], off offset:64
	s_clause 0x3
	global_load_b64 v[66:67], v42, s[6:7] scale_offset
	global_load_b64 v[68:69], v44, s[6:7] scale_offset
	;; [unrolled: 1-line block ×4, first 2 shown]
	s_wait_loadcnt 0xc
	scratch_store_b128 off, v[76:79], off offset:80
	v_add_nc_u32_e32 v62, s9, v60
	s_wait_loadcnt 0xa
	scratch_store_b128 off, v[80:83], off offset:96
	s_wait_loadcnt 0x8
	scratch_store_b128 off, v[84:87], off offset:112
	v_add_nc_u32_e32 v64, s9, v62
	s_clause 0x3
	global_load_b64 v[74:75], v52, s[6:7] scale_offset
	global_load_b64 v[76:77], v54, s[6:7] scale_offset
	;; [unrolled: 1-line block ×4, first 2 shown]
	s_wait_loadcnt 0xa
	scratch_store_b128 off, v[88:91], off offset:128
	s_clause 0x2
	global_load_b64 v[82:83], v60, s[6:7] scale_offset
	global_load_b64 v[84:85], v62, s[6:7] scale_offset
	;; [unrolled: 1-line block ×3, first 2 shown]
	s_wait_loadcnt 0xb
	scratch_store_b128 off, v[92:95], off offset:144
	s_wait_loadcnt 0x9
	scratch_store_b128 off, v[66:69], off offset:160
	;; [unrolled: 2-line block ×6, first 2 shown]
	s_wait_loadcnt 0x0
	scratch_store_b64 off, v[86:87], off offset:240
	s_cbranch_vccz .LBB30_7
; %bb.2:
	scratch_load_b64 v[66:67], v0, off scale_offset
                                        ; implicit-def: $vgpr71
                                        ; implicit-def: $vgpr68
	s_wait_loadcnt 0x0
	v_cmp_ngt_f32_e64 s0, |v66|, |v67|
	s_wait_xcnt 0x0
	s_and_saveexec_b32 s1, s0
	s_delay_alu instid0(SALU_CYCLE_1)
	s_xor_b32 s0, exec_lo, s1
	s_cbranch_execz .LBB30_4
; %bb.3:
	v_div_scale_f32 v1, null, v67, v67, v66
	v_div_scale_f32 v11, vcc_lo, v66, v67, v66
	s_delay_alu instid0(VALU_DEP_2) | instskip(SKIP_1) | instid1(TRANS32_DEP_1)
	v_rcp_f32_e32 v5, v1
	v_nop
	v_fma_f32 v9, -v1, v5, 1.0
	s_delay_alu instid0(VALU_DEP_1) | instskip(NEXT) | instid1(VALU_DEP_1)
	v_fmac_f32_e32 v5, v9, v5
	v_mul_f32_e32 v9, v11, v5
	s_delay_alu instid0(VALU_DEP_1) | instskip(NEXT) | instid1(VALU_DEP_1)
	v_fma_f32 v13, -v1, v9, v11
	v_fmac_f32_e32 v9, v13, v5
	s_delay_alu instid0(VALU_DEP_1) | instskip(NEXT) | instid1(VALU_DEP_1)
	v_fma_f32 v1, -v1, v9, v11
	v_div_fmas_f32 v1, v1, v5, v9
	s_delay_alu instid0(VALU_DEP_1) | instskip(NEXT) | instid1(VALU_DEP_1)
	v_div_fixup_f32 v1, v1, v67, v66
	v_fmac_f32_e32 v67, v66, v1
	s_delay_alu instid0(VALU_DEP_1) | instskip(NEXT) | instid1(VALU_DEP_1)
	v_div_scale_f32 v5, null, v67, v67, -1.0
	v_rcp_f32_e32 v9, v5
	v_nop
	s_delay_alu instid0(TRANS32_DEP_1) | instskip(NEXT) | instid1(VALU_DEP_1)
	v_fma_f32 v11, -v5, v9, 1.0
	v_fmac_f32_e32 v9, v11, v9
	v_div_scale_f32 v11, vcc_lo, -1.0, v67, -1.0
	s_delay_alu instid0(VALU_DEP_1) | instskip(NEXT) | instid1(VALU_DEP_1)
	v_mul_f32_e32 v13, v11, v9
	v_fma_f32 v15, -v5, v13, v11
	s_delay_alu instid0(VALU_DEP_1) | instskip(NEXT) | instid1(VALU_DEP_1)
	v_fmac_f32_e32 v13, v15, v9
	v_fma_f32 v5, -v5, v13, v11
	s_delay_alu instid0(VALU_DEP_1) | instskip(NEXT) | instid1(VALU_DEP_1)
	v_div_fmas_f32 v5, v5, v9, v13
	v_div_fixup_f32 v71, v5, v67, -1.0
                                        ; implicit-def: $vgpr66_vgpr67
	s_delay_alu instid0(VALU_DEP_1) | instskip(NEXT) | instid1(VALU_DEP_1)
	v_mul_f32_e32 v68, v1, v71
	v_xor_b32_e32 v70, 0x80000000, v68
.LBB30_4:
	s_or_saveexec_b32 s0, s0
	v_lshl_add_u32 v1, v0, 3, 0
	s_xor_b32 exec_lo, exec_lo, s0
	s_cbranch_execz .LBB30_6
; %bb.5:
	v_div_scale_f32 v5, null, v66, v66, v67
	v_div_scale_f32 v13, vcc_lo, v67, v66, v67
	s_delay_alu instid0(VALU_DEP_2) | instskip(SKIP_1) | instid1(TRANS32_DEP_1)
	v_rcp_f32_e32 v9, v5
	v_nop
	v_fma_f32 v11, -v5, v9, 1.0
	s_delay_alu instid0(VALU_DEP_1) | instskip(NEXT) | instid1(VALU_DEP_1)
	v_fmac_f32_e32 v9, v11, v9
	v_mul_f32_e32 v11, v13, v9
	s_delay_alu instid0(VALU_DEP_1) | instskip(NEXT) | instid1(VALU_DEP_1)
	v_fma_f32 v15, -v5, v11, v13
	v_fmac_f32_e32 v11, v15, v9
	s_delay_alu instid0(VALU_DEP_1) | instskip(NEXT) | instid1(VALU_DEP_1)
	v_fma_f32 v5, -v5, v11, v13
	v_div_fmas_f32 v5, v5, v9, v11
	s_delay_alu instid0(VALU_DEP_1) | instskip(NEXT) | instid1(VALU_DEP_1)
	v_div_fixup_f32 v5, v5, v66, v67
	v_fmac_f32_e32 v66, v67, v5
	s_delay_alu instid0(VALU_DEP_1) | instskip(SKIP_1) | instid1(VALU_DEP_2)
	v_div_scale_f32 v9, null, v66, v66, 1.0
	v_div_scale_f32 v15, vcc_lo, 1.0, v66, 1.0
	v_rcp_f32_e32 v11, v9
	v_nop
	s_delay_alu instid0(TRANS32_DEP_1) | instskip(NEXT) | instid1(VALU_DEP_1)
	v_fma_f32 v13, -v9, v11, 1.0
	v_fmac_f32_e32 v11, v13, v11
	s_delay_alu instid0(VALU_DEP_1) | instskip(NEXT) | instid1(VALU_DEP_1)
	v_mul_f32_e32 v13, v15, v11
	v_fma_f32 v17, -v9, v13, v15
	s_delay_alu instid0(VALU_DEP_1) | instskip(NEXT) | instid1(VALU_DEP_1)
	v_fmac_f32_e32 v13, v17, v11
	v_fma_f32 v9, -v9, v13, v15
	s_delay_alu instid0(VALU_DEP_1) | instskip(NEXT) | instid1(VALU_DEP_1)
	v_div_fmas_f32 v9, v9, v11, v13
	v_div_fixup_f32 v70, v9, v66, 1.0
	s_delay_alu instid0(VALU_DEP_1)
	v_xor_b32_e32 v68, 0x80000000, v70
	v_mul_f32_e64 v71, v5, -v70
.LBB30_6:
	s_or_b32 exec_lo, exec_lo, s0
	s_delay_alu instid0(VALU_DEP_1)
	v_xor_b32_e32 v69, 0x80000000, v71
	s_mov_b32 s0, 0
	scratch_store_b64 v1, v[70:71], off
	ds_store_b64 v46, v[68:69]
.LBB30_7:
	s_and_b32 vcc_lo, exec_lo, s0
	s_cbranch_vccz .LBB30_9
; %bb.8:
	s_mov_b64 s[0:1], 0xbf800000
	s_wait_xcnt 0x5
	v_mov_b64_e32 v[66:67], s[0:1]
	ds_store_b64 v46, v[66:67]
.LBB30_9:
	v_dual_ashrrev_i32 v5, 31, v4 :: v_dual_ashrrev_i32 v11, 31, v10
	v_dual_ashrrev_i32 v9, 31, v8 :: v_dual_ashrrev_i32 v15, 31, v14
	;; [unrolled: 1-line block ×13, first 2 shown]
	v_dual_ashrrev_i32 v57, 31, v56 :: v_dual_mov_b32 v47, v46
	v_ashrrev_i32_e32 v61, 31, v60
	v_ashrrev_i32_e32 v65, 31, v64
	s_wait_xcnt 0x0
	v_add_nc_u32_e32 v1, 0x100, v46
	s_cmp_eq_u32 s4, 0x79
	s_cbranch_scc1 .LBB30_13
; %bb.10:
	scratch_load_b64 v[66:67], off, off offset:232
	v_cmp_eq_u32_e64 s0, 30, v0
	s_movk_i32 s1, 0x50
	s_movk_i32 s2, 0x60
	;; [unrolled: 1-line block ×10, first 2 shown]
	s_wait_loadcnt 0x0
	ds_store_b64 v1, v[66:67]
	s_wait_storecnt_dscnt 0x0
	s_barrier_signal -1
	s_barrier_wait -1
	s_wait_xcnt 0x0
	s_and_saveexec_b32 s4, s0
	s_cbranch_execz .LBB30_17
; %bb.11:
	s_and_b32 vcc_lo, exec_lo, s3
	s_cbranch_vccz .LBB30_14
; %bb.12:
	scratch_load_b64 v[66:67], v47, off
	ds_load_b64 v[68:69], v1
	s_wait_loadcnt_dscnt 0x0
	v_pk_mul_f32 v[70:71], v[68:69], v[66:67] op_sel:[1,1] op_sel_hi:[0,1]
	v_pk_mul_f32 v[72:73], v[68:69], v[66:67] op_sel_hi:[1,0]
	s_delay_alu instid0(VALU_DEP_2) | instskip(NEXT) | instid1(VALU_DEP_2)
	v_pk_fma_f32 v[66:67], v[68:69], v[66:67], v[70:71] op_sel_hi:[1,0,1]
	v_sub_f32_e32 v66, v72, v70
	s_cbranch_execz .LBB30_15
	s_branch .LBB30_16
.LBB30_13:
	s_mov_b32 s1, 0
                                        ; implicit-def: $vgpr78
                                        ; implicit-def: $sgpr4
	s_cbranch_execnz .LBB30_306
	s_branch .LBB30_601
.LBB30_14:
                                        ; implicit-def: $vgpr67
.LBB30_15:
	ds_load_b64 v[66:67], v1
.LBB30_16:
	s_wait_dscnt 0x0
	v_dual_mov_b32 v68, 0 :: v_dual_mov_b32 v70, v67
	v_mov_b32_e32 v71, v66
	ds_load_b64 v[68:69], v68 offset:232
	s_wait_dscnt 0x0
	v_pk_mul_f32 v[70:71], v[70:71], v[68:69] op_sel:[0,1]
	s_delay_alu instid0(VALU_DEP_1) | instskip(SKIP_1) | instid1(VALU_DEP_2)
	v_pk_fma_f32 v[72:73], v[66:67], v[68:69], v[70:71] op_sel_hi:[1,0,1]
	v_pk_fma_f32 v[66:67], v[66:67], v[68:69], v[70:71] neg_lo:[0,0,1] neg_hi:[0,0,1]
	v_mov_b32_e32 v67, v73
	scratch_store_b64 off, v[66:67], off offset:232
.LBB30_17:
	s_wait_xcnt 0x0
	s_or_b32 exec_lo, exec_lo, s4
	scratch_load_b64 v[66:67], off, off offset:224
	s_mov_b32 s11, s2
	v_cmp_lt_u32_e64 s2, 28, v0
	s_mov_b32 s4, 16
	s_mov_b32 s5, 32
	;; [unrolled: 1-line block ×5, first 2 shown]
	s_wait_loadcnt 0x0
	ds_store_b64 v1, v[66:67]
	s_wait_storecnt_dscnt 0x0
	s_barrier_signal -1
	s_barrier_wait -1
	s_wait_xcnt 0x0
	s_and_saveexec_b32 s1, s2
	s_cbranch_execz .LBB30_25
; %bb.18:
	s_and_not1_b32 vcc_lo, exec_lo, s3
	s_cbranch_vccnz .LBB30_20
; %bb.19:
	scratch_load_b64 v[66:67], v47, off
	ds_load_b64 v[68:69], v1
	s_wait_loadcnt_dscnt 0x0
	v_pk_mul_f32 v[70:71], v[68:69], v[66:67] op_sel:[1,1] op_sel_hi:[0,1]
	s_delay_alu instid0(VALU_DEP_1) | instskip(SKIP_1) | instid1(VALU_DEP_2)
	v_pk_fma_f32 v[72:73], v[68:69], v[66:67], v[70:71] op_sel_hi:[1,0,1]
	v_pk_fma_f32 v[66:67], v[68:69], v[66:67], v[70:71] neg_lo:[0,0,1] neg_hi:[0,0,1]
	v_mov_b32_e32 v67, v73
	s_cbranch_execz .LBB30_21
	s_branch .LBB30_22
.LBB30_20:
                                        ; implicit-def: $vgpr66_vgpr67
.LBB30_21:
	ds_load_b64 v[66:67], v1
.LBB30_22:
	s_and_saveexec_b32 s20, s0
	s_cbranch_execz .LBB30_24
; %bb.23:
	scratch_load_b64 v[68:69], off, off offset:232
	v_mov_b32_e32 v70, 0
	ds_load_b64 v[70:71], v70 offset:488
	s_wait_loadcnt_dscnt 0x0
	v_pk_mul_f32 v[72:73], v[70:71], v[68:69] op_sel:[1,1] op_sel_hi:[0,1]
	s_delay_alu instid0(VALU_DEP_1) | instskip(SKIP_1) | instid1(VALU_DEP_2)
	v_pk_fma_f32 v[74:75], v[70:71], v[68:69], v[72:73] op_sel_hi:[1,0,1]
	v_pk_fma_f32 v[68:69], v[70:71], v[68:69], v[72:73] neg_lo:[0,0,1] neg_hi:[0,0,1]
	v_mov_b32_e32 v69, v75
	s_delay_alu instid0(VALU_DEP_1)
	v_pk_add_f32 v[66:67], v[66:67], v[68:69]
.LBB30_24:
	s_or_b32 exec_lo, exec_lo, s20
	v_mov_b32_e32 v68, 0
	ds_load_b64 v[68:69], v68 offset:224
	s_wait_dscnt 0x0
	v_pk_mul_f32 v[70:71], v[66:67], v[68:69] op_sel:[1,1] op_sel_hi:[0,1]
	s_delay_alu instid0(VALU_DEP_1) | instskip(SKIP_1) | instid1(VALU_DEP_2)
	v_pk_fma_f32 v[72:73], v[66:67], v[68:69], v[70:71] op_sel_hi:[1,0,1]
	v_pk_fma_f32 v[66:67], v[66:67], v[68:69], v[70:71] neg_lo:[0,0,1] neg_hi:[0,0,1]
	v_mov_b32_e32 v67, v73
	scratch_store_b64 off, v[66:67], off offset:224
.LBB30_25:
	s_wait_xcnt 0x0
	s_or_b32 exec_lo, exec_lo, s1
	scratch_load_b64 v[66:67], off, off offset:216
	v_cmp_lt_u32_e64 s1, 27, v0
	s_wait_loadcnt 0x0
	ds_store_b64 v1, v[66:67]
	s_wait_storecnt_dscnt 0x0
	s_barrier_signal -1
	s_barrier_wait -1
	s_wait_xcnt 0x0
	s_and_saveexec_b32 s0, s1
	s_cbranch_execz .LBB30_35
; %bb.26:
	s_and_not1_b32 vcc_lo, exec_lo, s3
	s_cbranch_vccnz .LBB30_28
; %bb.27:
	scratch_load_b64 v[66:67], v47, off
	ds_load_b64 v[68:69], v1
	s_wait_loadcnt_dscnt 0x0
	v_pk_mul_f32 v[70:71], v[68:69], v[66:67] op_sel:[1,1] op_sel_hi:[0,1]
	s_delay_alu instid0(VALU_DEP_1) | instskip(SKIP_1) | instid1(VALU_DEP_2)
	v_pk_fma_f32 v[72:73], v[68:69], v[66:67], v[70:71] op_sel_hi:[1,0,1]
	v_pk_fma_f32 v[66:67], v[68:69], v[66:67], v[70:71] neg_lo:[0,0,1] neg_hi:[0,0,1]
	v_mov_b32_e32 v67, v73
	s_cbranch_execz .LBB30_29
	s_branch .LBB30_30
.LBB30_28:
                                        ; implicit-def: $vgpr66_vgpr67
.LBB30_29:
	ds_load_b64 v[66:67], v1
.LBB30_30:
	s_and_saveexec_b32 s20, s2
	s_cbranch_execz .LBB30_34
; %bb.31:
	v_subrev_nc_u32_e32 v68, 28, v0
	s_movk_i32 s21, 0x1e0
	s_mov_b32 s2, 0
.LBB30_32:                              ; =>This Inner Loop Header: Depth=1
	scratch_load_b64 v[70:71], off, s19
	v_dual_mov_b32 v69, s21 :: v_dual_add_nc_u32 v68, -1, v68
	s_add_co_i32 s21, s21, 8
	s_wait_xcnt 0x0
	s_add_co_i32 s19, s19, 8
	ds_load_b64 v[72:73], v69
	v_cmp_eq_u32_e32 vcc_lo, 0, v68
	s_or_b32 s2, vcc_lo, s2
	s_wait_loadcnt_dscnt 0x0
	v_pk_mul_f32 v[74:75], v[72:73], v[70:71] op_sel:[1,1] op_sel_hi:[0,1]
	s_delay_alu instid0(VALU_DEP_1) | instskip(SKIP_1) | instid1(VALU_DEP_2)
	v_pk_fma_f32 v[76:77], v[72:73], v[70:71], v[74:75] op_sel_hi:[1,0,1]
	v_pk_fma_f32 v[70:71], v[72:73], v[70:71], v[74:75] neg_lo:[0,0,1] neg_hi:[0,0,1]
	v_mov_b32_e32 v71, v77
	s_delay_alu instid0(VALU_DEP_1)
	v_pk_add_f32 v[66:67], v[66:67], v[70:71]
	s_and_not1_b32 exec_lo, exec_lo, s2
	s_cbranch_execnz .LBB30_32
; %bb.33:
	s_or_b32 exec_lo, exec_lo, s2
.LBB30_34:
	s_delay_alu instid0(SALU_CYCLE_1) | instskip(SKIP_4) | instid1(VALU_DEP_1)
	s_or_b32 exec_lo, exec_lo, s20
	v_mov_b32_e32 v68, 0
	ds_load_b64 v[68:69], v68 offset:216
	s_wait_dscnt 0x0
	v_pk_mul_f32 v[70:71], v[66:67], v[68:69] op_sel:[1,1] op_sel_hi:[0,1]
	v_pk_fma_f32 v[72:73], v[66:67], v[68:69], v[70:71] op_sel_hi:[1,0,1]
	v_pk_fma_f32 v[66:67], v[66:67], v[68:69], v[70:71] neg_lo:[0,0,1] neg_hi:[0,0,1]
	s_delay_alu instid0(VALU_DEP_2)
	v_mov_b32_e32 v67, v73
	scratch_store_b64 off, v[66:67], off offset:216
.LBB30_35:
	s_wait_xcnt 0x0
	s_or_b32 exec_lo, exec_lo, s0
	scratch_load_b64 v[66:67], off, off offset:208
	v_cmp_lt_u32_e64 s0, 26, v0
	s_wait_loadcnt 0x0
	ds_store_b64 v1, v[66:67]
	s_wait_storecnt_dscnt 0x0
	s_barrier_signal -1
	s_barrier_wait -1
	s_wait_xcnt 0x0
	s_and_saveexec_b32 s2, s0
	s_cbranch_execz .LBB30_45
; %bb.36:
	s_and_not1_b32 vcc_lo, exec_lo, s3
	s_cbranch_vccnz .LBB30_38
; %bb.37:
	scratch_load_b64 v[66:67], v47, off
	ds_load_b64 v[68:69], v1
	s_wait_loadcnt_dscnt 0x0
	v_pk_mul_f32 v[70:71], v[68:69], v[66:67] op_sel:[1,1] op_sel_hi:[0,1]
	s_delay_alu instid0(VALU_DEP_1) | instskip(SKIP_1) | instid1(VALU_DEP_2)
	v_pk_fma_f32 v[72:73], v[68:69], v[66:67], v[70:71] op_sel_hi:[1,0,1]
	v_pk_fma_f32 v[66:67], v[68:69], v[66:67], v[70:71] neg_lo:[0,0,1] neg_hi:[0,0,1]
	v_mov_b32_e32 v67, v73
	s_cbranch_execz .LBB30_39
	s_branch .LBB30_40
.LBB30_38:
                                        ; implicit-def: $vgpr66_vgpr67
.LBB30_39:
	ds_load_b64 v[66:67], v1
.LBB30_40:
	s_and_saveexec_b32 s19, s1
	s_cbranch_execz .LBB30_44
; %bb.41:
	v_subrev_nc_u32_e32 v68, 27, v0
	s_movk_i32 s1, 0xd8
	s_movk_i32 s21, 0x1d8
	s_mov_b32 s20, 0
.LBB30_42:                              ; =>This Inner Loop Header: Depth=1
	scratch_load_b64 v[70:71], off, s1
	v_dual_mov_b32 v69, s21 :: v_dual_add_nc_u32 v68, -1, v68
	s_add_co_i32 s21, s21, 8
	s_wait_xcnt 0x0
	s_add_co_i32 s1, s1, 8
	ds_load_b64 v[72:73], v69
	v_cmp_eq_u32_e32 vcc_lo, 0, v68
	s_or_b32 s20, vcc_lo, s20
	s_wait_loadcnt_dscnt 0x0
	v_pk_mul_f32 v[74:75], v[72:73], v[70:71] op_sel:[1,1] op_sel_hi:[0,1]
	s_delay_alu instid0(VALU_DEP_1) | instskip(SKIP_1) | instid1(VALU_DEP_2)
	v_pk_fma_f32 v[76:77], v[72:73], v[70:71], v[74:75] op_sel_hi:[1,0,1]
	v_pk_fma_f32 v[70:71], v[72:73], v[70:71], v[74:75] neg_lo:[0,0,1] neg_hi:[0,0,1]
	v_mov_b32_e32 v71, v77
	s_delay_alu instid0(VALU_DEP_1)
	v_pk_add_f32 v[66:67], v[66:67], v[70:71]
	s_and_not1_b32 exec_lo, exec_lo, s20
	s_cbranch_execnz .LBB30_42
; %bb.43:
	s_or_b32 exec_lo, exec_lo, s20
.LBB30_44:
	s_delay_alu instid0(SALU_CYCLE_1) | instskip(SKIP_4) | instid1(VALU_DEP_1)
	s_or_b32 exec_lo, exec_lo, s19
	v_mov_b32_e32 v68, 0
	ds_load_b64 v[68:69], v68 offset:208
	s_wait_dscnt 0x0
	v_pk_mul_f32 v[70:71], v[66:67], v[68:69] op_sel:[1,1] op_sel_hi:[0,1]
	v_pk_fma_f32 v[72:73], v[66:67], v[68:69], v[70:71] op_sel_hi:[1,0,1]
	v_pk_fma_f32 v[66:67], v[66:67], v[68:69], v[70:71] neg_lo:[0,0,1] neg_hi:[0,0,1]
	s_delay_alu instid0(VALU_DEP_2)
	v_mov_b32_e32 v67, v73
	scratch_store_b64 off, v[66:67], off offset:208
.LBB30_45:
	s_wait_xcnt 0x0
	s_or_b32 exec_lo, exec_lo, s2
	scratch_load_b64 v[66:67], off, off offset:200
	v_cmp_lt_u32_e64 s1, 25, v0
	s_wait_loadcnt 0x0
	ds_store_b64 v1, v[66:67]
	s_wait_storecnt_dscnt 0x0
	s_barrier_signal -1
	s_barrier_wait -1
	s_wait_xcnt 0x0
	s_and_saveexec_b32 s2, s1
	s_cbranch_execz .LBB30_55
; %bb.46:
	s_and_not1_b32 vcc_lo, exec_lo, s3
	s_cbranch_vccnz .LBB30_48
; %bb.47:
	scratch_load_b64 v[66:67], v47, off
	ds_load_b64 v[68:69], v1
	s_wait_loadcnt_dscnt 0x0
	v_pk_mul_f32 v[70:71], v[68:69], v[66:67] op_sel:[1,1] op_sel_hi:[0,1]
	s_delay_alu instid0(VALU_DEP_1) | instskip(SKIP_1) | instid1(VALU_DEP_2)
	v_pk_fma_f32 v[72:73], v[68:69], v[66:67], v[70:71] op_sel_hi:[1,0,1]
	v_pk_fma_f32 v[66:67], v[68:69], v[66:67], v[70:71] neg_lo:[0,0,1] neg_hi:[0,0,1]
	v_mov_b32_e32 v67, v73
	s_cbranch_execz .LBB30_49
	s_branch .LBB30_50
.LBB30_48:
                                        ; implicit-def: $vgpr66_vgpr67
.LBB30_49:
	ds_load_b64 v[66:67], v1
.LBB30_50:
	s_and_saveexec_b32 s19, s0
	s_cbranch_execz .LBB30_54
; %bb.51:
	v_subrev_nc_u32_e32 v68, 26, v0
	s_movk_i32 s20, 0x1d0
	s_mov_b32 s0, 0
.LBB30_52:                              ; =>This Inner Loop Header: Depth=1
	scratch_load_b64 v[70:71], off, s18
	v_dual_mov_b32 v69, s20 :: v_dual_add_nc_u32 v68, -1, v68
	s_add_co_i32 s20, s20, 8
	s_wait_xcnt 0x0
	s_add_co_i32 s18, s18, 8
	ds_load_b64 v[72:73], v69
	v_cmp_eq_u32_e32 vcc_lo, 0, v68
	s_or_b32 s0, vcc_lo, s0
	s_wait_loadcnt_dscnt 0x0
	v_pk_mul_f32 v[74:75], v[72:73], v[70:71] op_sel:[1,1] op_sel_hi:[0,1]
	s_delay_alu instid0(VALU_DEP_1) | instskip(SKIP_1) | instid1(VALU_DEP_2)
	v_pk_fma_f32 v[76:77], v[72:73], v[70:71], v[74:75] op_sel_hi:[1,0,1]
	v_pk_fma_f32 v[70:71], v[72:73], v[70:71], v[74:75] neg_lo:[0,0,1] neg_hi:[0,0,1]
	v_mov_b32_e32 v71, v77
	s_delay_alu instid0(VALU_DEP_1)
	v_pk_add_f32 v[66:67], v[66:67], v[70:71]
	s_and_not1_b32 exec_lo, exec_lo, s0
	s_cbranch_execnz .LBB30_52
; %bb.53:
	s_or_b32 exec_lo, exec_lo, s0
.LBB30_54:
	s_delay_alu instid0(SALU_CYCLE_1) | instskip(SKIP_4) | instid1(VALU_DEP_1)
	s_or_b32 exec_lo, exec_lo, s19
	v_mov_b32_e32 v68, 0
	ds_load_b64 v[68:69], v68 offset:200
	s_wait_dscnt 0x0
	v_pk_mul_f32 v[70:71], v[66:67], v[68:69] op_sel:[1,1] op_sel_hi:[0,1]
	v_pk_fma_f32 v[72:73], v[66:67], v[68:69], v[70:71] op_sel_hi:[1,0,1]
	v_pk_fma_f32 v[66:67], v[66:67], v[68:69], v[70:71] neg_lo:[0,0,1] neg_hi:[0,0,1]
	s_delay_alu instid0(VALU_DEP_2)
	v_mov_b32_e32 v67, v73
	scratch_store_b64 off, v[66:67], off offset:200
.LBB30_55:
	s_wait_xcnt 0x0
	s_or_b32 exec_lo, exec_lo, s2
	scratch_load_b64 v[66:67], off, off offset:192
	v_cmp_lt_u32_e64 s0, 24, v0
	s_wait_loadcnt 0x0
	ds_store_b64 v1, v[66:67]
	s_wait_storecnt_dscnt 0x0
	s_barrier_signal -1
	s_barrier_wait -1
	s_wait_xcnt 0x0
	s_and_saveexec_b32 s2, s0
	s_cbranch_execz .LBB30_65
; %bb.56:
	s_and_not1_b32 vcc_lo, exec_lo, s3
	s_cbranch_vccnz .LBB30_58
; %bb.57:
	scratch_load_b64 v[66:67], v47, off
	ds_load_b64 v[68:69], v1
	s_wait_loadcnt_dscnt 0x0
	v_pk_mul_f32 v[70:71], v[68:69], v[66:67] op_sel:[1,1] op_sel_hi:[0,1]
	s_delay_alu instid0(VALU_DEP_1) | instskip(SKIP_1) | instid1(VALU_DEP_2)
	v_pk_fma_f32 v[72:73], v[68:69], v[66:67], v[70:71] op_sel_hi:[1,0,1]
	v_pk_fma_f32 v[66:67], v[68:69], v[66:67], v[70:71] neg_lo:[0,0,1] neg_hi:[0,0,1]
	v_mov_b32_e32 v67, v73
	s_cbranch_execz .LBB30_59
	s_branch .LBB30_60
.LBB30_58:
                                        ; implicit-def: $vgpr66_vgpr67
.LBB30_59:
	ds_load_b64 v[66:67], v1
.LBB30_60:
	s_and_saveexec_b32 s18, s1
	s_cbranch_execz .LBB30_64
; %bb.61:
	v_subrev_nc_u32_e32 v68, 25, v0
	s_movk_i32 s1, 0xc8
	s_movk_i32 s20, 0x1c8
	s_mov_b32 s19, 0
.LBB30_62:                              ; =>This Inner Loop Header: Depth=1
	scratch_load_b64 v[70:71], off, s1
	v_dual_mov_b32 v69, s20 :: v_dual_add_nc_u32 v68, -1, v68
	s_add_co_i32 s20, s20, 8
	s_wait_xcnt 0x0
	s_add_co_i32 s1, s1, 8
	ds_load_b64 v[72:73], v69
	v_cmp_eq_u32_e32 vcc_lo, 0, v68
	s_or_b32 s19, vcc_lo, s19
	s_wait_loadcnt_dscnt 0x0
	v_pk_mul_f32 v[74:75], v[72:73], v[70:71] op_sel:[1,1] op_sel_hi:[0,1]
	s_delay_alu instid0(VALU_DEP_1) | instskip(SKIP_1) | instid1(VALU_DEP_2)
	v_pk_fma_f32 v[76:77], v[72:73], v[70:71], v[74:75] op_sel_hi:[1,0,1]
	v_pk_fma_f32 v[70:71], v[72:73], v[70:71], v[74:75] neg_lo:[0,0,1] neg_hi:[0,0,1]
	v_mov_b32_e32 v71, v77
	s_delay_alu instid0(VALU_DEP_1)
	v_pk_add_f32 v[66:67], v[66:67], v[70:71]
	s_and_not1_b32 exec_lo, exec_lo, s19
	s_cbranch_execnz .LBB30_62
; %bb.63:
	s_or_b32 exec_lo, exec_lo, s19
.LBB30_64:
	s_delay_alu instid0(SALU_CYCLE_1) | instskip(SKIP_4) | instid1(VALU_DEP_1)
	s_or_b32 exec_lo, exec_lo, s18
	v_mov_b32_e32 v68, 0
	ds_load_b64 v[68:69], v68 offset:192
	s_wait_dscnt 0x0
	v_pk_mul_f32 v[70:71], v[66:67], v[68:69] op_sel:[1,1] op_sel_hi:[0,1]
	v_pk_fma_f32 v[72:73], v[66:67], v[68:69], v[70:71] op_sel_hi:[1,0,1]
	v_pk_fma_f32 v[66:67], v[66:67], v[68:69], v[70:71] neg_lo:[0,0,1] neg_hi:[0,0,1]
	s_delay_alu instid0(VALU_DEP_2)
	v_mov_b32_e32 v67, v73
	scratch_store_b64 off, v[66:67], off offset:192
.LBB30_65:
	s_wait_xcnt 0x0
	s_or_b32 exec_lo, exec_lo, s2
	scratch_load_b64 v[66:67], off, off offset:184
	v_cmp_lt_u32_e64 s1, 23, v0
	s_wait_loadcnt 0x0
	ds_store_b64 v1, v[66:67]
	s_wait_storecnt_dscnt 0x0
	s_barrier_signal -1
	s_barrier_wait -1
	s_wait_xcnt 0x0
	s_and_saveexec_b32 s2, s1
	s_cbranch_execz .LBB30_75
; %bb.66:
	s_and_not1_b32 vcc_lo, exec_lo, s3
	s_cbranch_vccnz .LBB30_68
; %bb.67:
	scratch_load_b64 v[66:67], v47, off
	ds_load_b64 v[68:69], v1
	s_wait_loadcnt_dscnt 0x0
	v_pk_mul_f32 v[70:71], v[68:69], v[66:67] op_sel:[1,1] op_sel_hi:[0,1]
	s_delay_alu instid0(VALU_DEP_1) | instskip(SKIP_1) | instid1(VALU_DEP_2)
	v_pk_fma_f32 v[72:73], v[68:69], v[66:67], v[70:71] op_sel_hi:[1,0,1]
	v_pk_fma_f32 v[66:67], v[68:69], v[66:67], v[70:71] neg_lo:[0,0,1] neg_hi:[0,0,1]
	v_mov_b32_e32 v67, v73
	s_cbranch_execz .LBB30_69
	s_branch .LBB30_70
.LBB30_68:
                                        ; implicit-def: $vgpr66_vgpr67
.LBB30_69:
	ds_load_b64 v[66:67], v1
.LBB30_70:
	s_and_saveexec_b32 s18, s0
	s_cbranch_execz .LBB30_74
; %bb.71:
	v_subrev_nc_u32_e32 v68, 24, v0
	s_movk_i32 s19, 0x1c0
	s_mov_b32 s0, 0
.LBB30_72:                              ; =>This Inner Loop Header: Depth=1
	scratch_load_b64 v[70:71], off, s17
	v_dual_mov_b32 v69, s19 :: v_dual_add_nc_u32 v68, -1, v68
	s_add_co_i32 s19, s19, 8
	s_wait_xcnt 0x0
	s_add_co_i32 s17, s17, 8
	ds_load_b64 v[72:73], v69
	v_cmp_eq_u32_e32 vcc_lo, 0, v68
	s_or_b32 s0, vcc_lo, s0
	s_wait_loadcnt_dscnt 0x0
	v_pk_mul_f32 v[74:75], v[72:73], v[70:71] op_sel:[1,1] op_sel_hi:[0,1]
	s_delay_alu instid0(VALU_DEP_1) | instskip(SKIP_1) | instid1(VALU_DEP_2)
	v_pk_fma_f32 v[76:77], v[72:73], v[70:71], v[74:75] op_sel_hi:[1,0,1]
	v_pk_fma_f32 v[70:71], v[72:73], v[70:71], v[74:75] neg_lo:[0,0,1] neg_hi:[0,0,1]
	v_mov_b32_e32 v71, v77
	s_delay_alu instid0(VALU_DEP_1)
	v_pk_add_f32 v[66:67], v[66:67], v[70:71]
	s_and_not1_b32 exec_lo, exec_lo, s0
	s_cbranch_execnz .LBB30_72
; %bb.73:
	s_or_b32 exec_lo, exec_lo, s0
.LBB30_74:
	s_delay_alu instid0(SALU_CYCLE_1) | instskip(SKIP_4) | instid1(VALU_DEP_1)
	s_or_b32 exec_lo, exec_lo, s18
	v_mov_b32_e32 v68, 0
	ds_load_b64 v[68:69], v68 offset:184
	s_wait_dscnt 0x0
	v_pk_mul_f32 v[70:71], v[66:67], v[68:69] op_sel:[1,1] op_sel_hi:[0,1]
	v_pk_fma_f32 v[72:73], v[66:67], v[68:69], v[70:71] op_sel_hi:[1,0,1]
	v_pk_fma_f32 v[66:67], v[66:67], v[68:69], v[70:71] neg_lo:[0,0,1] neg_hi:[0,0,1]
	s_delay_alu instid0(VALU_DEP_2)
	v_mov_b32_e32 v67, v73
	scratch_store_b64 off, v[66:67], off offset:184
.LBB30_75:
	s_wait_xcnt 0x0
	s_or_b32 exec_lo, exec_lo, s2
	scratch_load_b64 v[66:67], off, off offset:176
	v_cmp_lt_u32_e64 s0, 22, v0
	s_wait_loadcnt 0x0
	ds_store_b64 v1, v[66:67]
	s_wait_storecnt_dscnt 0x0
	s_barrier_signal -1
	s_barrier_wait -1
	s_wait_xcnt 0x0
	s_and_saveexec_b32 s2, s0
	s_cbranch_execz .LBB30_85
; %bb.76:
	s_and_not1_b32 vcc_lo, exec_lo, s3
	s_cbranch_vccnz .LBB30_78
; %bb.77:
	scratch_load_b64 v[66:67], v47, off
	ds_load_b64 v[68:69], v1
	s_wait_loadcnt_dscnt 0x0
	v_pk_mul_f32 v[70:71], v[68:69], v[66:67] op_sel:[1,1] op_sel_hi:[0,1]
	s_delay_alu instid0(VALU_DEP_1) | instskip(SKIP_1) | instid1(VALU_DEP_2)
	v_pk_fma_f32 v[72:73], v[68:69], v[66:67], v[70:71] op_sel_hi:[1,0,1]
	v_pk_fma_f32 v[66:67], v[68:69], v[66:67], v[70:71] neg_lo:[0,0,1] neg_hi:[0,0,1]
	v_mov_b32_e32 v67, v73
	s_cbranch_execz .LBB30_79
	s_branch .LBB30_80
.LBB30_78:
                                        ; implicit-def: $vgpr66_vgpr67
.LBB30_79:
	ds_load_b64 v[66:67], v1
.LBB30_80:
	s_and_saveexec_b32 s17, s1
	s_cbranch_execz .LBB30_84
; %bb.81:
	v_subrev_nc_u32_e32 v68, 23, v0
	s_movk_i32 s1, 0xb8
	s_movk_i32 s19, 0x1b8
	s_mov_b32 s18, 0
.LBB30_82:                              ; =>This Inner Loop Header: Depth=1
	scratch_load_b64 v[70:71], off, s1
	v_dual_mov_b32 v69, s19 :: v_dual_add_nc_u32 v68, -1, v68
	s_add_co_i32 s19, s19, 8
	s_wait_xcnt 0x0
	s_add_co_i32 s1, s1, 8
	ds_load_b64 v[72:73], v69
	v_cmp_eq_u32_e32 vcc_lo, 0, v68
	s_or_b32 s18, vcc_lo, s18
	s_wait_loadcnt_dscnt 0x0
	v_pk_mul_f32 v[74:75], v[72:73], v[70:71] op_sel:[1,1] op_sel_hi:[0,1]
	s_delay_alu instid0(VALU_DEP_1) | instskip(SKIP_1) | instid1(VALU_DEP_2)
	v_pk_fma_f32 v[76:77], v[72:73], v[70:71], v[74:75] op_sel_hi:[1,0,1]
	v_pk_fma_f32 v[70:71], v[72:73], v[70:71], v[74:75] neg_lo:[0,0,1] neg_hi:[0,0,1]
	v_mov_b32_e32 v71, v77
	s_delay_alu instid0(VALU_DEP_1)
	v_pk_add_f32 v[66:67], v[66:67], v[70:71]
	s_and_not1_b32 exec_lo, exec_lo, s18
	s_cbranch_execnz .LBB30_82
; %bb.83:
	s_or_b32 exec_lo, exec_lo, s18
.LBB30_84:
	s_delay_alu instid0(SALU_CYCLE_1) | instskip(SKIP_4) | instid1(VALU_DEP_1)
	s_or_b32 exec_lo, exec_lo, s17
	v_mov_b32_e32 v68, 0
	ds_load_b64 v[68:69], v68 offset:176
	s_wait_dscnt 0x0
	v_pk_mul_f32 v[70:71], v[66:67], v[68:69] op_sel:[1,1] op_sel_hi:[0,1]
	v_pk_fma_f32 v[72:73], v[66:67], v[68:69], v[70:71] op_sel_hi:[1,0,1]
	v_pk_fma_f32 v[66:67], v[66:67], v[68:69], v[70:71] neg_lo:[0,0,1] neg_hi:[0,0,1]
	s_delay_alu instid0(VALU_DEP_2)
	v_mov_b32_e32 v67, v73
	scratch_store_b64 off, v[66:67], off offset:176
.LBB30_85:
	s_wait_xcnt 0x0
	s_or_b32 exec_lo, exec_lo, s2
	scratch_load_b64 v[66:67], off, off offset:168
	v_cmp_lt_u32_e64 s1, 21, v0
	s_wait_loadcnt 0x0
	ds_store_b64 v1, v[66:67]
	s_wait_storecnt_dscnt 0x0
	s_barrier_signal -1
	s_barrier_wait -1
	s_wait_xcnt 0x0
	s_and_saveexec_b32 s2, s1
	s_cbranch_execz .LBB30_95
; %bb.86:
	s_and_not1_b32 vcc_lo, exec_lo, s3
	s_cbranch_vccnz .LBB30_88
; %bb.87:
	scratch_load_b64 v[66:67], v47, off
	ds_load_b64 v[68:69], v1
	s_wait_loadcnt_dscnt 0x0
	v_pk_mul_f32 v[70:71], v[68:69], v[66:67] op_sel:[1,1] op_sel_hi:[0,1]
	s_delay_alu instid0(VALU_DEP_1) | instskip(SKIP_1) | instid1(VALU_DEP_2)
	v_pk_fma_f32 v[72:73], v[68:69], v[66:67], v[70:71] op_sel_hi:[1,0,1]
	v_pk_fma_f32 v[66:67], v[68:69], v[66:67], v[70:71] neg_lo:[0,0,1] neg_hi:[0,0,1]
	v_mov_b32_e32 v67, v73
	s_cbranch_execz .LBB30_89
	s_branch .LBB30_90
.LBB30_88:
                                        ; implicit-def: $vgpr66_vgpr67
.LBB30_89:
	ds_load_b64 v[66:67], v1
.LBB30_90:
	s_and_saveexec_b32 s17, s0
	s_cbranch_execz .LBB30_94
; %bb.91:
	v_subrev_nc_u32_e32 v68, 22, v0
	s_movk_i32 s18, 0x1b0
	s_mov_b32 s0, 0
.LBB30_92:                              ; =>This Inner Loop Header: Depth=1
	scratch_load_b64 v[70:71], off, s16
	v_dual_mov_b32 v69, s18 :: v_dual_add_nc_u32 v68, -1, v68
	s_add_co_i32 s18, s18, 8
	s_wait_xcnt 0x0
	s_add_co_i32 s16, s16, 8
	ds_load_b64 v[72:73], v69
	v_cmp_eq_u32_e32 vcc_lo, 0, v68
	s_or_b32 s0, vcc_lo, s0
	s_wait_loadcnt_dscnt 0x0
	v_pk_mul_f32 v[74:75], v[72:73], v[70:71] op_sel:[1,1] op_sel_hi:[0,1]
	s_delay_alu instid0(VALU_DEP_1) | instskip(SKIP_1) | instid1(VALU_DEP_2)
	v_pk_fma_f32 v[76:77], v[72:73], v[70:71], v[74:75] op_sel_hi:[1,0,1]
	v_pk_fma_f32 v[70:71], v[72:73], v[70:71], v[74:75] neg_lo:[0,0,1] neg_hi:[0,0,1]
	v_mov_b32_e32 v71, v77
	s_delay_alu instid0(VALU_DEP_1)
	v_pk_add_f32 v[66:67], v[66:67], v[70:71]
	s_and_not1_b32 exec_lo, exec_lo, s0
	s_cbranch_execnz .LBB30_92
; %bb.93:
	s_or_b32 exec_lo, exec_lo, s0
.LBB30_94:
	s_delay_alu instid0(SALU_CYCLE_1) | instskip(SKIP_4) | instid1(VALU_DEP_1)
	s_or_b32 exec_lo, exec_lo, s17
	v_mov_b32_e32 v68, 0
	ds_load_b64 v[68:69], v68 offset:168
	s_wait_dscnt 0x0
	v_pk_mul_f32 v[70:71], v[66:67], v[68:69] op_sel:[1,1] op_sel_hi:[0,1]
	v_pk_fma_f32 v[72:73], v[66:67], v[68:69], v[70:71] op_sel_hi:[1,0,1]
	v_pk_fma_f32 v[66:67], v[66:67], v[68:69], v[70:71] neg_lo:[0,0,1] neg_hi:[0,0,1]
	s_delay_alu instid0(VALU_DEP_2)
	v_mov_b32_e32 v67, v73
	scratch_store_b64 off, v[66:67], off offset:168
.LBB30_95:
	s_wait_xcnt 0x0
	s_or_b32 exec_lo, exec_lo, s2
	scratch_load_b64 v[66:67], off, off offset:160
	v_cmp_lt_u32_e64 s0, 20, v0
	s_wait_loadcnt 0x0
	ds_store_b64 v1, v[66:67]
	s_wait_storecnt_dscnt 0x0
	s_barrier_signal -1
	s_barrier_wait -1
	s_wait_xcnt 0x0
	s_and_saveexec_b32 s2, s0
	s_cbranch_execz .LBB30_105
; %bb.96:
	s_and_not1_b32 vcc_lo, exec_lo, s3
	s_cbranch_vccnz .LBB30_98
; %bb.97:
	scratch_load_b64 v[66:67], v47, off
	ds_load_b64 v[68:69], v1
	s_wait_loadcnt_dscnt 0x0
	v_pk_mul_f32 v[70:71], v[68:69], v[66:67] op_sel:[1,1] op_sel_hi:[0,1]
	s_delay_alu instid0(VALU_DEP_1) | instskip(SKIP_1) | instid1(VALU_DEP_2)
	v_pk_fma_f32 v[72:73], v[68:69], v[66:67], v[70:71] op_sel_hi:[1,0,1]
	v_pk_fma_f32 v[66:67], v[68:69], v[66:67], v[70:71] neg_lo:[0,0,1] neg_hi:[0,0,1]
	v_mov_b32_e32 v67, v73
	s_cbranch_execz .LBB30_99
	s_branch .LBB30_100
.LBB30_98:
                                        ; implicit-def: $vgpr66_vgpr67
.LBB30_99:
	ds_load_b64 v[66:67], v1
.LBB30_100:
	s_and_saveexec_b32 s16, s1
	s_cbranch_execz .LBB30_104
; %bb.101:
	v_subrev_nc_u32_e32 v68, 21, v0
	s_movk_i32 s1, 0xa8
	s_movk_i32 s18, 0x1a8
	s_mov_b32 s17, 0
.LBB30_102:                             ; =>This Inner Loop Header: Depth=1
	scratch_load_b64 v[70:71], off, s1
	v_dual_mov_b32 v69, s18 :: v_dual_add_nc_u32 v68, -1, v68
	s_add_co_i32 s18, s18, 8
	s_wait_xcnt 0x0
	s_add_co_i32 s1, s1, 8
	ds_load_b64 v[72:73], v69
	v_cmp_eq_u32_e32 vcc_lo, 0, v68
	s_or_b32 s17, vcc_lo, s17
	s_wait_loadcnt_dscnt 0x0
	v_pk_mul_f32 v[74:75], v[72:73], v[70:71] op_sel:[1,1] op_sel_hi:[0,1]
	s_delay_alu instid0(VALU_DEP_1) | instskip(SKIP_1) | instid1(VALU_DEP_2)
	v_pk_fma_f32 v[76:77], v[72:73], v[70:71], v[74:75] op_sel_hi:[1,0,1]
	v_pk_fma_f32 v[70:71], v[72:73], v[70:71], v[74:75] neg_lo:[0,0,1] neg_hi:[0,0,1]
	v_mov_b32_e32 v71, v77
	s_delay_alu instid0(VALU_DEP_1)
	v_pk_add_f32 v[66:67], v[66:67], v[70:71]
	s_and_not1_b32 exec_lo, exec_lo, s17
	s_cbranch_execnz .LBB30_102
; %bb.103:
	s_or_b32 exec_lo, exec_lo, s17
.LBB30_104:
	s_delay_alu instid0(SALU_CYCLE_1) | instskip(SKIP_4) | instid1(VALU_DEP_1)
	s_or_b32 exec_lo, exec_lo, s16
	v_mov_b32_e32 v68, 0
	ds_load_b64 v[68:69], v68 offset:160
	s_wait_dscnt 0x0
	v_pk_mul_f32 v[70:71], v[66:67], v[68:69] op_sel:[1,1] op_sel_hi:[0,1]
	v_pk_fma_f32 v[72:73], v[66:67], v[68:69], v[70:71] op_sel_hi:[1,0,1]
	v_pk_fma_f32 v[66:67], v[66:67], v[68:69], v[70:71] neg_lo:[0,0,1] neg_hi:[0,0,1]
	s_delay_alu instid0(VALU_DEP_2)
	v_mov_b32_e32 v67, v73
	scratch_store_b64 off, v[66:67], off offset:160
.LBB30_105:
	s_wait_xcnt 0x0
	s_or_b32 exec_lo, exec_lo, s2
	scratch_load_b64 v[66:67], off, off offset:152
	v_cmp_lt_u32_e64 s1, 19, v0
	s_wait_loadcnt 0x0
	ds_store_b64 v1, v[66:67]
	s_wait_storecnt_dscnt 0x0
	s_barrier_signal -1
	s_barrier_wait -1
	s_wait_xcnt 0x0
	s_and_saveexec_b32 s2, s1
	s_cbranch_execz .LBB30_115
; %bb.106:
	s_and_not1_b32 vcc_lo, exec_lo, s3
	s_cbranch_vccnz .LBB30_108
; %bb.107:
	scratch_load_b64 v[66:67], v47, off
	ds_load_b64 v[68:69], v1
	s_wait_loadcnt_dscnt 0x0
	v_pk_mul_f32 v[70:71], v[68:69], v[66:67] op_sel:[1,1] op_sel_hi:[0,1]
	s_delay_alu instid0(VALU_DEP_1) | instskip(SKIP_1) | instid1(VALU_DEP_2)
	v_pk_fma_f32 v[72:73], v[68:69], v[66:67], v[70:71] op_sel_hi:[1,0,1]
	v_pk_fma_f32 v[66:67], v[68:69], v[66:67], v[70:71] neg_lo:[0,0,1] neg_hi:[0,0,1]
	v_mov_b32_e32 v67, v73
	s_cbranch_execz .LBB30_109
	s_branch .LBB30_110
.LBB30_108:
                                        ; implicit-def: $vgpr66_vgpr67
.LBB30_109:
	ds_load_b64 v[66:67], v1
.LBB30_110:
	s_and_saveexec_b32 s16, s0
	s_cbranch_execz .LBB30_114
; %bb.111:
	v_subrev_nc_u32_e32 v68, 20, v0
	s_movk_i32 s17, 0x1a0
	s_mov_b32 s0, 0
.LBB30_112:                             ; =>This Inner Loop Header: Depth=1
	scratch_load_b64 v[70:71], off, s15
	v_dual_mov_b32 v69, s17 :: v_dual_add_nc_u32 v68, -1, v68
	s_add_co_i32 s17, s17, 8
	s_wait_xcnt 0x0
	s_add_co_i32 s15, s15, 8
	ds_load_b64 v[72:73], v69
	v_cmp_eq_u32_e32 vcc_lo, 0, v68
	s_or_b32 s0, vcc_lo, s0
	s_wait_loadcnt_dscnt 0x0
	v_pk_mul_f32 v[74:75], v[72:73], v[70:71] op_sel:[1,1] op_sel_hi:[0,1]
	s_delay_alu instid0(VALU_DEP_1) | instskip(SKIP_1) | instid1(VALU_DEP_2)
	v_pk_fma_f32 v[76:77], v[72:73], v[70:71], v[74:75] op_sel_hi:[1,0,1]
	v_pk_fma_f32 v[70:71], v[72:73], v[70:71], v[74:75] neg_lo:[0,0,1] neg_hi:[0,0,1]
	v_mov_b32_e32 v71, v77
	s_delay_alu instid0(VALU_DEP_1)
	v_pk_add_f32 v[66:67], v[66:67], v[70:71]
	s_and_not1_b32 exec_lo, exec_lo, s0
	s_cbranch_execnz .LBB30_112
; %bb.113:
	s_or_b32 exec_lo, exec_lo, s0
.LBB30_114:
	s_delay_alu instid0(SALU_CYCLE_1) | instskip(SKIP_4) | instid1(VALU_DEP_1)
	s_or_b32 exec_lo, exec_lo, s16
	v_mov_b32_e32 v68, 0
	ds_load_b64 v[68:69], v68 offset:152
	s_wait_dscnt 0x0
	v_pk_mul_f32 v[70:71], v[66:67], v[68:69] op_sel:[1,1] op_sel_hi:[0,1]
	v_pk_fma_f32 v[72:73], v[66:67], v[68:69], v[70:71] op_sel_hi:[1,0,1]
	v_pk_fma_f32 v[66:67], v[66:67], v[68:69], v[70:71] neg_lo:[0,0,1] neg_hi:[0,0,1]
	s_delay_alu instid0(VALU_DEP_2)
	v_mov_b32_e32 v67, v73
	scratch_store_b64 off, v[66:67], off offset:152
.LBB30_115:
	s_wait_xcnt 0x0
	s_or_b32 exec_lo, exec_lo, s2
	scratch_load_b64 v[66:67], off, off offset:144
	v_cmp_lt_u32_e64 s0, 18, v0
	s_wait_loadcnt 0x0
	ds_store_b64 v1, v[66:67]
	s_wait_storecnt_dscnt 0x0
	s_barrier_signal -1
	s_barrier_wait -1
	s_wait_xcnt 0x0
	s_and_saveexec_b32 s2, s0
	s_cbranch_execz .LBB30_125
; %bb.116:
	s_and_not1_b32 vcc_lo, exec_lo, s3
	s_cbranch_vccnz .LBB30_118
; %bb.117:
	scratch_load_b64 v[66:67], v47, off
	ds_load_b64 v[68:69], v1
	s_wait_loadcnt_dscnt 0x0
	v_pk_mul_f32 v[70:71], v[68:69], v[66:67] op_sel:[1,1] op_sel_hi:[0,1]
	s_delay_alu instid0(VALU_DEP_1) | instskip(SKIP_1) | instid1(VALU_DEP_2)
	v_pk_fma_f32 v[72:73], v[68:69], v[66:67], v[70:71] op_sel_hi:[1,0,1]
	v_pk_fma_f32 v[66:67], v[68:69], v[66:67], v[70:71] neg_lo:[0,0,1] neg_hi:[0,0,1]
	v_mov_b32_e32 v67, v73
	s_cbranch_execz .LBB30_119
	s_branch .LBB30_120
.LBB30_118:
                                        ; implicit-def: $vgpr66_vgpr67
.LBB30_119:
	ds_load_b64 v[66:67], v1
.LBB30_120:
	s_and_saveexec_b32 s15, s1
	s_cbranch_execz .LBB30_124
; %bb.121:
	v_subrev_nc_u32_e32 v68, 19, v0
	s_movk_i32 s1, 0x98
	s_movk_i32 s17, 0x198
	s_mov_b32 s16, 0
.LBB30_122:                             ; =>This Inner Loop Header: Depth=1
	scratch_load_b64 v[70:71], off, s1
	v_dual_mov_b32 v69, s17 :: v_dual_add_nc_u32 v68, -1, v68
	s_add_co_i32 s17, s17, 8
	s_wait_xcnt 0x0
	s_add_co_i32 s1, s1, 8
	ds_load_b64 v[72:73], v69
	v_cmp_eq_u32_e32 vcc_lo, 0, v68
	s_or_b32 s16, vcc_lo, s16
	s_wait_loadcnt_dscnt 0x0
	v_pk_mul_f32 v[74:75], v[72:73], v[70:71] op_sel:[1,1] op_sel_hi:[0,1]
	s_delay_alu instid0(VALU_DEP_1) | instskip(SKIP_1) | instid1(VALU_DEP_2)
	v_pk_fma_f32 v[76:77], v[72:73], v[70:71], v[74:75] op_sel_hi:[1,0,1]
	v_pk_fma_f32 v[70:71], v[72:73], v[70:71], v[74:75] neg_lo:[0,0,1] neg_hi:[0,0,1]
	v_mov_b32_e32 v71, v77
	s_delay_alu instid0(VALU_DEP_1)
	v_pk_add_f32 v[66:67], v[66:67], v[70:71]
	s_and_not1_b32 exec_lo, exec_lo, s16
	s_cbranch_execnz .LBB30_122
; %bb.123:
	s_or_b32 exec_lo, exec_lo, s16
.LBB30_124:
	s_delay_alu instid0(SALU_CYCLE_1) | instskip(SKIP_4) | instid1(VALU_DEP_1)
	s_or_b32 exec_lo, exec_lo, s15
	v_mov_b32_e32 v68, 0
	ds_load_b64 v[68:69], v68 offset:144
	s_wait_dscnt 0x0
	v_pk_mul_f32 v[70:71], v[66:67], v[68:69] op_sel:[1,1] op_sel_hi:[0,1]
	v_pk_fma_f32 v[72:73], v[66:67], v[68:69], v[70:71] op_sel_hi:[1,0,1]
	v_pk_fma_f32 v[66:67], v[66:67], v[68:69], v[70:71] neg_lo:[0,0,1] neg_hi:[0,0,1]
	s_delay_alu instid0(VALU_DEP_2)
	v_mov_b32_e32 v67, v73
	scratch_store_b64 off, v[66:67], off offset:144
.LBB30_125:
	s_wait_xcnt 0x0
	s_or_b32 exec_lo, exec_lo, s2
	scratch_load_b64 v[66:67], off, off offset:136
	v_cmp_lt_u32_e64 s1, 17, v0
	s_wait_loadcnt 0x0
	ds_store_b64 v1, v[66:67]
	s_wait_storecnt_dscnt 0x0
	s_barrier_signal -1
	s_barrier_wait -1
	s_wait_xcnt 0x0
	s_and_saveexec_b32 s2, s1
	s_cbranch_execz .LBB30_135
; %bb.126:
	s_and_not1_b32 vcc_lo, exec_lo, s3
	s_cbranch_vccnz .LBB30_128
; %bb.127:
	scratch_load_b64 v[66:67], v47, off
	ds_load_b64 v[68:69], v1
	s_wait_loadcnt_dscnt 0x0
	v_pk_mul_f32 v[70:71], v[68:69], v[66:67] op_sel:[1,1] op_sel_hi:[0,1]
	s_delay_alu instid0(VALU_DEP_1) | instskip(SKIP_1) | instid1(VALU_DEP_2)
	v_pk_fma_f32 v[72:73], v[68:69], v[66:67], v[70:71] op_sel_hi:[1,0,1]
	v_pk_fma_f32 v[66:67], v[68:69], v[66:67], v[70:71] neg_lo:[0,0,1] neg_hi:[0,0,1]
	v_mov_b32_e32 v67, v73
	s_cbranch_execz .LBB30_129
	s_branch .LBB30_130
.LBB30_128:
                                        ; implicit-def: $vgpr66_vgpr67
.LBB30_129:
	ds_load_b64 v[66:67], v1
.LBB30_130:
	s_and_saveexec_b32 s15, s0
	s_cbranch_execz .LBB30_134
; %bb.131:
	v_subrev_nc_u32_e32 v68, 18, v0
	s_movk_i32 s16, 0x190
	s_mov_b32 s0, 0
.LBB30_132:                             ; =>This Inner Loop Header: Depth=1
	scratch_load_b64 v[70:71], off, s14
	v_dual_mov_b32 v69, s16 :: v_dual_add_nc_u32 v68, -1, v68
	s_add_co_i32 s16, s16, 8
	s_wait_xcnt 0x0
	s_add_co_i32 s14, s14, 8
	ds_load_b64 v[72:73], v69
	v_cmp_eq_u32_e32 vcc_lo, 0, v68
	s_or_b32 s0, vcc_lo, s0
	s_wait_loadcnt_dscnt 0x0
	v_pk_mul_f32 v[74:75], v[72:73], v[70:71] op_sel:[1,1] op_sel_hi:[0,1]
	s_delay_alu instid0(VALU_DEP_1) | instskip(SKIP_1) | instid1(VALU_DEP_2)
	v_pk_fma_f32 v[76:77], v[72:73], v[70:71], v[74:75] op_sel_hi:[1,0,1]
	v_pk_fma_f32 v[70:71], v[72:73], v[70:71], v[74:75] neg_lo:[0,0,1] neg_hi:[0,0,1]
	v_mov_b32_e32 v71, v77
	s_delay_alu instid0(VALU_DEP_1)
	v_pk_add_f32 v[66:67], v[66:67], v[70:71]
	s_and_not1_b32 exec_lo, exec_lo, s0
	s_cbranch_execnz .LBB30_132
; %bb.133:
	s_or_b32 exec_lo, exec_lo, s0
.LBB30_134:
	s_delay_alu instid0(SALU_CYCLE_1) | instskip(SKIP_4) | instid1(VALU_DEP_1)
	s_or_b32 exec_lo, exec_lo, s15
	v_mov_b32_e32 v68, 0
	ds_load_b64 v[68:69], v68 offset:136
	s_wait_dscnt 0x0
	v_pk_mul_f32 v[70:71], v[66:67], v[68:69] op_sel:[1,1] op_sel_hi:[0,1]
	v_pk_fma_f32 v[72:73], v[66:67], v[68:69], v[70:71] op_sel_hi:[1,0,1]
	v_pk_fma_f32 v[66:67], v[66:67], v[68:69], v[70:71] neg_lo:[0,0,1] neg_hi:[0,0,1]
	s_delay_alu instid0(VALU_DEP_2)
	v_mov_b32_e32 v67, v73
	scratch_store_b64 off, v[66:67], off offset:136
.LBB30_135:
	s_wait_xcnt 0x0
	s_or_b32 exec_lo, exec_lo, s2
	scratch_load_b64 v[66:67], off, off offset:128
	v_cmp_lt_u32_e64 s0, 16, v0
	s_wait_loadcnt 0x0
	ds_store_b64 v1, v[66:67]
	s_wait_storecnt_dscnt 0x0
	s_barrier_signal -1
	s_barrier_wait -1
	s_wait_xcnt 0x0
	s_and_saveexec_b32 s2, s0
	s_cbranch_execz .LBB30_145
; %bb.136:
	s_and_not1_b32 vcc_lo, exec_lo, s3
	s_cbranch_vccnz .LBB30_138
; %bb.137:
	scratch_load_b64 v[66:67], v47, off
	ds_load_b64 v[68:69], v1
	s_wait_loadcnt_dscnt 0x0
	v_pk_mul_f32 v[70:71], v[68:69], v[66:67] op_sel:[1,1] op_sel_hi:[0,1]
	s_delay_alu instid0(VALU_DEP_1) | instskip(SKIP_1) | instid1(VALU_DEP_2)
	v_pk_fma_f32 v[72:73], v[68:69], v[66:67], v[70:71] op_sel_hi:[1,0,1]
	v_pk_fma_f32 v[66:67], v[68:69], v[66:67], v[70:71] neg_lo:[0,0,1] neg_hi:[0,0,1]
	v_mov_b32_e32 v67, v73
	s_cbranch_execz .LBB30_139
	s_branch .LBB30_140
.LBB30_138:
                                        ; implicit-def: $vgpr66_vgpr67
.LBB30_139:
	ds_load_b64 v[66:67], v1
.LBB30_140:
	s_and_saveexec_b32 s14, s1
	s_cbranch_execz .LBB30_144
; %bb.141:
	v_subrev_nc_u32_e32 v68, 17, v0
	s_movk_i32 s1, 0x88
	s_movk_i32 s16, 0x188
	s_mov_b32 s15, 0
.LBB30_142:                             ; =>This Inner Loop Header: Depth=1
	scratch_load_b64 v[70:71], off, s1
	v_dual_mov_b32 v69, s16 :: v_dual_add_nc_u32 v68, -1, v68
	s_add_co_i32 s16, s16, 8
	s_wait_xcnt 0x0
	s_add_co_i32 s1, s1, 8
	ds_load_b64 v[72:73], v69
	v_cmp_eq_u32_e32 vcc_lo, 0, v68
	s_or_b32 s15, vcc_lo, s15
	s_wait_loadcnt_dscnt 0x0
	v_pk_mul_f32 v[74:75], v[72:73], v[70:71] op_sel:[1,1] op_sel_hi:[0,1]
	s_delay_alu instid0(VALU_DEP_1) | instskip(SKIP_1) | instid1(VALU_DEP_2)
	v_pk_fma_f32 v[76:77], v[72:73], v[70:71], v[74:75] op_sel_hi:[1,0,1]
	v_pk_fma_f32 v[70:71], v[72:73], v[70:71], v[74:75] neg_lo:[0,0,1] neg_hi:[0,0,1]
	v_mov_b32_e32 v71, v77
	s_delay_alu instid0(VALU_DEP_1)
	v_pk_add_f32 v[66:67], v[66:67], v[70:71]
	s_and_not1_b32 exec_lo, exec_lo, s15
	s_cbranch_execnz .LBB30_142
; %bb.143:
	s_or_b32 exec_lo, exec_lo, s15
.LBB30_144:
	s_delay_alu instid0(SALU_CYCLE_1) | instskip(SKIP_4) | instid1(VALU_DEP_1)
	s_or_b32 exec_lo, exec_lo, s14
	v_mov_b32_e32 v68, 0
	ds_load_b64 v[68:69], v68 offset:128
	s_wait_dscnt 0x0
	v_pk_mul_f32 v[70:71], v[66:67], v[68:69] op_sel:[1,1] op_sel_hi:[0,1]
	v_pk_fma_f32 v[72:73], v[66:67], v[68:69], v[70:71] op_sel_hi:[1,0,1]
	v_pk_fma_f32 v[66:67], v[66:67], v[68:69], v[70:71] neg_lo:[0,0,1] neg_hi:[0,0,1]
	s_delay_alu instid0(VALU_DEP_2)
	v_mov_b32_e32 v67, v73
	scratch_store_b64 off, v[66:67], off offset:128
.LBB30_145:
	s_wait_xcnt 0x0
	s_or_b32 exec_lo, exec_lo, s2
	scratch_load_b64 v[66:67], off, off offset:120
	v_cmp_lt_u32_e64 s1, 15, v0
	s_wait_loadcnt 0x0
	ds_store_b64 v1, v[66:67]
	s_wait_storecnt_dscnt 0x0
	s_barrier_signal -1
	s_barrier_wait -1
	s_wait_xcnt 0x0
	s_and_saveexec_b32 s2, s1
	s_cbranch_execz .LBB30_155
; %bb.146:
	s_and_not1_b32 vcc_lo, exec_lo, s3
	s_cbranch_vccnz .LBB30_148
; %bb.147:
	scratch_load_b64 v[66:67], v47, off
	ds_load_b64 v[68:69], v1
	s_wait_loadcnt_dscnt 0x0
	v_pk_mul_f32 v[70:71], v[68:69], v[66:67] op_sel:[1,1] op_sel_hi:[0,1]
	s_delay_alu instid0(VALU_DEP_1) | instskip(SKIP_1) | instid1(VALU_DEP_2)
	v_pk_fma_f32 v[72:73], v[68:69], v[66:67], v[70:71] op_sel_hi:[1,0,1]
	v_pk_fma_f32 v[66:67], v[68:69], v[66:67], v[70:71] neg_lo:[0,0,1] neg_hi:[0,0,1]
	v_mov_b32_e32 v67, v73
	s_cbranch_execz .LBB30_149
	s_branch .LBB30_150
.LBB30_148:
                                        ; implicit-def: $vgpr66_vgpr67
.LBB30_149:
	ds_load_b64 v[66:67], v1
.LBB30_150:
	s_and_saveexec_b32 s14, s0
	s_cbranch_execz .LBB30_154
; %bb.151:
	v_add_nc_u32_e32 v68, -16, v0
	s_movk_i32 s15, 0x180
	s_mov_b32 s0, 0
.LBB30_152:                             ; =>This Inner Loop Header: Depth=1
	scratch_load_b64 v[70:71], off, s13
	v_dual_mov_b32 v69, s15 :: v_dual_add_nc_u32 v68, -1, v68
	s_add_co_i32 s15, s15, 8
	s_wait_xcnt 0x0
	s_add_co_i32 s13, s13, 8
	ds_load_b64 v[72:73], v69
	v_cmp_eq_u32_e32 vcc_lo, 0, v68
	s_or_b32 s0, vcc_lo, s0
	s_wait_loadcnt_dscnt 0x0
	v_pk_mul_f32 v[74:75], v[72:73], v[70:71] op_sel:[1,1] op_sel_hi:[0,1]
	s_delay_alu instid0(VALU_DEP_1) | instskip(SKIP_1) | instid1(VALU_DEP_2)
	v_pk_fma_f32 v[76:77], v[72:73], v[70:71], v[74:75] op_sel_hi:[1,0,1]
	v_pk_fma_f32 v[70:71], v[72:73], v[70:71], v[74:75] neg_lo:[0,0,1] neg_hi:[0,0,1]
	v_mov_b32_e32 v71, v77
	s_delay_alu instid0(VALU_DEP_1)
	v_pk_add_f32 v[66:67], v[66:67], v[70:71]
	s_and_not1_b32 exec_lo, exec_lo, s0
	s_cbranch_execnz .LBB30_152
; %bb.153:
	s_or_b32 exec_lo, exec_lo, s0
.LBB30_154:
	s_delay_alu instid0(SALU_CYCLE_1) | instskip(SKIP_4) | instid1(VALU_DEP_1)
	s_or_b32 exec_lo, exec_lo, s14
	v_mov_b32_e32 v68, 0
	ds_load_b64 v[68:69], v68 offset:120
	s_wait_dscnt 0x0
	v_pk_mul_f32 v[70:71], v[66:67], v[68:69] op_sel:[1,1] op_sel_hi:[0,1]
	v_pk_fma_f32 v[72:73], v[66:67], v[68:69], v[70:71] op_sel_hi:[1,0,1]
	v_pk_fma_f32 v[66:67], v[66:67], v[68:69], v[70:71] neg_lo:[0,0,1] neg_hi:[0,0,1]
	s_delay_alu instid0(VALU_DEP_2)
	v_mov_b32_e32 v67, v73
	scratch_store_b64 off, v[66:67], off offset:120
.LBB30_155:
	s_wait_xcnt 0x0
	s_or_b32 exec_lo, exec_lo, s2
	scratch_load_b64 v[66:67], off, off offset:112
	v_cmp_lt_u32_e64 s0, 14, v0
	s_wait_loadcnt 0x0
	ds_store_b64 v1, v[66:67]
	s_wait_storecnt_dscnt 0x0
	s_barrier_signal -1
	s_barrier_wait -1
	s_wait_xcnt 0x0
	s_and_saveexec_b32 s2, s0
	s_cbranch_execz .LBB30_165
; %bb.156:
	s_and_not1_b32 vcc_lo, exec_lo, s3
	s_cbranch_vccnz .LBB30_158
; %bb.157:
	scratch_load_b64 v[66:67], v47, off
	ds_load_b64 v[68:69], v1
	s_wait_loadcnt_dscnt 0x0
	v_pk_mul_f32 v[70:71], v[68:69], v[66:67] op_sel:[1,1] op_sel_hi:[0,1]
	s_delay_alu instid0(VALU_DEP_1) | instskip(SKIP_1) | instid1(VALU_DEP_2)
	v_pk_fma_f32 v[72:73], v[68:69], v[66:67], v[70:71] op_sel_hi:[1,0,1]
	v_pk_fma_f32 v[66:67], v[68:69], v[66:67], v[70:71] neg_lo:[0,0,1] neg_hi:[0,0,1]
	v_mov_b32_e32 v67, v73
	s_cbranch_execz .LBB30_159
	s_branch .LBB30_160
.LBB30_158:
                                        ; implicit-def: $vgpr66_vgpr67
.LBB30_159:
	ds_load_b64 v[66:67], v1
.LBB30_160:
	s_and_saveexec_b32 s13, s1
	s_cbranch_execz .LBB30_164
; %bb.161:
	v_add_nc_u32_e32 v68, -15, v0
	s_movk_i32 s1, 0x78
	s_movk_i32 s15, 0x178
	s_mov_b32 s14, 0
.LBB30_162:                             ; =>This Inner Loop Header: Depth=1
	scratch_load_b64 v[70:71], off, s1
	v_dual_mov_b32 v69, s15 :: v_dual_add_nc_u32 v68, -1, v68
	s_add_co_i32 s15, s15, 8
	s_wait_xcnt 0x0
	s_add_co_i32 s1, s1, 8
	ds_load_b64 v[72:73], v69
	v_cmp_eq_u32_e32 vcc_lo, 0, v68
	s_or_b32 s14, vcc_lo, s14
	s_wait_loadcnt_dscnt 0x0
	v_pk_mul_f32 v[74:75], v[72:73], v[70:71] op_sel:[1,1] op_sel_hi:[0,1]
	s_delay_alu instid0(VALU_DEP_1) | instskip(SKIP_1) | instid1(VALU_DEP_2)
	v_pk_fma_f32 v[76:77], v[72:73], v[70:71], v[74:75] op_sel_hi:[1,0,1]
	v_pk_fma_f32 v[70:71], v[72:73], v[70:71], v[74:75] neg_lo:[0,0,1] neg_hi:[0,0,1]
	v_mov_b32_e32 v71, v77
	s_delay_alu instid0(VALU_DEP_1)
	v_pk_add_f32 v[66:67], v[66:67], v[70:71]
	s_and_not1_b32 exec_lo, exec_lo, s14
	s_cbranch_execnz .LBB30_162
; %bb.163:
	s_or_b32 exec_lo, exec_lo, s14
.LBB30_164:
	s_delay_alu instid0(SALU_CYCLE_1) | instskip(SKIP_4) | instid1(VALU_DEP_1)
	s_or_b32 exec_lo, exec_lo, s13
	v_mov_b32_e32 v68, 0
	ds_load_b64 v[68:69], v68 offset:112
	s_wait_dscnt 0x0
	v_pk_mul_f32 v[70:71], v[66:67], v[68:69] op_sel:[1,1] op_sel_hi:[0,1]
	v_pk_fma_f32 v[72:73], v[66:67], v[68:69], v[70:71] op_sel_hi:[1,0,1]
	v_pk_fma_f32 v[66:67], v[66:67], v[68:69], v[70:71] neg_lo:[0,0,1] neg_hi:[0,0,1]
	s_delay_alu instid0(VALU_DEP_2)
	v_mov_b32_e32 v67, v73
	scratch_store_b64 off, v[66:67], off offset:112
.LBB30_165:
	s_wait_xcnt 0x0
	s_or_b32 exec_lo, exec_lo, s2
	scratch_load_b64 v[66:67], off, off offset:104
	v_cmp_lt_u32_e64 s1, 13, v0
	s_wait_loadcnt 0x0
	ds_store_b64 v1, v[66:67]
	s_wait_storecnt_dscnt 0x0
	s_barrier_signal -1
	s_barrier_wait -1
	s_wait_xcnt 0x0
	s_and_saveexec_b32 s2, s1
	s_cbranch_execz .LBB30_175
; %bb.166:
	s_and_not1_b32 vcc_lo, exec_lo, s3
	s_cbranch_vccnz .LBB30_168
; %bb.167:
	scratch_load_b64 v[66:67], v47, off
	ds_load_b64 v[68:69], v1
	s_wait_loadcnt_dscnt 0x0
	v_pk_mul_f32 v[70:71], v[68:69], v[66:67] op_sel:[1,1] op_sel_hi:[0,1]
	s_delay_alu instid0(VALU_DEP_1) | instskip(SKIP_1) | instid1(VALU_DEP_2)
	v_pk_fma_f32 v[72:73], v[68:69], v[66:67], v[70:71] op_sel_hi:[1,0,1]
	v_pk_fma_f32 v[66:67], v[68:69], v[66:67], v[70:71] neg_lo:[0,0,1] neg_hi:[0,0,1]
	v_mov_b32_e32 v67, v73
	s_cbranch_execz .LBB30_169
	s_branch .LBB30_170
.LBB30_168:
                                        ; implicit-def: $vgpr66_vgpr67
.LBB30_169:
	ds_load_b64 v[66:67], v1
.LBB30_170:
	s_and_saveexec_b32 s13, s0
	s_cbranch_execz .LBB30_174
; %bb.171:
	v_add_nc_u32_e32 v68, -14, v0
	s_movk_i32 s14, 0x170
	s_mov_b32 s0, 0
.LBB30_172:                             ; =>This Inner Loop Header: Depth=1
	scratch_load_b64 v[70:71], off, s12
	v_dual_mov_b32 v69, s14 :: v_dual_add_nc_u32 v68, -1, v68
	s_add_co_i32 s14, s14, 8
	s_wait_xcnt 0x0
	s_add_co_i32 s12, s12, 8
	ds_load_b64 v[72:73], v69
	v_cmp_eq_u32_e32 vcc_lo, 0, v68
	s_or_b32 s0, vcc_lo, s0
	s_wait_loadcnt_dscnt 0x0
	v_pk_mul_f32 v[74:75], v[72:73], v[70:71] op_sel:[1,1] op_sel_hi:[0,1]
	s_delay_alu instid0(VALU_DEP_1) | instskip(SKIP_1) | instid1(VALU_DEP_2)
	v_pk_fma_f32 v[76:77], v[72:73], v[70:71], v[74:75] op_sel_hi:[1,0,1]
	v_pk_fma_f32 v[70:71], v[72:73], v[70:71], v[74:75] neg_lo:[0,0,1] neg_hi:[0,0,1]
	v_mov_b32_e32 v71, v77
	s_delay_alu instid0(VALU_DEP_1)
	v_pk_add_f32 v[66:67], v[66:67], v[70:71]
	s_and_not1_b32 exec_lo, exec_lo, s0
	s_cbranch_execnz .LBB30_172
; %bb.173:
	s_or_b32 exec_lo, exec_lo, s0
.LBB30_174:
	s_delay_alu instid0(SALU_CYCLE_1) | instskip(SKIP_4) | instid1(VALU_DEP_1)
	s_or_b32 exec_lo, exec_lo, s13
	v_mov_b32_e32 v68, 0
	ds_load_b64 v[68:69], v68 offset:104
	s_wait_dscnt 0x0
	v_pk_mul_f32 v[70:71], v[66:67], v[68:69] op_sel:[1,1] op_sel_hi:[0,1]
	v_pk_fma_f32 v[72:73], v[66:67], v[68:69], v[70:71] op_sel_hi:[1,0,1]
	v_pk_fma_f32 v[66:67], v[66:67], v[68:69], v[70:71] neg_lo:[0,0,1] neg_hi:[0,0,1]
	s_delay_alu instid0(VALU_DEP_2)
	v_mov_b32_e32 v67, v73
	scratch_store_b64 off, v[66:67], off offset:104
.LBB30_175:
	s_wait_xcnt 0x0
	s_or_b32 exec_lo, exec_lo, s2
	scratch_load_b64 v[66:67], off, off offset:96
	v_cmp_lt_u32_e64 s0, 12, v0
	s_wait_loadcnt 0x0
	ds_store_b64 v1, v[66:67]
	s_wait_storecnt_dscnt 0x0
	s_barrier_signal -1
	s_barrier_wait -1
	s_wait_xcnt 0x0
	s_and_saveexec_b32 s2, s0
	s_cbranch_execz .LBB30_185
; %bb.176:
	s_and_not1_b32 vcc_lo, exec_lo, s3
	s_cbranch_vccnz .LBB30_178
; %bb.177:
	scratch_load_b64 v[66:67], v47, off
	ds_load_b64 v[68:69], v1
	s_wait_loadcnt_dscnt 0x0
	v_pk_mul_f32 v[70:71], v[68:69], v[66:67] op_sel:[1,1] op_sel_hi:[0,1]
	s_delay_alu instid0(VALU_DEP_1) | instskip(SKIP_1) | instid1(VALU_DEP_2)
	v_pk_fma_f32 v[72:73], v[68:69], v[66:67], v[70:71] op_sel_hi:[1,0,1]
	v_pk_fma_f32 v[66:67], v[68:69], v[66:67], v[70:71] neg_lo:[0,0,1] neg_hi:[0,0,1]
	v_mov_b32_e32 v67, v73
	s_cbranch_execz .LBB30_179
	s_branch .LBB30_180
.LBB30_178:
                                        ; implicit-def: $vgpr66_vgpr67
.LBB30_179:
	ds_load_b64 v[66:67], v1
.LBB30_180:
	s_and_saveexec_b32 s12, s1
	s_cbranch_execz .LBB30_184
; %bb.181:
	v_add_nc_u32_e32 v68, -13, v0
	s_movk_i32 s1, 0x68
	s_movk_i32 s14, 0x168
	s_mov_b32 s13, 0
.LBB30_182:                             ; =>This Inner Loop Header: Depth=1
	scratch_load_b64 v[70:71], off, s1
	v_dual_mov_b32 v69, s14 :: v_dual_add_nc_u32 v68, -1, v68
	s_add_co_i32 s14, s14, 8
	s_wait_xcnt 0x0
	s_add_co_i32 s1, s1, 8
	ds_load_b64 v[72:73], v69
	v_cmp_eq_u32_e32 vcc_lo, 0, v68
	s_or_b32 s13, vcc_lo, s13
	s_wait_loadcnt_dscnt 0x0
	v_pk_mul_f32 v[74:75], v[72:73], v[70:71] op_sel:[1,1] op_sel_hi:[0,1]
	s_delay_alu instid0(VALU_DEP_1) | instskip(SKIP_1) | instid1(VALU_DEP_2)
	v_pk_fma_f32 v[76:77], v[72:73], v[70:71], v[74:75] op_sel_hi:[1,0,1]
	v_pk_fma_f32 v[70:71], v[72:73], v[70:71], v[74:75] neg_lo:[0,0,1] neg_hi:[0,0,1]
	v_mov_b32_e32 v71, v77
	s_delay_alu instid0(VALU_DEP_1)
	v_pk_add_f32 v[66:67], v[66:67], v[70:71]
	s_and_not1_b32 exec_lo, exec_lo, s13
	s_cbranch_execnz .LBB30_182
; %bb.183:
	s_or_b32 exec_lo, exec_lo, s13
.LBB30_184:
	s_delay_alu instid0(SALU_CYCLE_1) | instskip(SKIP_4) | instid1(VALU_DEP_1)
	s_or_b32 exec_lo, exec_lo, s12
	v_mov_b32_e32 v68, 0
	ds_load_b64 v[68:69], v68 offset:96
	s_wait_dscnt 0x0
	v_pk_mul_f32 v[70:71], v[66:67], v[68:69] op_sel:[1,1] op_sel_hi:[0,1]
	v_pk_fma_f32 v[72:73], v[66:67], v[68:69], v[70:71] op_sel_hi:[1,0,1]
	v_pk_fma_f32 v[66:67], v[66:67], v[68:69], v[70:71] neg_lo:[0,0,1] neg_hi:[0,0,1]
	s_delay_alu instid0(VALU_DEP_2)
	v_mov_b32_e32 v67, v73
	scratch_store_b64 off, v[66:67], off offset:96
.LBB30_185:
	s_wait_xcnt 0x0
	s_or_b32 exec_lo, exec_lo, s2
	scratch_load_b64 v[66:67], off, off offset:88
	v_cmp_lt_u32_e64 s1, 11, v0
	s_wait_loadcnt 0x0
	ds_store_b64 v1, v[66:67]
	s_wait_storecnt_dscnt 0x0
	s_barrier_signal -1
	s_barrier_wait -1
	s_wait_xcnt 0x0
	s_and_saveexec_b32 s2, s1
	s_cbranch_execz .LBB30_195
; %bb.186:
	s_and_not1_b32 vcc_lo, exec_lo, s3
	s_cbranch_vccnz .LBB30_188
; %bb.187:
	scratch_load_b64 v[66:67], v47, off
	ds_load_b64 v[68:69], v1
	s_wait_loadcnt_dscnt 0x0
	v_pk_mul_f32 v[70:71], v[68:69], v[66:67] op_sel:[1,1] op_sel_hi:[0,1]
	s_delay_alu instid0(VALU_DEP_1) | instskip(SKIP_1) | instid1(VALU_DEP_2)
	v_pk_fma_f32 v[72:73], v[68:69], v[66:67], v[70:71] op_sel_hi:[1,0,1]
	v_pk_fma_f32 v[66:67], v[68:69], v[66:67], v[70:71] neg_lo:[0,0,1] neg_hi:[0,0,1]
	v_mov_b32_e32 v67, v73
	s_cbranch_execz .LBB30_189
	s_branch .LBB30_190
.LBB30_188:
                                        ; implicit-def: $vgpr66_vgpr67
.LBB30_189:
	ds_load_b64 v[66:67], v1
.LBB30_190:
	s_and_saveexec_b32 s12, s0
	s_cbranch_execz .LBB30_194
; %bb.191:
	v_add_nc_u32_e32 v68, -12, v0
	s_movk_i32 s13, 0x160
	s_mov_b32 s0, 0
.LBB30_192:                             ; =>This Inner Loop Header: Depth=1
	scratch_load_b64 v[70:71], off, s11
	v_dual_mov_b32 v69, s13 :: v_dual_add_nc_u32 v68, -1, v68
	s_add_co_i32 s13, s13, 8
	s_wait_xcnt 0x0
	s_add_co_i32 s11, s11, 8
	ds_load_b64 v[72:73], v69
	v_cmp_eq_u32_e32 vcc_lo, 0, v68
	s_or_b32 s0, vcc_lo, s0
	s_wait_loadcnt_dscnt 0x0
	v_pk_mul_f32 v[74:75], v[72:73], v[70:71] op_sel:[1,1] op_sel_hi:[0,1]
	s_delay_alu instid0(VALU_DEP_1) | instskip(SKIP_1) | instid1(VALU_DEP_2)
	v_pk_fma_f32 v[76:77], v[72:73], v[70:71], v[74:75] op_sel_hi:[1,0,1]
	v_pk_fma_f32 v[70:71], v[72:73], v[70:71], v[74:75] neg_lo:[0,0,1] neg_hi:[0,0,1]
	v_mov_b32_e32 v71, v77
	s_delay_alu instid0(VALU_DEP_1)
	v_pk_add_f32 v[66:67], v[66:67], v[70:71]
	s_and_not1_b32 exec_lo, exec_lo, s0
	s_cbranch_execnz .LBB30_192
; %bb.193:
	s_or_b32 exec_lo, exec_lo, s0
.LBB30_194:
	s_delay_alu instid0(SALU_CYCLE_1) | instskip(SKIP_4) | instid1(VALU_DEP_1)
	s_or_b32 exec_lo, exec_lo, s12
	v_mov_b32_e32 v68, 0
	ds_load_b64 v[68:69], v68 offset:88
	s_wait_dscnt 0x0
	v_pk_mul_f32 v[70:71], v[66:67], v[68:69] op_sel:[1,1] op_sel_hi:[0,1]
	v_pk_fma_f32 v[72:73], v[66:67], v[68:69], v[70:71] op_sel_hi:[1,0,1]
	v_pk_fma_f32 v[66:67], v[66:67], v[68:69], v[70:71] neg_lo:[0,0,1] neg_hi:[0,0,1]
	s_delay_alu instid0(VALU_DEP_2)
	v_mov_b32_e32 v67, v73
	scratch_store_b64 off, v[66:67], off offset:88
.LBB30_195:
	s_wait_xcnt 0x0
	s_or_b32 exec_lo, exec_lo, s2
	scratch_load_b64 v[66:67], off, off offset:80
	v_cmp_lt_u32_e64 s0, 10, v0
	s_wait_loadcnt 0x0
	ds_store_b64 v1, v[66:67]
	s_wait_storecnt_dscnt 0x0
	s_barrier_signal -1
	s_barrier_wait -1
	s_wait_xcnt 0x0
	s_and_saveexec_b32 s2, s0
	s_cbranch_execz .LBB30_205
; %bb.196:
	s_and_not1_b32 vcc_lo, exec_lo, s3
	s_cbranch_vccnz .LBB30_198
; %bb.197:
	scratch_load_b64 v[66:67], v47, off
	ds_load_b64 v[68:69], v1
	s_wait_loadcnt_dscnt 0x0
	v_pk_mul_f32 v[70:71], v[68:69], v[66:67] op_sel:[1,1] op_sel_hi:[0,1]
	s_delay_alu instid0(VALU_DEP_1) | instskip(SKIP_1) | instid1(VALU_DEP_2)
	v_pk_fma_f32 v[72:73], v[68:69], v[66:67], v[70:71] op_sel_hi:[1,0,1]
	v_pk_fma_f32 v[66:67], v[68:69], v[66:67], v[70:71] neg_lo:[0,0,1] neg_hi:[0,0,1]
	v_mov_b32_e32 v67, v73
	s_cbranch_execz .LBB30_199
	s_branch .LBB30_200
.LBB30_198:
                                        ; implicit-def: $vgpr66_vgpr67
.LBB30_199:
	ds_load_b64 v[66:67], v1
.LBB30_200:
	s_and_saveexec_b32 s11, s1
	s_cbranch_execz .LBB30_204
; %bb.201:
	v_add_nc_u32_e32 v68, -11, v0
	s_movk_i32 s1, 0x58
	s_movk_i32 s13, 0x158
	s_mov_b32 s12, 0
.LBB30_202:                             ; =>This Inner Loop Header: Depth=1
	scratch_load_b64 v[70:71], off, s1
	v_dual_mov_b32 v69, s13 :: v_dual_add_nc_u32 v68, -1, v68
	s_add_co_i32 s13, s13, 8
	s_wait_xcnt 0x0
	s_add_co_i32 s1, s1, 8
	ds_load_b64 v[72:73], v69
	v_cmp_eq_u32_e32 vcc_lo, 0, v68
	s_or_b32 s12, vcc_lo, s12
	s_wait_loadcnt_dscnt 0x0
	v_pk_mul_f32 v[74:75], v[72:73], v[70:71] op_sel:[1,1] op_sel_hi:[0,1]
	s_delay_alu instid0(VALU_DEP_1) | instskip(SKIP_1) | instid1(VALU_DEP_2)
	v_pk_fma_f32 v[76:77], v[72:73], v[70:71], v[74:75] op_sel_hi:[1,0,1]
	v_pk_fma_f32 v[70:71], v[72:73], v[70:71], v[74:75] neg_lo:[0,0,1] neg_hi:[0,0,1]
	v_mov_b32_e32 v71, v77
	s_delay_alu instid0(VALU_DEP_1)
	v_pk_add_f32 v[66:67], v[66:67], v[70:71]
	s_and_not1_b32 exec_lo, exec_lo, s12
	s_cbranch_execnz .LBB30_202
; %bb.203:
	s_or_b32 exec_lo, exec_lo, s12
.LBB30_204:
	s_delay_alu instid0(SALU_CYCLE_1) | instskip(SKIP_4) | instid1(VALU_DEP_1)
	s_or_b32 exec_lo, exec_lo, s11
	v_mov_b32_e32 v68, 0
	ds_load_b64 v[68:69], v68 offset:80
	s_wait_dscnt 0x0
	v_pk_mul_f32 v[70:71], v[66:67], v[68:69] op_sel:[1,1] op_sel_hi:[0,1]
	v_pk_fma_f32 v[72:73], v[66:67], v[68:69], v[70:71] op_sel_hi:[1,0,1]
	v_pk_fma_f32 v[66:67], v[66:67], v[68:69], v[70:71] neg_lo:[0,0,1] neg_hi:[0,0,1]
	s_delay_alu instid0(VALU_DEP_2)
	v_mov_b32_e32 v67, v73
	scratch_store_b64 off, v[66:67], off offset:80
.LBB30_205:
	s_wait_xcnt 0x0
	s_or_b32 exec_lo, exec_lo, s2
	scratch_load_b64 v[66:67], off, off offset:72
	v_cmp_lt_u32_e64 s1, 9, v0
	s_wait_loadcnt 0x0
	ds_store_b64 v1, v[66:67]
	s_wait_storecnt_dscnt 0x0
	s_barrier_signal -1
	s_barrier_wait -1
	s_wait_xcnt 0x0
	s_and_saveexec_b32 s2, s1
	s_cbranch_execz .LBB30_215
; %bb.206:
	s_and_not1_b32 vcc_lo, exec_lo, s3
	s_cbranch_vccnz .LBB30_208
; %bb.207:
	scratch_load_b64 v[66:67], v47, off
	ds_load_b64 v[68:69], v1
	s_wait_loadcnt_dscnt 0x0
	v_pk_mul_f32 v[70:71], v[68:69], v[66:67] op_sel:[1,1] op_sel_hi:[0,1]
	s_delay_alu instid0(VALU_DEP_1) | instskip(SKIP_1) | instid1(VALU_DEP_2)
	v_pk_fma_f32 v[72:73], v[68:69], v[66:67], v[70:71] op_sel_hi:[1,0,1]
	v_pk_fma_f32 v[66:67], v[68:69], v[66:67], v[70:71] neg_lo:[0,0,1] neg_hi:[0,0,1]
	v_mov_b32_e32 v67, v73
	s_cbranch_execz .LBB30_209
	s_branch .LBB30_210
.LBB30_208:
                                        ; implicit-def: $vgpr66_vgpr67
.LBB30_209:
	ds_load_b64 v[66:67], v1
.LBB30_210:
	s_and_saveexec_b32 s11, s0
	s_cbranch_execz .LBB30_214
; %bb.211:
	v_add_nc_u32_e32 v68, -10, v0
	s_movk_i32 s12, 0x150
	s_mov_b32 s0, 0
.LBB30_212:                             ; =>This Inner Loop Header: Depth=1
	scratch_load_b64 v[70:71], off, s10
	v_dual_mov_b32 v69, s12 :: v_dual_add_nc_u32 v68, -1, v68
	s_add_co_i32 s12, s12, 8
	s_wait_xcnt 0x0
	s_add_co_i32 s10, s10, 8
	ds_load_b64 v[72:73], v69
	v_cmp_eq_u32_e32 vcc_lo, 0, v68
	s_or_b32 s0, vcc_lo, s0
	s_wait_loadcnt_dscnt 0x0
	v_pk_mul_f32 v[74:75], v[72:73], v[70:71] op_sel:[1,1] op_sel_hi:[0,1]
	s_delay_alu instid0(VALU_DEP_1) | instskip(SKIP_1) | instid1(VALU_DEP_2)
	v_pk_fma_f32 v[76:77], v[72:73], v[70:71], v[74:75] op_sel_hi:[1,0,1]
	v_pk_fma_f32 v[70:71], v[72:73], v[70:71], v[74:75] neg_lo:[0,0,1] neg_hi:[0,0,1]
	v_mov_b32_e32 v71, v77
	s_delay_alu instid0(VALU_DEP_1)
	v_pk_add_f32 v[66:67], v[66:67], v[70:71]
	s_and_not1_b32 exec_lo, exec_lo, s0
	s_cbranch_execnz .LBB30_212
; %bb.213:
	s_or_b32 exec_lo, exec_lo, s0
.LBB30_214:
	s_delay_alu instid0(SALU_CYCLE_1) | instskip(SKIP_4) | instid1(VALU_DEP_1)
	s_or_b32 exec_lo, exec_lo, s11
	v_mov_b32_e32 v68, 0
	ds_load_b64 v[68:69], v68 offset:72
	s_wait_dscnt 0x0
	v_pk_mul_f32 v[70:71], v[66:67], v[68:69] op_sel:[1,1] op_sel_hi:[0,1]
	v_pk_fma_f32 v[72:73], v[66:67], v[68:69], v[70:71] op_sel_hi:[1,0,1]
	v_pk_fma_f32 v[66:67], v[66:67], v[68:69], v[70:71] neg_lo:[0,0,1] neg_hi:[0,0,1]
	s_delay_alu instid0(VALU_DEP_2)
	v_mov_b32_e32 v67, v73
	scratch_store_b64 off, v[66:67], off offset:72
.LBB30_215:
	s_wait_xcnt 0x0
	s_or_b32 exec_lo, exec_lo, s2
	scratch_load_b64 v[66:67], off, off offset:64
	v_cmp_lt_u32_e64 s0, 8, v0
	s_wait_loadcnt 0x0
	ds_store_b64 v1, v[66:67]
	s_wait_storecnt_dscnt 0x0
	s_barrier_signal -1
	s_barrier_wait -1
	s_wait_xcnt 0x0
	s_and_saveexec_b32 s2, s0
	s_cbranch_execz .LBB30_225
; %bb.216:
	s_and_not1_b32 vcc_lo, exec_lo, s3
	s_cbranch_vccnz .LBB30_218
; %bb.217:
	scratch_load_b64 v[66:67], v47, off
	ds_load_b64 v[68:69], v1
	s_wait_loadcnt_dscnt 0x0
	v_pk_mul_f32 v[70:71], v[68:69], v[66:67] op_sel:[1,1] op_sel_hi:[0,1]
	s_delay_alu instid0(VALU_DEP_1) | instskip(SKIP_1) | instid1(VALU_DEP_2)
	v_pk_fma_f32 v[72:73], v[68:69], v[66:67], v[70:71] op_sel_hi:[1,0,1]
	v_pk_fma_f32 v[66:67], v[68:69], v[66:67], v[70:71] neg_lo:[0,0,1] neg_hi:[0,0,1]
	v_mov_b32_e32 v67, v73
	s_cbranch_execz .LBB30_219
	s_branch .LBB30_220
.LBB30_218:
                                        ; implicit-def: $vgpr66_vgpr67
.LBB30_219:
	ds_load_b64 v[66:67], v1
.LBB30_220:
	s_and_saveexec_b32 s10, s1
	s_cbranch_execz .LBB30_224
; %bb.221:
	v_add_nc_u32_e32 v68, -9, v0
	s_movk_i32 s1, 0x48
	s_movk_i32 s12, 0x148
	s_mov_b32 s11, 0
.LBB30_222:                             ; =>This Inner Loop Header: Depth=1
	scratch_load_b64 v[70:71], off, s1
	v_dual_mov_b32 v69, s12 :: v_dual_add_nc_u32 v68, -1, v68
	s_add_co_i32 s12, s12, 8
	s_wait_xcnt 0x0
	s_add_co_i32 s1, s1, 8
	ds_load_b64 v[72:73], v69
	v_cmp_eq_u32_e32 vcc_lo, 0, v68
	s_or_b32 s11, vcc_lo, s11
	s_wait_loadcnt_dscnt 0x0
	v_pk_mul_f32 v[74:75], v[72:73], v[70:71] op_sel:[1,1] op_sel_hi:[0,1]
	s_delay_alu instid0(VALU_DEP_1) | instskip(SKIP_1) | instid1(VALU_DEP_2)
	v_pk_fma_f32 v[76:77], v[72:73], v[70:71], v[74:75] op_sel_hi:[1,0,1]
	v_pk_fma_f32 v[70:71], v[72:73], v[70:71], v[74:75] neg_lo:[0,0,1] neg_hi:[0,0,1]
	v_mov_b32_e32 v71, v77
	s_delay_alu instid0(VALU_DEP_1)
	v_pk_add_f32 v[66:67], v[66:67], v[70:71]
	s_and_not1_b32 exec_lo, exec_lo, s11
	s_cbranch_execnz .LBB30_222
; %bb.223:
	s_or_b32 exec_lo, exec_lo, s11
.LBB30_224:
	s_delay_alu instid0(SALU_CYCLE_1) | instskip(SKIP_4) | instid1(VALU_DEP_1)
	s_or_b32 exec_lo, exec_lo, s10
	v_mov_b32_e32 v68, 0
	ds_load_b64 v[68:69], v68 offset:64
	s_wait_dscnt 0x0
	v_pk_mul_f32 v[70:71], v[66:67], v[68:69] op_sel:[1,1] op_sel_hi:[0,1]
	v_pk_fma_f32 v[72:73], v[66:67], v[68:69], v[70:71] op_sel_hi:[1,0,1]
	v_pk_fma_f32 v[66:67], v[66:67], v[68:69], v[70:71] neg_lo:[0,0,1] neg_hi:[0,0,1]
	s_delay_alu instid0(VALU_DEP_2)
	v_mov_b32_e32 v67, v73
	scratch_store_b64 off, v[66:67], off offset:64
.LBB30_225:
	s_wait_xcnt 0x0
	s_or_b32 exec_lo, exec_lo, s2
	scratch_load_b64 v[66:67], off, off offset:56
	v_cmp_lt_u32_e64 s1, 7, v0
	s_wait_loadcnt 0x0
	ds_store_b64 v1, v[66:67]
	s_wait_storecnt_dscnt 0x0
	s_barrier_signal -1
	s_barrier_wait -1
	s_wait_xcnt 0x0
	s_and_saveexec_b32 s2, s1
	s_cbranch_execz .LBB30_235
; %bb.226:
	s_and_not1_b32 vcc_lo, exec_lo, s3
	s_cbranch_vccnz .LBB30_228
; %bb.227:
	scratch_load_b64 v[66:67], v47, off
	ds_load_b64 v[68:69], v1
	s_wait_loadcnt_dscnt 0x0
	v_pk_mul_f32 v[70:71], v[68:69], v[66:67] op_sel:[1,1] op_sel_hi:[0,1]
	s_delay_alu instid0(VALU_DEP_1) | instskip(SKIP_1) | instid1(VALU_DEP_2)
	v_pk_fma_f32 v[72:73], v[68:69], v[66:67], v[70:71] op_sel_hi:[1,0,1]
	v_pk_fma_f32 v[66:67], v[68:69], v[66:67], v[70:71] neg_lo:[0,0,1] neg_hi:[0,0,1]
	v_mov_b32_e32 v67, v73
	s_cbranch_execz .LBB30_229
	s_branch .LBB30_230
.LBB30_228:
                                        ; implicit-def: $vgpr66_vgpr67
.LBB30_229:
	ds_load_b64 v[66:67], v1
.LBB30_230:
	s_and_saveexec_b32 s10, s0
	s_cbranch_execz .LBB30_234
; %bb.231:
	v_add_nc_u32_e32 v68, -8, v0
	s_movk_i32 s11, 0x140
	s_mov_b32 s0, 0
.LBB30_232:                             ; =>This Inner Loop Header: Depth=1
	scratch_load_b64 v[70:71], off, s9
	v_dual_mov_b32 v69, s11 :: v_dual_add_nc_u32 v68, -1, v68
	s_add_co_i32 s11, s11, 8
	s_wait_xcnt 0x0
	s_add_co_i32 s9, s9, 8
	ds_load_b64 v[72:73], v69
	v_cmp_eq_u32_e32 vcc_lo, 0, v68
	s_or_b32 s0, vcc_lo, s0
	s_wait_loadcnt_dscnt 0x0
	v_pk_mul_f32 v[74:75], v[72:73], v[70:71] op_sel:[1,1] op_sel_hi:[0,1]
	s_delay_alu instid0(VALU_DEP_1) | instskip(SKIP_1) | instid1(VALU_DEP_2)
	v_pk_fma_f32 v[76:77], v[72:73], v[70:71], v[74:75] op_sel_hi:[1,0,1]
	v_pk_fma_f32 v[70:71], v[72:73], v[70:71], v[74:75] neg_lo:[0,0,1] neg_hi:[0,0,1]
	v_mov_b32_e32 v71, v77
	s_delay_alu instid0(VALU_DEP_1)
	v_pk_add_f32 v[66:67], v[66:67], v[70:71]
	s_and_not1_b32 exec_lo, exec_lo, s0
	s_cbranch_execnz .LBB30_232
; %bb.233:
	s_or_b32 exec_lo, exec_lo, s0
.LBB30_234:
	s_delay_alu instid0(SALU_CYCLE_1) | instskip(SKIP_4) | instid1(VALU_DEP_1)
	s_or_b32 exec_lo, exec_lo, s10
	v_mov_b32_e32 v68, 0
	ds_load_b64 v[68:69], v68 offset:56
	s_wait_dscnt 0x0
	v_pk_mul_f32 v[70:71], v[66:67], v[68:69] op_sel:[1,1] op_sel_hi:[0,1]
	v_pk_fma_f32 v[72:73], v[66:67], v[68:69], v[70:71] op_sel_hi:[1,0,1]
	v_pk_fma_f32 v[66:67], v[66:67], v[68:69], v[70:71] neg_lo:[0,0,1] neg_hi:[0,0,1]
	s_delay_alu instid0(VALU_DEP_2)
	v_mov_b32_e32 v67, v73
	scratch_store_b64 off, v[66:67], off offset:56
.LBB30_235:
	s_wait_xcnt 0x0
	s_or_b32 exec_lo, exec_lo, s2
	scratch_load_b64 v[66:67], off, off offset:48
	v_cmp_lt_u32_e64 s0, 6, v0
	s_wait_loadcnt 0x0
	ds_store_b64 v1, v[66:67]
	s_wait_storecnt_dscnt 0x0
	s_barrier_signal -1
	s_barrier_wait -1
	s_wait_xcnt 0x0
	s_and_saveexec_b32 s2, s0
	s_cbranch_execz .LBB30_245
; %bb.236:
	s_and_not1_b32 vcc_lo, exec_lo, s3
	s_cbranch_vccnz .LBB30_238
; %bb.237:
	scratch_load_b64 v[66:67], v47, off
	ds_load_b64 v[68:69], v1
	s_wait_loadcnt_dscnt 0x0
	v_pk_mul_f32 v[70:71], v[68:69], v[66:67] op_sel:[1,1] op_sel_hi:[0,1]
	s_delay_alu instid0(VALU_DEP_1) | instskip(SKIP_1) | instid1(VALU_DEP_2)
	v_pk_fma_f32 v[72:73], v[68:69], v[66:67], v[70:71] op_sel_hi:[1,0,1]
	v_pk_fma_f32 v[66:67], v[68:69], v[66:67], v[70:71] neg_lo:[0,0,1] neg_hi:[0,0,1]
	v_mov_b32_e32 v67, v73
	s_cbranch_execz .LBB30_239
	s_branch .LBB30_240
.LBB30_238:
                                        ; implicit-def: $vgpr66_vgpr67
.LBB30_239:
	ds_load_b64 v[66:67], v1
.LBB30_240:
	s_and_saveexec_b32 s9, s1
	s_cbranch_execz .LBB30_244
; %bb.241:
	v_add_nc_u32_e32 v68, -7, v0
	s_mov_b32 s1, 56
	s_movk_i32 s11, 0x138
	s_mov_b32 s10, 0
.LBB30_242:                             ; =>This Inner Loop Header: Depth=1
	scratch_load_b64 v[70:71], off, s1
	v_dual_mov_b32 v69, s11 :: v_dual_add_nc_u32 v68, -1, v68
	s_add_co_i32 s11, s11, 8
	s_wait_xcnt 0x0
	s_add_co_i32 s1, s1, 8
	ds_load_b64 v[72:73], v69
	v_cmp_eq_u32_e32 vcc_lo, 0, v68
	s_or_b32 s10, vcc_lo, s10
	s_wait_loadcnt_dscnt 0x0
	v_pk_mul_f32 v[74:75], v[72:73], v[70:71] op_sel:[1,1] op_sel_hi:[0,1]
	s_delay_alu instid0(VALU_DEP_1) | instskip(SKIP_1) | instid1(VALU_DEP_2)
	v_pk_fma_f32 v[76:77], v[72:73], v[70:71], v[74:75] op_sel_hi:[1,0,1]
	v_pk_fma_f32 v[70:71], v[72:73], v[70:71], v[74:75] neg_lo:[0,0,1] neg_hi:[0,0,1]
	v_mov_b32_e32 v71, v77
	s_delay_alu instid0(VALU_DEP_1)
	v_pk_add_f32 v[66:67], v[66:67], v[70:71]
	s_and_not1_b32 exec_lo, exec_lo, s10
	s_cbranch_execnz .LBB30_242
; %bb.243:
	s_or_b32 exec_lo, exec_lo, s10
.LBB30_244:
	s_delay_alu instid0(SALU_CYCLE_1) | instskip(SKIP_4) | instid1(VALU_DEP_1)
	s_or_b32 exec_lo, exec_lo, s9
	v_mov_b32_e32 v68, 0
	ds_load_b64 v[68:69], v68 offset:48
	s_wait_dscnt 0x0
	v_pk_mul_f32 v[70:71], v[66:67], v[68:69] op_sel:[1,1] op_sel_hi:[0,1]
	v_pk_fma_f32 v[72:73], v[66:67], v[68:69], v[70:71] op_sel_hi:[1,0,1]
	v_pk_fma_f32 v[66:67], v[66:67], v[68:69], v[70:71] neg_lo:[0,0,1] neg_hi:[0,0,1]
	s_delay_alu instid0(VALU_DEP_2)
	v_mov_b32_e32 v67, v73
	scratch_store_b64 off, v[66:67], off offset:48
.LBB30_245:
	s_wait_xcnt 0x0
	s_or_b32 exec_lo, exec_lo, s2
	scratch_load_b64 v[66:67], off, off offset:40
	v_cmp_lt_u32_e64 s1, 5, v0
	s_wait_loadcnt 0x0
	ds_store_b64 v1, v[66:67]
	s_wait_storecnt_dscnt 0x0
	s_barrier_signal -1
	s_barrier_wait -1
	s_wait_xcnt 0x0
	s_and_saveexec_b32 s2, s1
	s_cbranch_execz .LBB30_255
; %bb.246:
	s_and_not1_b32 vcc_lo, exec_lo, s3
	s_cbranch_vccnz .LBB30_248
; %bb.247:
	scratch_load_b64 v[66:67], v47, off
	ds_load_b64 v[68:69], v1
	s_wait_loadcnt_dscnt 0x0
	v_pk_mul_f32 v[70:71], v[68:69], v[66:67] op_sel:[1,1] op_sel_hi:[0,1]
	s_delay_alu instid0(VALU_DEP_1) | instskip(SKIP_1) | instid1(VALU_DEP_2)
	v_pk_fma_f32 v[72:73], v[68:69], v[66:67], v[70:71] op_sel_hi:[1,0,1]
	v_pk_fma_f32 v[66:67], v[68:69], v[66:67], v[70:71] neg_lo:[0,0,1] neg_hi:[0,0,1]
	v_mov_b32_e32 v67, v73
	s_cbranch_execz .LBB30_249
	s_branch .LBB30_250
.LBB30_248:
                                        ; implicit-def: $vgpr66_vgpr67
.LBB30_249:
	ds_load_b64 v[66:67], v1
.LBB30_250:
	s_and_saveexec_b32 s9, s0
	s_cbranch_execz .LBB30_254
; %bb.251:
	v_add_nc_u32_e32 v68, -6, v0
	s_movk_i32 s10, 0x130
	s_mov_b32 s0, 0
.LBB30_252:                             ; =>This Inner Loop Header: Depth=1
	scratch_load_b64 v[70:71], off, s8
	v_dual_mov_b32 v69, s10 :: v_dual_add_nc_u32 v68, -1, v68
	s_add_co_i32 s10, s10, 8
	s_wait_xcnt 0x0
	s_add_co_i32 s8, s8, 8
	ds_load_b64 v[72:73], v69
	v_cmp_eq_u32_e32 vcc_lo, 0, v68
	s_or_b32 s0, vcc_lo, s0
	s_wait_loadcnt_dscnt 0x0
	v_pk_mul_f32 v[74:75], v[72:73], v[70:71] op_sel:[1,1] op_sel_hi:[0,1]
	s_delay_alu instid0(VALU_DEP_1) | instskip(SKIP_1) | instid1(VALU_DEP_2)
	v_pk_fma_f32 v[76:77], v[72:73], v[70:71], v[74:75] op_sel_hi:[1,0,1]
	v_pk_fma_f32 v[70:71], v[72:73], v[70:71], v[74:75] neg_lo:[0,0,1] neg_hi:[0,0,1]
	v_mov_b32_e32 v71, v77
	s_delay_alu instid0(VALU_DEP_1)
	v_pk_add_f32 v[66:67], v[66:67], v[70:71]
	s_and_not1_b32 exec_lo, exec_lo, s0
	s_cbranch_execnz .LBB30_252
; %bb.253:
	s_or_b32 exec_lo, exec_lo, s0
.LBB30_254:
	s_delay_alu instid0(SALU_CYCLE_1) | instskip(SKIP_4) | instid1(VALU_DEP_1)
	s_or_b32 exec_lo, exec_lo, s9
	v_mov_b32_e32 v68, 0
	ds_load_b64 v[68:69], v68 offset:40
	s_wait_dscnt 0x0
	v_pk_mul_f32 v[70:71], v[66:67], v[68:69] op_sel:[1,1] op_sel_hi:[0,1]
	v_pk_fma_f32 v[72:73], v[66:67], v[68:69], v[70:71] op_sel_hi:[1,0,1]
	v_pk_fma_f32 v[66:67], v[66:67], v[68:69], v[70:71] neg_lo:[0,0,1] neg_hi:[0,0,1]
	s_delay_alu instid0(VALU_DEP_2)
	v_mov_b32_e32 v67, v73
	scratch_store_b64 off, v[66:67], off offset:40
.LBB30_255:
	s_wait_xcnt 0x0
	s_or_b32 exec_lo, exec_lo, s2
	scratch_load_b64 v[66:67], off, off offset:32
	v_cmp_lt_u32_e64 s0, 4, v0
	s_wait_loadcnt 0x0
	ds_store_b64 v1, v[66:67]
	s_wait_storecnt_dscnt 0x0
	s_barrier_signal -1
	s_barrier_wait -1
	s_wait_xcnt 0x0
	s_and_saveexec_b32 s2, s0
	s_cbranch_execz .LBB30_265
; %bb.256:
	s_and_not1_b32 vcc_lo, exec_lo, s3
	s_cbranch_vccnz .LBB30_258
; %bb.257:
	scratch_load_b64 v[66:67], v47, off
	ds_load_b64 v[68:69], v1
	s_wait_loadcnt_dscnt 0x0
	v_pk_mul_f32 v[70:71], v[68:69], v[66:67] op_sel:[1,1] op_sel_hi:[0,1]
	s_delay_alu instid0(VALU_DEP_1) | instskip(SKIP_1) | instid1(VALU_DEP_2)
	v_pk_fma_f32 v[72:73], v[68:69], v[66:67], v[70:71] op_sel_hi:[1,0,1]
	v_pk_fma_f32 v[66:67], v[68:69], v[66:67], v[70:71] neg_lo:[0,0,1] neg_hi:[0,0,1]
	v_mov_b32_e32 v67, v73
	s_cbranch_execz .LBB30_259
	s_branch .LBB30_260
.LBB30_258:
                                        ; implicit-def: $vgpr66_vgpr67
.LBB30_259:
	ds_load_b64 v[66:67], v1
.LBB30_260:
	s_and_saveexec_b32 s8, s1
	s_cbranch_execz .LBB30_264
; %bb.261:
	v_add_nc_u32_e32 v68, -5, v0
	s_mov_b32 s1, 40
	s_movk_i32 s10, 0x128
	s_mov_b32 s9, 0
.LBB30_262:                             ; =>This Inner Loop Header: Depth=1
	scratch_load_b64 v[70:71], off, s1
	v_dual_mov_b32 v69, s10 :: v_dual_add_nc_u32 v68, -1, v68
	s_add_co_i32 s10, s10, 8
	s_wait_xcnt 0x0
	s_add_co_i32 s1, s1, 8
	ds_load_b64 v[72:73], v69
	v_cmp_eq_u32_e32 vcc_lo, 0, v68
	s_or_b32 s9, vcc_lo, s9
	s_wait_loadcnt_dscnt 0x0
	v_pk_mul_f32 v[74:75], v[72:73], v[70:71] op_sel:[1,1] op_sel_hi:[0,1]
	s_delay_alu instid0(VALU_DEP_1) | instskip(SKIP_1) | instid1(VALU_DEP_2)
	v_pk_fma_f32 v[76:77], v[72:73], v[70:71], v[74:75] op_sel_hi:[1,0,1]
	v_pk_fma_f32 v[70:71], v[72:73], v[70:71], v[74:75] neg_lo:[0,0,1] neg_hi:[0,0,1]
	v_mov_b32_e32 v71, v77
	s_delay_alu instid0(VALU_DEP_1)
	v_pk_add_f32 v[66:67], v[66:67], v[70:71]
	s_and_not1_b32 exec_lo, exec_lo, s9
	s_cbranch_execnz .LBB30_262
; %bb.263:
	s_or_b32 exec_lo, exec_lo, s9
.LBB30_264:
	s_delay_alu instid0(SALU_CYCLE_1) | instskip(SKIP_4) | instid1(VALU_DEP_1)
	s_or_b32 exec_lo, exec_lo, s8
	v_mov_b32_e32 v68, 0
	ds_load_b64 v[68:69], v68 offset:32
	s_wait_dscnt 0x0
	v_pk_mul_f32 v[70:71], v[66:67], v[68:69] op_sel:[1,1] op_sel_hi:[0,1]
	v_pk_fma_f32 v[72:73], v[66:67], v[68:69], v[70:71] op_sel_hi:[1,0,1]
	v_pk_fma_f32 v[66:67], v[66:67], v[68:69], v[70:71] neg_lo:[0,0,1] neg_hi:[0,0,1]
	s_delay_alu instid0(VALU_DEP_2)
	v_mov_b32_e32 v67, v73
	scratch_store_b64 off, v[66:67], off offset:32
.LBB30_265:
	s_wait_xcnt 0x0
	s_or_b32 exec_lo, exec_lo, s2
	scratch_load_b64 v[66:67], off, off offset:24
	v_cmp_lt_u32_e64 s2, 3, v0
	s_wait_loadcnt 0x0
	ds_store_b64 v1, v[66:67]
	s_wait_storecnt_dscnt 0x0
	s_barrier_signal -1
	s_barrier_wait -1
	s_wait_xcnt 0x0
	s_and_saveexec_b32 s1, s2
	s_cbranch_execz .LBB30_275
; %bb.266:
	s_and_not1_b32 vcc_lo, exec_lo, s3
	s_cbranch_vccnz .LBB30_268
; %bb.267:
	scratch_load_b64 v[66:67], v47, off
	ds_load_b64 v[68:69], v1
	s_wait_loadcnt_dscnt 0x0
	v_pk_mul_f32 v[70:71], v[68:69], v[66:67] op_sel:[1,1] op_sel_hi:[0,1]
	s_delay_alu instid0(VALU_DEP_1) | instskip(SKIP_1) | instid1(VALU_DEP_2)
	v_pk_fma_f32 v[72:73], v[68:69], v[66:67], v[70:71] op_sel_hi:[1,0,1]
	v_pk_fma_f32 v[66:67], v[68:69], v[66:67], v[70:71] neg_lo:[0,0,1] neg_hi:[0,0,1]
	v_mov_b32_e32 v67, v73
	s_cbranch_execz .LBB30_269
	s_branch .LBB30_270
.LBB30_268:
                                        ; implicit-def: $vgpr66_vgpr67
.LBB30_269:
	ds_load_b64 v[66:67], v1
.LBB30_270:
	s_and_saveexec_b32 s8, s0
	s_cbranch_execz .LBB30_274
; %bb.271:
	v_add_nc_u32_e32 v68, -4, v0
	s_movk_i32 s9, 0x120
	s_mov_b32 s0, 0
.LBB30_272:                             ; =>This Inner Loop Header: Depth=1
	scratch_load_b64 v[70:71], off, s5
	v_dual_mov_b32 v69, s9 :: v_dual_add_nc_u32 v68, -1, v68
	s_add_co_i32 s9, s9, 8
	s_wait_xcnt 0x0
	s_add_co_i32 s5, s5, 8
	ds_load_b64 v[72:73], v69
	v_cmp_eq_u32_e32 vcc_lo, 0, v68
	s_or_b32 s0, vcc_lo, s0
	s_wait_loadcnt_dscnt 0x0
	v_pk_mul_f32 v[74:75], v[72:73], v[70:71] op_sel:[1,1] op_sel_hi:[0,1]
	s_delay_alu instid0(VALU_DEP_1) | instskip(SKIP_1) | instid1(VALU_DEP_2)
	v_pk_fma_f32 v[76:77], v[72:73], v[70:71], v[74:75] op_sel_hi:[1,0,1]
	v_pk_fma_f32 v[70:71], v[72:73], v[70:71], v[74:75] neg_lo:[0,0,1] neg_hi:[0,0,1]
	v_mov_b32_e32 v71, v77
	s_delay_alu instid0(VALU_DEP_1)
	v_pk_add_f32 v[66:67], v[66:67], v[70:71]
	s_and_not1_b32 exec_lo, exec_lo, s0
	s_cbranch_execnz .LBB30_272
; %bb.273:
	s_or_b32 exec_lo, exec_lo, s0
.LBB30_274:
	s_delay_alu instid0(SALU_CYCLE_1) | instskip(SKIP_4) | instid1(VALU_DEP_1)
	s_or_b32 exec_lo, exec_lo, s8
	v_mov_b32_e32 v68, 0
	ds_load_b64 v[68:69], v68 offset:24
	s_wait_dscnt 0x0
	v_pk_mul_f32 v[70:71], v[66:67], v[68:69] op_sel:[1,1] op_sel_hi:[0,1]
	v_pk_fma_f32 v[72:73], v[66:67], v[68:69], v[70:71] op_sel_hi:[1,0,1]
	v_pk_fma_f32 v[66:67], v[66:67], v[68:69], v[70:71] neg_lo:[0,0,1] neg_hi:[0,0,1]
	s_delay_alu instid0(VALU_DEP_2)
	v_mov_b32_e32 v67, v73
	scratch_store_b64 off, v[66:67], off offset:24
.LBB30_275:
	s_wait_xcnt 0x0
	s_or_b32 exec_lo, exec_lo, s1
	scratch_load_b64 v[66:67], off, off offset:16
	v_cmp_lt_u32_e64 s1, 2, v0
	s_wait_loadcnt 0x0
	ds_store_b64 v1, v[66:67]
	s_wait_storecnt_dscnt 0x0
	s_barrier_signal -1
	s_barrier_wait -1
	s_wait_xcnt 0x0
	s_and_saveexec_b32 s0, s1
	s_cbranch_execz .LBB30_285
; %bb.276:
	s_and_not1_b32 vcc_lo, exec_lo, s3
	s_cbranch_vccnz .LBB30_278
; %bb.277:
	scratch_load_b64 v[66:67], v47, off
	ds_load_b64 v[68:69], v1
	s_wait_loadcnt_dscnt 0x0
	v_pk_mul_f32 v[70:71], v[68:69], v[66:67] op_sel:[1,1] op_sel_hi:[0,1]
	s_delay_alu instid0(VALU_DEP_1) | instskip(SKIP_1) | instid1(VALU_DEP_2)
	v_pk_fma_f32 v[72:73], v[68:69], v[66:67], v[70:71] op_sel_hi:[1,0,1]
	v_pk_fma_f32 v[66:67], v[68:69], v[66:67], v[70:71] neg_lo:[0,0,1] neg_hi:[0,0,1]
	v_mov_b32_e32 v67, v73
	s_cbranch_execz .LBB30_279
	s_branch .LBB30_280
.LBB30_278:
                                        ; implicit-def: $vgpr66_vgpr67
.LBB30_279:
	ds_load_b64 v[66:67], v1
.LBB30_280:
	s_and_saveexec_b32 s5, s2
	s_cbranch_execz .LBB30_284
; %bb.281:
	v_add_nc_u32_e32 v68, -3, v0
	s_mov_b32 s2, 24
	s_movk_i32 s9, 0x118
	s_mov_b32 s8, 0
.LBB30_282:                             ; =>This Inner Loop Header: Depth=1
	scratch_load_b64 v[70:71], off, s2
	v_dual_mov_b32 v69, s9 :: v_dual_add_nc_u32 v68, -1, v68
	s_add_co_i32 s9, s9, 8
	s_wait_xcnt 0x0
	s_add_co_i32 s2, s2, 8
	ds_load_b64 v[72:73], v69
	v_cmp_eq_u32_e32 vcc_lo, 0, v68
	s_or_b32 s8, vcc_lo, s8
	s_wait_loadcnt_dscnt 0x0
	v_pk_mul_f32 v[74:75], v[72:73], v[70:71] op_sel:[1,1] op_sel_hi:[0,1]
	s_delay_alu instid0(VALU_DEP_1) | instskip(SKIP_1) | instid1(VALU_DEP_2)
	v_pk_fma_f32 v[76:77], v[72:73], v[70:71], v[74:75] op_sel_hi:[1,0,1]
	v_pk_fma_f32 v[70:71], v[72:73], v[70:71], v[74:75] neg_lo:[0,0,1] neg_hi:[0,0,1]
	v_mov_b32_e32 v71, v77
	s_delay_alu instid0(VALU_DEP_1)
	v_pk_add_f32 v[66:67], v[66:67], v[70:71]
	s_and_not1_b32 exec_lo, exec_lo, s8
	s_cbranch_execnz .LBB30_282
; %bb.283:
	s_or_b32 exec_lo, exec_lo, s8
.LBB30_284:
	s_delay_alu instid0(SALU_CYCLE_1) | instskip(SKIP_4) | instid1(VALU_DEP_1)
	s_or_b32 exec_lo, exec_lo, s5
	v_mov_b32_e32 v68, 0
	ds_load_b64 v[68:69], v68 offset:16
	s_wait_dscnt 0x0
	v_pk_mul_f32 v[70:71], v[66:67], v[68:69] op_sel:[1,1] op_sel_hi:[0,1]
	v_pk_fma_f32 v[72:73], v[66:67], v[68:69], v[70:71] op_sel_hi:[1,0,1]
	v_pk_fma_f32 v[66:67], v[66:67], v[68:69], v[70:71] neg_lo:[0,0,1] neg_hi:[0,0,1]
	s_delay_alu instid0(VALU_DEP_2)
	v_mov_b32_e32 v67, v73
	scratch_store_b64 off, v[66:67], off offset:16
.LBB30_285:
	s_wait_xcnt 0x0
	s_or_b32 exec_lo, exec_lo, s0
	scratch_load_b64 v[66:67], off, off offset:8
	v_cmp_lt_u32_e64 s0, 1, v0
	s_wait_loadcnt 0x0
	ds_store_b64 v1, v[66:67]
	s_wait_storecnt_dscnt 0x0
	s_barrier_signal -1
	s_barrier_wait -1
	s_wait_xcnt 0x0
	s_and_saveexec_b32 s2, s0
	s_cbranch_execz .LBB30_295
; %bb.286:
	s_and_not1_b32 vcc_lo, exec_lo, s3
	s_cbranch_vccnz .LBB30_288
; %bb.287:
	scratch_load_b64 v[66:67], v47, off
	ds_load_b64 v[68:69], v1
	s_wait_loadcnt_dscnt 0x0
	v_pk_mul_f32 v[70:71], v[68:69], v[66:67] op_sel:[1,1] op_sel_hi:[0,1]
	s_delay_alu instid0(VALU_DEP_1) | instskip(SKIP_1) | instid1(VALU_DEP_2)
	v_pk_fma_f32 v[72:73], v[68:69], v[66:67], v[70:71] op_sel_hi:[1,0,1]
	v_pk_fma_f32 v[66:67], v[68:69], v[66:67], v[70:71] neg_lo:[0,0,1] neg_hi:[0,0,1]
	v_mov_b32_e32 v67, v73
	s_cbranch_execz .LBB30_289
	s_branch .LBB30_290
.LBB30_288:
                                        ; implicit-def: $vgpr66_vgpr67
.LBB30_289:
	ds_load_b64 v[66:67], v1
.LBB30_290:
	s_and_saveexec_b32 s5, s1
	s_cbranch_execz .LBB30_294
; %bb.291:
	v_add_nc_u32_e32 v68, -2, v0
	s_movk_i32 s8, 0x110
	s_mov_b32 s1, 0
.LBB30_292:                             ; =>This Inner Loop Header: Depth=1
	scratch_load_b64 v[70:71], off, s4
	v_dual_mov_b32 v69, s8 :: v_dual_add_nc_u32 v68, -1, v68
	s_add_co_i32 s8, s8, 8
	s_wait_xcnt 0x0
	s_add_co_i32 s4, s4, 8
	ds_load_b64 v[72:73], v69
	v_cmp_eq_u32_e32 vcc_lo, 0, v68
	s_or_b32 s1, vcc_lo, s1
	s_wait_loadcnt_dscnt 0x0
	v_pk_mul_f32 v[74:75], v[72:73], v[70:71] op_sel:[1,1] op_sel_hi:[0,1]
	s_delay_alu instid0(VALU_DEP_1) | instskip(SKIP_1) | instid1(VALU_DEP_2)
	v_pk_fma_f32 v[76:77], v[72:73], v[70:71], v[74:75] op_sel_hi:[1,0,1]
	v_pk_fma_f32 v[70:71], v[72:73], v[70:71], v[74:75] neg_lo:[0,0,1] neg_hi:[0,0,1]
	v_mov_b32_e32 v71, v77
	s_delay_alu instid0(VALU_DEP_1)
	v_pk_add_f32 v[66:67], v[66:67], v[70:71]
	s_and_not1_b32 exec_lo, exec_lo, s1
	s_cbranch_execnz .LBB30_292
; %bb.293:
	s_or_b32 exec_lo, exec_lo, s1
.LBB30_294:
	s_delay_alu instid0(SALU_CYCLE_1) | instskip(SKIP_4) | instid1(VALU_DEP_1)
	s_or_b32 exec_lo, exec_lo, s5
	v_mov_b32_e32 v68, 0
	ds_load_b64 v[68:69], v68 offset:8
	s_wait_dscnt 0x0
	v_pk_mul_f32 v[70:71], v[66:67], v[68:69] op_sel:[1,1] op_sel_hi:[0,1]
	v_pk_fma_f32 v[72:73], v[66:67], v[68:69], v[70:71] op_sel_hi:[1,0,1]
	v_pk_fma_f32 v[66:67], v[66:67], v[68:69], v[70:71] neg_lo:[0,0,1] neg_hi:[0,0,1]
	s_delay_alu instid0(VALU_DEP_2)
	v_mov_b32_e32 v67, v73
	scratch_store_b64 off, v[66:67], off offset:8
.LBB30_295:
	s_wait_xcnt 0x0
	s_or_b32 exec_lo, exec_lo, s2
	scratch_load_b64 v[66:67], off, off
	s_mov_b32 s2, 0
	s_mov_b32 s1, 0
	s_mov_b32 s5, exec_lo
                                        ; implicit-def: $vgpr78
                                        ; implicit-def: $sgpr4
	s_wait_loadcnt 0x0
	ds_store_b64 v1, v[66:67]
	s_wait_storecnt_dscnt 0x0
	s_barrier_signal -1
	s_barrier_wait -1
	s_wait_xcnt 0x0
	v_cmpx_ne_u32_e32 0, v0
	s_cbranch_execz .LBB30_305
; %bb.296:
	s_and_not1_b32 vcc_lo, exec_lo, s3
	s_cbranch_vccnz .LBB30_298
; %bb.297:
	scratch_load_b64 v[68:69], v47, off
	ds_load_b64 v[70:71], v1
	s_wait_loadcnt_dscnt 0x0
	v_dual_mul_f32 v66, v71, v69 :: v_dual_mul_f32 v67, v70, v69
	s_delay_alu instid0(VALU_DEP_1)
	v_dual_fma_f32 v66, v70, v68, -v66 :: v_dual_fmac_f32 v67, v71, v68
	s_and_not1_b32 vcc_lo, exec_lo, s1
	s_cbranch_vccz .LBB30_299
	s_branch .LBB30_300
.LBB30_298:
                                        ; implicit-def: $vgpr66
.LBB30_299:
	ds_load_b64 v[66:67], v1
.LBB30_300:
	s_and_saveexec_b32 s1, s0
	s_cbranch_execz .LBB30_304
; %bb.301:
	v_add_nc_u32_e32 v68, -1, v0
	s_or_b32 s0, 0, 8
	s_movk_i32 s8, 0x108
	s_mov_b32 s4, 0
.LBB30_302:                             ; =>This Inner Loop Header: Depth=1
	scratch_load_b64 v[70:71], off, s0
	v_mov_b32_e32 v69, s8
	s_add_co_i32 s8, s8, 8
	s_wait_xcnt 0x0
	s_add_co_i32 s0, s0, 8
	v_add_nc_u32_e32 v68, -1, v68
	ds_load_b64 v[72:73], v69
	v_cmp_eq_u32_e32 vcc_lo, 0, v68
	s_or_b32 s4, vcc_lo, s4
	s_wait_loadcnt_dscnt 0x0
	v_dual_mul_f32 v69, v73, v71 :: v_dual_mul_f32 v71, v72, v71
	s_delay_alu instid0(VALU_DEP_1) | instskip(NEXT) | instid1(VALU_DEP_1)
	v_dual_fma_f32 v69, v72, v70, -v69 :: v_dual_fmac_f32 v71, v73, v70
	v_dual_add_f32 v66, v66, v69 :: v_dual_add_f32 v67, v67, v71
	s_and_not1_b32 exec_lo, exec_lo, s4
	s_cbranch_execnz .LBB30_302
; %bb.303:
	s_or_b32 exec_lo, exec_lo, s4
.LBB30_304:
	s_delay_alu instid0(SALU_CYCLE_1)
	s_or_b32 exec_lo, exec_lo, s1
	v_mov_b32_e32 v68, 0
	s_mov_b32 s1, exec_lo
	s_or_b32 s4, 0, 4
	ds_load_b64 v[68:69], v68
	s_wait_dscnt 0x0
	v_dual_mul_f32 v70, v67, v69 :: v_dual_mul_f32 v78, v66, v69
	s_delay_alu instid0(VALU_DEP_1) | instskip(NEXT) | instid1(VALU_DEP_2)
	v_fma_f32 v66, v66, v68, -v70
	v_fmac_f32_e32 v78, v67, v68
	scratch_store_b32 off, v66, off
.LBB30_305:
	s_wait_xcnt 0x0
	s_or_b32 exec_lo, exec_lo, s5
	s_delay_alu instid0(SALU_CYCLE_1)
	s_and_b32 vcc_lo, exec_lo, s2
	s_cbranch_vccz .LBB30_601
.LBB30_306:
	scratch_load_b64 v[66:67], off, off offset:8
	v_cmp_eq_u32_e64 s0, 0, v0
	s_wait_loadcnt 0x0
	ds_store_b64 v1, v[66:67]
	s_wait_storecnt_dscnt 0x0
	s_barrier_signal -1
	s_barrier_wait -1
	s_wait_xcnt 0x0
	s_and_saveexec_b32 s2, s0
	s_cbranch_execz .LBB30_312
; %bb.307:
	s_and_b32 vcc_lo, exec_lo, s3
	s_cbranch_vccz .LBB30_309
; %bb.308:
	scratch_load_b64 v[66:67], v47, off
	ds_load_b64 v[68:69], v1
	s_wait_loadcnt_dscnt 0x0
	v_pk_mul_f32 v[70:71], v[68:69], v[66:67] op_sel:[1,1] op_sel_hi:[0,1]
	v_pk_mul_f32 v[72:73], v[68:69], v[66:67] op_sel_hi:[1,0]
	s_delay_alu instid0(VALU_DEP_2) | instskip(NEXT) | instid1(VALU_DEP_2)
	v_pk_fma_f32 v[66:67], v[68:69], v[66:67], v[70:71] op_sel_hi:[1,0,1]
	v_sub_f32_e32 v66, v72, v70
	s_cbranch_execz .LBB30_310
	s_branch .LBB30_311
.LBB30_309:
                                        ; implicit-def: $vgpr67
.LBB30_310:
	ds_load_b64 v[66:67], v1
.LBB30_311:
	s_wait_dscnt 0x0
	v_dual_mov_b32 v68, 0 :: v_dual_mov_b32 v70, v67
	v_mov_b32_e32 v71, v66
	ds_load_b64 v[68:69], v68 offset:8
	s_wait_dscnt 0x0
	v_pk_mul_f32 v[70:71], v[70:71], v[68:69] op_sel:[0,1]
	s_delay_alu instid0(VALU_DEP_1) | instskip(SKIP_1) | instid1(VALU_DEP_2)
	v_pk_fma_f32 v[72:73], v[66:67], v[68:69], v[70:71] op_sel_hi:[1,0,1]
	v_pk_fma_f32 v[66:67], v[66:67], v[68:69], v[70:71] neg_lo:[0,0,1] neg_hi:[0,0,1]
	v_mov_b32_e32 v67, v73
	scratch_store_b64 off, v[66:67], off offset:8
.LBB30_312:
	s_wait_xcnt 0x0
	s_or_b32 exec_lo, exec_lo, s2
	scratch_load_b64 v[66:67], off, off offset:16
	v_cndmask_b32_e64 v68, 0, 1, s3
	s_mov_b32 s2, exec_lo
	s_wait_loadcnt 0x0
	ds_store_b64 v1, v[66:67]
	s_wait_storecnt_dscnt 0x0
	s_barrier_signal -1
	s_barrier_wait -1
	s_wait_xcnt 0x0
	v_cmpx_gt_u32_e32 2, v0
	s_cbranch_execz .LBB30_320
; %bb.313:
	s_and_not1_b32 vcc_lo, exec_lo, s3
	s_cbranch_vccnz .LBB30_315
; %bb.314:
	scratch_load_b64 v[66:67], v47, off
	ds_load_b64 v[70:71], v1
	s_wait_loadcnt_dscnt 0x0
	v_pk_mul_f32 v[72:73], v[70:71], v[66:67] op_sel:[1,1] op_sel_hi:[0,1]
	s_delay_alu instid0(VALU_DEP_1) | instskip(SKIP_1) | instid1(VALU_DEP_2)
	v_pk_fma_f32 v[74:75], v[70:71], v[66:67], v[72:73] op_sel_hi:[1,0,1]
	v_pk_fma_f32 v[66:67], v[70:71], v[66:67], v[72:73] neg_lo:[0,0,1] neg_hi:[0,0,1]
	v_mov_b32_e32 v67, v75
	s_cbranch_execz .LBB30_316
	s_branch .LBB30_317
.LBB30_315:
                                        ; implicit-def: $vgpr66_vgpr67
.LBB30_316:
	ds_load_b64 v[66:67], v1
.LBB30_317:
	s_and_saveexec_b32 s3, s0
	s_cbranch_execz .LBB30_319
; %bb.318:
	scratch_load_b64 v[70:71], off, off offset:8
	v_mov_b32_e32 v69, 0
	ds_load_b64 v[72:73], v69 offset:264
	s_wait_loadcnt_dscnt 0x0
	v_pk_mul_f32 v[74:75], v[72:73], v[70:71] op_sel:[1,1] op_sel_hi:[0,1]
	s_delay_alu instid0(VALU_DEP_1) | instskip(SKIP_1) | instid1(VALU_DEP_2)
	v_pk_fma_f32 v[76:77], v[72:73], v[70:71], v[74:75] op_sel_hi:[1,0,1]
	v_pk_fma_f32 v[70:71], v[72:73], v[70:71], v[74:75] neg_lo:[0,0,1] neg_hi:[0,0,1]
	v_mov_b32_e32 v71, v77
	s_delay_alu instid0(VALU_DEP_1)
	v_pk_add_f32 v[66:67], v[66:67], v[70:71]
.LBB30_319:
	s_or_b32 exec_lo, exec_lo, s3
	v_mov_b32_e32 v69, 0
	ds_load_b64 v[70:71], v69 offset:16
	s_wait_dscnt 0x0
	v_pk_mul_f32 v[72:73], v[66:67], v[70:71] op_sel:[1,1] op_sel_hi:[0,1]
	s_delay_alu instid0(VALU_DEP_1) | instskip(SKIP_1) | instid1(VALU_DEP_2)
	v_pk_fma_f32 v[74:75], v[66:67], v[70:71], v[72:73] op_sel_hi:[1,0,1]
	v_pk_fma_f32 v[66:67], v[66:67], v[70:71], v[72:73] neg_lo:[0,0,1] neg_hi:[0,0,1]
	v_mov_b32_e32 v67, v75
	scratch_store_b64 off, v[66:67], off offset:16
.LBB30_320:
	s_wait_xcnt 0x0
	s_or_b32 exec_lo, exec_lo, s2
	scratch_load_b64 v[66:67], off, off offset:24
	s_mov_b32 s2, exec_lo
	s_wait_loadcnt 0x0
	ds_store_b64 v1, v[66:67]
	s_wait_storecnt_dscnt 0x0
	s_barrier_signal -1
	s_barrier_wait -1
	s_wait_xcnt 0x0
	v_cmpx_gt_u32_e32 3, v0
	s_cbranch_execz .LBB30_330
; %bb.321:
	v_cmp_ne_u32_e32 vcc_lo, 1, v68
	s_cbranch_vccnz .LBB30_323
; %bb.322:
	scratch_load_b64 v[66:67], v47, off
	ds_load_b64 v[70:71], v1
	s_wait_loadcnt_dscnt 0x0
	v_pk_mul_f32 v[72:73], v[70:71], v[66:67] op_sel:[1,1] op_sel_hi:[0,1]
	s_delay_alu instid0(VALU_DEP_1) | instskip(SKIP_1) | instid1(VALU_DEP_2)
	v_pk_fma_f32 v[74:75], v[70:71], v[66:67], v[72:73] op_sel_hi:[1,0,1]
	v_pk_fma_f32 v[66:67], v[70:71], v[66:67], v[72:73] neg_lo:[0,0,1] neg_hi:[0,0,1]
	v_mov_b32_e32 v67, v75
	s_cbranch_execz .LBB30_324
	s_branch .LBB30_325
.LBB30_323:
                                        ; implicit-def: $vgpr66_vgpr67
.LBB30_324:
	ds_load_b64 v[66:67], v1
.LBB30_325:
	s_mov_b32 s3, exec_lo
	v_cmpx_ne_u32_e32 2, v0
	s_cbranch_execz .LBB30_329
; %bb.326:
	scratch_load_b64 v[70:71], v47, off offset:8
	ds_load_b64 v[72:73], v1 offset:8
	s_wait_loadcnt_dscnt 0x0
	v_pk_mul_f32 v[74:75], v[72:73], v[70:71] op_sel:[1,1] op_sel_hi:[0,1]
	s_delay_alu instid0(VALU_DEP_1) | instskip(SKIP_1) | instid1(VALU_DEP_2)
	v_pk_fma_f32 v[76:77], v[72:73], v[70:71], v[74:75] op_sel_hi:[1,0,1]
	v_pk_fma_f32 v[70:71], v[72:73], v[70:71], v[74:75] neg_lo:[0,0,1] neg_hi:[0,0,1]
	v_mov_b32_e32 v71, v77
	s_delay_alu instid0(VALU_DEP_1)
	v_pk_add_f32 v[66:67], v[66:67], v[70:71]
	s_and_saveexec_b32 s4, s0
	s_cbranch_execz .LBB30_328
; %bb.327:
	scratch_load_b64 v[70:71], off, off offset:16
	v_mov_b32_e32 v69, 0
	ds_load_b64 v[72:73], v69 offset:272
	s_wait_loadcnt_dscnt 0x0
	v_pk_mul_f32 v[74:75], v[72:73], v[70:71] op_sel:[1,1] op_sel_hi:[0,1]
	s_delay_alu instid0(VALU_DEP_1) | instskip(SKIP_1) | instid1(VALU_DEP_2)
	v_pk_fma_f32 v[76:77], v[72:73], v[70:71], v[74:75] op_sel_hi:[1,0,1]
	v_pk_fma_f32 v[70:71], v[72:73], v[70:71], v[74:75] neg_lo:[0,0,1] neg_hi:[0,0,1]
	v_mov_b32_e32 v71, v77
	s_delay_alu instid0(VALU_DEP_1)
	v_pk_add_f32 v[66:67], v[66:67], v[70:71]
.LBB30_328:
	s_or_b32 exec_lo, exec_lo, s4
.LBB30_329:
	s_delay_alu instid0(SALU_CYCLE_1) | instskip(SKIP_4) | instid1(VALU_DEP_1)
	s_or_b32 exec_lo, exec_lo, s3
	v_mov_b32_e32 v69, 0
	ds_load_b64 v[70:71], v69 offset:24
	s_wait_dscnt 0x0
	v_pk_mul_f32 v[72:73], v[66:67], v[70:71] op_sel:[1,1] op_sel_hi:[0,1]
	v_pk_fma_f32 v[74:75], v[66:67], v[70:71], v[72:73] op_sel_hi:[1,0,1]
	v_pk_fma_f32 v[66:67], v[66:67], v[70:71], v[72:73] neg_lo:[0,0,1] neg_hi:[0,0,1]
	s_delay_alu instid0(VALU_DEP_2)
	v_mov_b32_e32 v67, v75
	scratch_store_b64 off, v[66:67], off offset:24
.LBB30_330:
	s_wait_xcnt 0x0
	s_or_b32 exec_lo, exec_lo, s2
	scratch_load_b64 v[66:67], off, off offset:32
	s_mov_b32 s0, exec_lo
	s_wait_loadcnt 0x0
	ds_store_b64 v1, v[66:67]
	s_wait_storecnt_dscnt 0x0
	s_barrier_signal -1
	s_barrier_wait -1
	s_wait_xcnt 0x0
	v_cmpx_gt_u32_e32 4, v0
	s_cbranch_execz .LBB30_340
; %bb.331:
	v_cmp_ne_u32_e32 vcc_lo, 1, v68
	s_cbranch_vccnz .LBB30_333
; %bb.332:
	scratch_load_b64 v[66:67], v47, off
	ds_load_b64 v[70:71], v1
	s_wait_loadcnt_dscnt 0x0
	v_pk_mul_f32 v[72:73], v[70:71], v[66:67] op_sel:[1,1] op_sel_hi:[0,1]
	s_delay_alu instid0(VALU_DEP_1) | instskip(SKIP_1) | instid1(VALU_DEP_2)
	v_pk_fma_f32 v[74:75], v[70:71], v[66:67], v[72:73] op_sel_hi:[1,0,1]
	v_pk_fma_f32 v[66:67], v[70:71], v[66:67], v[72:73] neg_lo:[0,0,1] neg_hi:[0,0,1]
	v_mov_b32_e32 v67, v75
	s_cbranch_execz .LBB30_334
	s_branch .LBB30_335
.LBB30_333:
                                        ; implicit-def: $vgpr66_vgpr67
.LBB30_334:
	ds_load_b64 v[66:67], v1
.LBB30_335:
	s_mov_b32 s2, exec_lo
	v_cmpx_ne_u32_e32 3, v0
	s_cbranch_execz .LBB30_339
; %bb.336:
	v_add_nc_u32_e32 v69, 0x108, v46
	v_add3_u32 v70, 0, v46, 8
	v_mov_b32_e32 v71, v0
	s_mov_b32 s3, 0
.LBB30_337:                             ; =>This Inner Loop Header: Depth=1
	scratch_load_b64 v[72:73], v70, off
	ds_load_b64 v[74:75], v69
	s_wait_xcnt 0x0
	v_dual_add_nc_u32 v69, 8, v69 :: v_dual_add_nc_u32 v70, 8, v70
	s_wait_loadcnt_dscnt 0x0
	v_pk_mul_f32 v[76:77], v[74:75], v[72:73] op_sel:[1,1] op_sel_hi:[0,1]
	s_delay_alu instid0(VALU_DEP_1) | instskip(SKIP_2) | instid1(VALU_DEP_3)
	v_pk_fma_f32 v[78:79], v[74:75], v[72:73], v[76:77] op_sel_hi:[1,0,1]
	v_add_nc_u32_e32 v71, 1, v71
	v_pk_fma_f32 v[72:73], v[74:75], v[72:73], v[76:77] neg_lo:[0,0,1] neg_hi:[0,0,1]
	v_mov_b32_e32 v73, v79
	s_delay_alu instid0(VALU_DEP_3) | instskip(NEXT) | instid1(VALU_DEP_2)
	v_cmp_lt_u32_e32 vcc_lo, 2, v71
	v_pk_add_f32 v[66:67], v[66:67], v[72:73]
	s_or_b32 s3, vcc_lo, s3
	s_delay_alu instid0(SALU_CYCLE_1)
	s_and_not1_b32 exec_lo, exec_lo, s3
	s_cbranch_execnz .LBB30_337
; %bb.338:
	s_or_b32 exec_lo, exec_lo, s3
.LBB30_339:
	s_delay_alu instid0(SALU_CYCLE_1) | instskip(SKIP_4) | instid1(VALU_DEP_1)
	s_or_b32 exec_lo, exec_lo, s2
	v_mov_b32_e32 v69, 0
	ds_load_b64 v[70:71], v69 offset:32
	s_wait_dscnt 0x0
	v_pk_mul_f32 v[72:73], v[66:67], v[70:71] op_sel:[1,1] op_sel_hi:[0,1]
	v_pk_fma_f32 v[74:75], v[66:67], v[70:71], v[72:73] op_sel_hi:[1,0,1]
	v_pk_fma_f32 v[66:67], v[66:67], v[70:71], v[72:73] neg_lo:[0,0,1] neg_hi:[0,0,1]
	s_delay_alu instid0(VALU_DEP_2)
	v_mov_b32_e32 v67, v75
	scratch_store_b64 off, v[66:67], off offset:32
.LBB30_340:
	s_wait_xcnt 0x0
	s_or_b32 exec_lo, exec_lo, s0
	scratch_load_b64 v[66:67], off, off offset:40
	s_mov_b32 s0, exec_lo
	s_wait_loadcnt 0x0
	ds_store_b64 v1, v[66:67]
	s_wait_storecnt_dscnt 0x0
	s_barrier_signal -1
	s_barrier_wait -1
	s_wait_xcnt 0x0
	v_cmpx_gt_u32_e32 5, v0
	s_cbranch_execz .LBB30_350
; %bb.341:
	v_cmp_ne_u32_e32 vcc_lo, 1, v68
	s_cbranch_vccnz .LBB30_343
; %bb.342:
	scratch_load_b64 v[66:67], v47, off
	ds_load_b64 v[70:71], v1
	s_wait_loadcnt_dscnt 0x0
	v_pk_mul_f32 v[72:73], v[70:71], v[66:67] op_sel:[1,1] op_sel_hi:[0,1]
	s_delay_alu instid0(VALU_DEP_1) | instskip(SKIP_1) | instid1(VALU_DEP_2)
	v_pk_fma_f32 v[74:75], v[70:71], v[66:67], v[72:73] op_sel_hi:[1,0,1]
	v_pk_fma_f32 v[66:67], v[70:71], v[66:67], v[72:73] neg_lo:[0,0,1] neg_hi:[0,0,1]
	v_mov_b32_e32 v67, v75
	s_cbranch_execz .LBB30_344
	s_branch .LBB30_345
.LBB30_343:
                                        ; implicit-def: $vgpr66_vgpr67
.LBB30_344:
	ds_load_b64 v[66:67], v1
.LBB30_345:
	s_mov_b32 s2, exec_lo
	v_cmpx_ne_u32_e32 4, v0
	s_cbranch_execz .LBB30_349
; %bb.346:
	v_add_nc_u32_e32 v69, 0x108, v46
	v_add3_u32 v70, 0, v46, 8
	v_mov_b32_e32 v71, v0
	s_mov_b32 s3, 0
.LBB30_347:                             ; =>This Inner Loop Header: Depth=1
	scratch_load_b64 v[72:73], v70, off
	ds_load_b64 v[74:75], v69
	s_wait_xcnt 0x0
	v_dual_add_nc_u32 v69, 8, v69 :: v_dual_add_nc_u32 v70, 8, v70
	s_wait_loadcnt_dscnt 0x0
	v_pk_mul_f32 v[76:77], v[74:75], v[72:73] op_sel:[1,1] op_sel_hi:[0,1]
	s_delay_alu instid0(VALU_DEP_1) | instskip(SKIP_2) | instid1(VALU_DEP_3)
	v_pk_fma_f32 v[78:79], v[74:75], v[72:73], v[76:77] op_sel_hi:[1,0,1]
	v_add_nc_u32_e32 v71, 1, v71
	v_pk_fma_f32 v[72:73], v[74:75], v[72:73], v[76:77] neg_lo:[0,0,1] neg_hi:[0,0,1]
	v_mov_b32_e32 v73, v79
	s_delay_alu instid0(VALU_DEP_3) | instskip(NEXT) | instid1(VALU_DEP_2)
	v_cmp_lt_u32_e32 vcc_lo, 3, v71
	v_pk_add_f32 v[66:67], v[66:67], v[72:73]
	s_or_b32 s3, vcc_lo, s3
	s_delay_alu instid0(SALU_CYCLE_1)
	s_and_not1_b32 exec_lo, exec_lo, s3
	s_cbranch_execnz .LBB30_347
; %bb.348:
	s_or_b32 exec_lo, exec_lo, s3
.LBB30_349:
	s_delay_alu instid0(SALU_CYCLE_1) | instskip(SKIP_4) | instid1(VALU_DEP_1)
	s_or_b32 exec_lo, exec_lo, s2
	v_mov_b32_e32 v69, 0
	ds_load_b64 v[70:71], v69 offset:40
	s_wait_dscnt 0x0
	v_pk_mul_f32 v[72:73], v[66:67], v[70:71] op_sel:[1,1] op_sel_hi:[0,1]
	v_pk_fma_f32 v[74:75], v[66:67], v[70:71], v[72:73] op_sel_hi:[1,0,1]
	v_pk_fma_f32 v[66:67], v[66:67], v[70:71], v[72:73] neg_lo:[0,0,1] neg_hi:[0,0,1]
	s_delay_alu instid0(VALU_DEP_2)
	v_mov_b32_e32 v67, v75
	scratch_store_b64 off, v[66:67], off offset:40
.LBB30_350:
	s_wait_xcnt 0x0
	s_or_b32 exec_lo, exec_lo, s0
	scratch_load_b64 v[66:67], off, off offset:48
	s_mov_b32 s0, exec_lo
	s_wait_loadcnt 0x0
	ds_store_b64 v1, v[66:67]
	s_wait_storecnt_dscnt 0x0
	s_barrier_signal -1
	s_barrier_wait -1
	s_wait_xcnt 0x0
	v_cmpx_gt_u32_e32 6, v0
	s_cbranch_execz .LBB30_360
; %bb.351:
	v_cmp_ne_u32_e32 vcc_lo, 1, v68
	s_cbranch_vccnz .LBB30_353
; %bb.352:
	scratch_load_b64 v[66:67], v47, off
	ds_load_b64 v[70:71], v1
	s_wait_loadcnt_dscnt 0x0
	v_pk_mul_f32 v[72:73], v[70:71], v[66:67] op_sel:[1,1] op_sel_hi:[0,1]
	s_delay_alu instid0(VALU_DEP_1) | instskip(SKIP_1) | instid1(VALU_DEP_2)
	v_pk_fma_f32 v[74:75], v[70:71], v[66:67], v[72:73] op_sel_hi:[1,0,1]
	v_pk_fma_f32 v[66:67], v[70:71], v[66:67], v[72:73] neg_lo:[0,0,1] neg_hi:[0,0,1]
	v_mov_b32_e32 v67, v75
	s_cbranch_execz .LBB30_354
	s_branch .LBB30_355
.LBB30_353:
                                        ; implicit-def: $vgpr66_vgpr67
.LBB30_354:
	ds_load_b64 v[66:67], v1
.LBB30_355:
	s_mov_b32 s2, exec_lo
	v_cmpx_ne_u32_e32 5, v0
	s_cbranch_execz .LBB30_359
; %bb.356:
	v_add_nc_u32_e32 v69, 0x108, v46
	v_add3_u32 v70, 0, v46, 8
	v_mov_b32_e32 v71, v0
	s_mov_b32 s3, 0
.LBB30_357:                             ; =>This Inner Loop Header: Depth=1
	scratch_load_b64 v[72:73], v70, off
	ds_load_b64 v[74:75], v69
	s_wait_xcnt 0x0
	v_dual_add_nc_u32 v69, 8, v69 :: v_dual_add_nc_u32 v70, 8, v70
	s_wait_loadcnt_dscnt 0x0
	v_pk_mul_f32 v[76:77], v[74:75], v[72:73] op_sel:[1,1] op_sel_hi:[0,1]
	s_delay_alu instid0(VALU_DEP_1) | instskip(SKIP_2) | instid1(VALU_DEP_3)
	v_pk_fma_f32 v[78:79], v[74:75], v[72:73], v[76:77] op_sel_hi:[1,0,1]
	v_add_nc_u32_e32 v71, 1, v71
	v_pk_fma_f32 v[72:73], v[74:75], v[72:73], v[76:77] neg_lo:[0,0,1] neg_hi:[0,0,1]
	v_mov_b32_e32 v73, v79
	s_delay_alu instid0(VALU_DEP_3) | instskip(NEXT) | instid1(VALU_DEP_2)
	v_cmp_lt_u32_e32 vcc_lo, 4, v71
	v_pk_add_f32 v[66:67], v[66:67], v[72:73]
	s_or_b32 s3, vcc_lo, s3
	s_delay_alu instid0(SALU_CYCLE_1)
	s_and_not1_b32 exec_lo, exec_lo, s3
	s_cbranch_execnz .LBB30_357
; %bb.358:
	s_or_b32 exec_lo, exec_lo, s3
.LBB30_359:
	s_delay_alu instid0(SALU_CYCLE_1) | instskip(SKIP_4) | instid1(VALU_DEP_1)
	s_or_b32 exec_lo, exec_lo, s2
	v_mov_b32_e32 v69, 0
	ds_load_b64 v[70:71], v69 offset:48
	s_wait_dscnt 0x0
	v_pk_mul_f32 v[72:73], v[66:67], v[70:71] op_sel:[1,1] op_sel_hi:[0,1]
	v_pk_fma_f32 v[74:75], v[66:67], v[70:71], v[72:73] op_sel_hi:[1,0,1]
	v_pk_fma_f32 v[66:67], v[66:67], v[70:71], v[72:73] neg_lo:[0,0,1] neg_hi:[0,0,1]
	s_delay_alu instid0(VALU_DEP_2)
	v_mov_b32_e32 v67, v75
	scratch_store_b64 off, v[66:67], off offset:48
.LBB30_360:
	s_wait_xcnt 0x0
	s_or_b32 exec_lo, exec_lo, s0
	scratch_load_b64 v[66:67], off, off offset:56
	s_mov_b32 s0, exec_lo
	s_wait_loadcnt 0x0
	ds_store_b64 v1, v[66:67]
	s_wait_storecnt_dscnt 0x0
	s_barrier_signal -1
	s_barrier_wait -1
	s_wait_xcnt 0x0
	v_cmpx_gt_u32_e32 7, v0
	s_cbranch_execz .LBB30_370
; %bb.361:
	v_cmp_ne_u32_e32 vcc_lo, 1, v68
	s_cbranch_vccnz .LBB30_363
; %bb.362:
	scratch_load_b64 v[66:67], v47, off
	ds_load_b64 v[70:71], v1
	s_wait_loadcnt_dscnt 0x0
	v_pk_mul_f32 v[72:73], v[70:71], v[66:67] op_sel:[1,1] op_sel_hi:[0,1]
	s_delay_alu instid0(VALU_DEP_1) | instskip(SKIP_1) | instid1(VALU_DEP_2)
	v_pk_fma_f32 v[74:75], v[70:71], v[66:67], v[72:73] op_sel_hi:[1,0,1]
	v_pk_fma_f32 v[66:67], v[70:71], v[66:67], v[72:73] neg_lo:[0,0,1] neg_hi:[0,0,1]
	v_mov_b32_e32 v67, v75
	s_cbranch_execz .LBB30_364
	s_branch .LBB30_365
.LBB30_363:
                                        ; implicit-def: $vgpr66_vgpr67
.LBB30_364:
	ds_load_b64 v[66:67], v1
.LBB30_365:
	s_mov_b32 s2, exec_lo
	v_cmpx_ne_u32_e32 6, v0
	s_cbranch_execz .LBB30_369
; %bb.366:
	v_add_nc_u32_e32 v69, 0x108, v46
	v_add3_u32 v70, 0, v46, 8
	v_mov_b32_e32 v71, v0
	s_mov_b32 s3, 0
.LBB30_367:                             ; =>This Inner Loop Header: Depth=1
	scratch_load_b64 v[72:73], v70, off
	ds_load_b64 v[74:75], v69
	s_wait_xcnt 0x0
	v_dual_add_nc_u32 v69, 8, v69 :: v_dual_add_nc_u32 v70, 8, v70
	s_wait_loadcnt_dscnt 0x0
	v_pk_mul_f32 v[76:77], v[74:75], v[72:73] op_sel:[1,1] op_sel_hi:[0,1]
	s_delay_alu instid0(VALU_DEP_1) | instskip(SKIP_2) | instid1(VALU_DEP_3)
	v_pk_fma_f32 v[78:79], v[74:75], v[72:73], v[76:77] op_sel_hi:[1,0,1]
	v_add_nc_u32_e32 v71, 1, v71
	v_pk_fma_f32 v[72:73], v[74:75], v[72:73], v[76:77] neg_lo:[0,0,1] neg_hi:[0,0,1]
	v_mov_b32_e32 v73, v79
	s_delay_alu instid0(VALU_DEP_3) | instskip(NEXT) | instid1(VALU_DEP_2)
	v_cmp_lt_u32_e32 vcc_lo, 5, v71
	v_pk_add_f32 v[66:67], v[66:67], v[72:73]
	s_or_b32 s3, vcc_lo, s3
	s_delay_alu instid0(SALU_CYCLE_1)
	s_and_not1_b32 exec_lo, exec_lo, s3
	s_cbranch_execnz .LBB30_367
; %bb.368:
	s_or_b32 exec_lo, exec_lo, s3
.LBB30_369:
	s_delay_alu instid0(SALU_CYCLE_1) | instskip(SKIP_4) | instid1(VALU_DEP_1)
	s_or_b32 exec_lo, exec_lo, s2
	v_mov_b32_e32 v69, 0
	ds_load_b64 v[70:71], v69 offset:56
	s_wait_dscnt 0x0
	v_pk_mul_f32 v[72:73], v[66:67], v[70:71] op_sel:[1,1] op_sel_hi:[0,1]
	v_pk_fma_f32 v[74:75], v[66:67], v[70:71], v[72:73] op_sel_hi:[1,0,1]
	v_pk_fma_f32 v[66:67], v[66:67], v[70:71], v[72:73] neg_lo:[0,0,1] neg_hi:[0,0,1]
	s_delay_alu instid0(VALU_DEP_2)
	v_mov_b32_e32 v67, v75
	scratch_store_b64 off, v[66:67], off offset:56
.LBB30_370:
	s_wait_xcnt 0x0
	s_or_b32 exec_lo, exec_lo, s0
	scratch_load_b64 v[66:67], off, off offset:64
	s_mov_b32 s0, exec_lo
	s_wait_loadcnt 0x0
	ds_store_b64 v1, v[66:67]
	s_wait_storecnt_dscnt 0x0
	s_barrier_signal -1
	s_barrier_wait -1
	s_wait_xcnt 0x0
	v_cmpx_gt_u32_e32 8, v0
	s_cbranch_execz .LBB30_380
; %bb.371:
	v_cmp_ne_u32_e32 vcc_lo, 1, v68
	s_cbranch_vccnz .LBB30_373
; %bb.372:
	scratch_load_b64 v[66:67], v47, off
	ds_load_b64 v[70:71], v1
	s_wait_loadcnt_dscnt 0x0
	v_pk_mul_f32 v[72:73], v[70:71], v[66:67] op_sel:[1,1] op_sel_hi:[0,1]
	s_delay_alu instid0(VALU_DEP_1) | instskip(SKIP_1) | instid1(VALU_DEP_2)
	v_pk_fma_f32 v[74:75], v[70:71], v[66:67], v[72:73] op_sel_hi:[1,0,1]
	v_pk_fma_f32 v[66:67], v[70:71], v[66:67], v[72:73] neg_lo:[0,0,1] neg_hi:[0,0,1]
	v_mov_b32_e32 v67, v75
	s_cbranch_execz .LBB30_374
	s_branch .LBB30_375
.LBB30_373:
                                        ; implicit-def: $vgpr66_vgpr67
.LBB30_374:
	ds_load_b64 v[66:67], v1
.LBB30_375:
	s_mov_b32 s2, exec_lo
	v_cmpx_ne_u32_e32 7, v0
	s_cbranch_execz .LBB30_379
; %bb.376:
	v_add_nc_u32_e32 v69, 0x108, v46
	v_add3_u32 v70, 0, v46, 8
	v_mov_b32_e32 v71, v0
	s_mov_b32 s3, 0
.LBB30_377:                             ; =>This Inner Loop Header: Depth=1
	scratch_load_b64 v[72:73], v70, off
	ds_load_b64 v[74:75], v69
	s_wait_xcnt 0x0
	v_dual_add_nc_u32 v69, 8, v69 :: v_dual_add_nc_u32 v70, 8, v70
	s_wait_loadcnt_dscnt 0x0
	v_pk_mul_f32 v[76:77], v[74:75], v[72:73] op_sel:[1,1] op_sel_hi:[0,1]
	s_delay_alu instid0(VALU_DEP_1) | instskip(SKIP_2) | instid1(VALU_DEP_3)
	v_pk_fma_f32 v[78:79], v[74:75], v[72:73], v[76:77] op_sel_hi:[1,0,1]
	v_add_nc_u32_e32 v71, 1, v71
	v_pk_fma_f32 v[72:73], v[74:75], v[72:73], v[76:77] neg_lo:[0,0,1] neg_hi:[0,0,1]
	v_mov_b32_e32 v73, v79
	s_delay_alu instid0(VALU_DEP_3) | instskip(NEXT) | instid1(VALU_DEP_2)
	v_cmp_lt_u32_e32 vcc_lo, 6, v71
	v_pk_add_f32 v[66:67], v[66:67], v[72:73]
	s_or_b32 s3, vcc_lo, s3
	s_delay_alu instid0(SALU_CYCLE_1)
	s_and_not1_b32 exec_lo, exec_lo, s3
	s_cbranch_execnz .LBB30_377
; %bb.378:
	s_or_b32 exec_lo, exec_lo, s3
.LBB30_379:
	s_delay_alu instid0(SALU_CYCLE_1) | instskip(SKIP_4) | instid1(VALU_DEP_1)
	s_or_b32 exec_lo, exec_lo, s2
	v_mov_b32_e32 v69, 0
	ds_load_b64 v[70:71], v69 offset:64
	s_wait_dscnt 0x0
	v_pk_mul_f32 v[72:73], v[66:67], v[70:71] op_sel:[1,1] op_sel_hi:[0,1]
	v_pk_fma_f32 v[74:75], v[66:67], v[70:71], v[72:73] op_sel_hi:[1,0,1]
	v_pk_fma_f32 v[66:67], v[66:67], v[70:71], v[72:73] neg_lo:[0,0,1] neg_hi:[0,0,1]
	s_delay_alu instid0(VALU_DEP_2)
	v_mov_b32_e32 v67, v75
	scratch_store_b64 off, v[66:67], off offset:64
.LBB30_380:
	s_wait_xcnt 0x0
	s_or_b32 exec_lo, exec_lo, s0
	scratch_load_b64 v[66:67], off, off offset:72
	s_mov_b32 s0, exec_lo
	s_wait_loadcnt 0x0
	ds_store_b64 v1, v[66:67]
	s_wait_storecnt_dscnt 0x0
	s_barrier_signal -1
	s_barrier_wait -1
	s_wait_xcnt 0x0
	v_cmpx_gt_u32_e32 9, v0
	s_cbranch_execz .LBB30_390
; %bb.381:
	v_cmp_ne_u32_e32 vcc_lo, 1, v68
	s_cbranch_vccnz .LBB30_383
; %bb.382:
	scratch_load_b64 v[66:67], v47, off
	ds_load_b64 v[70:71], v1
	s_wait_loadcnt_dscnt 0x0
	v_pk_mul_f32 v[72:73], v[70:71], v[66:67] op_sel:[1,1] op_sel_hi:[0,1]
	s_delay_alu instid0(VALU_DEP_1) | instskip(SKIP_1) | instid1(VALU_DEP_2)
	v_pk_fma_f32 v[74:75], v[70:71], v[66:67], v[72:73] op_sel_hi:[1,0,1]
	v_pk_fma_f32 v[66:67], v[70:71], v[66:67], v[72:73] neg_lo:[0,0,1] neg_hi:[0,0,1]
	v_mov_b32_e32 v67, v75
	s_cbranch_execz .LBB30_384
	s_branch .LBB30_385
.LBB30_383:
                                        ; implicit-def: $vgpr66_vgpr67
.LBB30_384:
	ds_load_b64 v[66:67], v1
.LBB30_385:
	s_mov_b32 s2, exec_lo
	v_cmpx_ne_u32_e32 8, v0
	s_cbranch_execz .LBB30_389
; %bb.386:
	v_add_nc_u32_e32 v69, 0x108, v46
	v_add3_u32 v70, 0, v46, 8
	v_mov_b32_e32 v71, v0
	s_mov_b32 s3, 0
.LBB30_387:                             ; =>This Inner Loop Header: Depth=1
	scratch_load_b64 v[72:73], v70, off
	ds_load_b64 v[74:75], v69
	s_wait_xcnt 0x0
	v_dual_add_nc_u32 v69, 8, v69 :: v_dual_add_nc_u32 v70, 8, v70
	s_wait_loadcnt_dscnt 0x0
	v_pk_mul_f32 v[76:77], v[74:75], v[72:73] op_sel:[1,1] op_sel_hi:[0,1]
	s_delay_alu instid0(VALU_DEP_1) | instskip(SKIP_2) | instid1(VALU_DEP_3)
	v_pk_fma_f32 v[78:79], v[74:75], v[72:73], v[76:77] op_sel_hi:[1,0,1]
	v_add_nc_u32_e32 v71, 1, v71
	v_pk_fma_f32 v[72:73], v[74:75], v[72:73], v[76:77] neg_lo:[0,0,1] neg_hi:[0,0,1]
	v_mov_b32_e32 v73, v79
	s_delay_alu instid0(VALU_DEP_3) | instskip(NEXT) | instid1(VALU_DEP_2)
	v_cmp_lt_u32_e32 vcc_lo, 7, v71
	v_pk_add_f32 v[66:67], v[66:67], v[72:73]
	s_or_b32 s3, vcc_lo, s3
	s_delay_alu instid0(SALU_CYCLE_1)
	s_and_not1_b32 exec_lo, exec_lo, s3
	s_cbranch_execnz .LBB30_387
; %bb.388:
	s_or_b32 exec_lo, exec_lo, s3
.LBB30_389:
	s_delay_alu instid0(SALU_CYCLE_1) | instskip(SKIP_4) | instid1(VALU_DEP_1)
	s_or_b32 exec_lo, exec_lo, s2
	v_mov_b32_e32 v69, 0
	ds_load_b64 v[70:71], v69 offset:72
	s_wait_dscnt 0x0
	v_pk_mul_f32 v[72:73], v[66:67], v[70:71] op_sel:[1,1] op_sel_hi:[0,1]
	v_pk_fma_f32 v[74:75], v[66:67], v[70:71], v[72:73] op_sel_hi:[1,0,1]
	v_pk_fma_f32 v[66:67], v[66:67], v[70:71], v[72:73] neg_lo:[0,0,1] neg_hi:[0,0,1]
	s_delay_alu instid0(VALU_DEP_2)
	v_mov_b32_e32 v67, v75
	scratch_store_b64 off, v[66:67], off offset:72
.LBB30_390:
	s_wait_xcnt 0x0
	s_or_b32 exec_lo, exec_lo, s0
	scratch_load_b64 v[66:67], off, off offset:80
	s_mov_b32 s0, exec_lo
	s_wait_loadcnt 0x0
	ds_store_b64 v1, v[66:67]
	s_wait_storecnt_dscnt 0x0
	s_barrier_signal -1
	s_barrier_wait -1
	s_wait_xcnt 0x0
	v_cmpx_gt_u32_e32 10, v0
	s_cbranch_execz .LBB30_400
; %bb.391:
	v_cmp_ne_u32_e32 vcc_lo, 1, v68
	s_cbranch_vccnz .LBB30_393
; %bb.392:
	scratch_load_b64 v[66:67], v47, off
	ds_load_b64 v[70:71], v1
	s_wait_loadcnt_dscnt 0x0
	v_pk_mul_f32 v[72:73], v[70:71], v[66:67] op_sel:[1,1] op_sel_hi:[0,1]
	s_delay_alu instid0(VALU_DEP_1) | instskip(SKIP_1) | instid1(VALU_DEP_2)
	v_pk_fma_f32 v[74:75], v[70:71], v[66:67], v[72:73] op_sel_hi:[1,0,1]
	v_pk_fma_f32 v[66:67], v[70:71], v[66:67], v[72:73] neg_lo:[0,0,1] neg_hi:[0,0,1]
	v_mov_b32_e32 v67, v75
	s_cbranch_execz .LBB30_394
	s_branch .LBB30_395
.LBB30_393:
                                        ; implicit-def: $vgpr66_vgpr67
.LBB30_394:
	ds_load_b64 v[66:67], v1
.LBB30_395:
	s_mov_b32 s2, exec_lo
	v_cmpx_ne_u32_e32 9, v0
	s_cbranch_execz .LBB30_399
; %bb.396:
	v_add_nc_u32_e32 v69, 0x108, v46
	v_add3_u32 v70, 0, v46, 8
	v_mov_b32_e32 v71, v0
	s_mov_b32 s3, 0
.LBB30_397:                             ; =>This Inner Loop Header: Depth=1
	scratch_load_b64 v[72:73], v70, off
	ds_load_b64 v[74:75], v69
	s_wait_xcnt 0x0
	v_dual_add_nc_u32 v69, 8, v69 :: v_dual_add_nc_u32 v70, 8, v70
	s_wait_loadcnt_dscnt 0x0
	v_pk_mul_f32 v[76:77], v[74:75], v[72:73] op_sel:[1,1] op_sel_hi:[0,1]
	s_delay_alu instid0(VALU_DEP_1) | instskip(SKIP_2) | instid1(VALU_DEP_3)
	v_pk_fma_f32 v[78:79], v[74:75], v[72:73], v[76:77] op_sel_hi:[1,0,1]
	v_add_nc_u32_e32 v71, 1, v71
	v_pk_fma_f32 v[72:73], v[74:75], v[72:73], v[76:77] neg_lo:[0,0,1] neg_hi:[0,0,1]
	v_mov_b32_e32 v73, v79
	s_delay_alu instid0(VALU_DEP_3) | instskip(NEXT) | instid1(VALU_DEP_2)
	v_cmp_lt_u32_e32 vcc_lo, 8, v71
	v_pk_add_f32 v[66:67], v[66:67], v[72:73]
	s_or_b32 s3, vcc_lo, s3
	s_delay_alu instid0(SALU_CYCLE_1)
	s_and_not1_b32 exec_lo, exec_lo, s3
	s_cbranch_execnz .LBB30_397
; %bb.398:
	s_or_b32 exec_lo, exec_lo, s3
.LBB30_399:
	s_delay_alu instid0(SALU_CYCLE_1) | instskip(SKIP_4) | instid1(VALU_DEP_1)
	s_or_b32 exec_lo, exec_lo, s2
	v_mov_b32_e32 v69, 0
	ds_load_b64 v[70:71], v69 offset:80
	s_wait_dscnt 0x0
	v_pk_mul_f32 v[72:73], v[66:67], v[70:71] op_sel:[1,1] op_sel_hi:[0,1]
	v_pk_fma_f32 v[74:75], v[66:67], v[70:71], v[72:73] op_sel_hi:[1,0,1]
	v_pk_fma_f32 v[66:67], v[66:67], v[70:71], v[72:73] neg_lo:[0,0,1] neg_hi:[0,0,1]
	s_delay_alu instid0(VALU_DEP_2)
	v_mov_b32_e32 v67, v75
	scratch_store_b64 off, v[66:67], off offset:80
.LBB30_400:
	s_wait_xcnt 0x0
	s_or_b32 exec_lo, exec_lo, s0
	scratch_load_b64 v[66:67], off, off offset:88
	s_mov_b32 s0, exec_lo
	s_wait_loadcnt 0x0
	ds_store_b64 v1, v[66:67]
	s_wait_storecnt_dscnt 0x0
	s_barrier_signal -1
	s_barrier_wait -1
	s_wait_xcnt 0x0
	v_cmpx_gt_u32_e32 11, v0
	s_cbranch_execz .LBB30_410
; %bb.401:
	v_cmp_ne_u32_e32 vcc_lo, 1, v68
	s_cbranch_vccnz .LBB30_403
; %bb.402:
	scratch_load_b64 v[66:67], v47, off
	ds_load_b64 v[70:71], v1
	s_wait_loadcnt_dscnt 0x0
	v_pk_mul_f32 v[72:73], v[70:71], v[66:67] op_sel:[1,1] op_sel_hi:[0,1]
	s_delay_alu instid0(VALU_DEP_1) | instskip(SKIP_1) | instid1(VALU_DEP_2)
	v_pk_fma_f32 v[74:75], v[70:71], v[66:67], v[72:73] op_sel_hi:[1,0,1]
	v_pk_fma_f32 v[66:67], v[70:71], v[66:67], v[72:73] neg_lo:[0,0,1] neg_hi:[0,0,1]
	v_mov_b32_e32 v67, v75
	s_cbranch_execz .LBB30_404
	s_branch .LBB30_405
.LBB30_403:
                                        ; implicit-def: $vgpr66_vgpr67
.LBB30_404:
	ds_load_b64 v[66:67], v1
.LBB30_405:
	s_mov_b32 s2, exec_lo
	v_cmpx_ne_u32_e32 10, v0
	s_cbranch_execz .LBB30_409
; %bb.406:
	v_add_nc_u32_e32 v69, 0x108, v46
	v_add3_u32 v70, 0, v46, 8
	v_mov_b32_e32 v71, v0
	s_mov_b32 s3, 0
.LBB30_407:                             ; =>This Inner Loop Header: Depth=1
	scratch_load_b64 v[72:73], v70, off
	ds_load_b64 v[74:75], v69
	s_wait_xcnt 0x0
	v_dual_add_nc_u32 v69, 8, v69 :: v_dual_add_nc_u32 v70, 8, v70
	s_wait_loadcnt_dscnt 0x0
	v_pk_mul_f32 v[76:77], v[74:75], v[72:73] op_sel:[1,1] op_sel_hi:[0,1]
	s_delay_alu instid0(VALU_DEP_1) | instskip(SKIP_2) | instid1(VALU_DEP_3)
	v_pk_fma_f32 v[78:79], v[74:75], v[72:73], v[76:77] op_sel_hi:[1,0,1]
	v_add_nc_u32_e32 v71, 1, v71
	v_pk_fma_f32 v[72:73], v[74:75], v[72:73], v[76:77] neg_lo:[0,0,1] neg_hi:[0,0,1]
	v_mov_b32_e32 v73, v79
	s_delay_alu instid0(VALU_DEP_3) | instskip(NEXT) | instid1(VALU_DEP_2)
	v_cmp_lt_u32_e32 vcc_lo, 9, v71
	v_pk_add_f32 v[66:67], v[66:67], v[72:73]
	s_or_b32 s3, vcc_lo, s3
	s_delay_alu instid0(SALU_CYCLE_1)
	s_and_not1_b32 exec_lo, exec_lo, s3
	s_cbranch_execnz .LBB30_407
; %bb.408:
	s_or_b32 exec_lo, exec_lo, s3
.LBB30_409:
	s_delay_alu instid0(SALU_CYCLE_1) | instskip(SKIP_4) | instid1(VALU_DEP_1)
	s_or_b32 exec_lo, exec_lo, s2
	v_mov_b32_e32 v69, 0
	ds_load_b64 v[70:71], v69 offset:88
	s_wait_dscnt 0x0
	v_pk_mul_f32 v[72:73], v[66:67], v[70:71] op_sel:[1,1] op_sel_hi:[0,1]
	v_pk_fma_f32 v[74:75], v[66:67], v[70:71], v[72:73] op_sel_hi:[1,0,1]
	v_pk_fma_f32 v[66:67], v[66:67], v[70:71], v[72:73] neg_lo:[0,0,1] neg_hi:[0,0,1]
	s_delay_alu instid0(VALU_DEP_2)
	v_mov_b32_e32 v67, v75
	scratch_store_b64 off, v[66:67], off offset:88
.LBB30_410:
	s_wait_xcnt 0x0
	s_or_b32 exec_lo, exec_lo, s0
	scratch_load_b64 v[66:67], off, off offset:96
	s_mov_b32 s0, exec_lo
	s_wait_loadcnt 0x0
	ds_store_b64 v1, v[66:67]
	s_wait_storecnt_dscnt 0x0
	s_barrier_signal -1
	s_barrier_wait -1
	s_wait_xcnt 0x0
	v_cmpx_gt_u32_e32 12, v0
	s_cbranch_execz .LBB30_420
; %bb.411:
	v_cmp_ne_u32_e32 vcc_lo, 1, v68
	s_cbranch_vccnz .LBB30_413
; %bb.412:
	scratch_load_b64 v[66:67], v47, off
	ds_load_b64 v[70:71], v1
	s_wait_loadcnt_dscnt 0x0
	v_pk_mul_f32 v[72:73], v[70:71], v[66:67] op_sel:[1,1] op_sel_hi:[0,1]
	s_delay_alu instid0(VALU_DEP_1) | instskip(SKIP_1) | instid1(VALU_DEP_2)
	v_pk_fma_f32 v[74:75], v[70:71], v[66:67], v[72:73] op_sel_hi:[1,0,1]
	v_pk_fma_f32 v[66:67], v[70:71], v[66:67], v[72:73] neg_lo:[0,0,1] neg_hi:[0,0,1]
	v_mov_b32_e32 v67, v75
	s_cbranch_execz .LBB30_414
	s_branch .LBB30_415
.LBB30_413:
                                        ; implicit-def: $vgpr66_vgpr67
.LBB30_414:
	ds_load_b64 v[66:67], v1
.LBB30_415:
	s_mov_b32 s2, exec_lo
	v_cmpx_ne_u32_e32 11, v0
	s_cbranch_execz .LBB30_419
; %bb.416:
	v_add_nc_u32_e32 v69, 0x108, v46
	v_add3_u32 v70, 0, v46, 8
	v_mov_b32_e32 v71, v0
	s_mov_b32 s3, 0
.LBB30_417:                             ; =>This Inner Loop Header: Depth=1
	scratch_load_b64 v[72:73], v70, off
	ds_load_b64 v[74:75], v69
	s_wait_xcnt 0x0
	v_dual_add_nc_u32 v69, 8, v69 :: v_dual_add_nc_u32 v70, 8, v70
	s_wait_loadcnt_dscnt 0x0
	v_pk_mul_f32 v[76:77], v[74:75], v[72:73] op_sel:[1,1] op_sel_hi:[0,1]
	s_delay_alu instid0(VALU_DEP_1) | instskip(SKIP_2) | instid1(VALU_DEP_3)
	v_pk_fma_f32 v[78:79], v[74:75], v[72:73], v[76:77] op_sel_hi:[1,0,1]
	v_add_nc_u32_e32 v71, 1, v71
	v_pk_fma_f32 v[72:73], v[74:75], v[72:73], v[76:77] neg_lo:[0,0,1] neg_hi:[0,0,1]
	v_mov_b32_e32 v73, v79
	s_delay_alu instid0(VALU_DEP_3) | instskip(NEXT) | instid1(VALU_DEP_2)
	v_cmp_lt_u32_e32 vcc_lo, 10, v71
	v_pk_add_f32 v[66:67], v[66:67], v[72:73]
	s_or_b32 s3, vcc_lo, s3
	s_delay_alu instid0(SALU_CYCLE_1)
	s_and_not1_b32 exec_lo, exec_lo, s3
	s_cbranch_execnz .LBB30_417
; %bb.418:
	s_or_b32 exec_lo, exec_lo, s3
.LBB30_419:
	s_delay_alu instid0(SALU_CYCLE_1) | instskip(SKIP_4) | instid1(VALU_DEP_1)
	s_or_b32 exec_lo, exec_lo, s2
	v_mov_b32_e32 v69, 0
	ds_load_b64 v[70:71], v69 offset:96
	s_wait_dscnt 0x0
	v_pk_mul_f32 v[72:73], v[66:67], v[70:71] op_sel:[1,1] op_sel_hi:[0,1]
	v_pk_fma_f32 v[74:75], v[66:67], v[70:71], v[72:73] op_sel_hi:[1,0,1]
	v_pk_fma_f32 v[66:67], v[66:67], v[70:71], v[72:73] neg_lo:[0,0,1] neg_hi:[0,0,1]
	s_delay_alu instid0(VALU_DEP_2)
	v_mov_b32_e32 v67, v75
	scratch_store_b64 off, v[66:67], off offset:96
.LBB30_420:
	s_wait_xcnt 0x0
	s_or_b32 exec_lo, exec_lo, s0
	scratch_load_b64 v[66:67], off, off offset:104
	s_mov_b32 s0, exec_lo
	s_wait_loadcnt 0x0
	ds_store_b64 v1, v[66:67]
	s_wait_storecnt_dscnt 0x0
	s_barrier_signal -1
	s_barrier_wait -1
	s_wait_xcnt 0x0
	v_cmpx_gt_u32_e32 13, v0
	s_cbranch_execz .LBB30_430
; %bb.421:
	v_cmp_ne_u32_e32 vcc_lo, 1, v68
	s_cbranch_vccnz .LBB30_423
; %bb.422:
	scratch_load_b64 v[66:67], v47, off
	ds_load_b64 v[70:71], v1
	s_wait_loadcnt_dscnt 0x0
	v_pk_mul_f32 v[72:73], v[70:71], v[66:67] op_sel:[1,1] op_sel_hi:[0,1]
	s_delay_alu instid0(VALU_DEP_1) | instskip(SKIP_1) | instid1(VALU_DEP_2)
	v_pk_fma_f32 v[74:75], v[70:71], v[66:67], v[72:73] op_sel_hi:[1,0,1]
	v_pk_fma_f32 v[66:67], v[70:71], v[66:67], v[72:73] neg_lo:[0,0,1] neg_hi:[0,0,1]
	v_mov_b32_e32 v67, v75
	s_cbranch_execz .LBB30_424
	s_branch .LBB30_425
.LBB30_423:
                                        ; implicit-def: $vgpr66_vgpr67
.LBB30_424:
	ds_load_b64 v[66:67], v1
.LBB30_425:
	s_mov_b32 s2, exec_lo
	v_cmpx_ne_u32_e32 12, v0
	s_cbranch_execz .LBB30_429
; %bb.426:
	v_add_nc_u32_e32 v69, 0x108, v46
	v_add3_u32 v70, 0, v46, 8
	v_mov_b32_e32 v71, v0
	s_mov_b32 s3, 0
.LBB30_427:                             ; =>This Inner Loop Header: Depth=1
	scratch_load_b64 v[72:73], v70, off
	ds_load_b64 v[74:75], v69
	s_wait_xcnt 0x0
	v_dual_add_nc_u32 v69, 8, v69 :: v_dual_add_nc_u32 v70, 8, v70
	s_wait_loadcnt_dscnt 0x0
	v_pk_mul_f32 v[76:77], v[74:75], v[72:73] op_sel:[1,1] op_sel_hi:[0,1]
	s_delay_alu instid0(VALU_DEP_1) | instskip(SKIP_2) | instid1(VALU_DEP_3)
	v_pk_fma_f32 v[78:79], v[74:75], v[72:73], v[76:77] op_sel_hi:[1,0,1]
	v_add_nc_u32_e32 v71, 1, v71
	v_pk_fma_f32 v[72:73], v[74:75], v[72:73], v[76:77] neg_lo:[0,0,1] neg_hi:[0,0,1]
	v_mov_b32_e32 v73, v79
	s_delay_alu instid0(VALU_DEP_3) | instskip(NEXT) | instid1(VALU_DEP_2)
	v_cmp_lt_u32_e32 vcc_lo, 11, v71
	v_pk_add_f32 v[66:67], v[66:67], v[72:73]
	s_or_b32 s3, vcc_lo, s3
	s_delay_alu instid0(SALU_CYCLE_1)
	s_and_not1_b32 exec_lo, exec_lo, s3
	s_cbranch_execnz .LBB30_427
; %bb.428:
	s_or_b32 exec_lo, exec_lo, s3
.LBB30_429:
	s_delay_alu instid0(SALU_CYCLE_1) | instskip(SKIP_4) | instid1(VALU_DEP_1)
	s_or_b32 exec_lo, exec_lo, s2
	v_mov_b32_e32 v69, 0
	ds_load_b64 v[70:71], v69 offset:104
	s_wait_dscnt 0x0
	v_pk_mul_f32 v[72:73], v[66:67], v[70:71] op_sel:[1,1] op_sel_hi:[0,1]
	v_pk_fma_f32 v[74:75], v[66:67], v[70:71], v[72:73] op_sel_hi:[1,0,1]
	v_pk_fma_f32 v[66:67], v[66:67], v[70:71], v[72:73] neg_lo:[0,0,1] neg_hi:[0,0,1]
	s_delay_alu instid0(VALU_DEP_2)
	v_mov_b32_e32 v67, v75
	scratch_store_b64 off, v[66:67], off offset:104
.LBB30_430:
	s_wait_xcnt 0x0
	s_or_b32 exec_lo, exec_lo, s0
	scratch_load_b64 v[66:67], off, off offset:112
	s_mov_b32 s0, exec_lo
	s_wait_loadcnt 0x0
	ds_store_b64 v1, v[66:67]
	s_wait_storecnt_dscnt 0x0
	s_barrier_signal -1
	s_barrier_wait -1
	s_wait_xcnt 0x0
	v_cmpx_gt_u32_e32 14, v0
	s_cbranch_execz .LBB30_440
; %bb.431:
	v_cmp_ne_u32_e32 vcc_lo, 1, v68
	s_cbranch_vccnz .LBB30_433
; %bb.432:
	scratch_load_b64 v[66:67], v47, off
	ds_load_b64 v[70:71], v1
	s_wait_loadcnt_dscnt 0x0
	v_pk_mul_f32 v[72:73], v[70:71], v[66:67] op_sel:[1,1] op_sel_hi:[0,1]
	s_delay_alu instid0(VALU_DEP_1) | instskip(SKIP_1) | instid1(VALU_DEP_2)
	v_pk_fma_f32 v[74:75], v[70:71], v[66:67], v[72:73] op_sel_hi:[1,0,1]
	v_pk_fma_f32 v[66:67], v[70:71], v[66:67], v[72:73] neg_lo:[0,0,1] neg_hi:[0,0,1]
	v_mov_b32_e32 v67, v75
	s_cbranch_execz .LBB30_434
	s_branch .LBB30_435
.LBB30_433:
                                        ; implicit-def: $vgpr66_vgpr67
.LBB30_434:
	ds_load_b64 v[66:67], v1
.LBB30_435:
	s_mov_b32 s2, exec_lo
	v_cmpx_ne_u32_e32 13, v0
	s_cbranch_execz .LBB30_439
; %bb.436:
	v_add_nc_u32_e32 v69, 0x108, v46
	v_add3_u32 v70, 0, v46, 8
	v_mov_b32_e32 v71, v0
	s_mov_b32 s3, 0
.LBB30_437:                             ; =>This Inner Loop Header: Depth=1
	scratch_load_b64 v[72:73], v70, off
	ds_load_b64 v[74:75], v69
	s_wait_xcnt 0x0
	v_dual_add_nc_u32 v69, 8, v69 :: v_dual_add_nc_u32 v70, 8, v70
	s_wait_loadcnt_dscnt 0x0
	v_pk_mul_f32 v[76:77], v[74:75], v[72:73] op_sel:[1,1] op_sel_hi:[0,1]
	s_delay_alu instid0(VALU_DEP_1) | instskip(SKIP_2) | instid1(VALU_DEP_3)
	v_pk_fma_f32 v[78:79], v[74:75], v[72:73], v[76:77] op_sel_hi:[1,0,1]
	v_add_nc_u32_e32 v71, 1, v71
	v_pk_fma_f32 v[72:73], v[74:75], v[72:73], v[76:77] neg_lo:[0,0,1] neg_hi:[0,0,1]
	v_mov_b32_e32 v73, v79
	s_delay_alu instid0(VALU_DEP_3) | instskip(NEXT) | instid1(VALU_DEP_2)
	v_cmp_lt_u32_e32 vcc_lo, 12, v71
	v_pk_add_f32 v[66:67], v[66:67], v[72:73]
	s_or_b32 s3, vcc_lo, s3
	s_delay_alu instid0(SALU_CYCLE_1)
	s_and_not1_b32 exec_lo, exec_lo, s3
	s_cbranch_execnz .LBB30_437
; %bb.438:
	s_or_b32 exec_lo, exec_lo, s3
.LBB30_439:
	s_delay_alu instid0(SALU_CYCLE_1) | instskip(SKIP_4) | instid1(VALU_DEP_1)
	s_or_b32 exec_lo, exec_lo, s2
	v_mov_b32_e32 v69, 0
	ds_load_b64 v[70:71], v69 offset:112
	s_wait_dscnt 0x0
	v_pk_mul_f32 v[72:73], v[66:67], v[70:71] op_sel:[1,1] op_sel_hi:[0,1]
	v_pk_fma_f32 v[74:75], v[66:67], v[70:71], v[72:73] op_sel_hi:[1,0,1]
	v_pk_fma_f32 v[66:67], v[66:67], v[70:71], v[72:73] neg_lo:[0,0,1] neg_hi:[0,0,1]
	s_delay_alu instid0(VALU_DEP_2)
	v_mov_b32_e32 v67, v75
	scratch_store_b64 off, v[66:67], off offset:112
.LBB30_440:
	s_wait_xcnt 0x0
	s_or_b32 exec_lo, exec_lo, s0
	scratch_load_b64 v[66:67], off, off offset:120
	s_mov_b32 s0, exec_lo
	s_wait_loadcnt 0x0
	ds_store_b64 v1, v[66:67]
	s_wait_storecnt_dscnt 0x0
	s_barrier_signal -1
	s_barrier_wait -1
	s_wait_xcnt 0x0
	v_cmpx_gt_u32_e32 15, v0
	s_cbranch_execz .LBB30_450
; %bb.441:
	v_cmp_ne_u32_e32 vcc_lo, 1, v68
	s_cbranch_vccnz .LBB30_443
; %bb.442:
	scratch_load_b64 v[66:67], v47, off
	ds_load_b64 v[70:71], v1
	s_wait_loadcnt_dscnt 0x0
	v_pk_mul_f32 v[72:73], v[70:71], v[66:67] op_sel:[1,1] op_sel_hi:[0,1]
	s_delay_alu instid0(VALU_DEP_1) | instskip(SKIP_1) | instid1(VALU_DEP_2)
	v_pk_fma_f32 v[74:75], v[70:71], v[66:67], v[72:73] op_sel_hi:[1,0,1]
	v_pk_fma_f32 v[66:67], v[70:71], v[66:67], v[72:73] neg_lo:[0,0,1] neg_hi:[0,0,1]
	v_mov_b32_e32 v67, v75
	s_cbranch_execz .LBB30_444
	s_branch .LBB30_445
.LBB30_443:
                                        ; implicit-def: $vgpr66_vgpr67
.LBB30_444:
	ds_load_b64 v[66:67], v1
.LBB30_445:
	s_mov_b32 s2, exec_lo
	v_cmpx_ne_u32_e32 14, v0
	s_cbranch_execz .LBB30_449
; %bb.446:
	v_add_nc_u32_e32 v69, 0x108, v46
	v_add3_u32 v70, 0, v46, 8
	v_mov_b32_e32 v71, v0
	s_mov_b32 s3, 0
.LBB30_447:                             ; =>This Inner Loop Header: Depth=1
	scratch_load_b64 v[72:73], v70, off
	ds_load_b64 v[74:75], v69
	s_wait_xcnt 0x0
	v_dual_add_nc_u32 v69, 8, v69 :: v_dual_add_nc_u32 v70, 8, v70
	s_wait_loadcnt_dscnt 0x0
	v_pk_mul_f32 v[76:77], v[74:75], v[72:73] op_sel:[1,1] op_sel_hi:[0,1]
	s_delay_alu instid0(VALU_DEP_1) | instskip(SKIP_2) | instid1(VALU_DEP_3)
	v_pk_fma_f32 v[78:79], v[74:75], v[72:73], v[76:77] op_sel_hi:[1,0,1]
	v_add_nc_u32_e32 v71, 1, v71
	v_pk_fma_f32 v[72:73], v[74:75], v[72:73], v[76:77] neg_lo:[0,0,1] neg_hi:[0,0,1]
	v_mov_b32_e32 v73, v79
	s_delay_alu instid0(VALU_DEP_3) | instskip(NEXT) | instid1(VALU_DEP_2)
	v_cmp_lt_u32_e32 vcc_lo, 13, v71
	v_pk_add_f32 v[66:67], v[66:67], v[72:73]
	s_or_b32 s3, vcc_lo, s3
	s_delay_alu instid0(SALU_CYCLE_1)
	s_and_not1_b32 exec_lo, exec_lo, s3
	s_cbranch_execnz .LBB30_447
; %bb.448:
	s_or_b32 exec_lo, exec_lo, s3
.LBB30_449:
	s_delay_alu instid0(SALU_CYCLE_1) | instskip(SKIP_4) | instid1(VALU_DEP_1)
	s_or_b32 exec_lo, exec_lo, s2
	v_mov_b32_e32 v69, 0
	ds_load_b64 v[70:71], v69 offset:120
	s_wait_dscnt 0x0
	v_pk_mul_f32 v[72:73], v[66:67], v[70:71] op_sel:[1,1] op_sel_hi:[0,1]
	v_pk_fma_f32 v[74:75], v[66:67], v[70:71], v[72:73] op_sel_hi:[1,0,1]
	v_pk_fma_f32 v[66:67], v[66:67], v[70:71], v[72:73] neg_lo:[0,0,1] neg_hi:[0,0,1]
	s_delay_alu instid0(VALU_DEP_2)
	v_mov_b32_e32 v67, v75
	scratch_store_b64 off, v[66:67], off offset:120
.LBB30_450:
	s_wait_xcnt 0x0
	s_or_b32 exec_lo, exec_lo, s0
	scratch_load_b64 v[66:67], off, off offset:128
	s_mov_b32 s0, exec_lo
	s_wait_loadcnt 0x0
	ds_store_b64 v1, v[66:67]
	s_wait_storecnt_dscnt 0x0
	s_barrier_signal -1
	s_barrier_wait -1
	s_wait_xcnt 0x0
	v_cmpx_gt_u32_e32 16, v0
	s_cbranch_execz .LBB30_460
; %bb.451:
	v_cmp_ne_u32_e32 vcc_lo, 1, v68
	s_cbranch_vccnz .LBB30_453
; %bb.452:
	scratch_load_b64 v[66:67], v47, off
	ds_load_b64 v[70:71], v1
	s_wait_loadcnt_dscnt 0x0
	v_pk_mul_f32 v[72:73], v[70:71], v[66:67] op_sel:[1,1] op_sel_hi:[0,1]
	s_delay_alu instid0(VALU_DEP_1) | instskip(SKIP_1) | instid1(VALU_DEP_2)
	v_pk_fma_f32 v[74:75], v[70:71], v[66:67], v[72:73] op_sel_hi:[1,0,1]
	v_pk_fma_f32 v[66:67], v[70:71], v[66:67], v[72:73] neg_lo:[0,0,1] neg_hi:[0,0,1]
	v_mov_b32_e32 v67, v75
	s_cbranch_execz .LBB30_454
	s_branch .LBB30_455
.LBB30_453:
                                        ; implicit-def: $vgpr66_vgpr67
.LBB30_454:
	ds_load_b64 v[66:67], v1
.LBB30_455:
	s_mov_b32 s2, exec_lo
	v_cmpx_ne_u32_e32 15, v0
	s_cbranch_execz .LBB30_459
; %bb.456:
	v_add_nc_u32_e32 v69, 0x108, v46
	v_add3_u32 v70, 0, v46, 8
	v_mov_b32_e32 v71, v0
	s_mov_b32 s3, 0
.LBB30_457:                             ; =>This Inner Loop Header: Depth=1
	scratch_load_b64 v[72:73], v70, off
	ds_load_b64 v[74:75], v69
	s_wait_xcnt 0x0
	v_dual_add_nc_u32 v69, 8, v69 :: v_dual_add_nc_u32 v70, 8, v70
	s_wait_loadcnt_dscnt 0x0
	v_pk_mul_f32 v[76:77], v[74:75], v[72:73] op_sel:[1,1] op_sel_hi:[0,1]
	s_delay_alu instid0(VALU_DEP_1) | instskip(SKIP_2) | instid1(VALU_DEP_3)
	v_pk_fma_f32 v[78:79], v[74:75], v[72:73], v[76:77] op_sel_hi:[1,0,1]
	v_add_nc_u32_e32 v71, 1, v71
	v_pk_fma_f32 v[72:73], v[74:75], v[72:73], v[76:77] neg_lo:[0,0,1] neg_hi:[0,0,1]
	v_mov_b32_e32 v73, v79
	s_delay_alu instid0(VALU_DEP_3) | instskip(NEXT) | instid1(VALU_DEP_2)
	v_cmp_lt_u32_e32 vcc_lo, 14, v71
	v_pk_add_f32 v[66:67], v[66:67], v[72:73]
	s_or_b32 s3, vcc_lo, s3
	s_delay_alu instid0(SALU_CYCLE_1)
	s_and_not1_b32 exec_lo, exec_lo, s3
	s_cbranch_execnz .LBB30_457
; %bb.458:
	s_or_b32 exec_lo, exec_lo, s3
.LBB30_459:
	s_delay_alu instid0(SALU_CYCLE_1) | instskip(SKIP_4) | instid1(VALU_DEP_1)
	s_or_b32 exec_lo, exec_lo, s2
	v_mov_b32_e32 v69, 0
	ds_load_b64 v[70:71], v69 offset:128
	s_wait_dscnt 0x0
	v_pk_mul_f32 v[72:73], v[66:67], v[70:71] op_sel:[1,1] op_sel_hi:[0,1]
	v_pk_fma_f32 v[74:75], v[66:67], v[70:71], v[72:73] op_sel_hi:[1,0,1]
	v_pk_fma_f32 v[66:67], v[66:67], v[70:71], v[72:73] neg_lo:[0,0,1] neg_hi:[0,0,1]
	s_delay_alu instid0(VALU_DEP_2)
	v_mov_b32_e32 v67, v75
	scratch_store_b64 off, v[66:67], off offset:128
.LBB30_460:
	s_wait_xcnt 0x0
	s_or_b32 exec_lo, exec_lo, s0
	scratch_load_b64 v[66:67], off, off offset:136
	s_mov_b32 s0, exec_lo
	s_wait_loadcnt 0x0
	ds_store_b64 v1, v[66:67]
	s_wait_storecnt_dscnt 0x0
	s_barrier_signal -1
	s_barrier_wait -1
	s_wait_xcnt 0x0
	v_cmpx_gt_u32_e32 17, v0
	s_cbranch_execz .LBB30_470
; %bb.461:
	v_cmp_ne_u32_e32 vcc_lo, 1, v68
	s_cbranch_vccnz .LBB30_463
; %bb.462:
	scratch_load_b64 v[66:67], v47, off
	ds_load_b64 v[70:71], v1
	s_wait_loadcnt_dscnt 0x0
	v_pk_mul_f32 v[72:73], v[70:71], v[66:67] op_sel:[1,1] op_sel_hi:[0,1]
	s_delay_alu instid0(VALU_DEP_1) | instskip(SKIP_1) | instid1(VALU_DEP_2)
	v_pk_fma_f32 v[74:75], v[70:71], v[66:67], v[72:73] op_sel_hi:[1,0,1]
	v_pk_fma_f32 v[66:67], v[70:71], v[66:67], v[72:73] neg_lo:[0,0,1] neg_hi:[0,0,1]
	v_mov_b32_e32 v67, v75
	s_cbranch_execz .LBB30_464
	s_branch .LBB30_465
.LBB30_463:
                                        ; implicit-def: $vgpr66_vgpr67
.LBB30_464:
	ds_load_b64 v[66:67], v1
.LBB30_465:
	s_mov_b32 s2, exec_lo
	v_cmpx_ne_u32_e32 16, v0
	s_cbranch_execz .LBB30_469
; %bb.466:
	v_add_nc_u32_e32 v69, 0x108, v46
	v_add3_u32 v70, 0, v46, 8
	v_mov_b32_e32 v71, v0
	s_mov_b32 s3, 0
.LBB30_467:                             ; =>This Inner Loop Header: Depth=1
	scratch_load_b64 v[72:73], v70, off
	ds_load_b64 v[74:75], v69
	s_wait_xcnt 0x0
	v_dual_add_nc_u32 v69, 8, v69 :: v_dual_add_nc_u32 v70, 8, v70
	s_wait_loadcnt_dscnt 0x0
	v_pk_mul_f32 v[76:77], v[74:75], v[72:73] op_sel:[1,1] op_sel_hi:[0,1]
	s_delay_alu instid0(VALU_DEP_1) | instskip(SKIP_2) | instid1(VALU_DEP_3)
	v_pk_fma_f32 v[78:79], v[74:75], v[72:73], v[76:77] op_sel_hi:[1,0,1]
	v_add_nc_u32_e32 v71, 1, v71
	v_pk_fma_f32 v[72:73], v[74:75], v[72:73], v[76:77] neg_lo:[0,0,1] neg_hi:[0,0,1]
	v_mov_b32_e32 v73, v79
	s_delay_alu instid0(VALU_DEP_3) | instskip(NEXT) | instid1(VALU_DEP_2)
	v_cmp_lt_u32_e32 vcc_lo, 15, v71
	v_pk_add_f32 v[66:67], v[66:67], v[72:73]
	s_or_b32 s3, vcc_lo, s3
	s_delay_alu instid0(SALU_CYCLE_1)
	s_and_not1_b32 exec_lo, exec_lo, s3
	s_cbranch_execnz .LBB30_467
; %bb.468:
	s_or_b32 exec_lo, exec_lo, s3
.LBB30_469:
	s_delay_alu instid0(SALU_CYCLE_1) | instskip(SKIP_4) | instid1(VALU_DEP_1)
	s_or_b32 exec_lo, exec_lo, s2
	v_mov_b32_e32 v69, 0
	ds_load_b64 v[70:71], v69 offset:136
	s_wait_dscnt 0x0
	v_pk_mul_f32 v[72:73], v[66:67], v[70:71] op_sel:[1,1] op_sel_hi:[0,1]
	v_pk_fma_f32 v[74:75], v[66:67], v[70:71], v[72:73] op_sel_hi:[1,0,1]
	v_pk_fma_f32 v[66:67], v[66:67], v[70:71], v[72:73] neg_lo:[0,0,1] neg_hi:[0,0,1]
	s_delay_alu instid0(VALU_DEP_2)
	v_mov_b32_e32 v67, v75
	scratch_store_b64 off, v[66:67], off offset:136
.LBB30_470:
	s_wait_xcnt 0x0
	s_or_b32 exec_lo, exec_lo, s0
	scratch_load_b64 v[66:67], off, off offset:144
	s_mov_b32 s0, exec_lo
	s_wait_loadcnt 0x0
	ds_store_b64 v1, v[66:67]
	s_wait_storecnt_dscnt 0x0
	s_barrier_signal -1
	s_barrier_wait -1
	s_wait_xcnt 0x0
	v_cmpx_gt_u32_e32 18, v0
	s_cbranch_execz .LBB30_480
; %bb.471:
	v_cmp_ne_u32_e32 vcc_lo, 1, v68
	s_cbranch_vccnz .LBB30_473
; %bb.472:
	scratch_load_b64 v[66:67], v47, off
	ds_load_b64 v[70:71], v1
	s_wait_loadcnt_dscnt 0x0
	v_pk_mul_f32 v[72:73], v[70:71], v[66:67] op_sel:[1,1] op_sel_hi:[0,1]
	s_delay_alu instid0(VALU_DEP_1) | instskip(SKIP_1) | instid1(VALU_DEP_2)
	v_pk_fma_f32 v[74:75], v[70:71], v[66:67], v[72:73] op_sel_hi:[1,0,1]
	v_pk_fma_f32 v[66:67], v[70:71], v[66:67], v[72:73] neg_lo:[0,0,1] neg_hi:[0,0,1]
	v_mov_b32_e32 v67, v75
	s_cbranch_execz .LBB30_474
	s_branch .LBB30_475
.LBB30_473:
                                        ; implicit-def: $vgpr66_vgpr67
.LBB30_474:
	ds_load_b64 v[66:67], v1
.LBB30_475:
	s_mov_b32 s2, exec_lo
	v_cmpx_ne_u32_e32 17, v0
	s_cbranch_execz .LBB30_479
; %bb.476:
	v_add_nc_u32_e32 v69, 0x108, v46
	v_add3_u32 v70, 0, v46, 8
	v_mov_b32_e32 v71, v0
	s_mov_b32 s3, 0
.LBB30_477:                             ; =>This Inner Loop Header: Depth=1
	scratch_load_b64 v[72:73], v70, off
	ds_load_b64 v[74:75], v69
	s_wait_xcnt 0x0
	v_dual_add_nc_u32 v69, 8, v69 :: v_dual_add_nc_u32 v70, 8, v70
	s_wait_loadcnt_dscnt 0x0
	v_pk_mul_f32 v[76:77], v[74:75], v[72:73] op_sel:[1,1] op_sel_hi:[0,1]
	s_delay_alu instid0(VALU_DEP_1) | instskip(SKIP_2) | instid1(VALU_DEP_3)
	v_pk_fma_f32 v[78:79], v[74:75], v[72:73], v[76:77] op_sel_hi:[1,0,1]
	v_add_nc_u32_e32 v71, 1, v71
	v_pk_fma_f32 v[72:73], v[74:75], v[72:73], v[76:77] neg_lo:[0,0,1] neg_hi:[0,0,1]
	v_mov_b32_e32 v73, v79
	s_delay_alu instid0(VALU_DEP_3) | instskip(NEXT) | instid1(VALU_DEP_2)
	v_cmp_lt_u32_e32 vcc_lo, 16, v71
	v_pk_add_f32 v[66:67], v[66:67], v[72:73]
	s_or_b32 s3, vcc_lo, s3
	s_delay_alu instid0(SALU_CYCLE_1)
	s_and_not1_b32 exec_lo, exec_lo, s3
	s_cbranch_execnz .LBB30_477
; %bb.478:
	s_or_b32 exec_lo, exec_lo, s3
.LBB30_479:
	s_delay_alu instid0(SALU_CYCLE_1) | instskip(SKIP_4) | instid1(VALU_DEP_1)
	s_or_b32 exec_lo, exec_lo, s2
	v_mov_b32_e32 v69, 0
	ds_load_b64 v[70:71], v69 offset:144
	s_wait_dscnt 0x0
	v_pk_mul_f32 v[72:73], v[66:67], v[70:71] op_sel:[1,1] op_sel_hi:[0,1]
	v_pk_fma_f32 v[74:75], v[66:67], v[70:71], v[72:73] op_sel_hi:[1,0,1]
	v_pk_fma_f32 v[66:67], v[66:67], v[70:71], v[72:73] neg_lo:[0,0,1] neg_hi:[0,0,1]
	s_delay_alu instid0(VALU_DEP_2)
	v_mov_b32_e32 v67, v75
	scratch_store_b64 off, v[66:67], off offset:144
.LBB30_480:
	s_wait_xcnt 0x0
	s_or_b32 exec_lo, exec_lo, s0
	scratch_load_b64 v[66:67], off, off offset:152
	s_mov_b32 s0, exec_lo
	s_wait_loadcnt 0x0
	ds_store_b64 v1, v[66:67]
	s_wait_storecnt_dscnt 0x0
	s_barrier_signal -1
	s_barrier_wait -1
	s_wait_xcnt 0x0
	v_cmpx_gt_u32_e32 19, v0
	s_cbranch_execz .LBB30_490
; %bb.481:
	v_cmp_ne_u32_e32 vcc_lo, 1, v68
	s_cbranch_vccnz .LBB30_483
; %bb.482:
	scratch_load_b64 v[66:67], v47, off
	ds_load_b64 v[70:71], v1
	s_wait_loadcnt_dscnt 0x0
	v_pk_mul_f32 v[72:73], v[70:71], v[66:67] op_sel:[1,1] op_sel_hi:[0,1]
	s_delay_alu instid0(VALU_DEP_1) | instskip(SKIP_1) | instid1(VALU_DEP_2)
	v_pk_fma_f32 v[74:75], v[70:71], v[66:67], v[72:73] op_sel_hi:[1,0,1]
	v_pk_fma_f32 v[66:67], v[70:71], v[66:67], v[72:73] neg_lo:[0,0,1] neg_hi:[0,0,1]
	v_mov_b32_e32 v67, v75
	s_cbranch_execz .LBB30_484
	s_branch .LBB30_485
.LBB30_483:
                                        ; implicit-def: $vgpr66_vgpr67
.LBB30_484:
	ds_load_b64 v[66:67], v1
.LBB30_485:
	s_mov_b32 s2, exec_lo
	v_cmpx_ne_u32_e32 18, v0
	s_cbranch_execz .LBB30_489
; %bb.486:
	v_add_nc_u32_e32 v69, 0x108, v46
	v_add3_u32 v70, 0, v46, 8
	v_mov_b32_e32 v71, v0
	s_mov_b32 s3, 0
.LBB30_487:                             ; =>This Inner Loop Header: Depth=1
	scratch_load_b64 v[72:73], v70, off
	ds_load_b64 v[74:75], v69
	s_wait_xcnt 0x0
	v_dual_add_nc_u32 v69, 8, v69 :: v_dual_add_nc_u32 v70, 8, v70
	s_wait_loadcnt_dscnt 0x0
	v_pk_mul_f32 v[76:77], v[74:75], v[72:73] op_sel:[1,1] op_sel_hi:[0,1]
	s_delay_alu instid0(VALU_DEP_1) | instskip(SKIP_2) | instid1(VALU_DEP_3)
	v_pk_fma_f32 v[78:79], v[74:75], v[72:73], v[76:77] op_sel_hi:[1,0,1]
	v_add_nc_u32_e32 v71, 1, v71
	v_pk_fma_f32 v[72:73], v[74:75], v[72:73], v[76:77] neg_lo:[0,0,1] neg_hi:[0,0,1]
	v_mov_b32_e32 v73, v79
	s_delay_alu instid0(VALU_DEP_3) | instskip(NEXT) | instid1(VALU_DEP_2)
	v_cmp_lt_u32_e32 vcc_lo, 17, v71
	v_pk_add_f32 v[66:67], v[66:67], v[72:73]
	s_or_b32 s3, vcc_lo, s3
	s_delay_alu instid0(SALU_CYCLE_1)
	s_and_not1_b32 exec_lo, exec_lo, s3
	s_cbranch_execnz .LBB30_487
; %bb.488:
	s_or_b32 exec_lo, exec_lo, s3
.LBB30_489:
	s_delay_alu instid0(SALU_CYCLE_1) | instskip(SKIP_4) | instid1(VALU_DEP_1)
	s_or_b32 exec_lo, exec_lo, s2
	v_mov_b32_e32 v69, 0
	ds_load_b64 v[70:71], v69 offset:152
	s_wait_dscnt 0x0
	v_pk_mul_f32 v[72:73], v[66:67], v[70:71] op_sel:[1,1] op_sel_hi:[0,1]
	v_pk_fma_f32 v[74:75], v[66:67], v[70:71], v[72:73] op_sel_hi:[1,0,1]
	v_pk_fma_f32 v[66:67], v[66:67], v[70:71], v[72:73] neg_lo:[0,0,1] neg_hi:[0,0,1]
	s_delay_alu instid0(VALU_DEP_2)
	v_mov_b32_e32 v67, v75
	scratch_store_b64 off, v[66:67], off offset:152
.LBB30_490:
	s_wait_xcnt 0x0
	s_or_b32 exec_lo, exec_lo, s0
	scratch_load_b64 v[66:67], off, off offset:160
	s_mov_b32 s0, exec_lo
	s_wait_loadcnt 0x0
	ds_store_b64 v1, v[66:67]
	s_wait_storecnt_dscnt 0x0
	s_barrier_signal -1
	s_barrier_wait -1
	s_wait_xcnt 0x0
	v_cmpx_gt_u32_e32 20, v0
	s_cbranch_execz .LBB30_500
; %bb.491:
	v_cmp_ne_u32_e32 vcc_lo, 1, v68
	s_cbranch_vccnz .LBB30_493
; %bb.492:
	scratch_load_b64 v[66:67], v47, off
	ds_load_b64 v[70:71], v1
	s_wait_loadcnt_dscnt 0x0
	v_pk_mul_f32 v[72:73], v[70:71], v[66:67] op_sel:[1,1] op_sel_hi:[0,1]
	s_delay_alu instid0(VALU_DEP_1) | instskip(SKIP_1) | instid1(VALU_DEP_2)
	v_pk_fma_f32 v[74:75], v[70:71], v[66:67], v[72:73] op_sel_hi:[1,0,1]
	v_pk_fma_f32 v[66:67], v[70:71], v[66:67], v[72:73] neg_lo:[0,0,1] neg_hi:[0,0,1]
	v_mov_b32_e32 v67, v75
	s_cbranch_execz .LBB30_494
	s_branch .LBB30_495
.LBB30_493:
                                        ; implicit-def: $vgpr66_vgpr67
.LBB30_494:
	ds_load_b64 v[66:67], v1
.LBB30_495:
	s_mov_b32 s2, exec_lo
	v_cmpx_ne_u32_e32 19, v0
	s_cbranch_execz .LBB30_499
; %bb.496:
	v_add_nc_u32_e32 v69, 0x108, v46
	v_add3_u32 v70, 0, v46, 8
	v_mov_b32_e32 v71, v0
	s_mov_b32 s3, 0
.LBB30_497:                             ; =>This Inner Loop Header: Depth=1
	scratch_load_b64 v[72:73], v70, off
	ds_load_b64 v[74:75], v69
	s_wait_xcnt 0x0
	v_dual_add_nc_u32 v69, 8, v69 :: v_dual_add_nc_u32 v70, 8, v70
	s_wait_loadcnt_dscnt 0x0
	v_pk_mul_f32 v[76:77], v[74:75], v[72:73] op_sel:[1,1] op_sel_hi:[0,1]
	s_delay_alu instid0(VALU_DEP_1) | instskip(SKIP_2) | instid1(VALU_DEP_3)
	v_pk_fma_f32 v[78:79], v[74:75], v[72:73], v[76:77] op_sel_hi:[1,0,1]
	v_add_nc_u32_e32 v71, 1, v71
	v_pk_fma_f32 v[72:73], v[74:75], v[72:73], v[76:77] neg_lo:[0,0,1] neg_hi:[0,0,1]
	v_mov_b32_e32 v73, v79
	s_delay_alu instid0(VALU_DEP_3) | instskip(NEXT) | instid1(VALU_DEP_2)
	v_cmp_lt_u32_e32 vcc_lo, 18, v71
	v_pk_add_f32 v[66:67], v[66:67], v[72:73]
	s_or_b32 s3, vcc_lo, s3
	s_delay_alu instid0(SALU_CYCLE_1)
	s_and_not1_b32 exec_lo, exec_lo, s3
	s_cbranch_execnz .LBB30_497
; %bb.498:
	s_or_b32 exec_lo, exec_lo, s3
.LBB30_499:
	s_delay_alu instid0(SALU_CYCLE_1) | instskip(SKIP_4) | instid1(VALU_DEP_1)
	s_or_b32 exec_lo, exec_lo, s2
	v_mov_b32_e32 v69, 0
	ds_load_b64 v[70:71], v69 offset:160
	s_wait_dscnt 0x0
	v_pk_mul_f32 v[72:73], v[66:67], v[70:71] op_sel:[1,1] op_sel_hi:[0,1]
	v_pk_fma_f32 v[74:75], v[66:67], v[70:71], v[72:73] op_sel_hi:[1,0,1]
	v_pk_fma_f32 v[66:67], v[66:67], v[70:71], v[72:73] neg_lo:[0,0,1] neg_hi:[0,0,1]
	s_delay_alu instid0(VALU_DEP_2)
	v_mov_b32_e32 v67, v75
	scratch_store_b64 off, v[66:67], off offset:160
.LBB30_500:
	s_wait_xcnt 0x0
	s_or_b32 exec_lo, exec_lo, s0
	scratch_load_b64 v[66:67], off, off offset:168
	s_mov_b32 s0, exec_lo
	s_wait_loadcnt 0x0
	ds_store_b64 v1, v[66:67]
	s_wait_storecnt_dscnt 0x0
	s_barrier_signal -1
	s_barrier_wait -1
	s_wait_xcnt 0x0
	v_cmpx_gt_u32_e32 21, v0
	s_cbranch_execz .LBB30_510
; %bb.501:
	v_cmp_ne_u32_e32 vcc_lo, 1, v68
	s_cbranch_vccnz .LBB30_503
; %bb.502:
	scratch_load_b64 v[66:67], v47, off
	ds_load_b64 v[70:71], v1
	s_wait_loadcnt_dscnt 0x0
	v_pk_mul_f32 v[72:73], v[70:71], v[66:67] op_sel:[1,1] op_sel_hi:[0,1]
	s_delay_alu instid0(VALU_DEP_1) | instskip(SKIP_1) | instid1(VALU_DEP_2)
	v_pk_fma_f32 v[74:75], v[70:71], v[66:67], v[72:73] op_sel_hi:[1,0,1]
	v_pk_fma_f32 v[66:67], v[70:71], v[66:67], v[72:73] neg_lo:[0,0,1] neg_hi:[0,0,1]
	v_mov_b32_e32 v67, v75
	s_cbranch_execz .LBB30_504
	s_branch .LBB30_505
.LBB30_503:
                                        ; implicit-def: $vgpr66_vgpr67
.LBB30_504:
	ds_load_b64 v[66:67], v1
.LBB30_505:
	s_mov_b32 s2, exec_lo
	v_cmpx_ne_u32_e32 20, v0
	s_cbranch_execz .LBB30_509
; %bb.506:
	v_add_nc_u32_e32 v69, 0x108, v46
	v_add3_u32 v70, 0, v46, 8
	v_mov_b32_e32 v71, v0
	s_mov_b32 s3, 0
.LBB30_507:                             ; =>This Inner Loop Header: Depth=1
	scratch_load_b64 v[72:73], v70, off
	ds_load_b64 v[74:75], v69
	s_wait_xcnt 0x0
	v_dual_add_nc_u32 v69, 8, v69 :: v_dual_add_nc_u32 v70, 8, v70
	s_wait_loadcnt_dscnt 0x0
	v_pk_mul_f32 v[76:77], v[74:75], v[72:73] op_sel:[1,1] op_sel_hi:[0,1]
	s_delay_alu instid0(VALU_DEP_1) | instskip(SKIP_2) | instid1(VALU_DEP_3)
	v_pk_fma_f32 v[78:79], v[74:75], v[72:73], v[76:77] op_sel_hi:[1,0,1]
	v_add_nc_u32_e32 v71, 1, v71
	v_pk_fma_f32 v[72:73], v[74:75], v[72:73], v[76:77] neg_lo:[0,0,1] neg_hi:[0,0,1]
	v_mov_b32_e32 v73, v79
	s_delay_alu instid0(VALU_DEP_3) | instskip(NEXT) | instid1(VALU_DEP_2)
	v_cmp_lt_u32_e32 vcc_lo, 19, v71
	v_pk_add_f32 v[66:67], v[66:67], v[72:73]
	s_or_b32 s3, vcc_lo, s3
	s_delay_alu instid0(SALU_CYCLE_1)
	s_and_not1_b32 exec_lo, exec_lo, s3
	s_cbranch_execnz .LBB30_507
; %bb.508:
	s_or_b32 exec_lo, exec_lo, s3
.LBB30_509:
	s_delay_alu instid0(SALU_CYCLE_1) | instskip(SKIP_4) | instid1(VALU_DEP_1)
	s_or_b32 exec_lo, exec_lo, s2
	v_mov_b32_e32 v69, 0
	ds_load_b64 v[70:71], v69 offset:168
	s_wait_dscnt 0x0
	v_pk_mul_f32 v[72:73], v[66:67], v[70:71] op_sel:[1,1] op_sel_hi:[0,1]
	v_pk_fma_f32 v[74:75], v[66:67], v[70:71], v[72:73] op_sel_hi:[1,0,1]
	v_pk_fma_f32 v[66:67], v[66:67], v[70:71], v[72:73] neg_lo:[0,0,1] neg_hi:[0,0,1]
	s_delay_alu instid0(VALU_DEP_2)
	v_mov_b32_e32 v67, v75
	scratch_store_b64 off, v[66:67], off offset:168
.LBB30_510:
	s_wait_xcnt 0x0
	s_or_b32 exec_lo, exec_lo, s0
	scratch_load_b64 v[66:67], off, off offset:176
	s_mov_b32 s0, exec_lo
	s_wait_loadcnt 0x0
	ds_store_b64 v1, v[66:67]
	s_wait_storecnt_dscnt 0x0
	s_barrier_signal -1
	s_barrier_wait -1
	s_wait_xcnt 0x0
	v_cmpx_gt_u32_e32 22, v0
	s_cbranch_execz .LBB30_520
; %bb.511:
	v_cmp_ne_u32_e32 vcc_lo, 1, v68
	s_cbranch_vccnz .LBB30_513
; %bb.512:
	scratch_load_b64 v[66:67], v47, off
	ds_load_b64 v[70:71], v1
	s_wait_loadcnt_dscnt 0x0
	v_pk_mul_f32 v[72:73], v[70:71], v[66:67] op_sel:[1,1] op_sel_hi:[0,1]
	s_delay_alu instid0(VALU_DEP_1) | instskip(SKIP_1) | instid1(VALU_DEP_2)
	v_pk_fma_f32 v[74:75], v[70:71], v[66:67], v[72:73] op_sel_hi:[1,0,1]
	v_pk_fma_f32 v[66:67], v[70:71], v[66:67], v[72:73] neg_lo:[0,0,1] neg_hi:[0,0,1]
	v_mov_b32_e32 v67, v75
	s_cbranch_execz .LBB30_514
	s_branch .LBB30_515
.LBB30_513:
                                        ; implicit-def: $vgpr66_vgpr67
.LBB30_514:
	ds_load_b64 v[66:67], v1
.LBB30_515:
	s_mov_b32 s2, exec_lo
	v_cmpx_ne_u32_e32 21, v0
	s_cbranch_execz .LBB30_519
; %bb.516:
	v_add_nc_u32_e32 v69, 0x108, v46
	v_add3_u32 v70, 0, v46, 8
	v_mov_b32_e32 v71, v0
	s_mov_b32 s3, 0
.LBB30_517:                             ; =>This Inner Loop Header: Depth=1
	scratch_load_b64 v[72:73], v70, off
	ds_load_b64 v[74:75], v69
	s_wait_xcnt 0x0
	v_dual_add_nc_u32 v69, 8, v69 :: v_dual_add_nc_u32 v70, 8, v70
	s_wait_loadcnt_dscnt 0x0
	v_pk_mul_f32 v[76:77], v[74:75], v[72:73] op_sel:[1,1] op_sel_hi:[0,1]
	s_delay_alu instid0(VALU_DEP_1) | instskip(SKIP_2) | instid1(VALU_DEP_3)
	v_pk_fma_f32 v[78:79], v[74:75], v[72:73], v[76:77] op_sel_hi:[1,0,1]
	v_add_nc_u32_e32 v71, 1, v71
	v_pk_fma_f32 v[72:73], v[74:75], v[72:73], v[76:77] neg_lo:[0,0,1] neg_hi:[0,0,1]
	v_mov_b32_e32 v73, v79
	s_delay_alu instid0(VALU_DEP_3) | instskip(NEXT) | instid1(VALU_DEP_2)
	v_cmp_lt_u32_e32 vcc_lo, 20, v71
	v_pk_add_f32 v[66:67], v[66:67], v[72:73]
	s_or_b32 s3, vcc_lo, s3
	s_delay_alu instid0(SALU_CYCLE_1)
	s_and_not1_b32 exec_lo, exec_lo, s3
	s_cbranch_execnz .LBB30_517
; %bb.518:
	s_or_b32 exec_lo, exec_lo, s3
.LBB30_519:
	s_delay_alu instid0(SALU_CYCLE_1) | instskip(SKIP_4) | instid1(VALU_DEP_1)
	s_or_b32 exec_lo, exec_lo, s2
	v_mov_b32_e32 v69, 0
	ds_load_b64 v[70:71], v69 offset:176
	s_wait_dscnt 0x0
	v_pk_mul_f32 v[72:73], v[66:67], v[70:71] op_sel:[1,1] op_sel_hi:[0,1]
	v_pk_fma_f32 v[74:75], v[66:67], v[70:71], v[72:73] op_sel_hi:[1,0,1]
	v_pk_fma_f32 v[66:67], v[66:67], v[70:71], v[72:73] neg_lo:[0,0,1] neg_hi:[0,0,1]
	s_delay_alu instid0(VALU_DEP_2)
	v_mov_b32_e32 v67, v75
	scratch_store_b64 off, v[66:67], off offset:176
.LBB30_520:
	s_wait_xcnt 0x0
	s_or_b32 exec_lo, exec_lo, s0
	scratch_load_b64 v[66:67], off, off offset:184
	s_mov_b32 s0, exec_lo
	s_wait_loadcnt 0x0
	ds_store_b64 v1, v[66:67]
	s_wait_storecnt_dscnt 0x0
	s_barrier_signal -1
	s_barrier_wait -1
	s_wait_xcnt 0x0
	v_cmpx_gt_u32_e32 23, v0
	s_cbranch_execz .LBB30_530
; %bb.521:
	v_cmp_ne_u32_e32 vcc_lo, 1, v68
	s_cbranch_vccnz .LBB30_523
; %bb.522:
	scratch_load_b64 v[66:67], v47, off
	ds_load_b64 v[70:71], v1
	s_wait_loadcnt_dscnt 0x0
	v_pk_mul_f32 v[72:73], v[70:71], v[66:67] op_sel:[1,1] op_sel_hi:[0,1]
	s_delay_alu instid0(VALU_DEP_1) | instskip(SKIP_1) | instid1(VALU_DEP_2)
	v_pk_fma_f32 v[74:75], v[70:71], v[66:67], v[72:73] op_sel_hi:[1,0,1]
	v_pk_fma_f32 v[66:67], v[70:71], v[66:67], v[72:73] neg_lo:[0,0,1] neg_hi:[0,0,1]
	v_mov_b32_e32 v67, v75
	s_cbranch_execz .LBB30_524
	s_branch .LBB30_525
.LBB30_523:
                                        ; implicit-def: $vgpr66_vgpr67
.LBB30_524:
	ds_load_b64 v[66:67], v1
.LBB30_525:
	s_mov_b32 s2, exec_lo
	v_cmpx_ne_u32_e32 22, v0
	s_cbranch_execz .LBB30_529
; %bb.526:
	v_add_nc_u32_e32 v69, 0x108, v46
	v_add3_u32 v70, 0, v46, 8
	v_mov_b32_e32 v71, v0
	s_mov_b32 s3, 0
.LBB30_527:                             ; =>This Inner Loop Header: Depth=1
	scratch_load_b64 v[72:73], v70, off
	ds_load_b64 v[74:75], v69
	s_wait_xcnt 0x0
	v_dual_add_nc_u32 v69, 8, v69 :: v_dual_add_nc_u32 v70, 8, v70
	s_wait_loadcnt_dscnt 0x0
	v_pk_mul_f32 v[76:77], v[74:75], v[72:73] op_sel:[1,1] op_sel_hi:[0,1]
	s_delay_alu instid0(VALU_DEP_1) | instskip(SKIP_2) | instid1(VALU_DEP_3)
	v_pk_fma_f32 v[78:79], v[74:75], v[72:73], v[76:77] op_sel_hi:[1,0,1]
	v_add_nc_u32_e32 v71, 1, v71
	v_pk_fma_f32 v[72:73], v[74:75], v[72:73], v[76:77] neg_lo:[0,0,1] neg_hi:[0,0,1]
	v_mov_b32_e32 v73, v79
	s_delay_alu instid0(VALU_DEP_3) | instskip(NEXT) | instid1(VALU_DEP_2)
	v_cmp_lt_u32_e32 vcc_lo, 21, v71
	v_pk_add_f32 v[66:67], v[66:67], v[72:73]
	s_or_b32 s3, vcc_lo, s3
	s_delay_alu instid0(SALU_CYCLE_1)
	s_and_not1_b32 exec_lo, exec_lo, s3
	s_cbranch_execnz .LBB30_527
; %bb.528:
	s_or_b32 exec_lo, exec_lo, s3
.LBB30_529:
	s_delay_alu instid0(SALU_CYCLE_1) | instskip(SKIP_4) | instid1(VALU_DEP_1)
	s_or_b32 exec_lo, exec_lo, s2
	v_mov_b32_e32 v69, 0
	ds_load_b64 v[70:71], v69 offset:184
	s_wait_dscnt 0x0
	v_pk_mul_f32 v[72:73], v[66:67], v[70:71] op_sel:[1,1] op_sel_hi:[0,1]
	v_pk_fma_f32 v[74:75], v[66:67], v[70:71], v[72:73] op_sel_hi:[1,0,1]
	v_pk_fma_f32 v[66:67], v[66:67], v[70:71], v[72:73] neg_lo:[0,0,1] neg_hi:[0,0,1]
	s_delay_alu instid0(VALU_DEP_2)
	v_mov_b32_e32 v67, v75
	scratch_store_b64 off, v[66:67], off offset:184
.LBB30_530:
	s_wait_xcnt 0x0
	s_or_b32 exec_lo, exec_lo, s0
	scratch_load_b64 v[66:67], off, off offset:192
	s_mov_b32 s0, exec_lo
	s_wait_loadcnt 0x0
	ds_store_b64 v1, v[66:67]
	s_wait_storecnt_dscnt 0x0
	s_barrier_signal -1
	s_barrier_wait -1
	s_wait_xcnt 0x0
	v_cmpx_gt_u32_e32 24, v0
	s_cbranch_execz .LBB30_540
; %bb.531:
	v_cmp_ne_u32_e32 vcc_lo, 1, v68
	s_cbranch_vccnz .LBB30_533
; %bb.532:
	scratch_load_b64 v[66:67], v47, off
	ds_load_b64 v[70:71], v1
	s_wait_loadcnt_dscnt 0x0
	v_pk_mul_f32 v[72:73], v[70:71], v[66:67] op_sel:[1,1] op_sel_hi:[0,1]
	s_delay_alu instid0(VALU_DEP_1) | instskip(SKIP_1) | instid1(VALU_DEP_2)
	v_pk_fma_f32 v[74:75], v[70:71], v[66:67], v[72:73] op_sel_hi:[1,0,1]
	v_pk_fma_f32 v[66:67], v[70:71], v[66:67], v[72:73] neg_lo:[0,0,1] neg_hi:[0,0,1]
	v_mov_b32_e32 v67, v75
	s_cbranch_execz .LBB30_534
	s_branch .LBB30_535
.LBB30_533:
                                        ; implicit-def: $vgpr66_vgpr67
.LBB30_534:
	ds_load_b64 v[66:67], v1
.LBB30_535:
	s_mov_b32 s2, exec_lo
	v_cmpx_ne_u32_e32 23, v0
	s_cbranch_execz .LBB30_539
; %bb.536:
	v_add_nc_u32_e32 v69, 0x108, v46
	v_add3_u32 v70, 0, v46, 8
	v_mov_b32_e32 v71, v0
	s_mov_b32 s3, 0
.LBB30_537:                             ; =>This Inner Loop Header: Depth=1
	scratch_load_b64 v[72:73], v70, off
	ds_load_b64 v[74:75], v69
	s_wait_xcnt 0x0
	v_dual_add_nc_u32 v69, 8, v69 :: v_dual_add_nc_u32 v70, 8, v70
	s_wait_loadcnt_dscnt 0x0
	v_pk_mul_f32 v[76:77], v[74:75], v[72:73] op_sel:[1,1] op_sel_hi:[0,1]
	s_delay_alu instid0(VALU_DEP_1) | instskip(SKIP_2) | instid1(VALU_DEP_3)
	v_pk_fma_f32 v[78:79], v[74:75], v[72:73], v[76:77] op_sel_hi:[1,0,1]
	v_add_nc_u32_e32 v71, 1, v71
	v_pk_fma_f32 v[72:73], v[74:75], v[72:73], v[76:77] neg_lo:[0,0,1] neg_hi:[0,0,1]
	v_mov_b32_e32 v73, v79
	s_delay_alu instid0(VALU_DEP_3) | instskip(NEXT) | instid1(VALU_DEP_2)
	v_cmp_lt_u32_e32 vcc_lo, 22, v71
	v_pk_add_f32 v[66:67], v[66:67], v[72:73]
	s_or_b32 s3, vcc_lo, s3
	s_delay_alu instid0(SALU_CYCLE_1)
	s_and_not1_b32 exec_lo, exec_lo, s3
	s_cbranch_execnz .LBB30_537
; %bb.538:
	s_or_b32 exec_lo, exec_lo, s3
.LBB30_539:
	s_delay_alu instid0(SALU_CYCLE_1) | instskip(SKIP_4) | instid1(VALU_DEP_1)
	s_or_b32 exec_lo, exec_lo, s2
	v_mov_b32_e32 v69, 0
	ds_load_b64 v[70:71], v69 offset:192
	s_wait_dscnt 0x0
	v_pk_mul_f32 v[72:73], v[66:67], v[70:71] op_sel:[1,1] op_sel_hi:[0,1]
	v_pk_fma_f32 v[74:75], v[66:67], v[70:71], v[72:73] op_sel_hi:[1,0,1]
	v_pk_fma_f32 v[66:67], v[66:67], v[70:71], v[72:73] neg_lo:[0,0,1] neg_hi:[0,0,1]
	s_delay_alu instid0(VALU_DEP_2)
	v_mov_b32_e32 v67, v75
	scratch_store_b64 off, v[66:67], off offset:192
.LBB30_540:
	s_wait_xcnt 0x0
	s_or_b32 exec_lo, exec_lo, s0
	scratch_load_b64 v[66:67], off, off offset:200
	s_mov_b32 s0, exec_lo
	s_wait_loadcnt 0x0
	ds_store_b64 v1, v[66:67]
	s_wait_storecnt_dscnt 0x0
	s_barrier_signal -1
	s_barrier_wait -1
	s_wait_xcnt 0x0
	v_cmpx_gt_u32_e32 25, v0
	s_cbranch_execz .LBB30_550
; %bb.541:
	v_cmp_ne_u32_e32 vcc_lo, 1, v68
	s_cbranch_vccnz .LBB30_543
; %bb.542:
	scratch_load_b64 v[66:67], v47, off
	ds_load_b64 v[70:71], v1
	s_wait_loadcnt_dscnt 0x0
	v_pk_mul_f32 v[72:73], v[70:71], v[66:67] op_sel:[1,1] op_sel_hi:[0,1]
	s_delay_alu instid0(VALU_DEP_1) | instskip(SKIP_1) | instid1(VALU_DEP_2)
	v_pk_fma_f32 v[74:75], v[70:71], v[66:67], v[72:73] op_sel_hi:[1,0,1]
	v_pk_fma_f32 v[66:67], v[70:71], v[66:67], v[72:73] neg_lo:[0,0,1] neg_hi:[0,0,1]
	v_mov_b32_e32 v67, v75
	s_cbranch_execz .LBB30_544
	s_branch .LBB30_545
.LBB30_543:
                                        ; implicit-def: $vgpr66_vgpr67
.LBB30_544:
	ds_load_b64 v[66:67], v1
.LBB30_545:
	s_mov_b32 s2, exec_lo
	v_cmpx_ne_u32_e32 24, v0
	s_cbranch_execz .LBB30_549
; %bb.546:
	v_add_nc_u32_e32 v69, 0x108, v46
	v_add3_u32 v70, 0, v46, 8
	v_mov_b32_e32 v71, v0
	s_mov_b32 s3, 0
.LBB30_547:                             ; =>This Inner Loop Header: Depth=1
	scratch_load_b64 v[72:73], v70, off
	ds_load_b64 v[74:75], v69
	s_wait_xcnt 0x0
	v_dual_add_nc_u32 v69, 8, v69 :: v_dual_add_nc_u32 v70, 8, v70
	s_wait_loadcnt_dscnt 0x0
	v_pk_mul_f32 v[76:77], v[74:75], v[72:73] op_sel:[1,1] op_sel_hi:[0,1]
	s_delay_alu instid0(VALU_DEP_1) | instskip(SKIP_2) | instid1(VALU_DEP_3)
	v_pk_fma_f32 v[78:79], v[74:75], v[72:73], v[76:77] op_sel_hi:[1,0,1]
	v_add_nc_u32_e32 v71, 1, v71
	v_pk_fma_f32 v[72:73], v[74:75], v[72:73], v[76:77] neg_lo:[0,0,1] neg_hi:[0,0,1]
	v_mov_b32_e32 v73, v79
	s_delay_alu instid0(VALU_DEP_3) | instskip(NEXT) | instid1(VALU_DEP_2)
	v_cmp_lt_u32_e32 vcc_lo, 23, v71
	v_pk_add_f32 v[66:67], v[66:67], v[72:73]
	s_or_b32 s3, vcc_lo, s3
	s_delay_alu instid0(SALU_CYCLE_1)
	s_and_not1_b32 exec_lo, exec_lo, s3
	s_cbranch_execnz .LBB30_547
; %bb.548:
	s_or_b32 exec_lo, exec_lo, s3
.LBB30_549:
	s_delay_alu instid0(SALU_CYCLE_1) | instskip(SKIP_4) | instid1(VALU_DEP_1)
	s_or_b32 exec_lo, exec_lo, s2
	v_mov_b32_e32 v69, 0
	ds_load_b64 v[70:71], v69 offset:200
	s_wait_dscnt 0x0
	v_pk_mul_f32 v[72:73], v[66:67], v[70:71] op_sel:[1,1] op_sel_hi:[0,1]
	v_pk_fma_f32 v[74:75], v[66:67], v[70:71], v[72:73] op_sel_hi:[1,0,1]
	v_pk_fma_f32 v[66:67], v[66:67], v[70:71], v[72:73] neg_lo:[0,0,1] neg_hi:[0,0,1]
	s_delay_alu instid0(VALU_DEP_2)
	v_mov_b32_e32 v67, v75
	scratch_store_b64 off, v[66:67], off offset:200
.LBB30_550:
	s_wait_xcnt 0x0
	s_or_b32 exec_lo, exec_lo, s0
	scratch_load_b64 v[66:67], off, off offset:208
	s_mov_b32 s0, exec_lo
	s_wait_loadcnt 0x0
	ds_store_b64 v1, v[66:67]
	s_wait_storecnt_dscnt 0x0
	s_barrier_signal -1
	s_barrier_wait -1
	s_wait_xcnt 0x0
	v_cmpx_gt_u32_e32 26, v0
	s_cbranch_execz .LBB30_560
; %bb.551:
	v_cmp_ne_u32_e32 vcc_lo, 1, v68
	s_cbranch_vccnz .LBB30_553
; %bb.552:
	scratch_load_b64 v[66:67], v47, off
	ds_load_b64 v[70:71], v1
	s_wait_loadcnt_dscnt 0x0
	v_pk_mul_f32 v[72:73], v[70:71], v[66:67] op_sel:[1,1] op_sel_hi:[0,1]
	s_delay_alu instid0(VALU_DEP_1) | instskip(SKIP_1) | instid1(VALU_DEP_2)
	v_pk_fma_f32 v[74:75], v[70:71], v[66:67], v[72:73] op_sel_hi:[1,0,1]
	v_pk_fma_f32 v[66:67], v[70:71], v[66:67], v[72:73] neg_lo:[0,0,1] neg_hi:[0,0,1]
	v_mov_b32_e32 v67, v75
	s_cbranch_execz .LBB30_554
	s_branch .LBB30_555
.LBB30_553:
                                        ; implicit-def: $vgpr66_vgpr67
.LBB30_554:
	ds_load_b64 v[66:67], v1
.LBB30_555:
	s_mov_b32 s2, exec_lo
	v_cmpx_ne_u32_e32 25, v0
	s_cbranch_execz .LBB30_559
; %bb.556:
	v_add_nc_u32_e32 v69, 0x108, v46
	v_add3_u32 v70, 0, v46, 8
	v_mov_b32_e32 v71, v0
	s_mov_b32 s3, 0
.LBB30_557:                             ; =>This Inner Loop Header: Depth=1
	scratch_load_b64 v[72:73], v70, off
	ds_load_b64 v[74:75], v69
	s_wait_xcnt 0x0
	v_dual_add_nc_u32 v69, 8, v69 :: v_dual_add_nc_u32 v70, 8, v70
	s_wait_loadcnt_dscnt 0x0
	v_pk_mul_f32 v[76:77], v[74:75], v[72:73] op_sel:[1,1] op_sel_hi:[0,1]
	s_delay_alu instid0(VALU_DEP_1) | instskip(SKIP_2) | instid1(VALU_DEP_3)
	v_pk_fma_f32 v[78:79], v[74:75], v[72:73], v[76:77] op_sel_hi:[1,0,1]
	v_add_nc_u32_e32 v71, 1, v71
	v_pk_fma_f32 v[72:73], v[74:75], v[72:73], v[76:77] neg_lo:[0,0,1] neg_hi:[0,0,1]
	v_mov_b32_e32 v73, v79
	s_delay_alu instid0(VALU_DEP_3) | instskip(NEXT) | instid1(VALU_DEP_2)
	v_cmp_lt_u32_e32 vcc_lo, 24, v71
	v_pk_add_f32 v[66:67], v[66:67], v[72:73]
	s_or_b32 s3, vcc_lo, s3
	s_delay_alu instid0(SALU_CYCLE_1)
	s_and_not1_b32 exec_lo, exec_lo, s3
	s_cbranch_execnz .LBB30_557
; %bb.558:
	s_or_b32 exec_lo, exec_lo, s3
.LBB30_559:
	s_delay_alu instid0(SALU_CYCLE_1) | instskip(SKIP_4) | instid1(VALU_DEP_1)
	s_or_b32 exec_lo, exec_lo, s2
	v_mov_b32_e32 v69, 0
	ds_load_b64 v[70:71], v69 offset:208
	s_wait_dscnt 0x0
	v_pk_mul_f32 v[72:73], v[66:67], v[70:71] op_sel:[1,1] op_sel_hi:[0,1]
	v_pk_fma_f32 v[74:75], v[66:67], v[70:71], v[72:73] op_sel_hi:[1,0,1]
	v_pk_fma_f32 v[66:67], v[66:67], v[70:71], v[72:73] neg_lo:[0,0,1] neg_hi:[0,0,1]
	s_delay_alu instid0(VALU_DEP_2)
	v_mov_b32_e32 v67, v75
	scratch_store_b64 off, v[66:67], off offset:208
.LBB30_560:
	s_wait_xcnt 0x0
	s_or_b32 exec_lo, exec_lo, s0
	scratch_load_b64 v[66:67], off, off offset:216
	s_mov_b32 s0, exec_lo
	s_wait_loadcnt 0x0
	ds_store_b64 v1, v[66:67]
	s_wait_storecnt_dscnt 0x0
	s_barrier_signal -1
	s_barrier_wait -1
	s_wait_xcnt 0x0
	v_cmpx_gt_u32_e32 27, v0
	s_cbranch_execz .LBB30_570
; %bb.561:
	v_cmp_ne_u32_e32 vcc_lo, 1, v68
	s_cbranch_vccnz .LBB30_563
; %bb.562:
	scratch_load_b64 v[66:67], v47, off
	ds_load_b64 v[70:71], v1
	s_wait_loadcnt_dscnt 0x0
	v_pk_mul_f32 v[72:73], v[70:71], v[66:67] op_sel:[1,1] op_sel_hi:[0,1]
	s_delay_alu instid0(VALU_DEP_1) | instskip(SKIP_1) | instid1(VALU_DEP_2)
	v_pk_fma_f32 v[74:75], v[70:71], v[66:67], v[72:73] op_sel_hi:[1,0,1]
	v_pk_fma_f32 v[66:67], v[70:71], v[66:67], v[72:73] neg_lo:[0,0,1] neg_hi:[0,0,1]
	v_mov_b32_e32 v67, v75
	s_cbranch_execz .LBB30_564
	s_branch .LBB30_565
.LBB30_563:
                                        ; implicit-def: $vgpr66_vgpr67
.LBB30_564:
	ds_load_b64 v[66:67], v1
.LBB30_565:
	s_mov_b32 s2, exec_lo
	v_cmpx_ne_u32_e32 26, v0
	s_cbranch_execz .LBB30_569
; %bb.566:
	v_add_nc_u32_e32 v69, 0x108, v46
	v_add3_u32 v70, 0, v46, 8
	v_mov_b32_e32 v71, v0
	s_mov_b32 s3, 0
.LBB30_567:                             ; =>This Inner Loop Header: Depth=1
	scratch_load_b64 v[72:73], v70, off
	ds_load_b64 v[74:75], v69
	s_wait_xcnt 0x0
	v_dual_add_nc_u32 v69, 8, v69 :: v_dual_add_nc_u32 v70, 8, v70
	s_wait_loadcnt_dscnt 0x0
	v_pk_mul_f32 v[76:77], v[74:75], v[72:73] op_sel:[1,1] op_sel_hi:[0,1]
	s_delay_alu instid0(VALU_DEP_1) | instskip(SKIP_2) | instid1(VALU_DEP_3)
	v_pk_fma_f32 v[78:79], v[74:75], v[72:73], v[76:77] op_sel_hi:[1,0,1]
	v_add_nc_u32_e32 v71, 1, v71
	v_pk_fma_f32 v[72:73], v[74:75], v[72:73], v[76:77] neg_lo:[0,0,1] neg_hi:[0,0,1]
	v_mov_b32_e32 v73, v79
	s_delay_alu instid0(VALU_DEP_3) | instskip(NEXT) | instid1(VALU_DEP_2)
	v_cmp_lt_u32_e32 vcc_lo, 25, v71
	v_pk_add_f32 v[66:67], v[66:67], v[72:73]
	s_or_b32 s3, vcc_lo, s3
	s_delay_alu instid0(SALU_CYCLE_1)
	s_and_not1_b32 exec_lo, exec_lo, s3
	s_cbranch_execnz .LBB30_567
; %bb.568:
	s_or_b32 exec_lo, exec_lo, s3
.LBB30_569:
	s_delay_alu instid0(SALU_CYCLE_1) | instskip(SKIP_4) | instid1(VALU_DEP_1)
	s_or_b32 exec_lo, exec_lo, s2
	v_mov_b32_e32 v69, 0
	ds_load_b64 v[70:71], v69 offset:216
	s_wait_dscnt 0x0
	v_pk_mul_f32 v[72:73], v[66:67], v[70:71] op_sel:[1,1] op_sel_hi:[0,1]
	v_pk_fma_f32 v[74:75], v[66:67], v[70:71], v[72:73] op_sel_hi:[1,0,1]
	v_pk_fma_f32 v[66:67], v[66:67], v[70:71], v[72:73] neg_lo:[0,0,1] neg_hi:[0,0,1]
	s_delay_alu instid0(VALU_DEP_2)
	v_mov_b32_e32 v67, v75
	scratch_store_b64 off, v[66:67], off offset:216
.LBB30_570:
	s_wait_xcnt 0x0
	s_or_b32 exec_lo, exec_lo, s0
	scratch_load_b64 v[66:67], off, off offset:224
	s_mov_b32 s0, exec_lo
	s_wait_loadcnt 0x0
	ds_store_b64 v1, v[66:67]
	s_wait_storecnt_dscnt 0x0
	s_barrier_signal -1
	s_barrier_wait -1
	s_wait_xcnt 0x0
	v_cmpx_gt_u32_e32 28, v0
	s_cbranch_execz .LBB30_580
; %bb.571:
	v_cmp_ne_u32_e32 vcc_lo, 1, v68
	s_cbranch_vccnz .LBB30_573
; %bb.572:
	scratch_load_b64 v[66:67], v47, off
	ds_load_b64 v[70:71], v1
	s_wait_loadcnt_dscnt 0x0
	v_pk_mul_f32 v[72:73], v[70:71], v[66:67] op_sel:[1,1] op_sel_hi:[0,1]
	s_delay_alu instid0(VALU_DEP_1) | instskip(SKIP_1) | instid1(VALU_DEP_2)
	v_pk_fma_f32 v[74:75], v[70:71], v[66:67], v[72:73] op_sel_hi:[1,0,1]
	v_pk_fma_f32 v[66:67], v[70:71], v[66:67], v[72:73] neg_lo:[0,0,1] neg_hi:[0,0,1]
	v_mov_b32_e32 v67, v75
	s_cbranch_execz .LBB30_574
	s_branch .LBB30_575
.LBB30_573:
                                        ; implicit-def: $vgpr66_vgpr67
.LBB30_574:
	ds_load_b64 v[66:67], v1
.LBB30_575:
	s_mov_b32 s2, exec_lo
	v_cmpx_ne_u32_e32 27, v0
	s_cbranch_execz .LBB30_579
; %bb.576:
	v_add_nc_u32_e32 v69, 0x108, v46
	v_add3_u32 v70, 0, v46, 8
	v_mov_b32_e32 v71, v0
	s_mov_b32 s3, 0
.LBB30_577:                             ; =>This Inner Loop Header: Depth=1
	scratch_load_b64 v[72:73], v70, off
	ds_load_b64 v[74:75], v69
	s_wait_xcnt 0x0
	v_dual_add_nc_u32 v69, 8, v69 :: v_dual_add_nc_u32 v70, 8, v70
	s_wait_loadcnt_dscnt 0x0
	v_pk_mul_f32 v[76:77], v[74:75], v[72:73] op_sel:[1,1] op_sel_hi:[0,1]
	s_delay_alu instid0(VALU_DEP_1) | instskip(SKIP_2) | instid1(VALU_DEP_3)
	v_pk_fma_f32 v[78:79], v[74:75], v[72:73], v[76:77] op_sel_hi:[1,0,1]
	v_add_nc_u32_e32 v71, 1, v71
	v_pk_fma_f32 v[72:73], v[74:75], v[72:73], v[76:77] neg_lo:[0,0,1] neg_hi:[0,0,1]
	v_mov_b32_e32 v73, v79
	s_delay_alu instid0(VALU_DEP_3) | instskip(NEXT) | instid1(VALU_DEP_2)
	v_cmp_lt_u32_e32 vcc_lo, 26, v71
	v_pk_add_f32 v[66:67], v[66:67], v[72:73]
	s_or_b32 s3, vcc_lo, s3
	s_delay_alu instid0(SALU_CYCLE_1)
	s_and_not1_b32 exec_lo, exec_lo, s3
	s_cbranch_execnz .LBB30_577
; %bb.578:
	s_or_b32 exec_lo, exec_lo, s3
.LBB30_579:
	s_delay_alu instid0(SALU_CYCLE_1) | instskip(SKIP_4) | instid1(VALU_DEP_1)
	s_or_b32 exec_lo, exec_lo, s2
	v_mov_b32_e32 v69, 0
	ds_load_b64 v[70:71], v69 offset:224
	s_wait_dscnt 0x0
	v_pk_mul_f32 v[72:73], v[66:67], v[70:71] op_sel:[1,1] op_sel_hi:[0,1]
	v_pk_fma_f32 v[74:75], v[66:67], v[70:71], v[72:73] op_sel_hi:[1,0,1]
	v_pk_fma_f32 v[66:67], v[66:67], v[70:71], v[72:73] neg_lo:[0,0,1] neg_hi:[0,0,1]
	s_delay_alu instid0(VALU_DEP_2)
	v_mov_b32_e32 v67, v75
	scratch_store_b64 off, v[66:67], off offset:224
.LBB30_580:
	s_wait_xcnt 0x0
	s_or_b32 exec_lo, exec_lo, s0
	scratch_load_b64 v[66:67], off, off offset:232
	v_cmp_gt_u32_e64 s0, 29, v0
	s_wait_loadcnt 0x0
	ds_store_b64 v1, v[66:67]
	s_wait_storecnt_dscnt 0x0
	s_barrier_signal -1
	s_barrier_wait -1
	s_wait_xcnt 0x0
	s_and_saveexec_b32 s2, s0
	s_cbranch_execz .LBB30_590
; %bb.581:
	v_cmp_ne_u32_e32 vcc_lo, 1, v68
	s_cbranch_vccnz .LBB30_583
; %bb.582:
	scratch_load_b64 v[66:67], v47, off
	ds_load_b64 v[70:71], v1
	s_wait_loadcnt_dscnt 0x0
	v_pk_mul_f32 v[72:73], v[70:71], v[66:67] op_sel:[1,1] op_sel_hi:[0,1]
	s_delay_alu instid0(VALU_DEP_1) | instskip(SKIP_1) | instid1(VALU_DEP_2)
	v_pk_fma_f32 v[74:75], v[70:71], v[66:67], v[72:73] op_sel_hi:[1,0,1]
	v_pk_fma_f32 v[66:67], v[70:71], v[66:67], v[72:73] neg_lo:[0,0,1] neg_hi:[0,0,1]
	v_mov_b32_e32 v67, v75
	s_cbranch_execz .LBB30_584
	s_branch .LBB30_585
.LBB30_583:
                                        ; implicit-def: $vgpr66_vgpr67
.LBB30_584:
	ds_load_b64 v[66:67], v1
.LBB30_585:
	s_mov_b32 s3, exec_lo
	v_cmpx_ne_u32_e32 28, v0
	s_cbranch_execz .LBB30_589
; %bb.586:
	v_add_nc_u32_e32 v69, 0x108, v46
	v_add3_u32 v70, 0, v46, 8
	v_mov_b32_e32 v71, v0
	s_mov_b32 s4, 0
.LBB30_587:                             ; =>This Inner Loop Header: Depth=1
	scratch_load_b64 v[72:73], v70, off
	ds_load_b64 v[74:75], v69
	s_wait_xcnt 0x0
	v_dual_add_nc_u32 v69, 8, v69 :: v_dual_add_nc_u32 v70, 8, v70
	s_wait_loadcnt_dscnt 0x0
	v_pk_mul_f32 v[76:77], v[74:75], v[72:73] op_sel:[1,1] op_sel_hi:[0,1]
	s_delay_alu instid0(VALU_DEP_1) | instskip(SKIP_2) | instid1(VALU_DEP_3)
	v_pk_fma_f32 v[78:79], v[74:75], v[72:73], v[76:77] op_sel_hi:[1,0,1]
	v_add_nc_u32_e32 v71, 1, v71
	v_pk_fma_f32 v[72:73], v[74:75], v[72:73], v[76:77] neg_lo:[0,0,1] neg_hi:[0,0,1]
	v_mov_b32_e32 v73, v79
	s_delay_alu instid0(VALU_DEP_3) | instskip(NEXT) | instid1(VALU_DEP_2)
	v_cmp_lt_u32_e32 vcc_lo, 27, v71
	v_pk_add_f32 v[66:67], v[66:67], v[72:73]
	s_or_b32 s4, vcc_lo, s4
	s_delay_alu instid0(SALU_CYCLE_1)
	s_and_not1_b32 exec_lo, exec_lo, s4
	s_cbranch_execnz .LBB30_587
; %bb.588:
	s_or_b32 exec_lo, exec_lo, s4
.LBB30_589:
	s_delay_alu instid0(SALU_CYCLE_1) | instskip(SKIP_4) | instid1(VALU_DEP_1)
	s_or_b32 exec_lo, exec_lo, s3
	v_mov_b32_e32 v69, 0
	ds_load_b64 v[70:71], v69 offset:232
	s_wait_dscnt 0x0
	v_pk_mul_f32 v[72:73], v[66:67], v[70:71] op_sel:[1,1] op_sel_hi:[0,1]
	v_pk_fma_f32 v[74:75], v[66:67], v[70:71], v[72:73] op_sel_hi:[1,0,1]
	v_pk_fma_f32 v[66:67], v[66:67], v[70:71], v[72:73] neg_lo:[0,0,1] neg_hi:[0,0,1]
	s_delay_alu instid0(VALU_DEP_2)
	v_mov_b32_e32 v67, v75
	scratch_store_b64 off, v[66:67], off offset:232
.LBB30_590:
	s_wait_xcnt 0x0
	s_or_b32 exec_lo, exec_lo, s2
	scratch_load_b64 v[66:67], off, off offset:240
	s_mov_b32 s2, exec_lo
                                        ; implicit-def: $vgpr78
                                        ; implicit-def: $sgpr4
	s_wait_loadcnt 0x0
	ds_store_b64 v1, v[66:67]
	s_wait_storecnt_dscnt 0x0
	s_barrier_signal -1
	s_barrier_wait -1
	s_wait_xcnt 0x0
	v_cmpx_ne_u32_e32 30, v0
	s_cbranch_execz .LBB30_600
; %bb.591:
	v_cmp_ne_u32_e32 vcc_lo, 1, v68
	s_cbranch_vccnz .LBB30_593
; %bb.592:
	scratch_load_b64 v[68:69], v47, off
	ds_load_b64 v[70:71], v1
	s_wait_loadcnt_dscnt 0x0
	v_dual_mul_f32 v47, v71, v69 :: v_dual_mul_f32 v67, v70, v69
	s_delay_alu instid0(VALU_DEP_1) | instskip(NEXT) | instid1(VALU_DEP_2)
	v_fma_f32 v66, v70, v68, -v47
	v_fmac_f32_e32 v67, v71, v68
	s_cbranch_execz .LBB30_594
	s_branch .LBB30_595
.LBB30_593:
                                        ; implicit-def: $vgpr67
.LBB30_594:
	ds_load_b64 v[66:67], v1
.LBB30_595:
	s_and_saveexec_b32 s3, s0
	s_cbranch_execz .LBB30_599
; %bb.596:
	v_add_nc_u32_e32 v1, 0x108, v46
	v_add3_u32 v46, 0, v46, 8
	s_mov_b32 s0, 0
.LBB30_597:                             ; =>This Inner Loop Header: Depth=1
	scratch_load_b64 v[68:69], v46, off
	ds_load_b64 v[70:71], v1
	v_dual_add_nc_u32 v0, 1, v0 :: v_dual_add_nc_u32 v1, 8, v1
	s_delay_alu instid0(VALU_DEP_1) | instskip(SKIP_3) | instid1(VALU_DEP_1)
	v_cmp_lt_u32_e32 vcc_lo, 28, v0
	s_or_b32 s0, vcc_lo, s0
	s_wait_loadcnt_dscnt 0x0
	v_dual_mul_f32 v47, v71, v69 :: v_dual_mul_f32 v69, v70, v69
	v_dual_fma_f32 v47, v70, v68, -v47 :: v_dual_fmac_f32 v69, v71, v68
	s_delay_alu instid0(VALU_DEP_1) | instskip(NEXT) | instid1(VALU_DEP_2)
	v_dual_add_nc_u32 v46, 8, v46 :: v_dual_add_f32 v66, v66, v47
	v_add_f32_e32 v67, v67, v69
	s_and_not1_b32 exec_lo, exec_lo, s0
	s_cbranch_execnz .LBB30_597
; %bb.598:
	s_or_b32 exec_lo, exec_lo, s0
.LBB30_599:
	s_delay_alu instid0(SALU_CYCLE_1)
	s_or_b32 exec_lo, exec_lo, s3
	v_mov_b32_e32 v0, 0
	s_movk_i32 s4, 0xf4
	s_or_b32 s1, s1, exec_lo
	ds_load_b64 v[0:1], v0 offset:240
	s_wait_dscnt 0x0
	v_dual_mul_f32 v46, v67, v1 :: v_dual_mul_f32 v78, v66, v1
	s_delay_alu instid0(VALU_DEP_1) | instskip(NEXT) | instid1(VALU_DEP_2)
	v_fma_f32 v1, v66, v0, -v46
	v_fmac_f32_e32 v78, v67, v0
	scratch_store_b32 off, v1, off offset:240
.LBB30_600:
	s_wait_xcnt 0x0
	s_or_b32 exec_lo, exec_lo, s2
.LBB30_601:
	v_lshl_add_u64 v[76:77], v[4:5], 3, s[6:7]
	v_lshl_add_u64 v[74:75], v[8:9], 3, s[6:7]
	;; [unrolled: 1-line block ×29, first 2 shown]
	s_and_saveexec_b32 s0, s1
	s_cbranch_execz .LBB30_603
; %bb.602:
	scratch_store_b32 off, v78, s4
.LBB30_603:
	s_wait_xcnt 0x0
	s_or_b32 exec_lo, exec_lo, s0
	s_clause 0x8
	scratch_load_b128 v[50:53], off, off
	scratch_load_b128 v[54:57], off, off offset:16
	scratch_load_b128 v[58:61], off, off offset:32
	;; [unrolled: 1-line block ×8, first 2 shown]
	s_wait_loadcnt 0x8
	s_clause 0x1
	global_store_b64 v[2:3], v[50:51], off
	global_store_b64 v[6:7], v[52:53], off
	s_wait_loadcnt 0x7
	s_clause 0x1
	global_store_b64 v[76:77], v[54:55], off
	global_store_b64 v[74:75], v[56:57], off
	s_wait_loadcnt 0x6
	s_clause 0x1
	global_store_b64 v[72:73], v[58:59], off
	global_store_b64 v[70:71], v[60:61], off
	s_wait_loadcnt 0x5
	s_clause 0x1
	global_store_b64 v[68:69], v[62:63], off
	global_store_b64 v[66:67], v[64:65], off
	s_clause 0x6
	scratch_load_b128 v[50:53], off, off offset:128
	scratch_load_b128 v[54:57], off, off offset:160
	scratch_load_b128 v[72:75], off, off offset:176
	scratch_load_b128 v[58:61], off, off offset:192
	scratch_load_b128 v[68:71], off, off offset:208
	scratch_load_b128 v[62:65], off, off offset:224
	scratch_load_b64 v[2:3], off, off offset:240
	s_wait_loadcnt 0xb
	s_clause 0x1
	global_store_b64 v[0:1], v[78:79], off
	global_store_b64 v[4:5], v[80:81], off
	s_wait_loadcnt 0xa
	s_clause 0x1
	global_store_b64 v[8:9], v[82:83], off
	global_store_b64 v[10:11], v[84:85], off
	;; [unrolled: 4-line block ×5, first 2 shown]
	global_store_b64 v[24:25], v[94:95], off
	global_store_b64 v[26:27], v[96:97], off
	s_wait_loadcnt 0x5
	s_clause 0x1
	global_store_b64 v[28:29], v[54:55], off
	global_store_b64 v[30:31], v[56:57], off
	s_wait_loadcnt 0x4
	s_clause 0x1
	;; [unrolled: 4-line block ×5, first 2 shown]
	global_store_b64 v[44:45], v[62:63], off
	global_store_b64 v[46:47], v[64:65], off
	s_wait_loadcnt 0x0
	global_store_b64 v[48:49], v[2:3], off
.LBB30_604:
	s_sendmsg sendmsg(MSG_DEALLOC_VGPRS)
	s_endpgm
	.section	.rodata,"a",@progbits
	.p2align	6, 0x0
	.amdhsa_kernel _ZN9rocsolver6v33100L18trti2_kernel_smallILi31E19rocblas_complex_numIfEPS3_EEv13rocblas_fill_17rocblas_diagonal_T1_iil
		.amdhsa_group_segment_fixed_size 504
		.amdhsa_private_segment_fixed_size 256
		.amdhsa_kernarg_size 32
		.amdhsa_user_sgpr_count 2
		.amdhsa_user_sgpr_dispatch_ptr 0
		.amdhsa_user_sgpr_queue_ptr 0
		.amdhsa_user_sgpr_kernarg_segment_ptr 1
		.amdhsa_user_sgpr_dispatch_id 0
		.amdhsa_user_sgpr_kernarg_preload_length 0
		.amdhsa_user_sgpr_kernarg_preload_offset 0
		.amdhsa_user_sgpr_private_segment_size 0
		.amdhsa_wavefront_size32 1
		.amdhsa_uses_dynamic_stack 0
		.amdhsa_enable_private_segment 1
		.amdhsa_system_sgpr_workgroup_id_x 1
		.amdhsa_system_sgpr_workgroup_id_y 0
		.amdhsa_system_sgpr_workgroup_id_z 0
		.amdhsa_system_sgpr_workgroup_info 0
		.amdhsa_system_vgpr_workitem_id 0
		.amdhsa_next_free_vgpr 98
		.amdhsa_next_free_sgpr 22
		.amdhsa_named_barrier_count 0
		.amdhsa_reserve_vcc 1
		.amdhsa_float_round_mode_32 0
		.amdhsa_float_round_mode_16_64 0
		.amdhsa_float_denorm_mode_32 3
		.amdhsa_float_denorm_mode_16_64 3
		.amdhsa_fp16_overflow 0
		.amdhsa_memory_ordered 1
		.amdhsa_forward_progress 1
		.amdhsa_inst_pref_size 183
		.amdhsa_round_robin_scheduling 0
		.amdhsa_exception_fp_ieee_invalid_op 0
		.amdhsa_exception_fp_denorm_src 0
		.amdhsa_exception_fp_ieee_div_zero 0
		.amdhsa_exception_fp_ieee_overflow 0
		.amdhsa_exception_fp_ieee_underflow 0
		.amdhsa_exception_fp_ieee_inexact 0
		.amdhsa_exception_int_div_zero 0
	.end_amdhsa_kernel
	.section	.text._ZN9rocsolver6v33100L18trti2_kernel_smallILi31E19rocblas_complex_numIfEPS3_EEv13rocblas_fill_17rocblas_diagonal_T1_iil,"axG",@progbits,_ZN9rocsolver6v33100L18trti2_kernel_smallILi31E19rocblas_complex_numIfEPS3_EEv13rocblas_fill_17rocblas_diagonal_T1_iil,comdat
.Lfunc_end30:
	.size	_ZN9rocsolver6v33100L18trti2_kernel_smallILi31E19rocblas_complex_numIfEPS3_EEv13rocblas_fill_17rocblas_diagonal_T1_iil, .Lfunc_end30-_ZN9rocsolver6v33100L18trti2_kernel_smallILi31E19rocblas_complex_numIfEPS3_EEv13rocblas_fill_17rocblas_diagonal_T1_iil
                                        ; -- End function
	.set _ZN9rocsolver6v33100L18trti2_kernel_smallILi31E19rocblas_complex_numIfEPS3_EEv13rocblas_fill_17rocblas_diagonal_T1_iil.num_vgpr, 98
	.set _ZN9rocsolver6v33100L18trti2_kernel_smallILi31E19rocblas_complex_numIfEPS3_EEv13rocblas_fill_17rocblas_diagonal_T1_iil.num_agpr, 0
	.set _ZN9rocsolver6v33100L18trti2_kernel_smallILi31E19rocblas_complex_numIfEPS3_EEv13rocblas_fill_17rocblas_diagonal_T1_iil.numbered_sgpr, 22
	.set _ZN9rocsolver6v33100L18trti2_kernel_smallILi31E19rocblas_complex_numIfEPS3_EEv13rocblas_fill_17rocblas_diagonal_T1_iil.num_named_barrier, 0
	.set _ZN9rocsolver6v33100L18trti2_kernel_smallILi31E19rocblas_complex_numIfEPS3_EEv13rocblas_fill_17rocblas_diagonal_T1_iil.private_seg_size, 256
	.set _ZN9rocsolver6v33100L18trti2_kernel_smallILi31E19rocblas_complex_numIfEPS3_EEv13rocblas_fill_17rocblas_diagonal_T1_iil.uses_vcc, 1
	.set _ZN9rocsolver6v33100L18trti2_kernel_smallILi31E19rocblas_complex_numIfEPS3_EEv13rocblas_fill_17rocblas_diagonal_T1_iil.uses_flat_scratch, 1
	.set _ZN9rocsolver6v33100L18trti2_kernel_smallILi31E19rocblas_complex_numIfEPS3_EEv13rocblas_fill_17rocblas_diagonal_T1_iil.has_dyn_sized_stack, 0
	.set _ZN9rocsolver6v33100L18trti2_kernel_smallILi31E19rocblas_complex_numIfEPS3_EEv13rocblas_fill_17rocblas_diagonal_T1_iil.has_recursion, 0
	.set _ZN9rocsolver6v33100L18trti2_kernel_smallILi31E19rocblas_complex_numIfEPS3_EEv13rocblas_fill_17rocblas_diagonal_T1_iil.has_indirect_call, 0
	.section	.AMDGPU.csdata,"",@progbits
; Kernel info:
; codeLenInByte = 23364
; TotalNumSgprs: 24
; NumVgprs: 98
; ScratchSize: 256
; MemoryBound: 0
; FloatMode: 240
; IeeeMode: 1
; LDSByteSize: 504 bytes/workgroup (compile time only)
; SGPRBlocks: 0
; VGPRBlocks: 6
; NumSGPRsForWavesPerEU: 24
; NumVGPRsForWavesPerEU: 98
; NamedBarCnt: 0
; Occupancy: 9
; WaveLimiterHint : 0
; COMPUTE_PGM_RSRC2:SCRATCH_EN: 1
; COMPUTE_PGM_RSRC2:USER_SGPR: 2
; COMPUTE_PGM_RSRC2:TRAP_HANDLER: 0
; COMPUTE_PGM_RSRC2:TGID_X_EN: 1
; COMPUTE_PGM_RSRC2:TGID_Y_EN: 0
; COMPUTE_PGM_RSRC2:TGID_Z_EN: 0
; COMPUTE_PGM_RSRC2:TIDIG_COMP_CNT: 0
	.section	.text._ZN9rocsolver6v33100L18trti2_kernel_smallILi32E19rocblas_complex_numIfEPS3_EEv13rocblas_fill_17rocblas_diagonal_T1_iil,"axG",@progbits,_ZN9rocsolver6v33100L18trti2_kernel_smallILi32E19rocblas_complex_numIfEPS3_EEv13rocblas_fill_17rocblas_diagonal_T1_iil,comdat
	.globl	_ZN9rocsolver6v33100L18trti2_kernel_smallILi32E19rocblas_complex_numIfEPS3_EEv13rocblas_fill_17rocblas_diagonal_T1_iil ; -- Begin function _ZN9rocsolver6v33100L18trti2_kernel_smallILi32E19rocblas_complex_numIfEPS3_EEv13rocblas_fill_17rocblas_diagonal_T1_iil
	.p2align	8
	.type	_ZN9rocsolver6v33100L18trti2_kernel_smallILi32E19rocblas_complex_numIfEPS3_EEv13rocblas_fill_17rocblas_diagonal_T1_iil,@function
_ZN9rocsolver6v33100L18trti2_kernel_smallILi32E19rocblas_complex_numIfEPS3_EEv13rocblas_fill_17rocblas_diagonal_T1_iil: ; @_ZN9rocsolver6v33100L18trti2_kernel_smallILi32E19rocblas_complex_numIfEPS3_EEv13rocblas_fill_17rocblas_diagonal_T1_iil
; %bb.0:
	s_mov_b32 s2, exec_lo
	v_cmpx_gt_u32_e32 32, v0
	s_cbranch_execz .LBB31_624
; %bb.1:
	s_load_b256 s[4:11], s[0:1], 0x0
	s_wait_xcnt 0x0
	s_bfe_u32 s0, ttmp6, 0x4000c
	s_and_b32 s1, ttmp6, 15
	s_add_co_i32 s0, s0, 1
	s_getreg_b32 s2, hwreg(HW_REG_IB_STS2, 6, 4)
	s_mul_i32 s0, ttmp9, s0
	v_lshlrev_b32_e32 v46, 3, v0
	s_add_co_i32 s0, s1, s0
	v_mov_b32_e32 v47, 0
	s_wait_kmcnt 0x0
	v_add3_u32 v4, s9, s9, v0
	s_ashr_i32 s1, s8, 31
	s_cmp_eq_u32 s2, 0
	s_cselect_b32 s2, ttmp9, s0
	s_delay_alu instid0(VALU_DEP_1)
	v_add_nc_u32_e32 v6, s9, v4
	s_ashr_i32 s3, s2, 31
	s_mov_b32 s0, s8
	s_mul_u64 s[2:3], s[10:11], s[2:3]
	s_lshl_b64 s[0:1], s[0:1], 3
	v_add_nc_u32_e32 v10, s9, v6
	s_lshl_b64 s[2:3], s[2:3], 3
	s_delay_alu instid0(SALU_CYCLE_1) | instskip(NEXT) | instid1(VALU_DEP_1)
	s_add_nc_u64 s[2:3], s[6:7], s[2:3]
	v_add_nc_u32_e32 v12, s9, v10
	s_add_nc_u64 s[6:7], s[2:3], s[0:1]
	s_mov_b32 s0, s9
	s_ashr_i32 s1, s9, 31
	s_cmp_lg_u32 s5, 0x84
	v_add_nc_u32_e32 v14, s9, v12
	s_clause 0x1
	global_load_b64 v[52:53], v10, s[6:7] scale_offset
	global_load_b64 v[54:55], v12, s[6:7] scale_offset
	s_cselect_b32 s3, -1, 0
	v_add_nc_u64_e32 v[2:3], s[6:7], v[46:47]
	s_and_b32 vcc_lo, exec_lo, s3
	v_add_nc_u32_e32 v16, s9, v14
	s_delay_alu instid0(VALU_DEP_1) | instskip(NEXT) | instid1(VALU_DEP_3)
	v_add_nc_u32_e32 v18, s9, v16
	v_lshl_add_u64 v[8:9], s[0:1], 3, v[2:3]
	s_mov_b32 s0, -1
	s_clause 0x1
	global_load_b64 v[56:57], v0, s[6:7] scale_offset
	global_load_b64 v[58:59], v[8:9], off
	v_add_nc_u32_e32 v20, s9, v18
	s_clause 0x3
	global_load_b64 v[60:61], v4, s[6:7] scale_offset
	global_load_b64 v[62:63], v6, s[6:7] scale_offset
	;; [unrolled: 1-line block ×4, first 2 shown]
	v_add_nc_u32_e32 v22, s9, v20
	s_delay_alu instid0(VALU_DEP_1) | instskip(NEXT) | instid1(VALU_DEP_1)
	v_add_nc_u32_e32 v24, s9, v22
	v_add_nc_u32_e32 v26, s9, v24
	s_delay_alu instid0(VALU_DEP_1) | instskip(NEXT) | instid1(VALU_DEP_1)
	v_add_nc_u32_e32 v28, s9, v26
	v_add_nc_u32_e32 v30, s9, v28
	s_clause 0x3
	global_load_b64 v[68:69], v18, s[6:7] scale_offset
	global_load_b64 v[70:71], v20, s[6:7] scale_offset
	;; [unrolled: 1-line block ×4, first 2 shown]
	v_add_nc_u32_e32 v32, s9, v30
	s_delay_alu instid0(VALU_DEP_1) | instskip(NEXT) | instid1(VALU_DEP_1)
	v_add_nc_u32_e32 v34, s9, v32
	v_add_nc_u32_e32 v36, s9, v34
	s_delay_alu instid0(VALU_DEP_1)
	v_add_nc_u32_e32 v38, s9, v36
	s_clause 0x3
	global_load_b64 v[76:77], v26, s[6:7] scale_offset
	global_load_b64 v[78:79], v28, s[6:7] scale_offset
	;; [unrolled: 1-line block ×4, first 2 shown]
	v_add_nc_u32_e32 v40, s9, v38
	s_delay_alu instid0(VALU_DEP_1)
	v_add_nc_u32_e32 v42, s9, v40
	s_clause 0x3
	global_load_b64 v[84:85], v34, s[6:7] scale_offset
	global_load_b64 v[86:87], v36, s[6:7] scale_offset
	;; [unrolled: 1-line block ×4, first 2 shown]
	v_add_nc_u32_e32 v44, s9, v42
	s_delay_alu instid0(VALU_DEP_1) | instskip(NEXT) | instid1(VALU_DEP_1)
	v_add_nc_u32_e32 v48, s9, v44
	v_add_nc_u32_e32 v50, s9, v48
	s_wait_loadcnt 0x12
	scratch_store_b128 off, v[52:55], off offset:32
	s_wait_xcnt 0x0
	v_add_nc_u32_e32 v52, s9, v50
	s_delay_alu instid0(VALU_DEP_1)
	v_add_nc_u32_e32 v54, s9, v52
	s_wait_loadcnt 0x10
	scratch_store_b128 off, v[56:59], off
	s_wait_xcnt 0x0
	v_add_nc_u32_e32 v56, s9, v54
	s_wait_loadcnt 0xe
	scratch_store_b128 off, v[60:63], off offset:16
	s_wait_loadcnt 0xc
	scratch_store_b128 off, v[64:67], off offset:48
	;; [unrolled: 2-line block ×3, first 2 shown]
	v_add_nc_u32_e32 v58, s9, v56
	s_clause 0x3
	global_load_b64 v[68:69], v42, s[6:7] scale_offset
	global_load_b64 v[70:71], v44, s[6:7] scale_offset
	;; [unrolled: 1-line block ×4, first 2 shown]
	s_wait_loadcnt 0xc
	scratch_store_b128 off, v[72:75], off offset:80
	s_wait_loadcnt 0xa
	scratch_store_b128 off, v[76:79], off offset:96
	;; [unrolled: 2-line block ×3, first 2 shown]
	v_add_nc_u32_e32 v60, s9, v58
	s_delay_alu instid0(VALU_DEP_1) | instskip(NEXT) | instid1(VALU_DEP_1)
	v_add_nc_u32_e32 v62, s9, v60
	v_add_nc_u32_e32 v64, s9, v62
	s_clause 0x3
	global_load_b64 v[72:73], v52, s[6:7] scale_offset
	global_load_b64 v[74:75], v54, s[6:7] scale_offset
	;; [unrolled: 1-line block ×4, first 2 shown]
	s_wait_loadcnt 0xa
	scratch_store_b128 off, v[84:87], off offset:128
	s_wait_loadcnt 0x8
	scratch_store_b128 off, v[88:91], off offset:144
	v_add_nc_u32_e32 v66, s9, v64
	s_clause 0x3
	global_load_b64 v[80:81], v60, s[6:7] scale_offset
	global_load_b64 v[82:83], v62, s[6:7] scale_offset
	;; [unrolled: 1-line block ×4, first 2 shown]
	s_wait_loadcnt 0xa
	scratch_store_b128 off, v[68:71], off offset:160
	s_wait_loadcnt 0x8
	scratch_store_b128 off, v[92:95], off offset:176
	;; [unrolled: 2-line block ×6, first 2 shown]
	s_cbranch_vccz .LBB31_7
; %bb.2:
	scratch_load_b64 v[68:69], v0, off scale_offset
                                        ; implicit-def: $vgpr73
                                        ; implicit-def: $vgpr70
	s_wait_loadcnt 0x0
	v_cmp_ngt_f32_e64 s0, |v68|, |v69|
	s_wait_xcnt 0x0
	s_and_saveexec_b32 s1, s0
	s_delay_alu instid0(SALU_CYCLE_1)
	s_xor_b32 s0, exec_lo, s1
	s_cbranch_execz .LBB31_4
; %bb.3:
	v_div_scale_f32 v1, null, v69, v69, v68
	v_div_scale_f32 v11, vcc_lo, v68, v69, v68
	s_delay_alu instid0(VALU_DEP_2) | instskip(SKIP_1) | instid1(TRANS32_DEP_1)
	v_rcp_f32_e32 v5, v1
	v_nop
	v_fma_f32 v7, -v1, v5, 1.0
	s_delay_alu instid0(VALU_DEP_1) | instskip(NEXT) | instid1(VALU_DEP_1)
	v_fmac_f32_e32 v5, v7, v5
	v_mul_f32_e32 v7, v11, v5
	s_delay_alu instid0(VALU_DEP_1) | instskip(NEXT) | instid1(VALU_DEP_1)
	v_fma_f32 v13, -v1, v7, v11
	v_fmac_f32_e32 v7, v13, v5
	s_delay_alu instid0(VALU_DEP_1) | instskip(NEXT) | instid1(VALU_DEP_1)
	v_fma_f32 v1, -v1, v7, v11
	v_div_fmas_f32 v1, v1, v5, v7
	s_delay_alu instid0(VALU_DEP_1) | instskip(NEXT) | instid1(VALU_DEP_1)
	v_div_fixup_f32 v1, v1, v69, v68
	v_fmac_f32_e32 v69, v68, v1
	s_delay_alu instid0(VALU_DEP_1) | instskip(NEXT) | instid1(VALU_DEP_1)
	v_div_scale_f32 v5, null, v69, v69, -1.0
	v_rcp_f32_e32 v7, v5
	v_nop
	s_delay_alu instid0(TRANS32_DEP_1) | instskip(NEXT) | instid1(VALU_DEP_1)
	v_fma_f32 v11, -v5, v7, 1.0
	v_fmac_f32_e32 v7, v11, v7
	v_div_scale_f32 v11, vcc_lo, -1.0, v69, -1.0
	s_delay_alu instid0(VALU_DEP_1) | instskip(NEXT) | instid1(VALU_DEP_1)
	v_mul_f32_e32 v13, v11, v7
	v_fma_f32 v15, -v5, v13, v11
	s_delay_alu instid0(VALU_DEP_1) | instskip(NEXT) | instid1(VALU_DEP_1)
	v_fmac_f32_e32 v13, v15, v7
	v_fma_f32 v5, -v5, v13, v11
	s_delay_alu instid0(VALU_DEP_1) | instskip(NEXT) | instid1(VALU_DEP_1)
	v_div_fmas_f32 v5, v5, v7, v13
	v_div_fixup_f32 v73, v5, v69, -1.0
                                        ; implicit-def: $vgpr68_vgpr69
	s_delay_alu instid0(VALU_DEP_1) | instskip(NEXT) | instid1(VALU_DEP_1)
	v_mul_f32_e32 v70, v1, v73
	v_xor_b32_e32 v72, 0x80000000, v70
.LBB31_4:
	s_or_saveexec_b32 s0, s0
	v_lshl_add_u32 v1, v0, 3, 0
	s_xor_b32 exec_lo, exec_lo, s0
	s_cbranch_execz .LBB31_6
; %bb.5:
	v_div_scale_f32 v5, null, v68, v68, v69
	v_div_scale_f32 v13, vcc_lo, v69, v68, v69
	s_delay_alu instid0(VALU_DEP_2) | instskip(SKIP_1) | instid1(TRANS32_DEP_1)
	v_rcp_f32_e32 v7, v5
	v_nop
	v_fma_f32 v11, -v5, v7, 1.0
	s_delay_alu instid0(VALU_DEP_1) | instskip(NEXT) | instid1(VALU_DEP_1)
	v_fmac_f32_e32 v7, v11, v7
	v_mul_f32_e32 v11, v13, v7
	s_delay_alu instid0(VALU_DEP_1) | instskip(NEXT) | instid1(VALU_DEP_1)
	v_fma_f32 v15, -v5, v11, v13
	v_fmac_f32_e32 v11, v15, v7
	s_delay_alu instid0(VALU_DEP_1) | instskip(NEXT) | instid1(VALU_DEP_1)
	v_fma_f32 v5, -v5, v11, v13
	v_div_fmas_f32 v5, v5, v7, v11
	s_delay_alu instid0(VALU_DEP_1) | instskip(NEXT) | instid1(VALU_DEP_1)
	v_div_fixup_f32 v5, v5, v68, v69
	v_fmac_f32_e32 v68, v69, v5
	s_delay_alu instid0(VALU_DEP_1) | instskip(SKIP_1) | instid1(VALU_DEP_2)
	v_div_scale_f32 v7, null, v68, v68, 1.0
	v_div_scale_f32 v15, vcc_lo, 1.0, v68, 1.0
	v_rcp_f32_e32 v11, v7
	v_nop
	s_delay_alu instid0(TRANS32_DEP_1) | instskip(NEXT) | instid1(VALU_DEP_1)
	v_fma_f32 v13, -v7, v11, 1.0
	v_fmac_f32_e32 v11, v13, v11
	s_delay_alu instid0(VALU_DEP_1) | instskip(NEXT) | instid1(VALU_DEP_1)
	v_mul_f32_e32 v13, v15, v11
	v_fma_f32 v17, -v7, v13, v15
	s_delay_alu instid0(VALU_DEP_1) | instskip(NEXT) | instid1(VALU_DEP_1)
	v_fmac_f32_e32 v13, v17, v11
	v_fma_f32 v7, -v7, v13, v15
	s_delay_alu instid0(VALU_DEP_1) | instskip(NEXT) | instid1(VALU_DEP_1)
	v_div_fmas_f32 v7, v7, v11, v13
	v_div_fixup_f32 v72, v7, v68, 1.0
	s_delay_alu instid0(VALU_DEP_1)
	v_xor_b32_e32 v70, 0x80000000, v72
	v_mul_f32_e64 v73, v5, -v72
.LBB31_6:
	s_or_b32 exec_lo, exec_lo, s0
	s_delay_alu instid0(VALU_DEP_1)
	v_xor_b32_e32 v71, 0x80000000, v73
	s_mov_b32 s0, 0
	scratch_store_b64 v1, v[72:73], off
	ds_store_b64 v46, v[70:71]
.LBB31_7:
	s_and_b32 vcc_lo, exec_lo, s0
	s_cbranch_vccz .LBB31_9
; %bb.8:
	s_mov_b64 s[0:1], 0xbf800000
	s_wait_xcnt 0x5
	v_mov_b64_e32 v[68:69], s[0:1]
	ds_store_b64 v46, v[68:69]
.LBB31_9:
	v_dual_ashrrev_i32 v5, 31, v4 :: v_dual_ashrrev_i32 v7, 31, v6
	v_dual_ashrrev_i32 v11, 31, v10 :: v_dual_ashrrev_i32 v13, 31, v12
	;; [unrolled: 1-line block ×15, first 2 shown]
	s_wait_xcnt 0x0
	v_add_nc_u32_e32 v1, 0x100, v46
	v_mov_b32_e32 v47, v46
	s_cmp_eq_u32 s4, 0x79
	s_cbranch_scc1 .LBB31_13
; %bb.10:
	scratch_load_b64 v[68:69], off, off offset:240
	v_cmp_eq_u32_e64 s0, 31, v0
	s_movk_i32 s1, 0x50
	s_movk_i32 s10, 0x60
	;; [unrolled: 1-line block ×10, first 2 shown]
	s_wait_loadcnt 0x0
	ds_store_b64 v1, v[68:69]
	s_wait_storecnt_dscnt 0x0
	s_barrier_signal -1
	s_barrier_wait -1
	s_wait_xcnt 0x0
	s_and_saveexec_b32 s2, s0
	s_cbranch_execz .LBB31_17
; %bb.11:
	s_and_b32 vcc_lo, exec_lo, s3
	s_cbranch_vccz .LBB31_14
; %bb.12:
	scratch_load_b64 v[68:69], v47, off
	ds_load_b64 v[70:71], v1
	s_wait_loadcnt_dscnt 0x0
	v_pk_mul_f32 v[72:73], v[70:71], v[68:69] op_sel:[1,1] op_sel_hi:[0,1]
	v_pk_mul_f32 v[74:75], v[70:71], v[68:69] op_sel_hi:[1,0]
	s_delay_alu instid0(VALU_DEP_2) | instskip(NEXT) | instid1(VALU_DEP_2)
	v_pk_fma_f32 v[68:69], v[70:71], v[68:69], v[72:73] op_sel_hi:[1,0,1]
	v_sub_f32_e32 v68, v74, v72
	s_cbranch_execz .LBB31_15
	s_branch .LBB31_16
.LBB31_13:
	s_mov_b32 s1, 0
                                        ; implicit-def: $vgpr84
                                        ; implicit-def: $sgpr4
	s_cbranch_execnz .LBB31_316
	s_branch .LBB31_621
.LBB31_14:
                                        ; implicit-def: $vgpr69
.LBB31_15:
	ds_load_b64 v[68:69], v1
.LBB31_16:
	s_wait_dscnt 0x0
	v_dual_mov_b32 v70, 0 :: v_dual_mov_b32 v72, v69
	v_mov_b32_e32 v73, v68
	ds_load_b64 v[70:71], v70 offset:240
	s_wait_dscnt 0x0
	v_pk_mul_f32 v[72:73], v[72:73], v[70:71] op_sel:[0,1]
	s_delay_alu instid0(VALU_DEP_1) | instskip(SKIP_1) | instid1(VALU_DEP_2)
	v_pk_fma_f32 v[74:75], v[68:69], v[70:71], v[72:73] op_sel_hi:[1,0,1]
	v_pk_fma_f32 v[68:69], v[68:69], v[70:71], v[72:73] neg_lo:[0,0,1] neg_hi:[0,0,1]
	v_mov_b32_e32 v69, v75
	scratch_store_b64 off, v[68:69], off offset:240
.LBB31_17:
	s_wait_xcnt 0x0
	s_or_b32 exec_lo, exec_lo, s2
	scratch_load_b64 v[68:69], off, off offset:232
	s_mov_b32 s9, s1
	v_cmp_lt_u32_e64 s1, 29, v0
	s_mov_b32 s4, 16
	s_mov_b32 s5, 32
	;; [unrolled: 1-line block ×4, first 2 shown]
	s_wait_loadcnt 0x0
	ds_store_b64 v1, v[68:69]
	s_wait_storecnt_dscnt 0x0
	s_barrier_signal -1
	s_barrier_wait -1
	s_wait_xcnt 0x0
	s_and_saveexec_b32 s19, s1
	s_cbranch_execz .LBB31_25
; %bb.18:
	s_and_not1_b32 vcc_lo, exec_lo, s3
	s_cbranch_vccnz .LBB31_20
; %bb.19:
	scratch_load_b64 v[68:69], v47, off
	ds_load_b64 v[70:71], v1
	s_wait_loadcnt_dscnt 0x0
	v_pk_mul_f32 v[72:73], v[70:71], v[68:69] op_sel:[1,1] op_sel_hi:[0,1]
	s_delay_alu instid0(VALU_DEP_1) | instskip(SKIP_1) | instid1(VALU_DEP_2)
	v_pk_fma_f32 v[74:75], v[70:71], v[68:69], v[72:73] op_sel_hi:[1,0,1]
	v_pk_fma_f32 v[68:69], v[70:71], v[68:69], v[72:73] neg_lo:[0,0,1] neg_hi:[0,0,1]
	v_mov_b32_e32 v69, v75
	s_cbranch_execz .LBB31_21
	s_branch .LBB31_22
.LBB31_20:
                                        ; implicit-def: $vgpr68_vgpr69
.LBB31_21:
	ds_load_b64 v[68:69], v1
.LBB31_22:
	s_and_saveexec_b32 s20, s0
	s_cbranch_execz .LBB31_24
; %bb.23:
	scratch_load_b64 v[70:71], off, off offset:240
	v_mov_b32_e32 v72, 0
	ds_load_b64 v[72:73], v72 offset:496
	s_wait_loadcnt_dscnt 0x0
	v_pk_mul_f32 v[74:75], v[72:73], v[70:71] op_sel:[1,1] op_sel_hi:[0,1]
	s_delay_alu instid0(VALU_DEP_1) | instskip(SKIP_1) | instid1(VALU_DEP_2)
	v_pk_fma_f32 v[76:77], v[72:73], v[70:71], v[74:75] op_sel_hi:[1,0,1]
	v_pk_fma_f32 v[70:71], v[72:73], v[70:71], v[74:75] neg_lo:[0,0,1] neg_hi:[0,0,1]
	v_mov_b32_e32 v71, v77
	s_delay_alu instid0(VALU_DEP_1)
	v_pk_add_f32 v[68:69], v[68:69], v[70:71]
.LBB31_24:
	s_or_b32 exec_lo, exec_lo, s20
	v_mov_b32_e32 v70, 0
	ds_load_b64 v[70:71], v70 offset:232
	s_wait_dscnt 0x0
	v_pk_mul_f32 v[72:73], v[68:69], v[70:71] op_sel:[1,1] op_sel_hi:[0,1]
	s_delay_alu instid0(VALU_DEP_1) | instskip(SKIP_1) | instid1(VALU_DEP_2)
	v_pk_fma_f32 v[74:75], v[68:69], v[70:71], v[72:73] op_sel_hi:[1,0,1]
	v_pk_fma_f32 v[68:69], v[68:69], v[70:71], v[72:73] neg_lo:[0,0,1] neg_hi:[0,0,1]
	v_mov_b32_e32 v69, v75
	scratch_store_b64 off, v[68:69], off offset:232
.LBB31_25:
	s_wait_xcnt 0x0
	s_or_b32 exec_lo, exec_lo, s19
	scratch_load_b64 v[68:69], off, off offset:224
	v_cmp_lt_u32_e64 s0, 28, v0
	s_wait_loadcnt 0x0
	ds_store_b64 v1, v[68:69]
	s_wait_storecnt_dscnt 0x0
	s_barrier_signal -1
	s_barrier_wait -1
	s_wait_xcnt 0x0
	s_and_saveexec_b32 s19, s0
	s_cbranch_execz .LBB31_35
; %bb.26:
	s_and_not1_b32 vcc_lo, exec_lo, s3
	s_cbranch_vccnz .LBB31_28
; %bb.27:
	scratch_load_b64 v[68:69], v47, off
	ds_load_b64 v[70:71], v1
	s_wait_loadcnt_dscnt 0x0
	v_pk_mul_f32 v[72:73], v[70:71], v[68:69] op_sel:[1,1] op_sel_hi:[0,1]
	s_delay_alu instid0(VALU_DEP_1) | instskip(SKIP_1) | instid1(VALU_DEP_2)
	v_pk_fma_f32 v[74:75], v[70:71], v[68:69], v[72:73] op_sel_hi:[1,0,1]
	v_pk_fma_f32 v[68:69], v[70:71], v[68:69], v[72:73] neg_lo:[0,0,1] neg_hi:[0,0,1]
	v_mov_b32_e32 v69, v75
	s_cbranch_execz .LBB31_29
	s_branch .LBB31_30
.LBB31_28:
                                        ; implicit-def: $vgpr68_vgpr69
.LBB31_29:
	ds_load_b64 v[68:69], v1
.LBB31_30:
	s_and_saveexec_b32 s20, s1
	s_cbranch_execz .LBB31_34
; %bb.31:
	v_subrev_nc_u32_e32 v70, 29, v0
	s_movk_i32 s1, 0xe8
	s_movk_i32 s22, 0x1e8
	s_mov_b32 s21, 0
.LBB31_32:                              ; =>This Inner Loop Header: Depth=1
	scratch_load_b64 v[72:73], off, s1
	v_dual_mov_b32 v71, s22 :: v_dual_add_nc_u32 v70, -1, v70
	s_add_co_i32 s22, s22, 8
	s_wait_xcnt 0x0
	s_add_co_i32 s1, s1, 8
	ds_load_b64 v[74:75], v71
	v_cmp_eq_u32_e32 vcc_lo, 0, v70
	s_or_b32 s21, vcc_lo, s21
	s_wait_loadcnt_dscnt 0x0
	v_pk_mul_f32 v[76:77], v[74:75], v[72:73] op_sel:[1,1] op_sel_hi:[0,1]
	s_delay_alu instid0(VALU_DEP_1) | instskip(SKIP_1) | instid1(VALU_DEP_2)
	v_pk_fma_f32 v[78:79], v[74:75], v[72:73], v[76:77] op_sel_hi:[1,0,1]
	v_pk_fma_f32 v[72:73], v[74:75], v[72:73], v[76:77] neg_lo:[0,0,1] neg_hi:[0,0,1]
	v_mov_b32_e32 v73, v79
	s_delay_alu instid0(VALU_DEP_1)
	v_pk_add_f32 v[68:69], v[68:69], v[72:73]
	s_and_not1_b32 exec_lo, exec_lo, s21
	s_cbranch_execnz .LBB31_32
; %bb.33:
	s_or_b32 exec_lo, exec_lo, s21
.LBB31_34:
	s_delay_alu instid0(SALU_CYCLE_1) | instskip(SKIP_4) | instid1(VALU_DEP_1)
	s_or_b32 exec_lo, exec_lo, s20
	v_mov_b32_e32 v70, 0
	ds_load_b64 v[70:71], v70 offset:224
	s_wait_dscnt 0x0
	v_pk_mul_f32 v[72:73], v[68:69], v[70:71] op_sel:[1,1] op_sel_hi:[0,1]
	v_pk_fma_f32 v[74:75], v[68:69], v[70:71], v[72:73] op_sel_hi:[1,0,1]
	v_pk_fma_f32 v[68:69], v[68:69], v[70:71], v[72:73] neg_lo:[0,0,1] neg_hi:[0,0,1]
	s_delay_alu instid0(VALU_DEP_2)
	v_mov_b32_e32 v69, v75
	scratch_store_b64 off, v[68:69], off offset:224
.LBB31_35:
	s_wait_xcnt 0x0
	s_or_b32 exec_lo, exec_lo, s19
	scratch_load_b64 v[68:69], off, off offset:216
	v_cmp_lt_u32_e64 s1, 27, v0
	s_wait_loadcnt 0x0
	ds_store_b64 v1, v[68:69]
	s_wait_storecnt_dscnt 0x0
	s_barrier_signal -1
	s_barrier_wait -1
	s_wait_xcnt 0x0
	s_and_saveexec_b32 s19, s1
	s_cbranch_execz .LBB31_45
; %bb.36:
	s_and_not1_b32 vcc_lo, exec_lo, s3
	s_cbranch_vccnz .LBB31_38
; %bb.37:
	scratch_load_b64 v[68:69], v47, off
	ds_load_b64 v[70:71], v1
	s_wait_loadcnt_dscnt 0x0
	v_pk_mul_f32 v[72:73], v[70:71], v[68:69] op_sel:[1,1] op_sel_hi:[0,1]
	s_delay_alu instid0(VALU_DEP_1) | instskip(SKIP_1) | instid1(VALU_DEP_2)
	v_pk_fma_f32 v[74:75], v[70:71], v[68:69], v[72:73] op_sel_hi:[1,0,1]
	v_pk_fma_f32 v[68:69], v[70:71], v[68:69], v[72:73] neg_lo:[0,0,1] neg_hi:[0,0,1]
	v_mov_b32_e32 v69, v75
	s_cbranch_execz .LBB31_39
	s_branch .LBB31_40
.LBB31_38:
                                        ; implicit-def: $vgpr68_vgpr69
.LBB31_39:
	ds_load_b64 v[68:69], v1
.LBB31_40:
	s_and_saveexec_b32 s20, s0
	s_cbranch_execz .LBB31_44
; %bb.41:
	v_subrev_nc_u32_e32 v70, 28, v0
	s_movk_i32 s21, 0x1e0
	s_mov_b32 s0, 0
.LBB31_42:                              ; =>This Inner Loop Header: Depth=1
	scratch_load_b64 v[72:73], off, s18
	v_dual_mov_b32 v71, s21 :: v_dual_add_nc_u32 v70, -1, v70
	s_add_co_i32 s21, s21, 8
	s_wait_xcnt 0x0
	s_add_co_i32 s18, s18, 8
	ds_load_b64 v[74:75], v71
	v_cmp_eq_u32_e32 vcc_lo, 0, v70
	s_or_b32 s0, vcc_lo, s0
	s_wait_loadcnt_dscnt 0x0
	v_pk_mul_f32 v[76:77], v[74:75], v[72:73] op_sel:[1,1] op_sel_hi:[0,1]
	s_delay_alu instid0(VALU_DEP_1) | instskip(SKIP_1) | instid1(VALU_DEP_2)
	v_pk_fma_f32 v[78:79], v[74:75], v[72:73], v[76:77] op_sel_hi:[1,0,1]
	v_pk_fma_f32 v[72:73], v[74:75], v[72:73], v[76:77] neg_lo:[0,0,1] neg_hi:[0,0,1]
	v_mov_b32_e32 v73, v79
	s_delay_alu instid0(VALU_DEP_1)
	v_pk_add_f32 v[68:69], v[68:69], v[72:73]
	s_and_not1_b32 exec_lo, exec_lo, s0
	s_cbranch_execnz .LBB31_42
; %bb.43:
	s_or_b32 exec_lo, exec_lo, s0
.LBB31_44:
	s_delay_alu instid0(SALU_CYCLE_1) | instskip(SKIP_4) | instid1(VALU_DEP_1)
	s_or_b32 exec_lo, exec_lo, s20
	v_mov_b32_e32 v70, 0
	ds_load_b64 v[70:71], v70 offset:216
	s_wait_dscnt 0x0
	v_pk_mul_f32 v[72:73], v[68:69], v[70:71] op_sel:[1,1] op_sel_hi:[0,1]
	v_pk_fma_f32 v[74:75], v[68:69], v[70:71], v[72:73] op_sel_hi:[1,0,1]
	v_pk_fma_f32 v[68:69], v[68:69], v[70:71], v[72:73] neg_lo:[0,0,1] neg_hi:[0,0,1]
	s_delay_alu instid0(VALU_DEP_2)
	v_mov_b32_e32 v69, v75
	scratch_store_b64 off, v[68:69], off offset:216
.LBB31_45:
	s_wait_xcnt 0x0
	s_or_b32 exec_lo, exec_lo, s19
	scratch_load_b64 v[68:69], off, off offset:208
	v_cmp_lt_u32_e64 s0, 26, v0
	s_wait_loadcnt 0x0
	ds_store_b64 v1, v[68:69]
	s_wait_storecnt_dscnt 0x0
	s_barrier_signal -1
	s_barrier_wait -1
	s_wait_xcnt 0x0
	s_and_saveexec_b32 s18, s0
	s_cbranch_execz .LBB31_55
; %bb.46:
	s_and_not1_b32 vcc_lo, exec_lo, s3
	s_cbranch_vccnz .LBB31_48
; %bb.47:
	scratch_load_b64 v[68:69], v47, off
	ds_load_b64 v[70:71], v1
	s_wait_loadcnt_dscnt 0x0
	v_pk_mul_f32 v[72:73], v[70:71], v[68:69] op_sel:[1,1] op_sel_hi:[0,1]
	s_delay_alu instid0(VALU_DEP_1) | instskip(SKIP_1) | instid1(VALU_DEP_2)
	v_pk_fma_f32 v[74:75], v[70:71], v[68:69], v[72:73] op_sel_hi:[1,0,1]
	v_pk_fma_f32 v[68:69], v[70:71], v[68:69], v[72:73] neg_lo:[0,0,1] neg_hi:[0,0,1]
	v_mov_b32_e32 v69, v75
	s_cbranch_execz .LBB31_49
	s_branch .LBB31_50
.LBB31_48:
                                        ; implicit-def: $vgpr68_vgpr69
.LBB31_49:
	ds_load_b64 v[68:69], v1
.LBB31_50:
	s_and_saveexec_b32 s19, s1
	s_cbranch_execz .LBB31_54
; %bb.51:
	v_subrev_nc_u32_e32 v70, 27, v0
	s_movk_i32 s1, 0xd8
	s_movk_i32 s21, 0x1d8
	s_mov_b32 s20, 0
.LBB31_52:                              ; =>This Inner Loop Header: Depth=1
	scratch_load_b64 v[72:73], off, s1
	v_dual_mov_b32 v71, s21 :: v_dual_add_nc_u32 v70, -1, v70
	s_add_co_i32 s21, s21, 8
	s_wait_xcnt 0x0
	s_add_co_i32 s1, s1, 8
	ds_load_b64 v[74:75], v71
	v_cmp_eq_u32_e32 vcc_lo, 0, v70
	s_or_b32 s20, vcc_lo, s20
	s_wait_loadcnt_dscnt 0x0
	v_pk_mul_f32 v[76:77], v[74:75], v[72:73] op_sel:[1,1] op_sel_hi:[0,1]
	s_delay_alu instid0(VALU_DEP_1) | instskip(SKIP_1) | instid1(VALU_DEP_2)
	v_pk_fma_f32 v[78:79], v[74:75], v[72:73], v[76:77] op_sel_hi:[1,0,1]
	v_pk_fma_f32 v[72:73], v[74:75], v[72:73], v[76:77] neg_lo:[0,0,1] neg_hi:[0,0,1]
	v_mov_b32_e32 v73, v79
	s_delay_alu instid0(VALU_DEP_1)
	v_pk_add_f32 v[68:69], v[68:69], v[72:73]
	s_and_not1_b32 exec_lo, exec_lo, s20
	s_cbranch_execnz .LBB31_52
; %bb.53:
	s_or_b32 exec_lo, exec_lo, s20
.LBB31_54:
	s_delay_alu instid0(SALU_CYCLE_1) | instskip(SKIP_4) | instid1(VALU_DEP_1)
	s_or_b32 exec_lo, exec_lo, s19
	v_mov_b32_e32 v70, 0
	ds_load_b64 v[70:71], v70 offset:208
	s_wait_dscnt 0x0
	v_pk_mul_f32 v[72:73], v[68:69], v[70:71] op_sel:[1,1] op_sel_hi:[0,1]
	v_pk_fma_f32 v[74:75], v[68:69], v[70:71], v[72:73] op_sel_hi:[1,0,1]
	v_pk_fma_f32 v[68:69], v[68:69], v[70:71], v[72:73] neg_lo:[0,0,1] neg_hi:[0,0,1]
	s_delay_alu instid0(VALU_DEP_2)
	v_mov_b32_e32 v69, v75
	scratch_store_b64 off, v[68:69], off offset:208
.LBB31_55:
	s_wait_xcnt 0x0
	s_or_b32 exec_lo, exec_lo, s18
	scratch_load_b64 v[68:69], off, off offset:200
	v_cmp_lt_u32_e64 s1, 25, v0
	s_wait_loadcnt 0x0
	ds_store_b64 v1, v[68:69]
	s_wait_storecnt_dscnt 0x0
	s_barrier_signal -1
	s_barrier_wait -1
	s_wait_xcnt 0x0
	s_and_saveexec_b32 s18, s1
	s_cbranch_execz .LBB31_65
; %bb.56:
	s_and_not1_b32 vcc_lo, exec_lo, s3
	s_cbranch_vccnz .LBB31_58
; %bb.57:
	scratch_load_b64 v[68:69], v47, off
	ds_load_b64 v[70:71], v1
	s_wait_loadcnt_dscnt 0x0
	v_pk_mul_f32 v[72:73], v[70:71], v[68:69] op_sel:[1,1] op_sel_hi:[0,1]
	s_delay_alu instid0(VALU_DEP_1) | instskip(SKIP_1) | instid1(VALU_DEP_2)
	v_pk_fma_f32 v[74:75], v[70:71], v[68:69], v[72:73] op_sel_hi:[1,0,1]
	v_pk_fma_f32 v[68:69], v[70:71], v[68:69], v[72:73] neg_lo:[0,0,1] neg_hi:[0,0,1]
	v_mov_b32_e32 v69, v75
	s_cbranch_execz .LBB31_59
	s_branch .LBB31_60
.LBB31_58:
                                        ; implicit-def: $vgpr68_vgpr69
.LBB31_59:
	ds_load_b64 v[68:69], v1
.LBB31_60:
	s_and_saveexec_b32 s19, s0
	s_cbranch_execz .LBB31_64
; %bb.61:
	v_subrev_nc_u32_e32 v70, 26, v0
	s_movk_i32 s20, 0x1d0
	s_mov_b32 s0, 0
.LBB31_62:                              ; =>This Inner Loop Header: Depth=1
	scratch_load_b64 v[72:73], off, s17
	v_dual_mov_b32 v71, s20 :: v_dual_add_nc_u32 v70, -1, v70
	s_add_co_i32 s20, s20, 8
	s_wait_xcnt 0x0
	s_add_co_i32 s17, s17, 8
	ds_load_b64 v[74:75], v71
	v_cmp_eq_u32_e32 vcc_lo, 0, v70
	s_or_b32 s0, vcc_lo, s0
	s_wait_loadcnt_dscnt 0x0
	v_pk_mul_f32 v[76:77], v[74:75], v[72:73] op_sel:[1,1] op_sel_hi:[0,1]
	s_delay_alu instid0(VALU_DEP_1) | instskip(SKIP_1) | instid1(VALU_DEP_2)
	v_pk_fma_f32 v[78:79], v[74:75], v[72:73], v[76:77] op_sel_hi:[1,0,1]
	v_pk_fma_f32 v[72:73], v[74:75], v[72:73], v[76:77] neg_lo:[0,0,1] neg_hi:[0,0,1]
	v_mov_b32_e32 v73, v79
	s_delay_alu instid0(VALU_DEP_1)
	v_pk_add_f32 v[68:69], v[68:69], v[72:73]
	s_and_not1_b32 exec_lo, exec_lo, s0
	s_cbranch_execnz .LBB31_62
; %bb.63:
	s_or_b32 exec_lo, exec_lo, s0
.LBB31_64:
	s_delay_alu instid0(SALU_CYCLE_1) | instskip(SKIP_4) | instid1(VALU_DEP_1)
	s_or_b32 exec_lo, exec_lo, s19
	v_mov_b32_e32 v70, 0
	ds_load_b64 v[70:71], v70 offset:200
	s_wait_dscnt 0x0
	v_pk_mul_f32 v[72:73], v[68:69], v[70:71] op_sel:[1,1] op_sel_hi:[0,1]
	v_pk_fma_f32 v[74:75], v[68:69], v[70:71], v[72:73] op_sel_hi:[1,0,1]
	v_pk_fma_f32 v[68:69], v[68:69], v[70:71], v[72:73] neg_lo:[0,0,1] neg_hi:[0,0,1]
	s_delay_alu instid0(VALU_DEP_2)
	v_mov_b32_e32 v69, v75
	scratch_store_b64 off, v[68:69], off offset:200
.LBB31_65:
	s_wait_xcnt 0x0
	s_or_b32 exec_lo, exec_lo, s18
	scratch_load_b64 v[68:69], off, off offset:192
	v_cmp_lt_u32_e64 s0, 24, v0
	s_wait_loadcnt 0x0
	ds_store_b64 v1, v[68:69]
	s_wait_storecnt_dscnt 0x0
	s_barrier_signal -1
	s_barrier_wait -1
	s_wait_xcnt 0x0
	s_and_saveexec_b32 s17, s0
	s_cbranch_execz .LBB31_75
; %bb.66:
	s_and_not1_b32 vcc_lo, exec_lo, s3
	s_cbranch_vccnz .LBB31_68
; %bb.67:
	scratch_load_b64 v[68:69], v47, off
	ds_load_b64 v[70:71], v1
	s_wait_loadcnt_dscnt 0x0
	v_pk_mul_f32 v[72:73], v[70:71], v[68:69] op_sel:[1,1] op_sel_hi:[0,1]
	s_delay_alu instid0(VALU_DEP_1) | instskip(SKIP_1) | instid1(VALU_DEP_2)
	v_pk_fma_f32 v[74:75], v[70:71], v[68:69], v[72:73] op_sel_hi:[1,0,1]
	v_pk_fma_f32 v[68:69], v[70:71], v[68:69], v[72:73] neg_lo:[0,0,1] neg_hi:[0,0,1]
	v_mov_b32_e32 v69, v75
	s_cbranch_execz .LBB31_69
	s_branch .LBB31_70
.LBB31_68:
                                        ; implicit-def: $vgpr68_vgpr69
.LBB31_69:
	ds_load_b64 v[68:69], v1
.LBB31_70:
	s_and_saveexec_b32 s18, s1
	s_cbranch_execz .LBB31_74
; %bb.71:
	v_subrev_nc_u32_e32 v70, 25, v0
	s_movk_i32 s1, 0xc8
	s_movk_i32 s20, 0x1c8
	s_mov_b32 s19, 0
.LBB31_72:                              ; =>This Inner Loop Header: Depth=1
	scratch_load_b64 v[72:73], off, s1
	v_dual_mov_b32 v71, s20 :: v_dual_add_nc_u32 v70, -1, v70
	s_add_co_i32 s20, s20, 8
	s_wait_xcnt 0x0
	s_add_co_i32 s1, s1, 8
	ds_load_b64 v[74:75], v71
	v_cmp_eq_u32_e32 vcc_lo, 0, v70
	s_or_b32 s19, vcc_lo, s19
	s_wait_loadcnt_dscnt 0x0
	v_pk_mul_f32 v[76:77], v[74:75], v[72:73] op_sel:[1,1] op_sel_hi:[0,1]
	s_delay_alu instid0(VALU_DEP_1) | instskip(SKIP_1) | instid1(VALU_DEP_2)
	v_pk_fma_f32 v[78:79], v[74:75], v[72:73], v[76:77] op_sel_hi:[1,0,1]
	v_pk_fma_f32 v[72:73], v[74:75], v[72:73], v[76:77] neg_lo:[0,0,1] neg_hi:[0,0,1]
	v_mov_b32_e32 v73, v79
	s_delay_alu instid0(VALU_DEP_1)
	v_pk_add_f32 v[68:69], v[68:69], v[72:73]
	s_and_not1_b32 exec_lo, exec_lo, s19
	s_cbranch_execnz .LBB31_72
; %bb.73:
	s_or_b32 exec_lo, exec_lo, s19
.LBB31_74:
	s_delay_alu instid0(SALU_CYCLE_1) | instskip(SKIP_4) | instid1(VALU_DEP_1)
	s_or_b32 exec_lo, exec_lo, s18
	v_mov_b32_e32 v70, 0
	ds_load_b64 v[70:71], v70 offset:192
	s_wait_dscnt 0x0
	v_pk_mul_f32 v[72:73], v[68:69], v[70:71] op_sel:[1,1] op_sel_hi:[0,1]
	v_pk_fma_f32 v[74:75], v[68:69], v[70:71], v[72:73] op_sel_hi:[1,0,1]
	v_pk_fma_f32 v[68:69], v[68:69], v[70:71], v[72:73] neg_lo:[0,0,1] neg_hi:[0,0,1]
	s_delay_alu instid0(VALU_DEP_2)
	v_mov_b32_e32 v69, v75
	scratch_store_b64 off, v[68:69], off offset:192
.LBB31_75:
	s_wait_xcnt 0x0
	s_or_b32 exec_lo, exec_lo, s17
	scratch_load_b64 v[68:69], off, off offset:184
	v_cmp_lt_u32_e64 s1, 23, v0
	s_wait_loadcnt 0x0
	ds_store_b64 v1, v[68:69]
	s_wait_storecnt_dscnt 0x0
	s_barrier_signal -1
	s_barrier_wait -1
	s_wait_xcnt 0x0
	s_and_saveexec_b32 s17, s1
	s_cbranch_execz .LBB31_85
; %bb.76:
	s_and_not1_b32 vcc_lo, exec_lo, s3
	s_cbranch_vccnz .LBB31_78
; %bb.77:
	scratch_load_b64 v[68:69], v47, off
	ds_load_b64 v[70:71], v1
	s_wait_loadcnt_dscnt 0x0
	v_pk_mul_f32 v[72:73], v[70:71], v[68:69] op_sel:[1,1] op_sel_hi:[0,1]
	s_delay_alu instid0(VALU_DEP_1) | instskip(SKIP_1) | instid1(VALU_DEP_2)
	v_pk_fma_f32 v[74:75], v[70:71], v[68:69], v[72:73] op_sel_hi:[1,0,1]
	v_pk_fma_f32 v[68:69], v[70:71], v[68:69], v[72:73] neg_lo:[0,0,1] neg_hi:[0,0,1]
	v_mov_b32_e32 v69, v75
	s_cbranch_execz .LBB31_79
	s_branch .LBB31_80
.LBB31_78:
                                        ; implicit-def: $vgpr68_vgpr69
.LBB31_79:
	ds_load_b64 v[68:69], v1
.LBB31_80:
	s_and_saveexec_b32 s18, s0
	s_cbranch_execz .LBB31_84
; %bb.81:
	v_subrev_nc_u32_e32 v70, 24, v0
	s_movk_i32 s19, 0x1c0
	s_mov_b32 s0, 0
.LBB31_82:                              ; =>This Inner Loop Header: Depth=1
	scratch_load_b64 v[72:73], off, s16
	v_dual_mov_b32 v71, s19 :: v_dual_add_nc_u32 v70, -1, v70
	s_add_co_i32 s19, s19, 8
	s_wait_xcnt 0x0
	s_add_co_i32 s16, s16, 8
	ds_load_b64 v[74:75], v71
	v_cmp_eq_u32_e32 vcc_lo, 0, v70
	s_or_b32 s0, vcc_lo, s0
	s_wait_loadcnt_dscnt 0x0
	v_pk_mul_f32 v[76:77], v[74:75], v[72:73] op_sel:[1,1] op_sel_hi:[0,1]
	s_delay_alu instid0(VALU_DEP_1) | instskip(SKIP_1) | instid1(VALU_DEP_2)
	v_pk_fma_f32 v[78:79], v[74:75], v[72:73], v[76:77] op_sel_hi:[1,0,1]
	v_pk_fma_f32 v[72:73], v[74:75], v[72:73], v[76:77] neg_lo:[0,0,1] neg_hi:[0,0,1]
	v_mov_b32_e32 v73, v79
	s_delay_alu instid0(VALU_DEP_1)
	v_pk_add_f32 v[68:69], v[68:69], v[72:73]
	s_and_not1_b32 exec_lo, exec_lo, s0
	s_cbranch_execnz .LBB31_82
; %bb.83:
	s_or_b32 exec_lo, exec_lo, s0
.LBB31_84:
	s_delay_alu instid0(SALU_CYCLE_1) | instskip(SKIP_4) | instid1(VALU_DEP_1)
	s_or_b32 exec_lo, exec_lo, s18
	v_mov_b32_e32 v70, 0
	ds_load_b64 v[70:71], v70 offset:184
	s_wait_dscnt 0x0
	v_pk_mul_f32 v[72:73], v[68:69], v[70:71] op_sel:[1,1] op_sel_hi:[0,1]
	v_pk_fma_f32 v[74:75], v[68:69], v[70:71], v[72:73] op_sel_hi:[1,0,1]
	v_pk_fma_f32 v[68:69], v[68:69], v[70:71], v[72:73] neg_lo:[0,0,1] neg_hi:[0,0,1]
	s_delay_alu instid0(VALU_DEP_2)
	v_mov_b32_e32 v69, v75
	scratch_store_b64 off, v[68:69], off offset:184
.LBB31_85:
	s_wait_xcnt 0x0
	s_or_b32 exec_lo, exec_lo, s17
	scratch_load_b64 v[68:69], off, off offset:176
	v_cmp_lt_u32_e64 s0, 22, v0
	s_wait_loadcnt 0x0
	ds_store_b64 v1, v[68:69]
	s_wait_storecnt_dscnt 0x0
	s_barrier_signal -1
	s_barrier_wait -1
	s_wait_xcnt 0x0
	s_and_saveexec_b32 s16, s0
	s_cbranch_execz .LBB31_95
; %bb.86:
	s_and_not1_b32 vcc_lo, exec_lo, s3
	s_cbranch_vccnz .LBB31_88
; %bb.87:
	scratch_load_b64 v[68:69], v47, off
	ds_load_b64 v[70:71], v1
	s_wait_loadcnt_dscnt 0x0
	v_pk_mul_f32 v[72:73], v[70:71], v[68:69] op_sel:[1,1] op_sel_hi:[0,1]
	s_delay_alu instid0(VALU_DEP_1) | instskip(SKIP_1) | instid1(VALU_DEP_2)
	v_pk_fma_f32 v[74:75], v[70:71], v[68:69], v[72:73] op_sel_hi:[1,0,1]
	v_pk_fma_f32 v[68:69], v[70:71], v[68:69], v[72:73] neg_lo:[0,0,1] neg_hi:[0,0,1]
	v_mov_b32_e32 v69, v75
	s_cbranch_execz .LBB31_89
	s_branch .LBB31_90
.LBB31_88:
                                        ; implicit-def: $vgpr68_vgpr69
.LBB31_89:
	ds_load_b64 v[68:69], v1
.LBB31_90:
	s_and_saveexec_b32 s17, s1
	s_cbranch_execz .LBB31_94
; %bb.91:
	v_subrev_nc_u32_e32 v70, 23, v0
	s_movk_i32 s1, 0xb8
	s_movk_i32 s19, 0x1b8
	s_mov_b32 s18, 0
.LBB31_92:                              ; =>This Inner Loop Header: Depth=1
	scratch_load_b64 v[72:73], off, s1
	v_dual_mov_b32 v71, s19 :: v_dual_add_nc_u32 v70, -1, v70
	s_add_co_i32 s19, s19, 8
	s_wait_xcnt 0x0
	s_add_co_i32 s1, s1, 8
	ds_load_b64 v[74:75], v71
	v_cmp_eq_u32_e32 vcc_lo, 0, v70
	s_or_b32 s18, vcc_lo, s18
	s_wait_loadcnt_dscnt 0x0
	v_pk_mul_f32 v[76:77], v[74:75], v[72:73] op_sel:[1,1] op_sel_hi:[0,1]
	s_delay_alu instid0(VALU_DEP_1) | instskip(SKIP_1) | instid1(VALU_DEP_2)
	v_pk_fma_f32 v[78:79], v[74:75], v[72:73], v[76:77] op_sel_hi:[1,0,1]
	v_pk_fma_f32 v[72:73], v[74:75], v[72:73], v[76:77] neg_lo:[0,0,1] neg_hi:[0,0,1]
	v_mov_b32_e32 v73, v79
	s_delay_alu instid0(VALU_DEP_1)
	v_pk_add_f32 v[68:69], v[68:69], v[72:73]
	s_and_not1_b32 exec_lo, exec_lo, s18
	s_cbranch_execnz .LBB31_92
; %bb.93:
	s_or_b32 exec_lo, exec_lo, s18
.LBB31_94:
	s_delay_alu instid0(SALU_CYCLE_1) | instskip(SKIP_4) | instid1(VALU_DEP_1)
	s_or_b32 exec_lo, exec_lo, s17
	v_mov_b32_e32 v70, 0
	ds_load_b64 v[70:71], v70 offset:176
	s_wait_dscnt 0x0
	v_pk_mul_f32 v[72:73], v[68:69], v[70:71] op_sel:[1,1] op_sel_hi:[0,1]
	v_pk_fma_f32 v[74:75], v[68:69], v[70:71], v[72:73] op_sel_hi:[1,0,1]
	v_pk_fma_f32 v[68:69], v[68:69], v[70:71], v[72:73] neg_lo:[0,0,1] neg_hi:[0,0,1]
	s_delay_alu instid0(VALU_DEP_2)
	v_mov_b32_e32 v69, v75
	scratch_store_b64 off, v[68:69], off offset:176
.LBB31_95:
	s_wait_xcnt 0x0
	s_or_b32 exec_lo, exec_lo, s16
	scratch_load_b64 v[68:69], off, off offset:168
	v_cmp_lt_u32_e64 s1, 21, v0
	s_wait_loadcnt 0x0
	ds_store_b64 v1, v[68:69]
	s_wait_storecnt_dscnt 0x0
	s_barrier_signal -1
	s_barrier_wait -1
	s_wait_xcnt 0x0
	s_and_saveexec_b32 s16, s1
	s_cbranch_execz .LBB31_105
; %bb.96:
	s_and_not1_b32 vcc_lo, exec_lo, s3
	s_cbranch_vccnz .LBB31_98
; %bb.97:
	scratch_load_b64 v[68:69], v47, off
	ds_load_b64 v[70:71], v1
	s_wait_loadcnt_dscnt 0x0
	v_pk_mul_f32 v[72:73], v[70:71], v[68:69] op_sel:[1,1] op_sel_hi:[0,1]
	s_delay_alu instid0(VALU_DEP_1) | instskip(SKIP_1) | instid1(VALU_DEP_2)
	v_pk_fma_f32 v[74:75], v[70:71], v[68:69], v[72:73] op_sel_hi:[1,0,1]
	v_pk_fma_f32 v[68:69], v[70:71], v[68:69], v[72:73] neg_lo:[0,0,1] neg_hi:[0,0,1]
	v_mov_b32_e32 v69, v75
	s_cbranch_execz .LBB31_99
	s_branch .LBB31_100
.LBB31_98:
                                        ; implicit-def: $vgpr68_vgpr69
.LBB31_99:
	ds_load_b64 v[68:69], v1
.LBB31_100:
	s_and_saveexec_b32 s17, s0
	s_cbranch_execz .LBB31_104
; %bb.101:
	v_subrev_nc_u32_e32 v70, 22, v0
	s_movk_i32 s18, 0x1b0
	s_mov_b32 s0, 0
.LBB31_102:                             ; =>This Inner Loop Header: Depth=1
	scratch_load_b64 v[72:73], off, s15
	v_dual_mov_b32 v71, s18 :: v_dual_add_nc_u32 v70, -1, v70
	s_add_co_i32 s18, s18, 8
	s_wait_xcnt 0x0
	s_add_co_i32 s15, s15, 8
	ds_load_b64 v[74:75], v71
	v_cmp_eq_u32_e32 vcc_lo, 0, v70
	s_or_b32 s0, vcc_lo, s0
	s_wait_loadcnt_dscnt 0x0
	v_pk_mul_f32 v[76:77], v[74:75], v[72:73] op_sel:[1,1] op_sel_hi:[0,1]
	s_delay_alu instid0(VALU_DEP_1) | instskip(SKIP_1) | instid1(VALU_DEP_2)
	v_pk_fma_f32 v[78:79], v[74:75], v[72:73], v[76:77] op_sel_hi:[1,0,1]
	v_pk_fma_f32 v[72:73], v[74:75], v[72:73], v[76:77] neg_lo:[0,0,1] neg_hi:[0,0,1]
	v_mov_b32_e32 v73, v79
	s_delay_alu instid0(VALU_DEP_1)
	v_pk_add_f32 v[68:69], v[68:69], v[72:73]
	s_and_not1_b32 exec_lo, exec_lo, s0
	s_cbranch_execnz .LBB31_102
; %bb.103:
	s_or_b32 exec_lo, exec_lo, s0
.LBB31_104:
	s_delay_alu instid0(SALU_CYCLE_1) | instskip(SKIP_4) | instid1(VALU_DEP_1)
	s_or_b32 exec_lo, exec_lo, s17
	v_mov_b32_e32 v70, 0
	ds_load_b64 v[70:71], v70 offset:168
	s_wait_dscnt 0x0
	v_pk_mul_f32 v[72:73], v[68:69], v[70:71] op_sel:[1,1] op_sel_hi:[0,1]
	v_pk_fma_f32 v[74:75], v[68:69], v[70:71], v[72:73] op_sel_hi:[1,0,1]
	v_pk_fma_f32 v[68:69], v[68:69], v[70:71], v[72:73] neg_lo:[0,0,1] neg_hi:[0,0,1]
	s_delay_alu instid0(VALU_DEP_2)
	v_mov_b32_e32 v69, v75
	scratch_store_b64 off, v[68:69], off offset:168
.LBB31_105:
	s_wait_xcnt 0x0
	s_or_b32 exec_lo, exec_lo, s16
	scratch_load_b64 v[68:69], off, off offset:160
	v_cmp_lt_u32_e64 s0, 20, v0
	s_wait_loadcnt 0x0
	ds_store_b64 v1, v[68:69]
	s_wait_storecnt_dscnt 0x0
	s_barrier_signal -1
	s_barrier_wait -1
	s_wait_xcnt 0x0
	s_and_saveexec_b32 s15, s0
	s_cbranch_execz .LBB31_115
; %bb.106:
	s_and_not1_b32 vcc_lo, exec_lo, s3
	s_cbranch_vccnz .LBB31_108
; %bb.107:
	scratch_load_b64 v[68:69], v47, off
	ds_load_b64 v[70:71], v1
	s_wait_loadcnt_dscnt 0x0
	v_pk_mul_f32 v[72:73], v[70:71], v[68:69] op_sel:[1,1] op_sel_hi:[0,1]
	s_delay_alu instid0(VALU_DEP_1) | instskip(SKIP_1) | instid1(VALU_DEP_2)
	v_pk_fma_f32 v[74:75], v[70:71], v[68:69], v[72:73] op_sel_hi:[1,0,1]
	v_pk_fma_f32 v[68:69], v[70:71], v[68:69], v[72:73] neg_lo:[0,0,1] neg_hi:[0,0,1]
	v_mov_b32_e32 v69, v75
	s_cbranch_execz .LBB31_109
	s_branch .LBB31_110
.LBB31_108:
                                        ; implicit-def: $vgpr68_vgpr69
.LBB31_109:
	ds_load_b64 v[68:69], v1
.LBB31_110:
	s_and_saveexec_b32 s16, s1
	s_cbranch_execz .LBB31_114
; %bb.111:
	v_subrev_nc_u32_e32 v70, 21, v0
	s_movk_i32 s1, 0xa8
	s_movk_i32 s18, 0x1a8
	s_mov_b32 s17, 0
.LBB31_112:                             ; =>This Inner Loop Header: Depth=1
	scratch_load_b64 v[72:73], off, s1
	v_dual_mov_b32 v71, s18 :: v_dual_add_nc_u32 v70, -1, v70
	s_add_co_i32 s18, s18, 8
	s_wait_xcnt 0x0
	s_add_co_i32 s1, s1, 8
	ds_load_b64 v[74:75], v71
	v_cmp_eq_u32_e32 vcc_lo, 0, v70
	s_or_b32 s17, vcc_lo, s17
	s_wait_loadcnt_dscnt 0x0
	v_pk_mul_f32 v[76:77], v[74:75], v[72:73] op_sel:[1,1] op_sel_hi:[0,1]
	s_delay_alu instid0(VALU_DEP_1) | instskip(SKIP_1) | instid1(VALU_DEP_2)
	v_pk_fma_f32 v[78:79], v[74:75], v[72:73], v[76:77] op_sel_hi:[1,0,1]
	v_pk_fma_f32 v[72:73], v[74:75], v[72:73], v[76:77] neg_lo:[0,0,1] neg_hi:[0,0,1]
	v_mov_b32_e32 v73, v79
	s_delay_alu instid0(VALU_DEP_1)
	v_pk_add_f32 v[68:69], v[68:69], v[72:73]
	s_and_not1_b32 exec_lo, exec_lo, s17
	s_cbranch_execnz .LBB31_112
; %bb.113:
	s_or_b32 exec_lo, exec_lo, s17
.LBB31_114:
	s_delay_alu instid0(SALU_CYCLE_1) | instskip(SKIP_4) | instid1(VALU_DEP_1)
	s_or_b32 exec_lo, exec_lo, s16
	v_mov_b32_e32 v70, 0
	ds_load_b64 v[70:71], v70 offset:160
	s_wait_dscnt 0x0
	v_pk_mul_f32 v[72:73], v[68:69], v[70:71] op_sel:[1,1] op_sel_hi:[0,1]
	v_pk_fma_f32 v[74:75], v[68:69], v[70:71], v[72:73] op_sel_hi:[1,0,1]
	v_pk_fma_f32 v[68:69], v[68:69], v[70:71], v[72:73] neg_lo:[0,0,1] neg_hi:[0,0,1]
	s_delay_alu instid0(VALU_DEP_2)
	v_mov_b32_e32 v69, v75
	scratch_store_b64 off, v[68:69], off offset:160
.LBB31_115:
	s_wait_xcnt 0x0
	s_or_b32 exec_lo, exec_lo, s15
	scratch_load_b64 v[68:69], off, off offset:152
	v_cmp_lt_u32_e64 s1, 19, v0
	s_wait_loadcnt 0x0
	ds_store_b64 v1, v[68:69]
	s_wait_storecnt_dscnt 0x0
	s_barrier_signal -1
	s_barrier_wait -1
	s_wait_xcnt 0x0
	s_and_saveexec_b32 s15, s1
	s_cbranch_execz .LBB31_125
; %bb.116:
	s_and_not1_b32 vcc_lo, exec_lo, s3
	s_cbranch_vccnz .LBB31_118
; %bb.117:
	scratch_load_b64 v[68:69], v47, off
	ds_load_b64 v[70:71], v1
	s_wait_loadcnt_dscnt 0x0
	v_pk_mul_f32 v[72:73], v[70:71], v[68:69] op_sel:[1,1] op_sel_hi:[0,1]
	s_delay_alu instid0(VALU_DEP_1) | instskip(SKIP_1) | instid1(VALU_DEP_2)
	v_pk_fma_f32 v[74:75], v[70:71], v[68:69], v[72:73] op_sel_hi:[1,0,1]
	v_pk_fma_f32 v[68:69], v[70:71], v[68:69], v[72:73] neg_lo:[0,0,1] neg_hi:[0,0,1]
	v_mov_b32_e32 v69, v75
	s_cbranch_execz .LBB31_119
	s_branch .LBB31_120
.LBB31_118:
                                        ; implicit-def: $vgpr68_vgpr69
.LBB31_119:
	ds_load_b64 v[68:69], v1
.LBB31_120:
	s_and_saveexec_b32 s16, s0
	s_cbranch_execz .LBB31_124
; %bb.121:
	v_subrev_nc_u32_e32 v70, 20, v0
	s_movk_i32 s17, 0x1a0
	s_mov_b32 s0, 0
.LBB31_122:                             ; =>This Inner Loop Header: Depth=1
	scratch_load_b64 v[72:73], off, s14
	v_dual_mov_b32 v71, s17 :: v_dual_add_nc_u32 v70, -1, v70
	s_add_co_i32 s17, s17, 8
	s_wait_xcnt 0x0
	s_add_co_i32 s14, s14, 8
	ds_load_b64 v[74:75], v71
	v_cmp_eq_u32_e32 vcc_lo, 0, v70
	s_or_b32 s0, vcc_lo, s0
	s_wait_loadcnt_dscnt 0x0
	v_pk_mul_f32 v[76:77], v[74:75], v[72:73] op_sel:[1,1] op_sel_hi:[0,1]
	s_delay_alu instid0(VALU_DEP_1) | instskip(SKIP_1) | instid1(VALU_DEP_2)
	v_pk_fma_f32 v[78:79], v[74:75], v[72:73], v[76:77] op_sel_hi:[1,0,1]
	v_pk_fma_f32 v[72:73], v[74:75], v[72:73], v[76:77] neg_lo:[0,0,1] neg_hi:[0,0,1]
	v_mov_b32_e32 v73, v79
	s_delay_alu instid0(VALU_DEP_1)
	v_pk_add_f32 v[68:69], v[68:69], v[72:73]
	s_and_not1_b32 exec_lo, exec_lo, s0
	s_cbranch_execnz .LBB31_122
; %bb.123:
	s_or_b32 exec_lo, exec_lo, s0
.LBB31_124:
	s_delay_alu instid0(SALU_CYCLE_1) | instskip(SKIP_4) | instid1(VALU_DEP_1)
	s_or_b32 exec_lo, exec_lo, s16
	v_mov_b32_e32 v70, 0
	ds_load_b64 v[70:71], v70 offset:152
	s_wait_dscnt 0x0
	v_pk_mul_f32 v[72:73], v[68:69], v[70:71] op_sel:[1,1] op_sel_hi:[0,1]
	v_pk_fma_f32 v[74:75], v[68:69], v[70:71], v[72:73] op_sel_hi:[1,0,1]
	v_pk_fma_f32 v[68:69], v[68:69], v[70:71], v[72:73] neg_lo:[0,0,1] neg_hi:[0,0,1]
	s_delay_alu instid0(VALU_DEP_2)
	v_mov_b32_e32 v69, v75
	scratch_store_b64 off, v[68:69], off offset:152
.LBB31_125:
	s_wait_xcnt 0x0
	s_or_b32 exec_lo, exec_lo, s15
	scratch_load_b64 v[68:69], off, off offset:144
	v_cmp_lt_u32_e64 s0, 18, v0
	s_wait_loadcnt 0x0
	ds_store_b64 v1, v[68:69]
	s_wait_storecnt_dscnt 0x0
	s_barrier_signal -1
	s_barrier_wait -1
	s_wait_xcnt 0x0
	s_and_saveexec_b32 s14, s0
	s_cbranch_execz .LBB31_135
; %bb.126:
	s_and_not1_b32 vcc_lo, exec_lo, s3
	s_cbranch_vccnz .LBB31_128
; %bb.127:
	scratch_load_b64 v[68:69], v47, off
	ds_load_b64 v[70:71], v1
	s_wait_loadcnt_dscnt 0x0
	v_pk_mul_f32 v[72:73], v[70:71], v[68:69] op_sel:[1,1] op_sel_hi:[0,1]
	s_delay_alu instid0(VALU_DEP_1) | instskip(SKIP_1) | instid1(VALU_DEP_2)
	v_pk_fma_f32 v[74:75], v[70:71], v[68:69], v[72:73] op_sel_hi:[1,0,1]
	v_pk_fma_f32 v[68:69], v[70:71], v[68:69], v[72:73] neg_lo:[0,0,1] neg_hi:[0,0,1]
	v_mov_b32_e32 v69, v75
	s_cbranch_execz .LBB31_129
	s_branch .LBB31_130
.LBB31_128:
                                        ; implicit-def: $vgpr68_vgpr69
.LBB31_129:
	ds_load_b64 v[68:69], v1
.LBB31_130:
	s_and_saveexec_b32 s15, s1
	s_cbranch_execz .LBB31_134
; %bb.131:
	v_subrev_nc_u32_e32 v70, 19, v0
	s_movk_i32 s1, 0x98
	s_movk_i32 s17, 0x198
	s_mov_b32 s16, 0
.LBB31_132:                             ; =>This Inner Loop Header: Depth=1
	scratch_load_b64 v[72:73], off, s1
	v_dual_mov_b32 v71, s17 :: v_dual_add_nc_u32 v70, -1, v70
	s_add_co_i32 s17, s17, 8
	s_wait_xcnt 0x0
	s_add_co_i32 s1, s1, 8
	ds_load_b64 v[74:75], v71
	v_cmp_eq_u32_e32 vcc_lo, 0, v70
	s_or_b32 s16, vcc_lo, s16
	s_wait_loadcnt_dscnt 0x0
	v_pk_mul_f32 v[76:77], v[74:75], v[72:73] op_sel:[1,1] op_sel_hi:[0,1]
	s_delay_alu instid0(VALU_DEP_1) | instskip(SKIP_1) | instid1(VALU_DEP_2)
	v_pk_fma_f32 v[78:79], v[74:75], v[72:73], v[76:77] op_sel_hi:[1,0,1]
	v_pk_fma_f32 v[72:73], v[74:75], v[72:73], v[76:77] neg_lo:[0,0,1] neg_hi:[0,0,1]
	v_mov_b32_e32 v73, v79
	s_delay_alu instid0(VALU_DEP_1)
	v_pk_add_f32 v[68:69], v[68:69], v[72:73]
	s_and_not1_b32 exec_lo, exec_lo, s16
	s_cbranch_execnz .LBB31_132
; %bb.133:
	s_or_b32 exec_lo, exec_lo, s16
.LBB31_134:
	s_delay_alu instid0(SALU_CYCLE_1) | instskip(SKIP_4) | instid1(VALU_DEP_1)
	s_or_b32 exec_lo, exec_lo, s15
	v_mov_b32_e32 v70, 0
	ds_load_b64 v[70:71], v70 offset:144
	s_wait_dscnt 0x0
	v_pk_mul_f32 v[72:73], v[68:69], v[70:71] op_sel:[1,1] op_sel_hi:[0,1]
	v_pk_fma_f32 v[74:75], v[68:69], v[70:71], v[72:73] op_sel_hi:[1,0,1]
	v_pk_fma_f32 v[68:69], v[68:69], v[70:71], v[72:73] neg_lo:[0,0,1] neg_hi:[0,0,1]
	s_delay_alu instid0(VALU_DEP_2)
	v_mov_b32_e32 v69, v75
	scratch_store_b64 off, v[68:69], off offset:144
.LBB31_135:
	s_wait_xcnt 0x0
	s_or_b32 exec_lo, exec_lo, s14
	scratch_load_b64 v[68:69], off, off offset:136
	v_cmp_lt_u32_e64 s1, 17, v0
	s_wait_loadcnt 0x0
	ds_store_b64 v1, v[68:69]
	s_wait_storecnt_dscnt 0x0
	s_barrier_signal -1
	s_barrier_wait -1
	s_wait_xcnt 0x0
	s_and_saveexec_b32 s14, s1
	s_cbranch_execz .LBB31_145
; %bb.136:
	s_and_not1_b32 vcc_lo, exec_lo, s3
	s_cbranch_vccnz .LBB31_138
; %bb.137:
	scratch_load_b64 v[68:69], v47, off
	ds_load_b64 v[70:71], v1
	s_wait_loadcnt_dscnt 0x0
	v_pk_mul_f32 v[72:73], v[70:71], v[68:69] op_sel:[1,1] op_sel_hi:[0,1]
	s_delay_alu instid0(VALU_DEP_1) | instskip(SKIP_1) | instid1(VALU_DEP_2)
	v_pk_fma_f32 v[74:75], v[70:71], v[68:69], v[72:73] op_sel_hi:[1,0,1]
	v_pk_fma_f32 v[68:69], v[70:71], v[68:69], v[72:73] neg_lo:[0,0,1] neg_hi:[0,0,1]
	v_mov_b32_e32 v69, v75
	s_cbranch_execz .LBB31_139
	s_branch .LBB31_140
.LBB31_138:
                                        ; implicit-def: $vgpr68_vgpr69
.LBB31_139:
	ds_load_b64 v[68:69], v1
.LBB31_140:
	s_and_saveexec_b32 s15, s0
	s_cbranch_execz .LBB31_144
; %bb.141:
	v_subrev_nc_u32_e32 v70, 18, v0
	s_movk_i32 s16, 0x190
	s_mov_b32 s0, 0
.LBB31_142:                             ; =>This Inner Loop Header: Depth=1
	scratch_load_b64 v[72:73], off, s13
	v_dual_mov_b32 v71, s16 :: v_dual_add_nc_u32 v70, -1, v70
	s_add_co_i32 s16, s16, 8
	s_wait_xcnt 0x0
	s_add_co_i32 s13, s13, 8
	ds_load_b64 v[74:75], v71
	v_cmp_eq_u32_e32 vcc_lo, 0, v70
	s_or_b32 s0, vcc_lo, s0
	s_wait_loadcnt_dscnt 0x0
	v_pk_mul_f32 v[76:77], v[74:75], v[72:73] op_sel:[1,1] op_sel_hi:[0,1]
	s_delay_alu instid0(VALU_DEP_1) | instskip(SKIP_1) | instid1(VALU_DEP_2)
	v_pk_fma_f32 v[78:79], v[74:75], v[72:73], v[76:77] op_sel_hi:[1,0,1]
	v_pk_fma_f32 v[72:73], v[74:75], v[72:73], v[76:77] neg_lo:[0,0,1] neg_hi:[0,0,1]
	v_mov_b32_e32 v73, v79
	s_delay_alu instid0(VALU_DEP_1)
	v_pk_add_f32 v[68:69], v[68:69], v[72:73]
	s_and_not1_b32 exec_lo, exec_lo, s0
	s_cbranch_execnz .LBB31_142
; %bb.143:
	s_or_b32 exec_lo, exec_lo, s0
.LBB31_144:
	s_delay_alu instid0(SALU_CYCLE_1) | instskip(SKIP_4) | instid1(VALU_DEP_1)
	s_or_b32 exec_lo, exec_lo, s15
	v_mov_b32_e32 v70, 0
	ds_load_b64 v[70:71], v70 offset:136
	s_wait_dscnt 0x0
	v_pk_mul_f32 v[72:73], v[68:69], v[70:71] op_sel:[1,1] op_sel_hi:[0,1]
	v_pk_fma_f32 v[74:75], v[68:69], v[70:71], v[72:73] op_sel_hi:[1,0,1]
	v_pk_fma_f32 v[68:69], v[68:69], v[70:71], v[72:73] neg_lo:[0,0,1] neg_hi:[0,0,1]
	s_delay_alu instid0(VALU_DEP_2)
	v_mov_b32_e32 v69, v75
	scratch_store_b64 off, v[68:69], off offset:136
.LBB31_145:
	s_wait_xcnt 0x0
	s_or_b32 exec_lo, exec_lo, s14
	scratch_load_b64 v[68:69], off, off offset:128
	v_cmp_lt_u32_e64 s0, 16, v0
	s_wait_loadcnt 0x0
	ds_store_b64 v1, v[68:69]
	s_wait_storecnt_dscnt 0x0
	s_barrier_signal -1
	s_barrier_wait -1
	s_wait_xcnt 0x0
	s_and_saveexec_b32 s13, s0
	s_cbranch_execz .LBB31_155
; %bb.146:
	s_and_not1_b32 vcc_lo, exec_lo, s3
	s_cbranch_vccnz .LBB31_148
; %bb.147:
	scratch_load_b64 v[68:69], v47, off
	ds_load_b64 v[70:71], v1
	s_wait_loadcnt_dscnt 0x0
	v_pk_mul_f32 v[72:73], v[70:71], v[68:69] op_sel:[1,1] op_sel_hi:[0,1]
	s_delay_alu instid0(VALU_DEP_1) | instskip(SKIP_1) | instid1(VALU_DEP_2)
	v_pk_fma_f32 v[74:75], v[70:71], v[68:69], v[72:73] op_sel_hi:[1,0,1]
	v_pk_fma_f32 v[68:69], v[70:71], v[68:69], v[72:73] neg_lo:[0,0,1] neg_hi:[0,0,1]
	v_mov_b32_e32 v69, v75
	s_cbranch_execz .LBB31_149
	s_branch .LBB31_150
.LBB31_148:
                                        ; implicit-def: $vgpr68_vgpr69
.LBB31_149:
	ds_load_b64 v[68:69], v1
.LBB31_150:
	s_and_saveexec_b32 s14, s1
	s_cbranch_execz .LBB31_154
; %bb.151:
	v_subrev_nc_u32_e32 v70, 17, v0
	s_movk_i32 s1, 0x88
	s_movk_i32 s16, 0x188
	s_mov_b32 s15, 0
.LBB31_152:                             ; =>This Inner Loop Header: Depth=1
	scratch_load_b64 v[72:73], off, s1
	v_dual_mov_b32 v71, s16 :: v_dual_add_nc_u32 v70, -1, v70
	s_add_co_i32 s16, s16, 8
	s_wait_xcnt 0x0
	s_add_co_i32 s1, s1, 8
	ds_load_b64 v[74:75], v71
	v_cmp_eq_u32_e32 vcc_lo, 0, v70
	s_or_b32 s15, vcc_lo, s15
	s_wait_loadcnt_dscnt 0x0
	v_pk_mul_f32 v[76:77], v[74:75], v[72:73] op_sel:[1,1] op_sel_hi:[0,1]
	s_delay_alu instid0(VALU_DEP_1) | instskip(SKIP_1) | instid1(VALU_DEP_2)
	v_pk_fma_f32 v[78:79], v[74:75], v[72:73], v[76:77] op_sel_hi:[1,0,1]
	v_pk_fma_f32 v[72:73], v[74:75], v[72:73], v[76:77] neg_lo:[0,0,1] neg_hi:[0,0,1]
	v_mov_b32_e32 v73, v79
	s_delay_alu instid0(VALU_DEP_1)
	v_pk_add_f32 v[68:69], v[68:69], v[72:73]
	s_and_not1_b32 exec_lo, exec_lo, s15
	s_cbranch_execnz .LBB31_152
; %bb.153:
	s_or_b32 exec_lo, exec_lo, s15
.LBB31_154:
	s_delay_alu instid0(SALU_CYCLE_1) | instskip(SKIP_4) | instid1(VALU_DEP_1)
	s_or_b32 exec_lo, exec_lo, s14
	v_mov_b32_e32 v70, 0
	ds_load_b64 v[70:71], v70 offset:128
	s_wait_dscnt 0x0
	v_pk_mul_f32 v[72:73], v[68:69], v[70:71] op_sel:[1,1] op_sel_hi:[0,1]
	v_pk_fma_f32 v[74:75], v[68:69], v[70:71], v[72:73] op_sel_hi:[1,0,1]
	v_pk_fma_f32 v[68:69], v[68:69], v[70:71], v[72:73] neg_lo:[0,0,1] neg_hi:[0,0,1]
	s_delay_alu instid0(VALU_DEP_2)
	v_mov_b32_e32 v69, v75
	scratch_store_b64 off, v[68:69], off offset:128
.LBB31_155:
	s_wait_xcnt 0x0
	s_or_b32 exec_lo, exec_lo, s13
	scratch_load_b64 v[68:69], off, off offset:120
	v_cmp_lt_u32_e64 s1, 15, v0
	s_wait_loadcnt 0x0
	ds_store_b64 v1, v[68:69]
	s_wait_storecnt_dscnt 0x0
	s_barrier_signal -1
	s_barrier_wait -1
	s_wait_xcnt 0x0
	s_and_saveexec_b32 s13, s1
	s_cbranch_execz .LBB31_165
; %bb.156:
	s_and_not1_b32 vcc_lo, exec_lo, s3
	s_cbranch_vccnz .LBB31_158
; %bb.157:
	scratch_load_b64 v[68:69], v47, off
	ds_load_b64 v[70:71], v1
	s_wait_loadcnt_dscnt 0x0
	v_pk_mul_f32 v[72:73], v[70:71], v[68:69] op_sel:[1,1] op_sel_hi:[0,1]
	s_delay_alu instid0(VALU_DEP_1) | instskip(SKIP_1) | instid1(VALU_DEP_2)
	v_pk_fma_f32 v[74:75], v[70:71], v[68:69], v[72:73] op_sel_hi:[1,0,1]
	v_pk_fma_f32 v[68:69], v[70:71], v[68:69], v[72:73] neg_lo:[0,0,1] neg_hi:[0,0,1]
	v_mov_b32_e32 v69, v75
	s_cbranch_execz .LBB31_159
	s_branch .LBB31_160
.LBB31_158:
                                        ; implicit-def: $vgpr68_vgpr69
.LBB31_159:
	ds_load_b64 v[68:69], v1
.LBB31_160:
	s_and_saveexec_b32 s14, s0
	s_cbranch_execz .LBB31_164
; %bb.161:
	v_add_nc_u32_e32 v70, -16, v0
	s_movk_i32 s15, 0x180
	s_mov_b32 s0, 0
.LBB31_162:                             ; =>This Inner Loop Header: Depth=1
	scratch_load_b64 v[72:73], off, s12
	v_dual_mov_b32 v71, s15 :: v_dual_add_nc_u32 v70, -1, v70
	s_add_co_i32 s15, s15, 8
	s_wait_xcnt 0x0
	s_add_co_i32 s12, s12, 8
	ds_load_b64 v[74:75], v71
	v_cmp_eq_u32_e32 vcc_lo, 0, v70
	s_or_b32 s0, vcc_lo, s0
	s_wait_loadcnt_dscnt 0x0
	v_pk_mul_f32 v[76:77], v[74:75], v[72:73] op_sel:[1,1] op_sel_hi:[0,1]
	s_delay_alu instid0(VALU_DEP_1) | instskip(SKIP_1) | instid1(VALU_DEP_2)
	v_pk_fma_f32 v[78:79], v[74:75], v[72:73], v[76:77] op_sel_hi:[1,0,1]
	v_pk_fma_f32 v[72:73], v[74:75], v[72:73], v[76:77] neg_lo:[0,0,1] neg_hi:[0,0,1]
	v_mov_b32_e32 v73, v79
	s_delay_alu instid0(VALU_DEP_1)
	v_pk_add_f32 v[68:69], v[68:69], v[72:73]
	s_and_not1_b32 exec_lo, exec_lo, s0
	s_cbranch_execnz .LBB31_162
; %bb.163:
	s_or_b32 exec_lo, exec_lo, s0
.LBB31_164:
	s_delay_alu instid0(SALU_CYCLE_1) | instskip(SKIP_4) | instid1(VALU_DEP_1)
	s_or_b32 exec_lo, exec_lo, s14
	v_mov_b32_e32 v70, 0
	ds_load_b64 v[70:71], v70 offset:120
	s_wait_dscnt 0x0
	v_pk_mul_f32 v[72:73], v[68:69], v[70:71] op_sel:[1,1] op_sel_hi:[0,1]
	v_pk_fma_f32 v[74:75], v[68:69], v[70:71], v[72:73] op_sel_hi:[1,0,1]
	v_pk_fma_f32 v[68:69], v[68:69], v[70:71], v[72:73] neg_lo:[0,0,1] neg_hi:[0,0,1]
	s_delay_alu instid0(VALU_DEP_2)
	v_mov_b32_e32 v69, v75
	scratch_store_b64 off, v[68:69], off offset:120
.LBB31_165:
	s_wait_xcnt 0x0
	s_or_b32 exec_lo, exec_lo, s13
	scratch_load_b64 v[68:69], off, off offset:112
	v_cmp_lt_u32_e64 s0, 14, v0
	s_wait_loadcnt 0x0
	ds_store_b64 v1, v[68:69]
	s_wait_storecnt_dscnt 0x0
	s_barrier_signal -1
	s_barrier_wait -1
	s_wait_xcnt 0x0
	s_and_saveexec_b32 s12, s0
	s_cbranch_execz .LBB31_175
; %bb.166:
	s_and_not1_b32 vcc_lo, exec_lo, s3
	s_cbranch_vccnz .LBB31_168
; %bb.167:
	scratch_load_b64 v[68:69], v47, off
	ds_load_b64 v[70:71], v1
	s_wait_loadcnt_dscnt 0x0
	v_pk_mul_f32 v[72:73], v[70:71], v[68:69] op_sel:[1,1] op_sel_hi:[0,1]
	s_delay_alu instid0(VALU_DEP_1) | instskip(SKIP_1) | instid1(VALU_DEP_2)
	v_pk_fma_f32 v[74:75], v[70:71], v[68:69], v[72:73] op_sel_hi:[1,0,1]
	v_pk_fma_f32 v[68:69], v[70:71], v[68:69], v[72:73] neg_lo:[0,0,1] neg_hi:[0,0,1]
	v_mov_b32_e32 v69, v75
	s_cbranch_execz .LBB31_169
	s_branch .LBB31_170
.LBB31_168:
                                        ; implicit-def: $vgpr68_vgpr69
.LBB31_169:
	ds_load_b64 v[68:69], v1
.LBB31_170:
	s_and_saveexec_b32 s13, s1
	s_cbranch_execz .LBB31_174
; %bb.171:
	v_add_nc_u32_e32 v70, -15, v0
	s_movk_i32 s1, 0x78
	s_movk_i32 s15, 0x178
	s_mov_b32 s14, 0
.LBB31_172:                             ; =>This Inner Loop Header: Depth=1
	scratch_load_b64 v[72:73], off, s1
	v_dual_mov_b32 v71, s15 :: v_dual_add_nc_u32 v70, -1, v70
	s_add_co_i32 s15, s15, 8
	s_wait_xcnt 0x0
	s_add_co_i32 s1, s1, 8
	ds_load_b64 v[74:75], v71
	v_cmp_eq_u32_e32 vcc_lo, 0, v70
	s_or_b32 s14, vcc_lo, s14
	s_wait_loadcnt_dscnt 0x0
	v_pk_mul_f32 v[76:77], v[74:75], v[72:73] op_sel:[1,1] op_sel_hi:[0,1]
	s_delay_alu instid0(VALU_DEP_1) | instskip(SKIP_1) | instid1(VALU_DEP_2)
	v_pk_fma_f32 v[78:79], v[74:75], v[72:73], v[76:77] op_sel_hi:[1,0,1]
	v_pk_fma_f32 v[72:73], v[74:75], v[72:73], v[76:77] neg_lo:[0,0,1] neg_hi:[0,0,1]
	v_mov_b32_e32 v73, v79
	s_delay_alu instid0(VALU_DEP_1)
	v_pk_add_f32 v[68:69], v[68:69], v[72:73]
	s_and_not1_b32 exec_lo, exec_lo, s14
	s_cbranch_execnz .LBB31_172
; %bb.173:
	s_or_b32 exec_lo, exec_lo, s14
.LBB31_174:
	s_delay_alu instid0(SALU_CYCLE_1) | instskip(SKIP_4) | instid1(VALU_DEP_1)
	s_or_b32 exec_lo, exec_lo, s13
	v_mov_b32_e32 v70, 0
	ds_load_b64 v[70:71], v70 offset:112
	s_wait_dscnt 0x0
	v_pk_mul_f32 v[72:73], v[68:69], v[70:71] op_sel:[1,1] op_sel_hi:[0,1]
	v_pk_fma_f32 v[74:75], v[68:69], v[70:71], v[72:73] op_sel_hi:[1,0,1]
	v_pk_fma_f32 v[68:69], v[68:69], v[70:71], v[72:73] neg_lo:[0,0,1] neg_hi:[0,0,1]
	s_delay_alu instid0(VALU_DEP_2)
	v_mov_b32_e32 v69, v75
	scratch_store_b64 off, v[68:69], off offset:112
.LBB31_175:
	s_wait_xcnt 0x0
	s_or_b32 exec_lo, exec_lo, s12
	scratch_load_b64 v[68:69], off, off offset:104
	v_cmp_lt_u32_e64 s1, 13, v0
	s_wait_loadcnt 0x0
	ds_store_b64 v1, v[68:69]
	s_wait_storecnt_dscnt 0x0
	s_barrier_signal -1
	s_barrier_wait -1
	s_wait_xcnt 0x0
	s_and_saveexec_b32 s12, s1
	s_cbranch_execz .LBB31_185
; %bb.176:
	s_and_not1_b32 vcc_lo, exec_lo, s3
	s_cbranch_vccnz .LBB31_178
; %bb.177:
	scratch_load_b64 v[68:69], v47, off
	ds_load_b64 v[70:71], v1
	s_wait_loadcnt_dscnt 0x0
	v_pk_mul_f32 v[72:73], v[70:71], v[68:69] op_sel:[1,1] op_sel_hi:[0,1]
	s_delay_alu instid0(VALU_DEP_1) | instskip(SKIP_1) | instid1(VALU_DEP_2)
	v_pk_fma_f32 v[74:75], v[70:71], v[68:69], v[72:73] op_sel_hi:[1,0,1]
	v_pk_fma_f32 v[68:69], v[70:71], v[68:69], v[72:73] neg_lo:[0,0,1] neg_hi:[0,0,1]
	v_mov_b32_e32 v69, v75
	s_cbranch_execz .LBB31_179
	s_branch .LBB31_180
.LBB31_178:
                                        ; implicit-def: $vgpr68_vgpr69
.LBB31_179:
	ds_load_b64 v[68:69], v1
.LBB31_180:
	s_and_saveexec_b32 s13, s0
	s_cbranch_execz .LBB31_184
; %bb.181:
	v_add_nc_u32_e32 v70, -14, v0
	s_movk_i32 s14, 0x170
	s_mov_b32 s0, 0
.LBB31_182:                             ; =>This Inner Loop Header: Depth=1
	scratch_load_b64 v[72:73], off, s11
	v_dual_mov_b32 v71, s14 :: v_dual_add_nc_u32 v70, -1, v70
	s_add_co_i32 s14, s14, 8
	s_wait_xcnt 0x0
	s_add_co_i32 s11, s11, 8
	ds_load_b64 v[74:75], v71
	v_cmp_eq_u32_e32 vcc_lo, 0, v70
	s_or_b32 s0, vcc_lo, s0
	s_wait_loadcnt_dscnt 0x0
	v_pk_mul_f32 v[76:77], v[74:75], v[72:73] op_sel:[1,1] op_sel_hi:[0,1]
	s_delay_alu instid0(VALU_DEP_1) | instskip(SKIP_1) | instid1(VALU_DEP_2)
	v_pk_fma_f32 v[78:79], v[74:75], v[72:73], v[76:77] op_sel_hi:[1,0,1]
	v_pk_fma_f32 v[72:73], v[74:75], v[72:73], v[76:77] neg_lo:[0,0,1] neg_hi:[0,0,1]
	v_mov_b32_e32 v73, v79
	s_delay_alu instid0(VALU_DEP_1)
	v_pk_add_f32 v[68:69], v[68:69], v[72:73]
	s_and_not1_b32 exec_lo, exec_lo, s0
	s_cbranch_execnz .LBB31_182
; %bb.183:
	s_or_b32 exec_lo, exec_lo, s0
.LBB31_184:
	s_delay_alu instid0(SALU_CYCLE_1) | instskip(SKIP_4) | instid1(VALU_DEP_1)
	s_or_b32 exec_lo, exec_lo, s13
	v_mov_b32_e32 v70, 0
	ds_load_b64 v[70:71], v70 offset:104
	s_wait_dscnt 0x0
	v_pk_mul_f32 v[72:73], v[68:69], v[70:71] op_sel:[1,1] op_sel_hi:[0,1]
	v_pk_fma_f32 v[74:75], v[68:69], v[70:71], v[72:73] op_sel_hi:[1,0,1]
	v_pk_fma_f32 v[68:69], v[68:69], v[70:71], v[72:73] neg_lo:[0,0,1] neg_hi:[0,0,1]
	s_delay_alu instid0(VALU_DEP_2)
	v_mov_b32_e32 v69, v75
	scratch_store_b64 off, v[68:69], off offset:104
.LBB31_185:
	s_wait_xcnt 0x0
	s_or_b32 exec_lo, exec_lo, s12
	scratch_load_b64 v[68:69], off, off offset:96
	v_cmp_lt_u32_e64 s0, 12, v0
	s_wait_loadcnt 0x0
	ds_store_b64 v1, v[68:69]
	s_wait_storecnt_dscnt 0x0
	s_barrier_signal -1
	s_barrier_wait -1
	s_wait_xcnt 0x0
	s_and_saveexec_b32 s11, s0
	s_cbranch_execz .LBB31_195
; %bb.186:
	s_and_not1_b32 vcc_lo, exec_lo, s3
	s_cbranch_vccnz .LBB31_188
; %bb.187:
	scratch_load_b64 v[68:69], v47, off
	ds_load_b64 v[70:71], v1
	s_wait_loadcnt_dscnt 0x0
	v_pk_mul_f32 v[72:73], v[70:71], v[68:69] op_sel:[1,1] op_sel_hi:[0,1]
	s_delay_alu instid0(VALU_DEP_1) | instskip(SKIP_1) | instid1(VALU_DEP_2)
	v_pk_fma_f32 v[74:75], v[70:71], v[68:69], v[72:73] op_sel_hi:[1,0,1]
	v_pk_fma_f32 v[68:69], v[70:71], v[68:69], v[72:73] neg_lo:[0,0,1] neg_hi:[0,0,1]
	v_mov_b32_e32 v69, v75
	s_cbranch_execz .LBB31_189
	s_branch .LBB31_190
.LBB31_188:
                                        ; implicit-def: $vgpr68_vgpr69
.LBB31_189:
	ds_load_b64 v[68:69], v1
.LBB31_190:
	s_and_saveexec_b32 s12, s1
	s_cbranch_execz .LBB31_194
; %bb.191:
	v_add_nc_u32_e32 v70, -13, v0
	s_movk_i32 s1, 0x68
	s_movk_i32 s14, 0x168
	s_mov_b32 s13, 0
.LBB31_192:                             ; =>This Inner Loop Header: Depth=1
	scratch_load_b64 v[72:73], off, s1
	v_dual_mov_b32 v71, s14 :: v_dual_add_nc_u32 v70, -1, v70
	s_add_co_i32 s14, s14, 8
	s_wait_xcnt 0x0
	s_add_co_i32 s1, s1, 8
	ds_load_b64 v[74:75], v71
	v_cmp_eq_u32_e32 vcc_lo, 0, v70
	s_or_b32 s13, vcc_lo, s13
	s_wait_loadcnt_dscnt 0x0
	v_pk_mul_f32 v[76:77], v[74:75], v[72:73] op_sel:[1,1] op_sel_hi:[0,1]
	s_delay_alu instid0(VALU_DEP_1) | instskip(SKIP_1) | instid1(VALU_DEP_2)
	v_pk_fma_f32 v[78:79], v[74:75], v[72:73], v[76:77] op_sel_hi:[1,0,1]
	v_pk_fma_f32 v[72:73], v[74:75], v[72:73], v[76:77] neg_lo:[0,0,1] neg_hi:[0,0,1]
	v_mov_b32_e32 v73, v79
	s_delay_alu instid0(VALU_DEP_1)
	v_pk_add_f32 v[68:69], v[68:69], v[72:73]
	s_and_not1_b32 exec_lo, exec_lo, s13
	s_cbranch_execnz .LBB31_192
; %bb.193:
	s_or_b32 exec_lo, exec_lo, s13
.LBB31_194:
	s_delay_alu instid0(SALU_CYCLE_1) | instskip(SKIP_4) | instid1(VALU_DEP_1)
	s_or_b32 exec_lo, exec_lo, s12
	v_mov_b32_e32 v70, 0
	ds_load_b64 v[70:71], v70 offset:96
	s_wait_dscnt 0x0
	v_pk_mul_f32 v[72:73], v[68:69], v[70:71] op_sel:[1,1] op_sel_hi:[0,1]
	v_pk_fma_f32 v[74:75], v[68:69], v[70:71], v[72:73] op_sel_hi:[1,0,1]
	v_pk_fma_f32 v[68:69], v[68:69], v[70:71], v[72:73] neg_lo:[0,0,1] neg_hi:[0,0,1]
	s_delay_alu instid0(VALU_DEP_2)
	v_mov_b32_e32 v69, v75
	scratch_store_b64 off, v[68:69], off offset:96
.LBB31_195:
	s_wait_xcnt 0x0
	s_or_b32 exec_lo, exec_lo, s11
	scratch_load_b64 v[68:69], off, off offset:88
	v_cmp_lt_u32_e64 s1, 11, v0
	s_wait_loadcnt 0x0
	ds_store_b64 v1, v[68:69]
	s_wait_storecnt_dscnt 0x0
	s_barrier_signal -1
	s_barrier_wait -1
	s_wait_xcnt 0x0
	s_and_saveexec_b32 s11, s1
	s_cbranch_execz .LBB31_205
; %bb.196:
	s_and_not1_b32 vcc_lo, exec_lo, s3
	s_cbranch_vccnz .LBB31_198
; %bb.197:
	scratch_load_b64 v[68:69], v47, off
	ds_load_b64 v[70:71], v1
	s_wait_loadcnt_dscnt 0x0
	v_pk_mul_f32 v[72:73], v[70:71], v[68:69] op_sel:[1,1] op_sel_hi:[0,1]
	s_delay_alu instid0(VALU_DEP_1) | instskip(SKIP_1) | instid1(VALU_DEP_2)
	v_pk_fma_f32 v[74:75], v[70:71], v[68:69], v[72:73] op_sel_hi:[1,0,1]
	v_pk_fma_f32 v[68:69], v[70:71], v[68:69], v[72:73] neg_lo:[0,0,1] neg_hi:[0,0,1]
	v_mov_b32_e32 v69, v75
	s_cbranch_execz .LBB31_199
	s_branch .LBB31_200
.LBB31_198:
                                        ; implicit-def: $vgpr68_vgpr69
.LBB31_199:
	ds_load_b64 v[68:69], v1
.LBB31_200:
	s_and_saveexec_b32 s12, s0
	s_cbranch_execz .LBB31_204
; %bb.201:
	v_add_nc_u32_e32 v70, -12, v0
	s_movk_i32 s13, 0x160
	s_mov_b32 s0, 0
.LBB31_202:                             ; =>This Inner Loop Header: Depth=1
	scratch_load_b64 v[72:73], off, s10
	v_dual_mov_b32 v71, s13 :: v_dual_add_nc_u32 v70, -1, v70
	s_add_co_i32 s13, s13, 8
	s_wait_xcnt 0x0
	s_add_co_i32 s10, s10, 8
	ds_load_b64 v[74:75], v71
	v_cmp_eq_u32_e32 vcc_lo, 0, v70
	s_or_b32 s0, vcc_lo, s0
	s_wait_loadcnt_dscnt 0x0
	v_pk_mul_f32 v[76:77], v[74:75], v[72:73] op_sel:[1,1] op_sel_hi:[0,1]
	s_delay_alu instid0(VALU_DEP_1) | instskip(SKIP_1) | instid1(VALU_DEP_2)
	v_pk_fma_f32 v[78:79], v[74:75], v[72:73], v[76:77] op_sel_hi:[1,0,1]
	v_pk_fma_f32 v[72:73], v[74:75], v[72:73], v[76:77] neg_lo:[0,0,1] neg_hi:[0,0,1]
	v_mov_b32_e32 v73, v79
	s_delay_alu instid0(VALU_DEP_1)
	v_pk_add_f32 v[68:69], v[68:69], v[72:73]
	s_and_not1_b32 exec_lo, exec_lo, s0
	s_cbranch_execnz .LBB31_202
; %bb.203:
	s_or_b32 exec_lo, exec_lo, s0
.LBB31_204:
	s_delay_alu instid0(SALU_CYCLE_1) | instskip(SKIP_4) | instid1(VALU_DEP_1)
	s_or_b32 exec_lo, exec_lo, s12
	v_mov_b32_e32 v70, 0
	ds_load_b64 v[70:71], v70 offset:88
	s_wait_dscnt 0x0
	v_pk_mul_f32 v[72:73], v[68:69], v[70:71] op_sel:[1,1] op_sel_hi:[0,1]
	v_pk_fma_f32 v[74:75], v[68:69], v[70:71], v[72:73] op_sel_hi:[1,0,1]
	v_pk_fma_f32 v[68:69], v[68:69], v[70:71], v[72:73] neg_lo:[0,0,1] neg_hi:[0,0,1]
	s_delay_alu instid0(VALU_DEP_2)
	v_mov_b32_e32 v69, v75
	scratch_store_b64 off, v[68:69], off offset:88
.LBB31_205:
	s_wait_xcnt 0x0
	s_or_b32 exec_lo, exec_lo, s11
	scratch_load_b64 v[68:69], off, off offset:80
	v_cmp_lt_u32_e64 s0, 10, v0
	s_wait_loadcnt 0x0
	ds_store_b64 v1, v[68:69]
	s_wait_storecnt_dscnt 0x0
	s_barrier_signal -1
	s_barrier_wait -1
	s_wait_xcnt 0x0
	s_and_saveexec_b32 s10, s0
	s_cbranch_execz .LBB31_215
; %bb.206:
	s_and_not1_b32 vcc_lo, exec_lo, s3
	s_cbranch_vccnz .LBB31_208
; %bb.207:
	scratch_load_b64 v[68:69], v47, off
	ds_load_b64 v[70:71], v1
	s_wait_loadcnt_dscnt 0x0
	v_pk_mul_f32 v[72:73], v[70:71], v[68:69] op_sel:[1,1] op_sel_hi:[0,1]
	s_delay_alu instid0(VALU_DEP_1) | instskip(SKIP_1) | instid1(VALU_DEP_2)
	v_pk_fma_f32 v[74:75], v[70:71], v[68:69], v[72:73] op_sel_hi:[1,0,1]
	v_pk_fma_f32 v[68:69], v[70:71], v[68:69], v[72:73] neg_lo:[0,0,1] neg_hi:[0,0,1]
	v_mov_b32_e32 v69, v75
	s_cbranch_execz .LBB31_209
	s_branch .LBB31_210
.LBB31_208:
                                        ; implicit-def: $vgpr68_vgpr69
.LBB31_209:
	ds_load_b64 v[68:69], v1
.LBB31_210:
	s_and_saveexec_b32 s11, s1
	s_cbranch_execz .LBB31_214
; %bb.211:
	v_add_nc_u32_e32 v70, -11, v0
	s_movk_i32 s1, 0x58
	s_movk_i32 s13, 0x158
	s_mov_b32 s12, 0
.LBB31_212:                             ; =>This Inner Loop Header: Depth=1
	scratch_load_b64 v[72:73], off, s1
	v_dual_mov_b32 v71, s13 :: v_dual_add_nc_u32 v70, -1, v70
	s_add_co_i32 s13, s13, 8
	s_wait_xcnt 0x0
	s_add_co_i32 s1, s1, 8
	ds_load_b64 v[74:75], v71
	v_cmp_eq_u32_e32 vcc_lo, 0, v70
	s_or_b32 s12, vcc_lo, s12
	s_wait_loadcnt_dscnt 0x0
	v_pk_mul_f32 v[76:77], v[74:75], v[72:73] op_sel:[1,1] op_sel_hi:[0,1]
	s_delay_alu instid0(VALU_DEP_1) | instskip(SKIP_1) | instid1(VALU_DEP_2)
	v_pk_fma_f32 v[78:79], v[74:75], v[72:73], v[76:77] op_sel_hi:[1,0,1]
	v_pk_fma_f32 v[72:73], v[74:75], v[72:73], v[76:77] neg_lo:[0,0,1] neg_hi:[0,0,1]
	v_mov_b32_e32 v73, v79
	s_delay_alu instid0(VALU_DEP_1)
	v_pk_add_f32 v[68:69], v[68:69], v[72:73]
	s_and_not1_b32 exec_lo, exec_lo, s12
	s_cbranch_execnz .LBB31_212
; %bb.213:
	s_or_b32 exec_lo, exec_lo, s12
.LBB31_214:
	s_delay_alu instid0(SALU_CYCLE_1) | instskip(SKIP_4) | instid1(VALU_DEP_1)
	s_or_b32 exec_lo, exec_lo, s11
	v_mov_b32_e32 v70, 0
	ds_load_b64 v[70:71], v70 offset:80
	s_wait_dscnt 0x0
	v_pk_mul_f32 v[72:73], v[68:69], v[70:71] op_sel:[1,1] op_sel_hi:[0,1]
	v_pk_fma_f32 v[74:75], v[68:69], v[70:71], v[72:73] op_sel_hi:[1,0,1]
	v_pk_fma_f32 v[68:69], v[68:69], v[70:71], v[72:73] neg_lo:[0,0,1] neg_hi:[0,0,1]
	s_delay_alu instid0(VALU_DEP_2)
	v_mov_b32_e32 v69, v75
	scratch_store_b64 off, v[68:69], off offset:80
.LBB31_215:
	s_wait_xcnt 0x0
	s_or_b32 exec_lo, exec_lo, s10
	scratch_load_b64 v[68:69], off, off offset:72
	v_cmp_lt_u32_e64 s1, 9, v0
	s_wait_loadcnt 0x0
	ds_store_b64 v1, v[68:69]
	s_wait_storecnt_dscnt 0x0
	s_barrier_signal -1
	s_barrier_wait -1
	s_wait_xcnt 0x0
	s_and_saveexec_b32 s10, s1
	s_cbranch_execz .LBB31_225
; %bb.216:
	s_and_not1_b32 vcc_lo, exec_lo, s3
	s_cbranch_vccnz .LBB31_218
; %bb.217:
	scratch_load_b64 v[68:69], v47, off
	ds_load_b64 v[70:71], v1
	s_wait_loadcnt_dscnt 0x0
	v_pk_mul_f32 v[72:73], v[70:71], v[68:69] op_sel:[1,1] op_sel_hi:[0,1]
	s_delay_alu instid0(VALU_DEP_1) | instskip(SKIP_1) | instid1(VALU_DEP_2)
	v_pk_fma_f32 v[74:75], v[70:71], v[68:69], v[72:73] op_sel_hi:[1,0,1]
	v_pk_fma_f32 v[68:69], v[70:71], v[68:69], v[72:73] neg_lo:[0,0,1] neg_hi:[0,0,1]
	v_mov_b32_e32 v69, v75
	s_cbranch_execz .LBB31_219
	s_branch .LBB31_220
.LBB31_218:
                                        ; implicit-def: $vgpr68_vgpr69
.LBB31_219:
	ds_load_b64 v[68:69], v1
.LBB31_220:
	s_and_saveexec_b32 s11, s0
	s_cbranch_execz .LBB31_224
; %bb.221:
	v_add_nc_u32_e32 v70, -10, v0
	s_movk_i32 s12, 0x150
	s_mov_b32 s0, 0
.LBB31_222:                             ; =>This Inner Loop Header: Depth=1
	scratch_load_b64 v[72:73], off, s9
	v_dual_mov_b32 v71, s12 :: v_dual_add_nc_u32 v70, -1, v70
	s_add_co_i32 s12, s12, 8
	s_wait_xcnt 0x0
	s_add_co_i32 s9, s9, 8
	ds_load_b64 v[74:75], v71
	v_cmp_eq_u32_e32 vcc_lo, 0, v70
	s_or_b32 s0, vcc_lo, s0
	s_wait_loadcnt_dscnt 0x0
	v_pk_mul_f32 v[76:77], v[74:75], v[72:73] op_sel:[1,1] op_sel_hi:[0,1]
	s_delay_alu instid0(VALU_DEP_1) | instskip(SKIP_1) | instid1(VALU_DEP_2)
	v_pk_fma_f32 v[78:79], v[74:75], v[72:73], v[76:77] op_sel_hi:[1,0,1]
	v_pk_fma_f32 v[72:73], v[74:75], v[72:73], v[76:77] neg_lo:[0,0,1] neg_hi:[0,0,1]
	v_mov_b32_e32 v73, v79
	s_delay_alu instid0(VALU_DEP_1)
	v_pk_add_f32 v[68:69], v[68:69], v[72:73]
	s_and_not1_b32 exec_lo, exec_lo, s0
	s_cbranch_execnz .LBB31_222
; %bb.223:
	s_or_b32 exec_lo, exec_lo, s0
.LBB31_224:
	s_delay_alu instid0(SALU_CYCLE_1) | instskip(SKIP_4) | instid1(VALU_DEP_1)
	s_or_b32 exec_lo, exec_lo, s11
	v_mov_b32_e32 v70, 0
	ds_load_b64 v[70:71], v70 offset:72
	s_wait_dscnt 0x0
	v_pk_mul_f32 v[72:73], v[68:69], v[70:71] op_sel:[1,1] op_sel_hi:[0,1]
	v_pk_fma_f32 v[74:75], v[68:69], v[70:71], v[72:73] op_sel_hi:[1,0,1]
	v_pk_fma_f32 v[68:69], v[68:69], v[70:71], v[72:73] neg_lo:[0,0,1] neg_hi:[0,0,1]
	s_delay_alu instid0(VALU_DEP_2)
	v_mov_b32_e32 v69, v75
	scratch_store_b64 off, v[68:69], off offset:72
.LBB31_225:
	s_wait_xcnt 0x0
	s_or_b32 exec_lo, exec_lo, s10
	scratch_load_b64 v[68:69], off, off offset:64
	v_cmp_lt_u32_e64 s0, 8, v0
	s_wait_loadcnt 0x0
	ds_store_b64 v1, v[68:69]
	s_wait_storecnt_dscnt 0x0
	s_barrier_signal -1
	s_barrier_wait -1
	s_wait_xcnt 0x0
	s_and_saveexec_b32 s9, s0
	s_cbranch_execz .LBB31_235
; %bb.226:
	s_and_not1_b32 vcc_lo, exec_lo, s3
	s_cbranch_vccnz .LBB31_228
; %bb.227:
	scratch_load_b64 v[68:69], v47, off
	ds_load_b64 v[70:71], v1
	s_wait_loadcnt_dscnt 0x0
	v_pk_mul_f32 v[72:73], v[70:71], v[68:69] op_sel:[1,1] op_sel_hi:[0,1]
	s_delay_alu instid0(VALU_DEP_1) | instskip(SKIP_1) | instid1(VALU_DEP_2)
	v_pk_fma_f32 v[74:75], v[70:71], v[68:69], v[72:73] op_sel_hi:[1,0,1]
	v_pk_fma_f32 v[68:69], v[70:71], v[68:69], v[72:73] neg_lo:[0,0,1] neg_hi:[0,0,1]
	v_mov_b32_e32 v69, v75
	s_cbranch_execz .LBB31_229
	s_branch .LBB31_230
.LBB31_228:
                                        ; implicit-def: $vgpr68_vgpr69
.LBB31_229:
	ds_load_b64 v[68:69], v1
.LBB31_230:
	s_and_saveexec_b32 s10, s1
	s_cbranch_execz .LBB31_234
; %bb.231:
	v_add_nc_u32_e32 v70, -9, v0
	s_movk_i32 s1, 0x48
	s_movk_i32 s12, 0x148
	s_mov_b32 s11, 0
.LBB31_232:                             ; =>This Inner Loop Header: Depth=1
	scratch_load_b64 v[72:73], off, s1
	v_dual_mov_b32 v71, s12 :: v_dual_add_nc_u32 v70, -1, v70
	s_add_co_i32 s12, s12, 8
	s_wait_xcnt 0x0
	s_add_co_i32 s1, s1, 8
	ds_load_b64 v[74:75], v71
	v_cmp_eq_u32_e32 vcc_lo, 0, v70
	s_or_b32 s11, vcc_lo, s11
	s_wait_loadcnt_dscnt 0x0
	v_pk_mul_f32 v[76:77], v[74:75], v[72:73] op_sel:[1,1] op_sel_hi:[0,1]
	s_delay_alu instid0(VALU_DEP_1) | instskip(SKIP_1) | instid1(VALU_DEP_2)
	v_pk_fma_f32 v[78:79], v[74:75], v[72:73], v[76:77] op_sel_hi:[1,0,1]
	v_pk_fma_f32 v[72:73], v[74:75], v[72:73], v[76:77] neg_lo:[0,0,1] neg_hi:[0,0,1]
	v_mov_b32_e32 v73, v79
	s_delay_alu instid0(VALU_DEP_1)
	v_pk_add_f32 v[68:69], v[68:69], v[72:73]
	s_and_not1_b32 exec_lo, exec_lo, s11
	s_cbranch_execnz .LBB31_232
; %bb.233:
	s_or_b32 exec_lo, exec_lo, s11
.LBB31_234:
	s_delay_alu instid0(SALU_CYCLE_1) | instskip(SKIP_4) | instid1(VALU_DEP_1)
	s_or_b32 exec_lo, exec_lo, s10
	v_mov_b32_e32 v70, 0
	ds_load_b64 v[70:71], v70 offset:64
	s_wait_dscnt 0x0
	v_pk_mul_f32 v[72:73], v[68:69], v[70:71] op_sel:[1,1] op_sel_hi:[0,1]
	v_pk_fma_f32 v[74:75], v[68:69], v[70:71], v[72:73] op_sel_hi:[1,0,1]
	v_pk_fma_f32 v[68:69], v[68:69], v[70:71], v[72:73] neg_lo:[0,0,1] neg_hi:[0,0,1]
	s_delay_alu instid0(VALU_DEP_2)
	v_mov_b32_e32 v69, v75
	scratch_store_b64 off, v[68:69], off offset:64
.LBB31_235:
	s_wait_xcnt 0x0
	s_or_b32 exec_lo, exec_lo, s9
	scratch_load_b64 v[68:69], off, off offset:56
	v_cmp_lt_u32_e64 s1, 7, v0
	s_wait_loadcnt 0x0
	ds_store_b64 v1, v[68:69]
	s_wait_storecnt_dscnt 0x0
	s_barrier_signal -1
	s_barrier_wait -1
	s_wait_xcnt 0x0
	s_and_saveexec_b32 s9, s1
	s_cbranch_execz .LBB31_245
; %bb.236:
	s_and_not1_b32 vcc_lo, exec_lo, s3
	s_cbranch_vccnz .LBB31_238
; %bb.237:
	scratch_load_b64 v[68:69], v47, off
	ds_load_b64 v[70:71], v1
	s_wait_loadcnt_dscnt 0x0
	v_pk_mul_f32 v[72:73], v[70:71], v[68:69] op_sel:[1,1] op_sel_hi:[0,1]
	s_delay_alu instid0(VALU_DEP_1) | instskip(SKIP_1) | instid1(VALU_DEP_2)
	v_pk_fma_f32 v[74:75], v[70:71], v[68:69], v[72:73] op_sel_hi:[1,0,1]
	v_pk_fma_f32 v[68:69], v[70:71], v[68:69], v[72:73] neg_lo:[0,0,1] neg_hi:[0,0,1]
	v_mov_b32_e32 v69, v75
	s_cbranch_execz .LBB31_239
	s_branch .LBB31_240
.LBB31_238:
                                        ; implicit-def: $vgpr68_vgpr69
.LBB31_239:
	ds_load_b64 v[68:69], v1
.LBB31_240:
	s_and_saveexec_b32 s10, s0
	s_cbranch_execz .LBB31_244
; %bb.241:
	v_add_nc_u32_e32 v70, -8, v0
	s_movk_i32 s11, 0x140
	s_mov_b32 s0, 0
.LBB31_242:                             ; =>This Inner Loop Header: Depth=1
	scratch_load_b64 v[72:73], off, s8
	v_dual_mov_b32 v71, s11 :: v_dual_add_nc_u32 v70, -1, v70
	s_add_co_i32 s11, s11, 8
	s_wait_xcnt 0x0
	s_add_co_i32 s8, s8, 8
	ds_load_b64 v[74:75], v71
	v_cmp_eq_u32_e32 vcc_lo, 0, v70
	s_or_b32 s0, vcc_lo, s0
	s_wait_loadcnt_dscnt 0x0
	v_pk_mul_f32 v[76:77], v[74:75], v[72:73] op_sel:[1,1] op_sel_hi:[0,1]
	s_delay_alu instid0(VALU_DEP_1) | instskip(SKIP_1) | instid1(VALU_DEP_2)
	v_pk_fma_f32 v[78:79], v[74:75], v[72:73], v[76:77] op_sel_hi:[1,0,1]
	v_pk_fma_f32 v[72:73], v[74:75], v[72:73], v[76:77] neg_lo:[0,0,1] neg_hi:[0,0,1]
	v_mov_b32_e32 v73, v79
	s_delay_alu instid0(VALU_DEP_1)
	v_pk_add_f32 v[68:69], v[68:69], v[72:73]
	s_and_not1_b32 exec_lo, exec_lo, s0
	s_cbranch_execnz .LBB31_242
; %bb.243:
	s_or_b32 exec_lo, exec_lo, s0
.LBB31_244:
	s_delay_alu instid0(SALU_CYCLE_1) | instskip(SKIP_4) | instid1(VALU_DEP_1)
	s_or_b32 exec_lo, exec_lo, s10
	v_mov_b32_e32 v70, 0
	ds_load_b64 v[70:71], v70 offset:56
	s_wait_dscnt 0x0
	v_pk_mul_f32 v[72:73], v[68:69], v[70:71] op_sel:[1,1] op_sel_hi:[0,1]
	v_pk_fma_f32 v[74:75], v[68:69], v[70:71], v[72:73] op_sel_hi:[1,0,1]
	v_pk_fma_f32 v[68:69], v[68:69], v[70:71], v[72:73] neg_lo:[0,0,1] neg_hi:[0,0,1]
	s_delay_alu instid0(VALU_DEP_2)
	v_mov_b32_e32 v69, v75
	scratch_store_b64 off, v[68:69], off offset:56
.LBB31_245:
	s_wait_xcnt 0x0
	s_or_b32 exec_lo, exec_lo, s9
	scratch_load_b64 v[68:69], off, off offset:48
	v_cmp_lt_u32_e64 s0, 6, v0
	s_wait_loadcnt 0x0
	ds_store_b64 v1, v[68:69]
	s_wait_storecnt_dscnt 0x0
	s_barrier_signal -1
	s_barrier_wait -1
	s_wait_xcnt 0x0
	s_and_saveexec_b32 s8, s0
	s_cbranch_execz .LBB31_255
; %bb.246:
	s_and_not1_b32 vcc_lo, exec_lo, s3
	s_cbranch_vccnz .LBB31_248
; %bb.247:
	scratch_load_b64 v[68:69], v47, off
	ds_load_b64 v[70:71], v1
	s_wait_loadcnt_dscnt 0x0
	v_pk_mul_f32 v[72:73], v[70:71], v[68:69] op_sel:[1,1] op_sel_hi:[0,1]
	s_delay_alu instid0(VALU_DEP_1) | instskip(SKIP_1) | instid1(VALU_DEP_2)
	v_pk_fma_f32 v[74:75], v[70:71], v[68:69], v[72:73] op_sel_hi:[1,0,1]
	v_pk_fma_f32 v[68:69], v[70:71], v[68:69], v[72:73] neg_lo:[0,0,1] neg_hi:[0,0,1]
	v_mov_b32_e32 v69, v75
	s_cbranch_execz .LBB31_249
	s_branch .LBB31_250
.LBB31_248:
                                        ; implicit-def: $vgpr68_vgpr69
.LBB31_249:
	ds_load_b64 v[68:69], v1
.LBB31_250:
	s_and_saveexec_b32 s9, s1
	s_cbranch_execz .LBB31_254
; %bb.251:
	v_add_nc_u32_e32 v70, -7, v0
	s_mov_b32 s1, 56
	s_movk_i32 s11, 0x138
	s_mov_b32 s10, 0
.LBB31_252:                             ; =>This Inner Loop Header: Depth=1
	scratch_load_b64 v[72:73], off, s1
	v_dual_mov_b32 v71, s11 :: v_dual_add_nc_u32 v70, -1, v70
	s_add_co_i32 s11, s11, 8
	s_wait_xcnt 0x0
	s_add_co_i32 s1, s1, 8
	ds_load_b64 v[74:75], v71
	v_cmp_eq_u32_e32 vcc_lo, 0, v70
	s_or_b32 s10, vcc_lo, s10
	s_wait_loadcnt_dscnt 0x0
	v_pk_mul_f32 v[76:77], v[74:75], v[72:73] op_sel:[1,1] op_sel_hi:[0,1]
	s_delay_alu instid0(VALU_DEP_1) | instskip(SKIP_1) | instid1(VALU_DEP_2)
	v_pk_fma_f32 v[78:79], v[74:75], v[72:73], v[76:77] op_sel_hi:[1,0,1]
	v_pk_fma_f32 v[72:73], v[74:75], v[72:73], v[76:77] neg_lo:[0,0,1] neg_hi:[0,0,1]
	v_mov_b32_e32 v73, v79
	s_delay_alu instid0(VALU_DEP_1)
	v_pk_add_f32 v[68:69], v[68:69], v[72:73]
	s_and_not1_b32 exec_lo, exec_lo, s10
	s_cbranch_execnz .LBB31_252
; %bb.253:
	s_or_b32 exec_lo, exec_lo, s10
.LBB31_254:
	s_delay_alu instid0(SALU_CYCLE_1) | instskip(SKIP_4) | instid1(VALU_DEP_1)
	s_or_b32 exec_lo, exec_lo, s9
	v_mov_b32_e32 v70, 0
	ds_load_b64 v[70:71], v70 offset:48
	s_wait_dscnt 0x0
	v_pk_mul_f32 v[72:73], v[68:69], v[70:71] op_sel:[1,1] op_sel_hi:[0,1]
	v_pk_fma_f32 v[74:75], v[68:69], v[70:71], v[72:73] op_sel_hi:[1,0,1]
	v_pk_fma_f32 v[68:69], v[68:69], v[70:71], v[72:73] neg_lo:[0,0,1] neg_hi:[0,0,1]
	s_delay_alu instid0(VALU_DEP_2)
	v_mov_b32_e32 v69, v75
	scratch_store_b64 off, v[68:69], off offset:48
.LBB31_255:
	s_wait_xcnt 0x0
	s_or_b32 exec_lo, exec_lo, s8
	scratch_load_b64 v[68:69], off, off offset:40
	v_cmp_lt_u32_e64 s1, 5, v0
	s_wait_loadcnt 0x0
	ds_store_b64 v1, v[68:69]
	s_wait_storecnt_dscnt 0x0
	s_barrier_signal -1
	s_barrier_wait -1
	s_wait_xcnt 0x0
	s_and_saveexec_b32 s8, s1
	s_cbranch_execz .LBB31_265
; %bb.256:
	s_and_not1_b32 vcc_lo, exec_lo, s3
	s_cbranch_vccnz .LBB31_258
; %bb.257:
	scratch_load_b64 v[68:69], v47, off
	ds_load_b64 v[70:71], v1
	s_wait_loadcnt_dscnt 0x0
	v_pk_mul_f32 v[72:73], v[70:71], v[68:69] op_sel:[1,1] op_sel_hi:[0,1]
	s_delay_alu instid0(VALU_DEP_1) | instskip(SKIP_1) | instid1(VALU_DEP_2)
	v_pk_fma_f32 v[74:75], v[70:71], v[68:69], v[72:73] op_sel_hi:[1,0,1]
	v_pk_fma_f32 v[68:69], v[70:71], v[68:69], v[72:73] neg_lo:[0,0,1] neg_hi:[0,0,1]
	v_mov_b32_e32 v69, v75
	s_cbranch_execz .LBB31_259
	s_branch .LBB31_260
.LBB31_258:
                                        ; implicit-def: $vgpr68_vgpr69
.LBB31_259:
	ds_load_b64 v[68:69], v1
.LBB31_260:
	s_and_saveexec_b32 s9, s0
	s_cbranch_execz .LBB31_264
; %bb.261:
	v_add_nc_u32_e32 v70, -6, v0
	s_movk_i32 s10, 0x130
	s_mov_b32 s0, 0
.LBB31_262:                             ; =>This Inner Loop Header: Depth=1
	scratch_load_b64 v[72:73], off, s2
	v_dual_mov_b32 v71, s10 :: v_dual_add_nc_u32 v70, -1, v70
	s_add_co_i32 s10, s10, 8
	s_wait_xcnt 0x0
	s_add_co_i32 s2, s2, 8
	ds_load_b64 v[74:75], v71
	v_cmp_eq_u32_e32 vcc_lo, 0, v70
	s_or_b32 s0, vcc_lo, s0
	s_wait_loadcnt_dscnt 0x0
	v_pk_mul_f32 v[76:77], v[74:75], v[72:73] op_sel:[1,1] op_sel_hi:[0,1]
	s_delay_alu instid0(VALU_DEP_1) | instskip(SKIP_1) | instid1(VALU_DEP_2)
	v_pk_fma_f32 v[78:79], v[74:75], v[72:73], v[76:77] op_sel_hi:[1,0,1]
	v_pk_fma_f32 v[72:73], v[74:75], v[72:73], v[76:77] neg_lo:[0,0,1] neg_hi:[0,0,1]
	v_mov_b32_e32 v73, v79
	s_delay_alu instid0(VALU_DEP_1)
	v_pk_add_f32 v[68:69], v[68:69], v[72:73]
	s_and_not1_b32 exec_lo, exec_lo, s0
	s_cbranch_execnz .LBB31_262
; %bb.263:
	s_or_b32 exec_lo, exec_lo, s0
.LBB31_264:
	s_delay_alu instid0(SALU_CYCLE_1) | instskip(SKIP_4) | instid1(VALU_DEP_1)
	s_or_b32 exec_lo, exec_lo, s9
	v_mov_b32_e32 v70, 0
	ds_load_b64 v[70:71], v70 offset:40
	s_wait_dscnt 0x0
	v_pk_mul_f32 v[72:73], v[68:69], v[70:71] op_sel:[1,1] op_sel_hi:[0,1]
	v_pk_fma_f32 v[74:75], v[68:69], v[70:71], v[72:73] op_sel_hi:[1,0,1]
	v_pk_fma_f32 v[68:69], v[68:69], v[70:71], v[72:73] neg_lo:[0,0,1] neg_hi:[0,0,1]
	s_delay_alu instid0(VALU_DEP_2)
	v_mov_b32_e32 v69, v75
	scratch_store_b64 off, v[68:69], off offset:40
.LBB31_265:
	s_wait_xcnt 0x0
	s_or_b32 exec_lo, exec_lo, s8
	scratch_load_b64 v[68:69], off, off offset:32
	v_cmp_lt_u32_e64 s0, 4, v0
	s_wait_loadcnt 0x0
	ds_store_b64 v1, v[68:69]
	s_wait_storecnt_dscnt 0x0
	s_barrier_signal -1
	s_barrier_wait -1
	s_wait_xcnt 0x0
	s_and_saveexec_b32 s2, s0
	s_cbranch_execz .LBB31_275
; %bb.266:
	s_and_not1_b32 vcc_lo, exec_lo, s3
	s_cbranch_vccnz .LBB31_268
; %bb.267:
	scratch_load_b64 v[68:69], v47, off
	ds_load_b64 v[70:71], v1
	s_wait_loadcnt_dscnt 0x0
	v_pk_mul_f32 v[72:73], v[70:71], v[68:69] op_sel:[1,1] op_sel_hi:[0,1]
	s_delay_alu instid0(VALU_DEP_1) | instskip(SKIP_1) | instid1(VALU_DEP_2)
	v_pk_fma_f32 v[74:75], v[70:71], v[68:69], v[72:73] op_sel_hi:[1,0,1]
	v_pk_fma_f32 v[68:69], v[70:71], v[68:69], v[72:73] neg_lo:[0,0,1] neg_hi:[0,0,1]
	v_mov_b32_e32 v69, v75
	s_cbranch_execz .LBB31_269
	s_branch .LBB31_270
.LBB31_268:
                                        ; implicit-def: $vgpr68_vgpr69
.LBB31_269:
	ds_load_b64 v[68:69], v1
.LBB31_270:
	s_and_saveexec_b32 s8, s1
	s_cbranch_execz .LBB31_274
; %bb.271:
	v_add_nc_u32_e32 v70, -5, v0
	s_mov_b32 s1, 40
	s_movk_i32 s10, 0x128
	s_mov_b32 s9, 0
.LBB31_272:                             ; =>This Inner Loop Header: Depth=1
	scratch_load_b64 v[72:73], off, s1
	v_dual_mov_b32 v71, s10 :: v_dual_add_nc_u32 v70, -1, v70
	s_add_co_i32 s10, s10, 8
	s_wait_xcnt 0x0
	s_add_co_i32 s1, s1, 8
	ds_load_b64 v[74:75], v71
	v_cmp_eq_u32_e32 vcc_lo, 0, v70
	s_or_b32 s9, vcc_lo, s9
	s_wait_loadcnt_dscnt 0x0
	v_pk_mul_f32 v[76:77], v[74:75], v[72:73] op_sel:[1,1] op_sel_hi:[0,1]
	s_delay_alu instid0(VALU_DEP_1) | instskip(SKIP_1) | instid1(VALU_DEP_2)
	v_pk_fma_f32 v[78:79], v[74:75], v[72:73], v[76:77] op_sel_hi:[1,0,1]
	v_pk_fma_f32 v[72:73], v[74:75], v[72:73], v[76:77] neg_lo:[0,0,1] neg_hi:[0,0,1]
	v_mov_b32_e32 v73, v79
	s_delay_alu instid0(VALU_DEP_1)
	v_pk_add_f32 v[68:69], v[68:69], v[72:73]
	s_and_not1_b32 exec_lo, exec_lo, s9
	s_cbranch_execnz .LBB31_272
; %bb.273:
	s_or_b32 exec_lo, exec_lo, s9
.LBB31_274:
	s_delay_alu instid0(SALU_CYCLE_1) | instskip(SKIP_4) | instid1(VALU_DEP_1)
	s_or_b32 exec_lo, exec_lo, s8
	v_mov_b32_e32 v70, 0
	ds_load_b64 v[70:71], v70 offset:32
	s_wait_dscnt 0x0
	v_pk_mul_f32 v[72:73], v[68:69], v[70:71] op_sel:[1,1] op_sel_hi:[0,1]
	v_pk_fma_f32 v[74:75], v[68:69], v[70:71], v[72:73] op_sel_hi:[1,0,1]
	v_pk_fma_f32 v[68:69], v[68:69], v[70:71], v[72:73] neg_lo:[0,0,1] neg_hi:[0,0,1]
	s_delay_alu instid0(VALU_DEP_2)
	v_mov_b32_e32 v69, v75
	scratch_store_b64 off, v[68:69], off offset:32
.LBB31_275:
	s_wait_xcnt 0x0
	s_or_b32 exec_lo, exec_lo, s2
	scratch_load_b64 v[68:69], off, off offset:24
	v_cmp_lt_u32_e64 s2, 3, v0
	s_wait_loadcnt 0x0
	ds_store_b64 v1, v[68:69]
	s_wait_storecnt_dscnt 0x0
	s_barrier_signal -1
	s_barrier_wait -1
	s_wait_xcnt 0x0
	s_and_saveexec_b32 s1, s2
	s_cbranch_execz .LBB31_285
; %bb.276:
	s_and_not1_b32 vcc_lo, exec_lo, s3
	s_cbranch_vccnz .LBB31_278
; %bb.277:
	scratch_load_b64 v[68:69], v47, off
	ds_load_b64 v[70:71], v1
	s_wait_loadcnt_dscnt 0x0
	v_pk_mul_f32 v[72:73], v[70:71], v[68:69] op_sel:[1,1] op_sel_hi:[0,1]
	s_delay_alu instid0(VALU_DEP_1) | instskip(SKIP_1) | instid1(VALU_DEP_2)
	v_pk_fma_f32 v[74:75], v[70:71], v[68:69], v[72:73] op_sel_hi:[1,0,1]
	v_pk_fma_f32 v[68:69], v[70:71], v[68:69], v[72:73] neg_lo:[0,0,1] neg_hi:[0,0,1]
	v_mov_b32_e32 v69, v75
	s_cbranch_execz .LBB31_279
	s_branch .LBB31_280
.LBB31_278:
                                        ; implicit-def: $vgpr68_vgpr69
.LBB31_279:
	ds_load_b64 v[68:69], v1
.LBB31_280:
	s_and_saveexec_b32 s8, s0
	s_cbranch_execz .LBB31_284
; %bb.281:
	v_add_nc_u32_e32 v70, -4, v0
	s_movk_i32 s9, 0x120
	s_mov_b32 s0, 0
.LBB31_282:                             ; =>This Inner Loop Header: Depth=1
	scratch_load_b64 v[72:73], off, s5
	v_dual_mov_b32 v71, s9 :: v_dual_add_nc_u32 v70, -1, v70
	s_add_co_i32 s9, s9, 8
	s_wait_xcnt 0x0
	s_add_co_i32 s5, s5, 8
	ds_load_b64 v[74:75], v71
	v_cmp_eq_u32_e32 vcc_lo, 0, v70
	s_or_b32 s0, vcc_lo, s0
	s_wait_loadcnt_dscnt 0x0
	v_pk_mul_f32 v[76:77], v[74:75], v[72:73] op_sel:[1,1] op_sel_hi:[0,1]
	s_delay_alu instid0(VALU_DEP_1) | instskip(SKIP_1) | instid1(VALU_DEP_2)
	v_pk_fma_f32 v[78:79], v[74:75], v[72:73], v[76:77] op_sel_hi:[1,0,1]
	v_pk_fma_f32 v[72:73], v[74:75], v[72:73], v[76:77] neg_lo:[0,0,1] neg_hi:[0,0,1]
	v_mov_b32_e32 v73, v79
	s_delay_alu instid0(VALU_DEP_1)
	v_pk_add_f32 v[68:69], v[68:69], v[72:73]
	s_and_not1_b32 exec_lo, exec_lo, s0
	s_cbranch_execnz .LBB31_282
; %bb.283:
	s_or_b32 exec_lo, exec_lo, s0
.LBB31_284:
	s_delay_alu instid0(SALU_CYCLE_1) | instskip(SKIP_4) | instid1(VALU_DEP_1)
	s_or_b32 exec_lo, exec_lo, s8
	v_mov_b32_e32 v70, 0
	ds_load_b64 v[70:71], v70 offset:24
	s_wait_dscnt 0x0
	v_pk_mul_f32 v[72:73], v[68:69], v[70:71] op_sel:[1,1] op_sel_hi:[0,1]
	v_pk_fma_f32 v[74:75], v[68:69], v[70:71], v[72:73] op_sel_hi:[1,0,1]
	v_pk_fma_f32 v[68:69], v[68:69], v[70:71], v[72:73] neg_lo:[0,0,1] neg_hi:[0,0,1]
	s_delay_alu instid0(VALU_DEP_2)
	v_mov_b32_e32 v69, v75
	scratch_store_b64 off, v[68:69], off offset:24
.LBB31_285:
	s_wait_xcnt 0x0
	s_or_b32 exec_lo, exec_lo, s1
	scratch_load_b64 v[68:69], off, off offset:16
	v_cmp_lt_u32_e64 s1, 2, v0
	s_wait_loadcnt 0x0
	ds_store_b64 v1, v[68:69]
	s_wait_storecnt_dscnt 0x0
	s_barrier_signal -1
	s_barrier_wait -1
	s_wait_xcnt 0x0
	s_and_saveexec_b32 s0, s1
	s_cbranch_execz .LBB31_295
; %bb.286:
	s_and_not1_b32 vcc_lo, exec_lo, s3
	s_cbranch_vccnz .LBB31_288
; %bb.287:
	scratch_load_b64 v[68:69], v47, off
	ds_load_b64 v[70:71], v1
	s_wait_loadcnt_dscnt 0x0
	v_pk_mul_f32 v[72:73], v[70:71], v[68:69] op_sel:[1,1] op_sel_hi:[0,1]
	s_delay_alu instid0(VALU_DEP_1) | instskip(SKIP_1) | instid1(VALU_DEP_2)
	v_pk_fma_f32 v[74:75], v[70:71], v[68:69], v[72:73] op_sel_hi:[1,0,1]
	v_pk_fma_f32 v[68:69], v[70:71], v[68:69], v[72:73] neg_lo:[0,0,1] neg_hi:[0,0,1]
	v_mov_b32_e32 v69, v75
	s_cbranch_execz .LBB31_289
	s_branch .LBB31_290
.LBB31_288:
                                        ; implicit-def: $vgpr68_vgpr69
.LBB31_289:
	ds_load_b64 v[68:69], v1
.LBB31_290:
	s_and_saveexec_b32 s5, s2
	s_cbranch_execz .LBB31_294
; %bb.291:
	v_add_nc_u32_e32 v70, -3, v0
	s_mov_b32 s2, 24
	s_movk_i32 s9, 0x118
	s_mov_b32 s8, 0
.LBB31_292:                             ; =>This Inner Loop Header: Depth=1
	scratch_load_b64 v[72:73], off, s2
	v_dual_mov_b32 v71, s9 :: v_dual_add_nc_u32 v70, -1, v70
	s_add_co_i32 s9, s9, 8
	s_wait_xcnt 0x0
	s_add_co_i32 s2, s2, 8
	ds_load_b64 v[74:75], v71
	v_cmp_eq_u32_e32 vcc_lo, 0, v70
	s_or_b32 s8, vcc_lo, s8
	s_wait_loadcnt_dscnt 0x0
	v_pk_mul_f32 v[76:77], v[74:75], v[72:73] op_sel:[1,1] op_sel_hi:[0,1]
	s_delay_alu instid0(VALU_DEP_1) | instskip(SKIP_1) | instid1(VALU_DEP_2)
	v_pk_fma_f32 v[78:79], v[74:75], v[72:73], v[76:77] op_sel_hi:[1,0,1]
	v_pk_fma_f32 v[72:73], v[74:75], v[72:73], v[76:77] neg_lo:[0,0,1] neg_hi:[0,0,1]
	v_mov_b32_e32 v73, v79
	s_delay_alu instid0(VALU_DEP_1)
	v_pk_add_f32 v[68:69], v[68:69], v[72:73]
	s_and_not1_b32 exec_lo, exec_lo, s8
	s_cbranch_execnz .LBB31_292
; %bb.293:
	s_or_b32 exec_lo, exec_lo, s8
.LBB31_294:
	s_delay_alu instid0(SALU_CYCLE_1) | instskip(SKIP_4) | instid1(VALU_DEP_1)
	s_or_b32 exec_lo, exec_lo, s5
	v_mov_b32_e32 v70, 0
	ds_load_b64 v[70:71], v70 offset:16
	s_wait_dscnt 0x0
	v_pk_mul_f32 v[72:73], v[68:69], v[70:71] op_sel:[1,1] op_sel_hi:[0,1]
	v_pk_fma_f32 v[74:75], v[68:69], v[70:71], v[72:73] op_sel_hi:[1,0,1]
	v_pk_fma_f32 v[68:69], v[68:69], v[70:71], v[72:73] neg_lo:[0,0,1] neg_hi:[0,0,1]
	s_delay_alu instid0(VALU_DEP_2)
	v_mov_b32_e32 v69, v75
	scratch_store_b64 off, v[68:69], off offset:16
.LBB31_295:
	s_wait_xcnt 0x0
	s_or_b32 exec_lo, exec_lo, s0
	scratch_load_b64 v[68:69], off, off offset:8
	v_cmp_lt_u32_e64 s0, 1, v0
	s_wait_loadcnt 0x0
	ds_store_b64 v1, v[68:69]
	s_wait_storecnt_dscnt 0x0
	s_barrier_signal -1
	s_barrier_wait -1
	s_wait_xcnt 0x0
	s_and_saveexec_b32 s2, s0
	s_cbranch_execz .LBB31_305
; %bb.296:
	s_and_not1_b32 vcc_lo, exec_lo, s3
	s_cbranch_vccnz .LBB31_298
; %bb.297:
	scratch_load_b64 v[68:69], v47, off
	ds_load_b64 v[70:71], v1
	s_wait_loadcnt_dscnt 0x0
	v_pk_mul_f32 v[72:73], v[70:71], v[68:69] op_sel:[1,1] op_sel_hi:[0,1]
	s_delay_alu instid0(VALU_DEP_1) | instskip(SKIP_1) | instid1(VALU_DEP_2)
	v_pk_fma_f32 v[74:75], v[70:71], v[68:69], v[72:73] op_sel_hi:[1,0,1]
	v_pk_fma_f32 v[68:69], v[70:71], v[68:69], v[72:73] neg_lo:[0,0,1] neg_hi:[0,0,1]
	v_mov_b32_e32 v69, v75
	s_cbranch_execz .LBB31_299
	s_branch .LBB31_300
.LBB31_298:
                                        ; implicit-def: $vgpr68_vgpr69
.LBB31_299:
	ds_load_b64 v[68:69], v1
.LBB31_300:
	s_and_saveexec_b32 s5, s1
	s_cbranch_execz .LBB31_304
; %bb.301:
	v_add_nc_u32_e32 v70, -2, v0
	s_movk_i32 s8, 0x110
	s_mov_b32 s1, 0
.LBB31_302:                             ; =>This Inner Loop Header: Depth=1
	scratch_load_b64 v[72:73], off, s4
	v_dual_mov_b32 v71, s8 :: v_dual_add_nc_u32 v70, -1, v70
	s_add_co_i32 s8, s8, 8
	s_wait_xcnt 0x0
	s_add_co_i32 s4, s4, 8
	ds_load_b64 v[74:75], v71
	v_cmp_eq_u32_e32 vcc_lo, 0, v70
	s_or_b32 s1, vcc_lo, s1
	s_wait_loadcnt_dscnt 0x0
	v_pk_mul_f32 v[76:77], v[74:75], v[72:73] op_sel:[1,1] op_sel_hi:[0,1]
	s_delay_alu instid0(VALU_DEP_1) | instskip(SKIP_1) | instid1(VALU_DEP_2)
	v_pk_fma_f32 v[78:79], v[74:75], v[72:73], v[76:77] op_sel_hi:[1,0,1]
	v_pk_fma_f32 v[72:73], v[74:75], v[72:73], v[76:77] neg_lo:[0,0,1] neg_hi:[0,0,1]
	v_mov_b32_e32 v73, v79
	s_delay_alu instid0(VALU_DEP_1)
	v_pk_add_f32 v[68:69], v[68:69], v[72:73]
	s_and_not1_b32 exec_lo, exec_lo, s1
	s_cbranch_execnz .LBB31_302
; %bb.303:
	s_or_b32 exec_lo, exec_lo, s1
.LBB31_304:
	s_delay_alu instid0(SALU_CYCLE_1) | instskip(SKIP_4) | instid1(VALU_DEP_1)
	s_or_b32 exec_lo, exec_lo, s5
	v_mov_b32_e32 v70, 0
	ds_load_b64 v[70:71], v70 offset:8
	s_wait_dscnt 0x0
	v_pk_mul_f32 v[72:73], v[68:69], v[70:71] op_sel:[1,1] op_sel_hi:[0,1]
	v_pk_fma_f32 v[74:75], v[68:69], v[70:71], v[72:73] op_sel_hi:[1,0,1]
	v_pk_fma_f32 v[68:69], v[68:69], v[70:71], v[72:73] neg_lo:[0,0,1] neg_hi:[0,0,1]
	s_delay_alu instid0(VALU_DEP_2)
	v_mov_b32_e32 v69, v75
	scratch_store_b64 off, v[68:69], off offset:8
.LBB31_305:
	s_wait_xcnt 0x0
	s_or_b32 exec_lo, exec_lo, s2
	scratch_load_b64 v[68:69], off, off
	s_mov_b32 s2, 0
	s_mov_b32 s1, 0
	s_mov_b32 s5, exec_lo
                                        ; implicit-def: $vgpr84
                                        ; implicit-def: $sgpr4
	s_wait_loadcnt 0x0
	ds_store_b64 v1, v[68:69]
	s_wait_storecnt_dscnt 0x0
	s_barrier_signal -1
	s_barrier_wait -1
	s_wait_xcnt 0x0
	v_cmpx_ne_u32_e32 0, v0
	s_cbranch_execz .LBB31_315
; %bb.306:
	s_and_not1_b32 vcc_lo, exec_lo, s3
	s_cbranch_vccnz .LBB31_308
; %bb.307:
	scratch_load_b64 v[70:71], v47, off
	ds_load_b64 v[72:73], v1
	s_wait_loadcnt_dscnt 0x0
	v_dual_mul_f32 v68, v73, v71 :: v_dual_mul_f32 v69, v72, v71
	s_delay_alu instid0(VALU_DEP_1)
	v_dual_fma_f32 v68, v72, v70, -v68 :: v_dual_fmac_f32 v69, v73, v70
	s_and_not1_b32 vcc_lo, exec_lo, s1
	s_cbranch_vccz .LBB31_309
	s_branch .LBB31_310
.LBB31_308:
                                        ; implicit-def: $vgpr68
.LBB31_309:
	ds_load_b64 v[68:69], v1
.LBB31_310:
	s_and_saveexec_b32 s1, s0
	s_cbranch_execz .LBB31_314
; %bb.311:
	v_add_nc_u32_e32 v70, -1, v0
	s_or_b32 s0, 0, 8
	s_movk_i32 s8, 0x108
	s_mov_b32 s4, 0
.LBB31_312:                             ; =>This Inner Loop Header: Depth=1
	scratch_load_b64 v[72:73], off, s0
	v_mov_b32_e32 v71, s8
	s_add_co_i32 s8, s8, 8
	s_wait_xcnt 0x0
	s_add_co_i32 s0, s0, 8
	v_add_nc_u32_e32 v70, -1, v70
	ds_load_b64 v[74:75], v71
	v_cmp_eq_u32_e32 vcc_lo, 0, v70
	s_or_b32 s4, vcc_lo, s4
	s_wait_loadcnt_dscnt 0x0
	v_dual_mul_f32 v71, v75, v73 :: v_dual_mul_f32 v73, v74, v73
	s_delay_alu instid0(VALU_DEP_1) | instskip(NEXT) | instid1(VALU_DEP_1)
	v_dual_fma_f32 v71, v74, v72, -v71 :: v_dual_fmac_f32 v73, v75, v72
	v_dual_add_f32 v68, v68, v71 :: v_dual_add_f32 v69, v69, v73
	s_and_not1_b32 exec_lo, exec_lo, s4
	s_cbranch_execnz .LBB31_312
; %bb.313:
	s_or_b32 exec_lo, exec_lo, s4
.LBB31_314:
	s_delay_alu instid0(SALU_CYCLE_1)
	s_or_b32 exec_lo, exec_lo, s1
	v_mov_b32_e32 v70, 0
	s_mov_b32 s1, exec_lo
	s_or_b32 s4, 0, 4
	ds_load_b64 v[70:71], v70
	s_wait_dscnt 0x0
	v_dual_mul_f32 v72, v69, v71 :: v_dual_mul_f32 v84, v68, v71
	s_delay_alu instid0(VALU_DEP_1) | instskip(NEXT) | instid1(VALU_DEP_2)
	v_fma_f32 v68, v68, v70, -v72
	v_fmac_f32_e32 v84, v69, v70
	scratch_store_b32 off, v68, off
.LBB31_315:
	s_wait_xcnt 0x0
	s_or_b32 exec_lo, exec_lo, s5
	s_delay_alu instid0(SALU_CYCLE_1)
	s_and_b32 vcc_lo, exec_lo, s2
	s_cbranch_vccz .LBB31_621
.LBB31_316:
	scratch_load_b64 v[68:69], off, off offset:8
	v_cmp_eq_u32_e64 s0, 0, v0
	s_wait_loadcnt 0x0
	ds_store_b64 v1, v[68:69]
	s_wait_storecnt_dscnt 0x0
	s_barrier_signal -1
	s_barrier_wait -1
	s_wait_xcnt 0x0
	s_and_saveexec_b32 s2, s0
	s_cbranch_execz .LBB31_322
; %bb.317:
	s_and_b32 vcc_lo, exec_lo, s3
	s_cbranch_vccz .LBB31_319
; %bb.318:
	scratch_load_b64 v[68:69], v47, off
	ds_load_b64 v[70:71], v1
	s_wait_loadcnt_dscnt 0x0
	v_pk_mul_f32 v[72:73], v[70:71], v[68:69] op_sel:[1,1] op_sel_hi:[0,1]
	v_pk_mul_f32 v[74:75], v[70:71], v[68:69] op_sel_hi:[1,0]
	s_delay_alu instid0(VALU_DEP_2) | instskip(NEXT) | instid1(VALU_DEP_2)
	v_pk_fma_f32 v[68:69], v[70:71], v[68:69], v[72:73] op_sel_hi:[1,0,1]
	v_sub_f32_e32 v68, v74, v72
	s_cbranch_execz .LBB31_320
	s_branch .LBB31_321
.LBB31_319:
                                        ; implicit-def: $vgpr69
.LBB31_320:
	ds_load_b64 v[68:69], v1
.LBB31_321:
	s_wait_dscnt 0x0
	v_dual_mov_b32 v70, 0 :: v_dual_mov_b32 v72, v69
	v_mov_b32_e32 v73, v68
	ds_load_b64 v[70:71], v70 offset:8
	s_wait_dscnt 0x0
	v_pk_mul_f32 v[72:73], v[72:73], v[70:71] op_sel:[0,1]
	s_delay_alu instid0(VALU_DEP_1) | instskip(SKIP_1) | instid1(VALU_DEP_2)
	v_pk_fma_f32 v[74:75], v[68:69], v[70:71], v[72:73] op_sel_hi:[1,0,1]
	v_pk_fma_f32 v[68:69], v[68:69], v[70:71], v[72:73] neg_lo:[0,0,1] neg_hi:[0,0,1]
	v_mov_b32_e32 v69, v75
	scratch_store_b64 off, v[68:69], off offset:8
.LBB31_322:
	s_wait_xcnt 0x0
	s_or_b32 exec_lo, exec_lo, s2
	scratch_load_b64 v[68:69], off, off offset:16
	v_cndmask_b32_e64 v70, 0, 1, s3
	s_mov_b32 s2, exec_lo
	s_wait_loadcnt 0x0
	ds_store_b64 v1, v[68:69]
	s_wait_storecnt_dscnt 0x0
	s_barrier_signal -1
	s_barrier_wait -1
	s_wait_xcnt 0x0
	v_cmpx_gt_u32_e32 2, v0
	s_cbranch_execz .LBB31_330
; %bb.323:
	s_and_not1_b32 vcc_lo, exec_lo, s3
	s_cbranch_vccnz .LBB31_325
; %bb.324:
	scratch_load_b64 v[68:69], v47, off
	ds_load_b64 v[72:73], v1
	s_wait_loadcnt_dscnt 0x0
	v_pk_mul_f32 v[74:75], v[72:73], v[68:69] op_sel:[1,1] op_sel_hi:[0,1]
	s_delay_alu instid0(VALU_DEP_1) | instskip(SKIP_1) | instid1(VALU_DEP_2)
	v_pk_fma_f32 v[76:77], v[72:73], v[68:69], v[74:75] op_sel_hi:[1,0,1]
	v_pk_fma_f32 v[68:69], v[72:73], v[68:69], v[74:75] neg_lo:[0,0,1] neg_hi:[0,0,1]
	v_mov_b32_e32 v69, v77
	s_cbranch_execz .LBB31_326
	s_branch .LBB31_327
.LBB31_325:
                                        ; implicit-def: $vgpr68_vgpr69
.LBB31_326:
	ds_load_b64 v[68:69], v1
.LBB31_327:
	s_and_saveexec_b32 s3, s0
	s_cbranch_execz .LBB31_329
; %bb.328:
	scratch_load_b64 v[72:73], off, off offset:8
	v_mov_b32_e32 v71, 0
	ds_load_b64 v[74:75], v71 offset:264
	s_wait_loadcnt_dscnt 0x0
	v_pk_mul_f32 v[76:77], v[74:75], v[72:73] op_sel:[1,1] op_sel_hi:[0,1]
	s_delay_alu instid0(VALU_DEP_1) | instskip(SKIP_1) | instid1(VALU_DEP_2)
	v_pk_fma_f32 v[78:79], v[74:75], v[72:73], v[76:77] op_sel_hi:[1,0,1]
	v_pk_fma_f32 v[72:73], v[74:75], v[72:73], v[76:77] neg_lo:[0,0,1] neg_hi:[0,0,1]
	v_mov_b32_e32 v73, v79
	s_delay_alu instid0(VALU_DEP_1)
	v_pk_add_f32 v[68:69], v[68:69], v[72:73]
.LBB31_329:
	s_or_b32 exec_lo, exec_lo, s3
	v_mov_b32_e32 v71, 0
	ds_load_b64 v[72:73], v71 offset:16
	s_wait_dscnt 0x0
	v_pk_mul_f32 v[74:75], v[68:69], v[72:73] op_sel:[1,1] op_sel_hi:[0,1]
	s_delay_alu instid0(VALU_DEP_1) | instskip(SKIP_1) | instid1(VALU_DEP_2)
	v_pk_fma_f32 v[76:77], v[68:69], v[72:73], v[74:75] op_sel_hi:[1,0,1]
	v_pk_fma_f32 v[68:69], v[68:69], v[72:73], v[74:75] neg_lo:[0,0,1] neg_hi:[0,0,1]
	v_mov_b32_e32 v69, v77
	scratch_store_b64 off, v[68:69], off offset:16
.LBB31_330:
	s_wait_xcnt 0x0
	s_or_b32 exec_lo, exec_lo, s2
	scratch_load_b64 v[68:69], off, off offset:24
	s_mov_b32 s2, exec_lo
	s_wait_loadcnt 0x0
	ds_store_b64 v1, v[68:69]
	s_wait_storecnt_dscnt 0x0
	s_barrier_signal -1
	s_barrier_wait -1
	s_wait_xcnt 0x0
	v_cmpx_gt_u32_e32 3, v0
	s_cbranch_execz .LBB31_340
; %bb.331:
	v_cmp_ne_u32_e32 vcc_lo, 1, v70
	s_cbranch_vccnz .LBB31_333
; %bb.332:
	scratch_load_b64 v[68:69], v47, off
	ds_load_b64 v[72:73], v1
	s_wait_loadcnt_dscnt 0x0
	v_pk_mul_f32 v[74:75], v[72:73], v[68:69] op_sel:[1,1] op_sel_hi:[0,1]
	s_delay_alu instid0(VALU_DEP_1) | instskip(SKIP_1) | instid1(VALU_DEP_2)
	v_pk_fma_f32 v[76:77], v[72:73], v[68:69], v[74:75] op_sel_hi:[1,0,1]
	v_pk_fma_f32 v[68:69], v[72:73], v[68:69], v[74:75] neg_lo:[0,0,1] neg_hi:[0,0,1]
	v_mov_b32_e32 v69, v77
	s_cbranch_execz .LBB31_334
	s_branch .LBB31_335
.LBB31_333:
                                        ; implicit-def: $vgpr68_vgpr69
.LBB31_334:
	ds_load_b64 v[68:69], v1
.LBB31_335:
	s_mov_b32 s3, exec_lo
	v_cmpx_ne_u32_e32 2, v0
	s_cbranch_execz .LBB31_339
; %bb.336:
	scratch_load_b64 v[72:73], v47, off offset:8
	ds_load_b64 v[74:75], v1 offset:8
	s_wait_loadcnt_dscnt 0x0
	v_pk_mul_f32 v[76:77], v[74:75], v[72:73] op_sel:[1,1] op_sel_hi:[0,1]
	s_delay_alu instid0(VALU_DEP_1) | instskip(SKIP_1) | instid1(VALU_DEP_2)
	v_pk_fma_f32 v[78:79], v[74:75], v[72:73], v[76:77] op_sel_hi:[1,0,1]
	v_pk_fma_f32 v[72:73], v[74:75], v[72:73], v[76:77] neg_lo:[0,0,1] neg_hi:[0,0,1]
	v_mov_b32_e32 v73, v79
	s_delay_alu instid0(VALU_DEP_1)
	v_pk_add_f32 v[68:69], v[68:69], v[72:73]
	s_and_saveexec_b32 s4, s0
	s_cbranch_execz .LBB31_338
; %bb.337:
	scratch_load_b64 v[72:73], off, off offset:16
	v_mov_b32_e32 v71, 0
	ds_load_b64 v[74:75], v71 offset:272
	s_wait_loadcnt_dscnt 0x0
	v_pk_mul_f32 v[76:77], v[74:75], v[72:73] op_sel:[1,1] op_sel_hi:[0,1]
	s_delay_alu instid0(VALU_DEP_1) | instskip(SKIP_1) | instid1(VALU_DEP_2)
	v_pk_fma_f32 v[78:79], v[74:75], v[72:73], v[76:77] op_sel_hi:[1,0,1]
	v_pk_fma_f32 v[72:73], v[74:75], v[72:73], v[76:77] neg_lo:[0,0,1] neg_hi:[0,0,1]
	v_mov_b32_e32 v73, v79
	s_delay_alu instid0(VALU_DEP_1)
	v_pk_add_f32 v[68:69], v[68:69], v[72:73]
.LBB31_338:
	s_or_b32 exec_lo, exec_lo, s4
.LBB31_339:
	s_delay_alu instid0(SALU_CYCLE_1) | instskip(SKIP_4) | instid1(VALU_DEP_1)
	s_or_b32 exec_lo, exec_lo, s3
	v_mov_b32_e32 v71, 0
	ds_load_b64 v[72:73], v71 offset:24
	s_wait_dscnt 0x0
	v_pk_mul_f32 v[74:75], v[68:69], v[72:73] op_sel:[1,1] op_sel_hi:[0,1]
	v_pk_fma_f32 v[76:77], v[68:69], v[72:73], v[74:75] op_sel_hi:[1,0,1]
	v_pk_fma_f32 v[68:69], v[68:69], v[72:73], v[74:75] neg_lo:[0,0,1] neg_hi:[0,0,1]
	s_delay_alu instid0(VALU_DEP_2)
	v_mov_b32_e32 v69, v77
	scratch_store_b64 off, v[68:69], off offset:24
.LBB31_340:
	s_wait_xcnt 0x0
	s_or_b32 exec_lo, exec_lo, s2
	scratch_load_b64 v[68:69], off, off offset:32
	s_mov_b32 s0, exec_lo
	s_wait_loadcnt 0x0
	ds_store_b64 v1, v[68:69]
	s_wait_storecnt_dscnt 0x0
	s_barrier_signal -1
	s_barrier_wait -1
	s_wait_xcnt 0x0
	v_cmpx_gt_u32_e32 4, v0
	s_cbranch_execz .LBB31_350
; %bb.341:
	v_cmp_ne_u32_e32 vcc_lo, 1, v70
	s_cbranch_vccnz .LBB31_343
; %bb.342:
	scratch_load_b64 v[68:69], v47, off
	ds_load_b64 v[72:73], v1
	s_wait_loadcnt_dscnt 0x0
	v_pk_mul_f32 v[74:75], v[72:73], v[68:69] op_sel:[1,1] op_sel_hi:[0,1]
	s_delay_alu instid0(VALU_DEP_1) | instskip(SKIP_1) | instid1(VALU_DEP_2)
	v_pk_fma_f32 v[76:77], v[72:73], v[68:69], v[74:75] op_sel_hi:[1,0,1]
	v_pk_fma_f32 v[68:69], v[72:73], v[68:69], v[74:75] neg_lo:[0,0,1] neg_hi:[0,0,1]
	v_mov_b32_e32 v69, v77
	s_cbranch_execz .LBB31_344
	s_branch .LBB31_345
.LBB31_343:
                                        ; implicit-def: $vgpr68_vgpr69
.LBB31_344:
	ds_load_b64 v[68:69], v1
.LBB31_345:
	s_mov_b32 s2, exec_lo
	v_cmpx_ne_u32_e32 3, v0
	s_cbranch_execz .LBB31_349
; %bb.346:
	v_add_nc_u32_e32 v71, 0x108, v46
	v_add3_u32 v72, 0, v46, 8
	v_mov_b32_e32 v73, v0
	s_mov_b32 s3, 0
.LBB31_347:                             ; =>This Inner Loop Header: Depth=1
	scratch_load_b64 v[74:75], v72, off
	ds_load_b64 v[76:77], v71
	s_wait_xcnt 0x0
	v_dual_add_nc_u32 v71, 8, v71 :: v_dual_add_nc_u32 v72, 8, v72
	s_wait_loadcnt_dscnt 0x0
	v_pk_mul_f32 v[78:79], v[76:77], v[74:75] op_sel:[1,1] op_sel_hi:[0,1]
	s_delay_alu instid0(VALU_DEP_1) | instskip(SKIP_2) | instid1(VALU_DEP_3)
	v_pk_fma_f32 v[80:81], v[76:77], v[74:75], v[78:79] op_sel_hi:[1,0,1]
	v_add_nc_u32_e32 v73, 1, v73
	v_pk_fma_f32 v[74:75], v[76:77], v[74:75], v[78:79] neg_lo:[0,0,1] neg_hi:[0,0,1]
	v_mov_b32_e32 v75, v81
	s_delay_alu instid0(VALU_DEP_3) | instskip(NEXT) | instid1(VALU_DEP_2)
	v_cmp_lt_u32_e32 vcc_lo, 2, v73
	v_pk_add_f32 v[68:69], v[68:69], v[74:75]
	s_or_b32 s3, vcc_lo, s3
	s_delay_alu instid0(SALU_CYCLE_1)
	s_and_not1_b32 exec_lo, exec_lo, s3
	s_cbranch_execnz .LBB31_347
; %bb.348:
	s_or_b32 exec_lo, exec_lo, s3
.LBB31_349:
	s_delay_alu instid0(SALU_CYCLE_1) | instskip(SKIP_4) | instid1(VALU_DEP_1)
	s_or_b32 exec_lo, exec_lo, s2
	v_mov_b32_e32 v71, 0
	ds_load_b64 v[72:73], v71 offset:32
	s_wait_dscnt 0x0
	v_pk_mul_f32 v[74:75], v[68:69], v[72:73] op_sel:[1,1] op_sel_hi:[0,1]
	v_pk_fma_f32 v[76:77], v[68:69], v[72:73], v[74:75] op_sel_hi:[1,0,1]
	v_pk_fma_f32 v[68:69], v[68:69], v[72:73], v[74:75] neg_lo:[0,0,1] neg_hi:[0,0,1]
	s_delay_alu instid0(VALU_DEP_2)
	v_mov_b32_e32 v69, v77
	scratch_store_b64 off, v[68:69], off offset:32
.LBB31_350:
	s_wait_xcnt 0x0
	s_or_b32 exec_lo, exec_lo, s0
	scratch_load_b64 v[68:69], off, off offset:40
	s_mov_b32 s0, exec_lo
	s_wait_loadcnt 0x0
	ds_store_b64 v1, v[68:69]
	s_wait_storecnt_dscnt 0x0
	s_barrier_signal -1
	s_barrier_wait -1
	s_wait_xcnt 0x0
	v_cmpx_gt_u32_e32 5, v0
	s_cbranch_execz .LBB31_360
; %bb.351:
	v_cmp_ne_u32_e32 vcc_lo, 1, v70
	s_cbranch_vccnz .LBB31_353
; %bb.352:
	scratch_load_b64 v[68:69], v47, off
	ds_load_b64 v[72:73], v1
	s_wait_loadcnt_dscnt 0x0
	v_pk_mul_f32 v[74:75], v[72:73], v[68:69] op_sel:[1,1] op_sel_hi:[0,1]
	s_delay_alu instid0(VALU_DEP_1) | instskip(SKIP_1) | instid1(VALU_DEP_2)
	v_pk_fma_f32 v[76:77], v[72:73], v[68:69], v[74:75] op_sel_hi:[1,0,1]
	v_pk_fma_f32 v[68:69], v[72:73], v[68:69], v[74:75] neg_lo:[0,0,1] neg_hi:[0,0,1]
	v_mov_b32_e32 v69, v77
	s_cbranch_execz .LBB31_354
	s_branch .LBB31_355
.LBB31_353:
                                        ; implicit-def: $vgpr68_vgpr69
.LBB31_354:
	ds_load_b64 v[68:69], v1
.LBB31_355:
	s_mov_b32 s2, exec_lo
	v_cmpx_ne_u32_e32 4, v0
	s_cbranch_execz .LBB31_359
; %bb.356:
	v_add_nc_u32_e32 v71, 0x108, v46
	v_add3_u32 v72, 0, v46, 8
	v_mov_b32_e32 v73, v0
	s_mov_b32 s3, 0
.LBB31_357:                             ; =>This Inner Loop Header: Depth=1
	scratch_load_b64 v[74:75], v72, off
	ds_load_b64 v[76:77], v71
	s_wait_xcnt 0x0
	v_dual_add_nc_u32 v71, 8, v71 :: v_dual_add_nc_u32 v72, 8, v72
	s_wait_loadcnt_dscnt 0x0
	v_pk_mul_f32 v[78:79], v[76:77], v[74:75] op_sel:[1,1] op_sel_hi:[0,1]
	s_delay_alu instid0(VALU_DEP_1) | instskip(SKIP_2) | instid1(VALU_DEP_3)
	v_pk_fma_f32 v[80:81], v[76:77], v[74:75], v[78:79] op_sel_hi:[1,0,1]
	v_add_nc_u32_e32 v73, 1, v73
	v_pk_fma_f32 v[74:75], v[76:77], v[74:75], v[78:79] neg_lo:[0,0,1] neg_hi:[0,0,1]
	v_mov_b32_e32 v75, v81
	s_delay_alu instid0(VALU_DEP_3) | instskip(NEXT) | instid1(VALU_DEP_2)
	v_cmp_lt_u32_e32 vcc_lo, 3, v73
	v_pk_add_f32 v[68:69], v[68:69], v[74:75]
	s_or_b32 s3, vcc_lo, s3
	s_delay_alu instid0(SALU_CYCLE_1)
	s_and_not1_b32 exec_lo, exec_lo, s3
	s_cbranch_execnz .LBB31_357
; %bb.358:
	s_or_b32 exec_lo, exec_lo, s3
.LBB31_359:
	s_delay_alu instid0(SALU_CYCLE_1) | instskip(SKIP_4) | instid1(VALU_DEP_1)
	s_or_b32 exec_lo, exec_lo, s2
	v_mov_b32_e32 v71, 0
	ds_load_b64 v[72:73], v71 offset:40
	s_wait_dscnt 0x0
	v_pk_mul_f32 v[74:75], v[68:69], v[72:73] op_sel:[1,1] op_sel_hi:[0,1]
	v_pk_fma_f32 v[76:77], v[68:69], v[72:73], v[74:75] op_sel_hi:[1,0,1]
	v_pk_fma_f32 v[68:69], v[68:69], v[72:73], v[74:75] neg_lo:[0,0,1] neg_hi:[0,0,1]
	s_delay_alu instid0(VALU_DEP_2)
	v_mov_b32_e32 v69, v77
	scratch_store_b64 off, v[68:69], off offset:40
.LBB31_360:
	s_wait_xcnt 0x0
	s_or_b32 exec_lo, exec_lo, s0
	scratch_load_b64 v[68:69], off, off offset:48
	s_mov_b32 s0, exec_lo
	s_wait_loadcnt 0x0
	ds_store_b64 v1, v[68:69]
	s_wait_storecnt_dscnt 0x0
	s_barrier_signal -1
	s_barrier_wait -1
	s_wait_xcnt 0x0
	v_cmpx_gt_u32_e32 6, v0
	s_cbranch_execz .LBB31_370
; %bb.361:
	v_cmp_ne_u32_e32 vcc_lo, 1, v70
	s_cbranch_vccnz .LBB31_363
; %bb.362:
	scratch_load_b64 v[68:69], v47, off
	ds_load_b64 v[72:73], v1
	s_wait_loadcnt_dscnt 0x0
	v_pk_mul_f32 v[74:75], v[72:73], v[68:69] op_sel:[1,1] op_sel_hi:[0,1]
	s_delay_alu instid0(VALU_DEP_1) | instskip(SKIP_1) | instid1(VALU_DEP_2)
	v_pk_fma_f32 v[76:77], v[72:73], v[68:69], v[74:75] op_sel_hi:[1,0,1]
	v_pk_fma_f32 v[68:69], v[72:73], v[68:69], v[74:75] neg_lo:[0,0,1] neg_hi:[0,0,1]
	v_mov_b32_e32 v69, v77
	s_cbranch_execz .LBB31_364
	s_branch .LBB31_365
.LBB31_363:
                                        ; implicit-def: $vgpr68_vgpr69
.LBB31_364:
	ds_load_b64 v[68:69], v1
.LBB31_365:
	s_mov_b32 s2, exec_lo
	v_cmpx_ne_u32_e32 5, v0
	s_cbranch_execz .LBB31_369
; %bb.366:
	v_add_nc_u32_e32 v71, 0x108, v46
	v_add3_u32 v72, 0, v46, 8
	v_mov_b32_e32 v73, v0
	s_mov_b32 s3, 0
.LBB31_367:                             ; =>This Inner Loop Header: Depth=1
	scratch_load_b64 v[74:75], v72, off
	ds_load_b64 v[76:77], v71
	s_wait_xcnt 0x0
	v_dual_add_nc_u32 v71, 8, v71 :: v_dual_add_nc_u32 v72, 8, v72
	s_wait_loadcnt_dscnt 0x0
	v_pk_mul_f32 v[78:79], v[76:77], v[74:75] op_sel:[1,1] op_sel_hi:[0,1]
	s_delay_alu instid0(VALU_DEP_1) | instskip(SKIP_2) | instid1(VALU_DEP_3)
	v_pk_fma_f32 v[80:81], v[76:77], v[74:75], v[78:79] op_sel_hi:[1,0,1]
	v_add_nc_u32_e32 v73, 1, v73
	v_pk_fma_f32 v[74:75], v[76:77], v[74:75], v[78:79] neg_lo:[0,0,1] neg_hi:[0,0,1]
	v_mov_b32_e32 v75, v81
	s_delay_alu instid0(VALU_DEP_3) | instskip(NEXT) | instid1(VALU_DEP_2)
	v_cmp_lt_u32_e32 vcc_lo, 4, v73
	v_pk_add_f32 v[68:69], v[68:69], v[74:75]
	s_or_b32 s3, vcc_lo, s3
	s_delay_alu instid0(SALU_CYCLE_1)
	s_and_not1_b32 exec_lo, exec_lo, s3
	s_cbranch_execnz .LBB31_367
; %bb.368:
	s_or_b32 exec_lo, exec_lo, s3
.LBB31_369:
	s_delay_alu instid0(SALU_CYCLE_1) | instskip(SKIP_4) | instid1(VALU_DEP_1)
	s_or_b32 exec_lo, exec_lo, s2
	v_mov_b32_e32 v71, 0
	ds_load_b64 v[72:73], v71 offset:48
	s_wait_dscnt 0x0
	v_pk_mul_f32 v[74:75], v[68:69], v[72:73] op_sel:[1,1] op_sel_hi:[0,1]
	v_pk_fma_f32 v[76:77], v[68:69], v[72:73], v[74:75] op_sel_hi:[1,0,1]
	v_pk_fma_f32 v[68:69], v[68:69], v[72:73], v[74:75] neg_lo:[0,0,1] neg_hi:[0,0,1]
	s_delay_alu instid0(VALU_DEP_2)
	v_mov_b32_e32 v69, v77
	scratch_store_b64 off, v[68:69], off offset:48
.LBB31_370:
	s_wait_xcnt 0x0
	s_or_b32 exec_lo, exec_lo, s0
	scratch_load_b64 v[68:69], off, off offset:56
	s_mov_b32 s0, exec_lo
	s_wait_loadcnt 0x0
	ds_store_b64 v1, v[68:69]
	s_wait_storecnt_dscnt 0x0
	s_barrier_signal -1
	s_barrier_wait -1
	s_wait_xcnt 0x0
	v_cmpx_gt_u32_e32 7, v0
	s_cbranch_execz .LBB31_380
; %bb.371:
	v_cmp_ne_u32_e32 vcc_lo, 1, v70
	s_cbranch_vccnz .LBB31_373
; %bb.372:
	scratch_load_b64 v[68:69], v47, off
	ds_load_b64 v[72:73], v1
	s_wait_loadcnt_dscnt 0x0
	v_pk_mul_f32 v[74:75], v[72:73], v[68:69] op_sel:[1,1] op_sel_hi:[0,1]
	s_delay_alu instid0(VALU_DEP_1) | instskip(SKIP_1) | instid1(VALU_DEP_2)
	v_pk_fma_f32 v[76:77], v[72:73], v[68:69], v[74:75] op_sel_hi:[1,0,1]
	v_pk_fma_f32 v[68:69], v[72:73], v[68:69], v[74:75] neg_lo:[0,0,1] neg_hi:[0,0,1]
	v_mov_b32_e32 v69, v77
	s_cbranch_execz .LBB31_374
	s_branch .LBB31_375
.LBB31_373:
                                        ; implicit-def: $vgpr68_vgpr69
.LBB31_374:
	ds_load_b64 v[68:69], v1
.LBB31_375:
	s_mov_b32 s2, exec_lo
	v_cmpx_ne_u32_e32 6, v0
	s_cbranch_execz .LBB31_379
; %bb.376:
	v_add_nc_u32_e32 v71, 0x108, v46
	v_add3_u32 v72, 0, v46, 8
	v_mov_b32_e32 v73, v0
	s_mov_b32 s3, 0
.LBB31_377:                             ; =>This Inner Loop Header: Depth=1
	scratch_load_b64 v[74:75], v72, off
	ds_load_b64 v[76:77], v71
	s_wait_xcnt 0x0
	v_dual_add_nc_u32 v71, 8, v71 :: v_dual_add_nc_u32 v72, 8, v72
	s_wait_loadcnt_dscnt 0x0
	v_pk_mul_f32 v[78:79], v[76:77], v[74:75] op_sel:[1,1] op_sel_hi:[0,1]
	s_delay_alu instid0(VALU_DEP_1) | instskip(SKIP_2) | instid1(VALU_DEP_3)
	v_pk_fma_f32 v[80:81], v[76:77], v[74:75], v[78:79] op_sel_hi:[1,0,1]
	v_add_nc_u32_e32 v73, 1, v73
	v_pk_fma_f32 v[74:75], v[76:77], v[74:75], v[78:79] neg_lo:[0,0,1] neg_hi:[0,0,1]
	v_mov_b32_e32 v75, v81
	s_delay_alu instid0(VALU_DEP_3) | instskip(NEXT) | instid1(VALU_DEP_2)
	v_cmp_lt_u32_e32 vcc_lo, 5, v73
	v_pk_add_f32 v[68:69], v[68:69], v[74:75]
	s_or_b32 s3, vcc_lo, s3
	s_delay_alu instid0(SALU_CYCLE_1)
	s_and_not1_b32 exec_lo, exec_lo, s3
	s_cbranch_execnz .LBB31_377
; %bb.378:
	s_or_b32 exec_lo, exec_lo, s3
.LBB31_379:
	s_delay_alu instid0(SALU_CYCLE_1) | instskip(SKIP_4) | instid1(VALU_DEP_1)
	s_or_b32 exec_lo, exec_lo, s2
	v_mov_b32_e32 v71, 0
	ds_load_b64 v[72:73], v71 offset:56
	s_wait_dscnt 0x0
	v_pk_mul_f32 v[74:75], v[68:69], v[72:73] op_sel:[1,1] op_sel_hi:[0,1]
	v_pk_fma_f32 v[76:77], v[68:69], v[72:73], v[74:75] op_sel_hi:[1,0,1]
	v_pk_fma_f32 v[68:69], v[68:69], v[72:73], v[74:75] neg_lo:[0,0,1] neg_hi:[0,0,1]
	s_delay_alu instid0(VALU_DEP_2)
	v_mov_b32_e32 v69, v77
	scratch_store_b64 off, v[68:69], off offset:56
.LBB31_380:
	s_wait_xcnt 0x0
	s_or_b32 exec_lo, exec_lo, s0
	scratch_load_b64 v[68:69], off, off offset:64
	s_mov_b32 s0, exec_lo
	s_wait_loadcnt 0x0
	ds_store_b64 v1, v[68:69]
	s_wait_storecnt_dscnt 0x0
	s_barrier_signal -1
	s_barrier_wait -1
	s_wait_xcnt 0x0
	v_cmpx_gt_u32_e32 8, v0
	s_cbranch_execz .LBB31_390
; %bb.381:
	v_cmp_ne_u32_e32 vcc_lo, 1, v70
	s_cbranch_vccnz .LBB31_383
; %bb.382:
	scratch_load_b64 v[68:69], v47, off
	ds_load_b64 v[72:73], v1
	s_wait_loadcnt_dscnt 0x0
	v_pk_mul_f32 v[74:75], v[72:73], v[68:69] op_sel:[1,1] op_sel_hi:[0,1]
	s_delay_alu instid0(VALU_DEP_1) | instskip(SKIP_1) | instid1(VALU_DEP_2)
	v_pk_fma_f32 v[76:77], v[72:73], v[68:69], v[74:75] op_sel_hi:[1,0,1]
	v_pk_fma_f32 v[68:69], v[72:73], v[68:69], v[74:75] neg_lo:[0,0,1] neg_hi:[0,0,1]
	v_mov_b32_e32 v69, v77
	s_cbranch_execz .LBB31_384
	s_branch .LBB31_385
.LBB31_383:
                                        ; implicit-def: $vgpr68_vgpr69
.LBB31_384:
	ds_load_b64 v[68:69], v1
.LBB31_385:
	s_mov_b32 s2, exec_lo
	v_cmpx_ne_u32_e32 7, v0
	s_cbranch_execz .LBB31_389
; %bb.386:
	v_add_nc_u32_e32 v71, 0x108, v46
	v_add3_u32 v72, 0, v46, 8
	v_mov_b32_e32 v73, v0
	s_mov_b32 s3, 0
.LBB31_387:                             ; =>This Inner Loop Header: Depth=1
	scratch_load_b64 v[74:75], v72, off
	ds_load_b64 v[76:77], v71
	s_wait_xcnt 0x0
	v_dual_add_nc_u32 v71, 8, v71 :: v_dual_add_nc_u32 v72, 8, v72
	s_wait_loadcnt_dscnt 0x0
	v_pk_mul_f32 v[78:79], v[76:77], v[74:75] op_sel:[1,1] op_sel_hi:[0,1]
	s_delay_alu instid0(VALU_DEP_1) | instskip(SKIP_2) | instid1(VALU_DEP_3)
	v_pk_fma_f32 v[80:81], v[76:77], v[74:75], v[78:79] op_sel_hi:[1,0,1]
	v_add_nc_u32_e32 v73, 1, v73
	v_pk_fma_f32 v[74:75], v[76:77], v[74:75], v[78:79] neg_lo:[0,0,1] neg_hi:[0,0,1]
	v_mov_b32_e32 v75, v81
	s_delay_alu instid0(VALU_DEP_3) | instskip(NEXT) | instid1(VALU_DEP_2)
	v_cmp_lt_u32_e32 vcc_lo, 6, v73
	v_pk_add_f32 v[68:69], v[68:69], v[74:75]
	s_or_b32 s3, vcc_lo, s3
	s_delay_alu instid0(SALU_CYCLE_1)
	s_and_not1_b32 exec_lo, exec_lo, s3
	s_cbranch_execnz .LBB31_387
; %bb.388:
	s_or_b32 exec_lo, exec_lo, s3
.LBB31_389:
	s_delay_alu instid0(SALU_CYCLE_1) | instskip(SKIP_4) | instid1(VALU_DEP_1)
	s_or_b32 exec_lo, exec_lo, s2
	v_mov_b32_e32 v71, 0
	ds_load_b64 v[72:73], v71 offset:64
	s_wait_dscnt 0x0
	v_pk_mul_f32 v[74:75], v[68:69], v[72:73] op_sel:[1,1] op_sel_hi:[0,1]
	v_pk_fma_f32 v[76:77], v[68:69], v[72:73], v[74:75] op_sel_hi:[1,0,1]
	v_pk_fma_f32 v[68:69], v[68:69], v[72:73], v[74:75] neg_lo:[0,0,1] neg_hi:[0,0,1]
	s_delay_alu instid0(VALU_DEP_2)
	v_mov_b32_e32 v69, v77
	scratch_store_b64 off, v[68:69], off offset:64
.LBB31_390:
	s_wait_xcnt 0x0
	s_or_b32 exec_lo, exec_lo, s0
	scratch_load_b64 v[68:69], off, off offset:72
	s_mov_b32 s0, exec_lo
	s_wait_loadcnt 0x0
	ds_store_b64 v1, v[68:69]
	s_wait_storecnt_dscnt 0x0
	s_barrier_signal -1
	s_barrier_wait -1
	s_wait_xcnt 0x0
	v_cmpx_gt_u32_e32 9, v0
	s_cbranch_execz .LBB31_400
; %bb.391:
	v_cmp_ne_u32_e32 vcc_lo, 1, v70
	s_cbranch_vccnz .LBB31_393
; %bb.392:
	scratch_load_b64 v[68:69], v47, off
	ds_load_b64 v[72:73], v1
	s_wait_loadcnt_dscnt 0x0
	v_pk_mul_f32 v[74:75], v[72:73], v[68:69] op_sel:[1,1] op_sel_hi:[0,1]
	s_delay_alu instid0(VALU_DEP_1) | instskip(SKIP_1) | instid1(VALU_DEP_2)
	v_pk_fma_f32 v[76:77], v[72:73], v[68:69], v[74:75] op_sel_hi:[1,0,1]
	v_pk_fma_f32 v[68:69], v[72:73], v[68:69], v[74:75] neg_lo:[0,0,1] neg_hi:[0,0,1]
	v_mov_b32_e32 v69, v77
	s_cbranch_execz .LBB31_394
	s_branch .LBB31_395
.LBB31_393:
                                        ; implicit-def: $vgpr68_vgpr69
.LBB31_394:
	ds_load_b64 v[68:69], v1
.LBB31_395:
	s_mov_b32 s2, exec_lo
	v_cmpx_ne_u32_e32 8, v0
	s_cbranch_execz .LBB31_399
; %bb.396:
	v_add_nc_u32_e32 v71, 0x108, v46
	v_add3_u32 v72, 0, v46, 8
	v_mov_b32_e32 v73, v0
	s_mov_b32 s3, 0
.LBB31_397:                             ; =>This Inner Loop Header: Depth=1
	scratch_load_b64 v[74:75], v72, off
	ds_load_b64 v[76:77], v71
	s_wait_xcnt 0x0
	v_dual_add_nc_u32 v71, 8, v71 :: v_dual_add_nc_u32 v72, 8, v72
	s_wait_loadcnt_dscnt 0x0
	v_pk_mul_f32 v[78:79], v[76:77], v[74:75] op_sel:[1,1] op_sel_hi:[0,1]
	s_delay_alu instid0(VALU_DEP_1) | instskip(SKIP_2) | instid1(VALU_DEP_3)
	v_pk_fma_f32 v[80:81], v[76:77], v[74:75], v[78:79] op_sel_hi:[1,0,1]
	v_add_nc_u32_e32 v73, 1, v73
	v_pk_fma_f32 v[74:75], v[76:77], v[74:75], v[78:79] neg_lo:[0,0,1] neg_hi:[0,0,1]
	v_mov_b32_e32 v75, v81
	s_delay_alu instid0(VALU_DEP_3) | instskip(NEXT) | instid1(VALU_DEP_2)
	v_cmp_lt_u32_e32 vcc_lo, 7, v73
	v_pk_add_f32 v[68:69], v[68:69], v[74:75]
	s_or_b32 s3, vcc_lo, s3
	s_delay_alu instid0(SALU_CYCLE_1)
	s_and_not1_b32 exec_lo, exec_lo, s3
	s_cbranch_execnz .LBB31_397
; %bb.398:
	s_or_b32 exec_lo, exec_lo, s3
.LBB31_399:
	s_delay_alu instid0(SALU_CYCLE_1) | instskip(SKIP_4) | instid1(VALU_DEP_1)
	s_or_b32 exec_lo, exec_lo, s2
	v_mov_b32_e32 v71, 0
	ds_load_b64 v[72:73], v71 offset:72
	s_wait_dscnt 0x0
	v_pk_mul_f32 v[74:75], v[68:69], v[72:73] op_sel:[1,1] op_sel_hi:[0,1]
	v_pk_fma_f32 v[76:77], v[68:69], v[72:73], v[74:75] op_sel_hi:[1,0,1]
	v_pk_fma_f32 v[68:69], v[68:69], v[72:73], v[74:75] neg_lo:[0,0,1] neg_hi:[0,0,1]
	s_delay_alu instid0(VALU_DEP_2)
	v_mov_b32_e32 v69, v77
	scratch_store_b64 off, v[68:69], off offset:72
.LBB31_400:
	s_wait_xcnt 0x0
	s_or_b32 exec_lo, exec_lo, s0
	scratch_load_b64 v[68:69], off, off offset:80
	s_mov_b32 s0, exec_lo
	s_wait_loadcnt 0x0
	ds_store_b64 v1, v[68:69]
	s_wait_storecnt_dscnt 0x0
	s_barrier_signal -1
	s_barrier_wait -1
	s_wait_xcnt 0x0
	v_cmpx_gt_u32_e32 10, v0
	s_cbranch_execz .LBB31_410
; %bb.401:
	v_cmp_ne_u32_e32 vcc_lo, 1, v70
	s_cbranch_vccnz .LBB31_403
; %bb.402:
	scratch_load_b64 v[68:69], v47, off
	ds_load_b64 v[72:73], v1
	s_wait_loadcnt_dscnt 0x0
	v_pk_mul_f32 v[74:75], v[72:73], v[68:69] op_sel:[1,1] op_sel_hi:[0,1]
	s_delay_alu instid0(VALU_DEP_1) | instskip(SKIP_1) | instid1(VALU_DEP_2)
	v_pk_fma_f32 v[76:77], v[72:73], v[68:69], v[74:75] op_sel_hi:[1,0,1]
	v_pk_fma_f32 v[68:69], v[72:73], v[68:69], v[74:75] neg_lo:[0,0,1] neg_hi:[0,0,1]
	v_mov_b32_e32 v69, v77
	s_cbranch_execz .LBB31_404
	s_branch .LBB31_405
.LBB31_403:
                                        ; implicit-def: $vgpr68_vgpr69
.LBB31_404:
	ds_load_b64 v[68:69], v1
.LBB31_405:
	s_mov_b32 s2, exec_lo
	v_cmpx_ne_u32_e32 9, v0
	s_cbranch_execz .LBB31_409
; %bb.406:
	v_add_nc_u32_e32 v71, 0x108, v46
	v_add3_u32 v72, 0, v46, 8
	v_mov_b32_e32 v73, v0
	s_mov_b32 s3, 0
.LBB31_407:                             ; =>This Inner Loop Header: Depth=1
	scratch_load_b64 v[74:75], v72, off
	ds_load_b64 v[76:77], v71
	s_wait_xcnt 0x0
	v_dual_add_nc_u32 v71, 8, v71 :: v_dual_add_nc_u32 v72, 8, v72
	s_wait_loadcnt_dscnt 0x0
	v_pk_mul_f32 v[78:79], v[76:77], v[74:75] op_sel:[1,1] op_sel_hi:[0,1]
	s_delay_alu instid0(VALU_DEP_1) | instskip(SKIP_2) | instid1(VALU_DEP_3)
	v_pk_fma_f32 v[80:81], v[76:77], v[74:75], v[78:79] op_sel_hi:[1,0,1]
	v_add_nc_u32_e32 v73, 1, v73
	v_pk_fma_f32 v[74:75], v[76:77], v[74:75], v[78:79] neg_lo:[0,0,1] neg_hi:[0,0,1]
	v_mov_b32_e32 v75, v81
	s_delay_alu instid0(VALU_DEP_3) | instskip(NEXT) | instid1(VALU_DEP_2)
	v_cmp_lt_u32_e32 vcc_lo, 8, v73
	v_pk_add_f32 v[68:69], v[68:69], v[74:75]
	s_or_b32 s3, vcc_lo, s3
	s_delay_alu instid0(SALU_CYCLE_1)
	s_and_not1_b32 exec_lo, exec_lo, s3
	s_cbranch_execnz .LBB31_407
; %bb.408:
	s_or_b32 exec_lo, exec_lo, s3
.LBB31_409:
	s_delay_alu instid0(SALU_CYCLE_1) | instskip(SKIP_4) | instid1(VALU_DEP_1)
	s_or_b32 exec_lo, exec_lo, s2
	v_mov_b32_e32 v71, 0
	ds_load_b64 v[72:73], v71 offset:80
	s_wait_dscnt 0x0
	v_pk_mul_f32 v[74:75], v[68:69], v[72:73] op_sel:[1,1] op_sel_hi:[0,1]
	v_pk_fma_f32 v[76:77], v[68:69], v[72:73], v[74:75] op_sel_hi:[1,0,1]
	v_pk_fma_f32 v[68:69], v[68:69], v[72:73], v[74:75] neg_lo:[0,0,1] neg_hi:[0,0,1]
	s_delay_alu instid0(VALU_DEP_2)
	v_mov_b32_e32 v69, v77
	scratch_store_b64 off, v[68:69], off offset:80
.LBB31_410:
	s_wait_xcnt 0x0
	s_or_b32 exec_lo, exec_lo, s0
	scratch_load_b64 v[68:69], off, off offset:88
	s_mov_b32 s0, exec_lo
	s_wait_loadcnt 0x0
	ds_store_b64 v1, v[68:69]
	s_wait_storecnt_dscnt 0x0
	s_barrier_signal -1
	s_barrier_wait -1
	s_wait_xcnt 0x0
	v_cmpx_gt_u32_e32 11, v0
	s_cbranch_execz .LBB31_420
; %bb.411:
	v_cmp_ne_u32_e32 vcc_lo, 1, v70
	s_cbranch_vccnz .LBB31_413
; %bb.412:
	scratch_load_b64 v[68:69], v47, off
	ds_load_b64 v[72:73], v1
	s_wait_loadcnt_dscnt 0x0
	v_pk_mul_f32 v[74:75], v[72:73], v[68:69] op_sel:[1,1] op_sel_hi:[0,1]
	s_delay_alu instid0(VALU_DEP_1) | instskip(SKIP_1) | instid1(VALU_DEP_2)
	v_pk_fma_f32 v[76:77], v[72:73], v[68:69], v[74:75] op_sel_hi:[1,0,1]
	v_pk_fma_f32 v[68:69], v[72:73], v[68:69], v[74:75] neg_lo:[0,0,1] neg_hi:[0,0,1]
	v_mov_b32_e32 v69, v77
	s_cbranch_execz .LBB31_414
	s_branch .LBB31_415
.LBB31_413:
                                        ; implicit-def: $vgpr68_vgpr69
.LBB31_414:
	ds_load_b64 v[68:69], v1
.LBB31_415:
	s_mov_b32 s2, exec_lo
	v_cmpx_ne_u32_e32 10, v0
	s_cbranch_execz .LBB31_419
; %bb.416:
	v_add_nc_u32_e32 v71, 0x108, v46
	v_add3_u32 v72, 0, v46, 8
	v_mov_b32_e32 v73, v0
	s_mov_b32 s3, 0
.LBB31_417:                             ; =>This Inner Loop Header: Depth=1
	scratch_load_b64 v[74:75], v72, off
	ds_load_b64 v[76:77], v71
	s_wait_xcnt 0x0
	v_dual_add_nc_u32 v71, 8, v71 :: v_dual_add_nc_u32 v72, 8, v72
	s_wait_loadcnt_dscnt 0x0
	v_pk_mul_f32 v[78:79], v[76:77], v[74:75] op_sel:[1,1] op_sel_hi:[0,1]
	s_delay_alu instid0(VALU_DEP_1) | instskip(SKIP_2) | instid1(VALU_DEP_3)
	v_pk_fma_f32 v[80:81], v[76:77], v[74:75], v[78:79] op_sel_hi:[1,0,1]
	v_add_nc_u32_e32 v73, 1, v73
	v_pk_fma_f32 v[74:75], v[76:77], v[74:75], v[78:79] neg_lo:[0,0,1] neg_hi:[0,0,1]
	v_mov_b32_e32 v75, v81
	s_delay_alu instid0(VALU_DEP_3) | instskip(NEXT) | instid1(VALU_DEP_2)
	v_cmp_lt_u32_e32 vcc_lo, 9, v73
	v_pk_add_f32 v[68:69], v[68:69], v[74:75]
	s_or_b32 s3, vcc_lo, s3
	s_delay_alu instid0(SALU_CYCLE_1)
	s_and_not1_b32 exec_lo, exec_lo, s3
	s_cbranch_execnz .LBB31_417
; %bb.418:
	s_or_b32 exec_lo, exec_lo, s3
.LBB31_419:
	s_delay_alu instid0(SALU_CYCLE_1) | instskip(SKIP_4) | instid1(VALU_DEP_1)
	s_or_b32 exec_lo, exec_lo, s2
	v_mov_b32_e32 v71, 0
	ds_load_b64 v[72:73], v71 offset:88
	s_wait_dscnt 0x0
	v_pk_mul_f32 v[74:75], v[68:69], v[72:73] op_sel:[1,1] op_sel_hi:[0,1]
	v_pk_fma_f32 v[76:77], v[68:69], v[72:73], v[74:75] op_sel_hi:[1,0,1]
	v_pk_fma_f32 v[68:69], v[68:69], v[72:73], v[74:75] neg_lo:[0,0,1] neg_hi:[0,0,1]
	s_delay_alu instid0(VALU_DEP_2)
	v_mov_b32_e32 v69, v77
	scratch_store_b64 off, v[68:69], off offset:88
.LBB31_420:
	s_wait_xcnt 0x0
	s_or_b32 exec_lo, exec_lo, s0
	scratch_load_b64 v[68:69], off, off offset:96
	s_mov_b32 s0, exec_lo
	s_wait_loadcnt 0x0
	ds_store_b64 v1, v[68:69]
	s_wait_storecnt_dscnt 0x0
	s_barrier_signal -1
	s_barrier_wait -1
	s_wait_xcnt 0x0
	v_cmpx_gt_u32_e32 12, v0
	s_cbranch_execz .LBB31_430
; %bb.421:
	v_cmp_ne_u32_e32 vcc_lo, 1, v70
	s_cbranch_vccnz .LBB31_423
; %bb.422:
	scratch_load_b64 v[68:69], v47, off
	ds_load_b64 v[72:73], v1
	s_wait_loadcnt_dscnt 0x0
	v_pk_mul_f32 v[74:75], v[72:73], v[68:69] op_sel:[1,1] op_sel_hi:[0,1]
	s_delay_alu instid0(VALU_DEP_1) | instskip(SKIP_1) | instid1(VALU_DEP_2)
	v_pk_fma_f32 v[76:77], v[72:73], v[68:69], v[74:75] op_sel_hi:[1,0,1]
	v_pk_fma_f32 v[68:69], v[72:73], v[68:69], v[74:75] neg_lo:[0,0,1] neg_hi:[0,0,1]
	v_mov_b32_e32 v69, v77
	s_cbranch_execz .LBB31_424
	s_branch .LBB31_425
.LBB31_423:
                                        ; implicit-def: $vgpr68_vgpr69
.LBB31_424:
	ds_load_b64 v[68:69], v1
.LBB31_425:
	s_mov_b32 s2, exec_lo
	v_cmpx_ne_u32_e32 11, v0
	s_cbranch_execz .LBB31_429
; %bb.426:
	v_add_nc_u32_e32 v71, 0x108, v46
	v_add3_u32 v72, 0, v46, 8
	v_mov_b32_e32 v73, v0
	s_mov_b32 s3, 0
.LBB31_427:                             ; =>This Inner Loop Header: Depth=1
	scratch_load_b64 v[74:75], v72, off
	ds_load_b64 v[76:77], v71
	s_wait_xcnt 0x0
	v_dual_add_nc_u32 v71, 8, v71 :: v_dual_add_nc_u32 v72, 8, v72
	s_wait_loadcnt_dscnt 0x0
	v_pk_mul_f32 v[78:79], v[76:77], v[74:75] op_sel:[1,1] op_sel_hi:[0,1]
	s_delay_alu instid0(VALU_DEP_1) | instskip(SKIP_2) | instid1(VALU_DEP_3)
	v_pk_fma_f32 v[80:81], v[76:77], v[74:75], v[78:79] op_sel_hi:[1,0,1]
	v_add_nc_u32_e32 v73, 1, v73
	v_pk_fma_f32 v[74:75], v[76:77], v[74:75], v[78:79] neg_lo:[0,0,1] neg_hi:[0,0,1]
	v_mov_b32_e32 v75, v81
	s_delay_alu instid0(VALU_DEP_3) | instskip(NEXT) | instid1(VALU_DEP_2)
	v_cmp_lt_u32_e32 vcc_lo, 10, v73
	v_pk_add_f32 v[68:69], v[68:69], v[74:75]
	s_or_b32 s3, vcc_lo, s3
	s_delay_alu instid0(SALU_CYCLE_1)
	s_and_not1_b32 exec_lo, exec_lo, s3
	s_cbranch_execnz .LBB31_427
; %bb.428:
	s_or_b32 exec_lo, exec_lo, s3
.LBB31_429:
	s_delay_alu instid0(SALU_CYCLE_1) | instskip(SKIP_4) | instid1(VALU_DEP_1)
	s_or_b32 exec_lo, exec_lo, s2
	v_mov_b32_e32 v71, 0
	ds_load_b64 v[72:73], v71 offset:96
	s_wait_dscnt 0x0
	v_pk_mul_f32 v[74:75], v[68:69], v[72:73] op_sel:[1,1] op_sel_hi:[0,1]
	v_pk_fma_f32 v[76:77], v[68:69], v[72:73], v[74:75] op_sel_hi:[1,0,1]
	v_pk_fma_f32 v[68:69], v[68:69], v[72:73], v[74:75] neg_lo:[0,0,1] neg_hi:[0,0,1]
	s_delay_alu instid0(VALU_DEP_2)
	v_mov_b32_e32 v69, v77
	scratch_store_b64 off, v[68:69], off offset:96
.LBB31_430:
	s_wait_xcnt 0x0
	s_or_b32 exec_lo, exec_lo, s0
	scratch_load_b64 v[68:69], off, off offset:104
	s_mov_b32 s0, exec_lo
	s_wait_loadcnt 0x0
	ds_store_b64 v1, v[68:69]
	s_wait_storecnt_dscnt 0x0
	s_barrier_signal -1
	s_barrier_wait -1
	s_wait_xcnt 0x0
	v_cmpx_gt_u32_e32 13, v0
	s_cbranch_execz .LBB31_440
; %bb.431:
	v_cmp_ne_u32_e32 vcc_lo, 1, v70
	s_cbranch_vccnz .LBB31_433
; %bb.432:
	scratch_load_b64 v[68:69], v47, off
	ds_load_b64 v[72:73], v1
	s_wait_loadcnt_dscnt 0x0
	v_pk_mul_f32 v[74:75], v[72:73], v[68:69] op_sel:[1,1] op_sel_hi:[0,1]
	s_delay_alu instid0(VALU_DEP_1) | instskip(SKIP_1) | instid1(VALU_DEP_2)
	v_pk_fma_f32 v[76:77], v[72:73], v[68:69], v[74:75] op_sel_hi:[1,0,1]
	v_pk_fma_f32 v[68:69], v[72:73], v[68:69], v[74:75] neg_lo:[0,0,1] neg_hi:[0,0,1]
	v_mov_b32_e32 v69, v77
	s_cbranch_execz .LBB31_434
	s_branch .LBB31_435
.LBB31_433:
                                        ; implicit-def: $vgpr68_vgpr69
.LBB31_434:
	ds_load_b64 v[68:69], v1
.LBB31_435:
	s_mov_b32 s2, exec_lo
	v_cmpx_ne_u32_e32 12, v0
	s_cbranch_execz .LBB31_439
; %bb.436:
	v_add_nc_u32_e32 v71, 0x108, v46
	v_add3_u32 v72, 0, v46, 8
	v_mov_b32_e32 v73, v0
	s_mov_b32 s3, 0
.LBB31_437:                             ; =>This Inner Loop Header: Depth=1
	scratch_load_b64 v[74:75], v72, off
	ds_load_b64 v[76:77], v71
	s_wait_xcnt 0x0
	v_dual_add_nc_u32 v71, 8, v71 :: v_dual_add_nc_u32 v72, 8, v72
	s_wait_loadcnt_dscnt 0x0
	v_pk_mul_f32 v[78:79], v[76:77], v[74:75] op_sel:[1,1] op_sel_hi:[0,1]
	s_delay_alu instid0(VALU_DEP_1) | instskip(SKIP_2) | instid1(VALU_DEP_3)
	v_pk_fma_f32 v[80:81], v[76:77], v[74:75], v[78:79] op_sel_hi:[1,0,1]
	v_add_nc_u32_e32 v73, 1, v73
	v_pk_fma_f32 v[74:75], v[76:77], v[74:75], v[78:79] neg_lo:[0,0,1] neg_hi:[0,0,1]
	v_mov_b32_e32 v75, v81
	s_delay_alu instid0(VALU_DEP_3) | instskip(NEXT) | instid1(VALU_DEP_2)
	v_cmp_lt_u32_e32 vcc_lo, 11, v73
	v_pk_add_f32 v[68:69], v[68:69], v[74:75]
	s_or_b32 s3, vcc_lo, s3
	s_delay_alu instid0(SALU_CYCLE_1)
	s_and_not1_b32 exec_lo, exec_lo, s3
	s_cbranch_execnz .LBB31_437
; %bb.438:
	s_or_b32 exec_lo, exec_lo, s3
.LBB31_439:
	s_delay_alu instid0(SALU_CYCLE_1) | instskip(SKIP_4) | instid1(VALU_DEP_1)
	s_or_b32 exec_lo, exec_lo, s2
	v_mov_b32_e32 v71, 0
	ds_load_b64 v[72:73], v71 offset:104
	s_wait_dscnt 0x0
	v_pk_mul_f32 v[74:75], v[68:69], v[72:73] op_sel:[1,1] op_sel_hi:[0,1]
	v_pk_fma_f32 v[76:77], v[68:69], v[72:73], v[74:75] op_sel_hi:[1,0,1]
	v_pk_fma_f32 v[68:69], v[68:69], v[72:73], v[74:75] neg_lo:[0,0,1] neg_hi:[0,0,1]
	s_delay_alu instid0(VALU_DEP_2)
	v_mov_b32_e32 v69, v77
	scratch_store_b64 off, v[68:69], off offset:104
.LBB31_440:
	s_wait_xcnt 0x0
	s_or_b32 exec_lo, exec_lo, s0
	scratch_load_b64 v[68:69], off, off offset:112
	s_mov_b32 s0, exec_lo
	s_wait_loadcnt 0x0
	ds_store_b64 v1, v[68:69]
	s_wait_storecnt_dscnt 0x0
	s_barrier_signal -1
	s_barrier_wait -1
	s_wait_xcnt 0x0
	v_cmpx_gt_u32_e32 14, v0
	s_cbranch_execz .LBB31_450
; %bb.441:
	v_cmp_ne_u32_e32 vcc_lo, 1, v70
	s_cbranch_vccnz .LBB31_443
; %bb.442:
	scratch_load_b64 v[68:69], v47, off
	ds_load_b64 v[72:73], v1
	s_wait_loadcnt_dscnt 0x0
	v_pk_mul_f32 v[74:75], v[72:73], v[68:69] op_sel:[1,1] op_sel_hi:[0,1]
	s_delay_alu instid0(VALU_DEP_1) | instskip(SKIP_1) | instid1(VALU_DEP_2)
	v_pk_fma_f32 v[76:77], v[72:73], v[68:69], v[74:75] op_sel_hi:[1,0,1]
	v_pk_fma_f32 v[68:69], v[72:73], v[68:69], v[74:75] neg_lo:[0,0,1] neg_hi:[0,0,1]
	v_mov_b32_e32 v69, v77
	s_cbranch_execz .LBB31_444
	s_branch .LBB31_445
.LBB31_443:
                                        ; implicit-def: $vgpr68_vgpr69
.LBB31_444:
	ds_load_b64 v[68:69], v1
.LBB31_445:
	s_mov_b32 s2, exec_lo
	v_cmpx_ne_u32_e32 13, v0
	s_cbranch_execz .LBB31_449
; %bb.446:
	v_add_nc_u32_e32 v71, 0x108, v46
	v_add3_u32 v72, 0, v46, 8
	v_mov_b32_e32 v73, v0
	s_mov_b32 s3, 0
.LBB31_447:                             ; =>This Inner Loop Header: Depth=1
	scratch_load_b64 v[74:75], v72, off
	ds_load_b64 v[76:77], v71
	s_wait_xcnt 0x0
	v_dual_add_nc_u32 v71, 8, v71 :: v_dual_add_nc_u32 v72, 8, v72
	s_wait_loadcnt_dscnt 0x0
	v_pk_mul_f32 v[78:79], v[76:77], v[74:75] op_sel:[1,1] op_sel_hi:[0,1]
	s_delay_alu instid0(VALU_DEP_1) | instskip(SKIP_2) | instid1(VALU_DEP_3)
	v_pk_fma_f32 v[80:81], v[76:77], v[74:75], v[78:79] op_sel_hi:[1,0,1]
	v_add_nc_u32_e32 v73, 1, v73
	v_pk_fma_f32 v[74:75], v[76:77], v[74:75], v[78:79] neg_lo:[0,0,1] neg_hi:[0,0,1]
	v_mov_b32_e32 v75, v81
	s_delay_alu instid0(VALU_DEP_3) | instskip(NEXT) | instid1(VALU_DEP_2)
	v_cmp_lt_u32_e32 vcc_lo, 12, v73
	v_pk_add_f32 v[68:69], v[68:69], v[74:75]
	s_or_b32 s3, vcc_lo, s3
	s_delay_alu instid0(SALU_CYCLE_1)
	s_and_not1_b32 exec_lo, exec_lo, s3
	s_cbranch_execnz .LBB31_447
; %bb.448:
	s_or_b32 exec_lo, exec_lo, s3
.LBB31_449:
	s_delay_alu instid0(SALU_CYCLE_1) | instskip(SKIP_4) | instid1(VALU_DEP_1)
	s_or_b32 exec_lo, exec_lo, s2
	v_mov_b32_e32 v71, 0
	ds_load_b64 v[72:73], v71 offset:112
	s_wait_dscnt 0x0
	v_pk_mul_f32 v[74:75], v[68:69], v[72:73] op_sel:[1,1] op_sel_hi:[0,1]
	v_pk_fma_f32 v[76:77], v[68:69], v[72:73], v[74:75] op_sel_hi:[1,0,1]
	v_pk_fma_f32 v[68:69], v[68:69], v[72:73], v[74:75] neg_lo:[0,0,1] neg_hi:[0,0,1]
	s_delay_alu instid0(VALU_DEP_2)
	v_mov_b32_e32 v69, v77
	scratch_store_b64 off, v[68:69], off offset:112
.LBB31_450:
	s_wait_xcnt 0x0
	s_or_b32 exec_lo, exec_lo, s0
	scratch_load_b64 v[68:69], off, off offset:120
	s_mov_b32 s0, exec_lo
	s_wait_loadcnt 0x0
	ds_store_b64 v1, v[68:69]
	s_wait_storecnt_dscnt 0x0
	s_barrier_signal -1
	s_barrier_wait -1
	s_wait_xcnt 0x0
	v_cmpx_gt_u32_e32 15, v0
	s_cbranch_execz .LBB31_460
; %bb.451:
	v_cmp_ne_u32_e32 vcc_lo, 1, v70
	s_cbranch_vccnz .LBB31_453
; %bb.452:
	scratch_load_b64 v[68:69], v47, off
	ds_load_b64 v[72:73], v1
	s_wait_loadcnt_dscnt 0x0
	v_pk_mul_f32 v[74:75], v[72:73], v[68:69] op_sel:[1,1] op_sel_hi:[0,1]
	s_delay_alu instid0(VALU_DEP_1) | instskip(SKIP_1) | instid1(VALU_DEP_2)
	v_pk_fma_f32 v[76:77], v[72:73], v[68:69], v[74:75] op_sel_hi:[1,0,1]
	v_pk_fma_f32 v[68:69], v[72:73], v[68:69], v[74:75] neg_lo:[0,0,1] neg_hi:[0,0,1]
	v_mov_b32_e32 v69, v77
	s_cbranch_execz .LBB31_454
	s_branch .LBB31_455
.LBB31_453:
                                        ; implicit-def: $vgpr68_vgpr69
.LBB31_454:
	ds_load_b64 v[68:69], v1
.LBB31_455:
	s_mov_b32 s2, exec_lo
	v_cmpx_ne_u32_e32 14, v0
	s_cbranch_execz .LBB31_459
; %bb.456:
	v_add_nc_u32_e32 v71, 0x108, v46
	v_add3_u32 v72, 0, v46, 8
	v_mov_b32_e32 v73, v0
	s_mov_b32 s3, 0
.LBB31_457:                             ; =>This Inner Loop Header: Depth=1
	scratch_load_b64 v[74:75], v72, off
	ds_load_b64 v[76:77], v71
	s_wait_xcnt 0x0
	v_dual_add_nc_u32 v71, 8, v71 :: v_dual_add_nc_u32 v72, 8, v72
	s_wait_loadcnt_dscnt 0x0
	v_pk_mul_f32 v[78:79], v[76:77], v[74:75] op_sel:[1,1] op_sel_hi:[0,1]
	s_delay_alu instid0(VALU_DEP_1) | instskip(SKIP_2) | instid1(VALU_DEP_3)
	v_pk_fma_f32 v[80:81], v[76:77], v[74:75], v[78:79] op_sel_hi:[1,0,1]
	v_add_nc_u32_e32 v73, 1, v73
	v_pk_fma_f32 v[74:75], v[76:77], v[74:75], v[78:79] neg_lo:[0,0,1] neg_hi:[0,0,1]
	v_mov_b32_e32 v75, v81
	s_delay_alu instid0(VALU_DEP_3) | instskip(NEXT) | instid1(VALU_DEP_2)
	v_cmp_lt_u32_e32 vcc_lo, 13, v73
	v_pk_add_f32 v[68:69], v[68:69], v[74:75]
	s_or_b32 s3, vcc_lo, s3
	s_delay_alu instid0(SALU_CYCLE_1)
	s_and_not1_b32 exec_lo, exec_lo, s3
	s_cbranch_execnz .LBB31_457
; %bb.458:
	s_or_b32 exec_lo, exec_lo, s3
.LBB31_459:
	s_delay_alu instid0(SALU_CYCLE_1) | instskip(SKIP_4) | instid1(VALU_DEP_1)
	s_or_b32 exec_lo, exec_lo, s2
	v_mov_b32_e32 v71, 0
	ds_load_b64 v[72:73], v71 offset:120
	s_wait_dscnt 0x0
	v_pk_mul_f32 v[74:75], v[68:69], v[72:73] op_sel:[1,1] op_sel_hi:[0,1]
	v_pk_fma_f32 v[76:77], v[68:69], v[72:73], v[74:75] op_sel_hi:[1,0,1]
	v_pk_fma_f32 v[68:69], v[68:69], v[72:73], v[74:75] neg_lo:[0,0,1] neg_hi:[0,0,1]
	s_delay_alu instid0(VALU_DEP_2)
	v_mov_b32_e32 v69, v77
	scratch_store_b64 off, v[68:69], off offset:120
.LBB31_460:
	s_wait_xcnt 0x0
	s_or_b32 exec_lo, exec_lo, s0
	scratch_load_b64 v[68:69], off, off offset:128
	s_mov_b32 s0, exec_lo
	s_wait_loadcnt 0x0
	ds_store_b64 v1, v[68:69]
	s_wait_storecnt_dscnt 0x0
	s_barrier_signal -1
	s_barrier_wait -1
	s_wait_xcnt 0x0
	v_cmpx_gt_u32_e32 16, v0
	s_cbranch_execz .LBB31_470
; %bb.461:
	v_cmp_ne_u32_e32 vcc_lo, 1, v70
	s_cbranch_vccnz .LBB31_463
; %bb.462:
	scratch_load_b64 v[68:69], v47, off
	ds_load_b64 v[72:73], v1
	s_wait_loadcnt_dscnt 0x0
	v_pk_mul_f32 v[74:75], v[72:73], v[68:69] op_sel:[1,1] op_sel_hi:[0,1]
	s_delay_alu instid0(VALU_DEP_1) | instskip(SKIP_1) | instid1(VALU_DEP_2)
	v_pk_fma_f32 v[76:77], v[72:73], v[68:69], v[74:75] op_sel_hi:[1,0,1]
	v_pk_fma_f32 v[68:69], v[72:73], v[68:69], v[74:75] neg_lo:[0,0,1] neg_hi:[0,0,1]
	v_mov_b32_e32 v69, v77
	s_cbranch_execz .LBB31_464
	s_branch .LBB31_465
.LBB31_463:
                                        ; implicit-def: $vgpr68_vgpr69
.LBB31_464:
	ds_load_b64 v[68:69], v1
.LBB31_465:
	s_mov_b32 s2, exec_lo
	v_cmpx_ne_u32_e32 15, v0
	s_cbranch_execz .LBB31_469
; %bb.466:
	v_add_nc_u32_e32 v71, 0x108, v46
	v_add3_u32 v72, 0, v46, 8
	v_mov_b32_e32 v73, v0
	s_mov_b32 s3, 0
.LBB31_467:                             ; =>This Inner Loop Header: Depth=1
	scratch_load_b64 v[74:75], v72, off
	ds_load_b64 v[76:77], v71
	s_wait_xcnt 0x0
	v_dual_add_nc_u32 v71, 8, v71 :: v_dual_add_nc_u32 v72, 8, v72
	s_wait_loadcnt_dscnt 0x0
	v_pk_mul_f32 v[78:79], v[76:77], v[74:75] op_sel:[1,1] op_sel_hi:[0,1]
	s_delay_alu instid0(VALU_DEP_1) | instskip(SKIP_2) | instid1(VALU_DEP_3)
	v_pk_fma_f32 v[80:81], v[76:77], v[74:75], v[78:79] op_sel_hi:[1,0,1]
	v_add_nc_u32_e32 v73, 1, v73
	v_pk_fma_f32 v[74:75], v[76:77], v[74:75], v[78:79] neg_lo:[0,0,1] neg_hi:[0,0,1]
	v_mov_b32_e32 v75, v81
	s_delay_alu instid0(VALU_DEP_3) | instskip(NEXT) | instid1(VALU_DEP_2)
	v_cmp_lt_u32_e32 vcc_lo, 14, v73
	v_pk_add_f32 v[68:69], v[68:69], v[74:75]
	s_or_b32 s3, vcc_lo, s3
	s_delay_alu instid0(SALU_CYCLE_1)
	s_and_not1_b32 exec_lo, exec_lo, s3
	s_cbranch_execnz .LBB31_467
; %bb.468:
	s_or_b32 exec_lo, exec_lo, s3
.LBB31_469:
	s_delay_alu instid0(SALU_CYCLE_1) | instskip(SKIP_4) | instid1(VALU_DEP_1)
	s_or_b32 exec_lo, exec_lo, s2
	v_mov_b32_e32 v71, 0
	ds_load_b64 v[72:73], v71 offset:128
	s_wait_dscnt 0x0
	v_pk_mul_f32 v[74:75], v[68:69], v[72:73] op_sel:[1,1] op_sel_hi:[0,1]
	v_pk_fma_f32 v[76:77], v[68:69], v[72:73], v[74:75] op_sel_hi:[1,0,1]
	v_pk_fma_f32 v[68:69], v[68:69], v[72:73], v[74:75] neg_lo:[0,0,1] neg_hi:[0,0,1]
	s_delay_alu instid0(VALU_DEP_2)
	v_mov_b32_e32 v69, v77
	scratch_store_b64 off, v[68:69], off offset:128
.LBB31_470:
	s_wait_xcnt 0x0
	s_or_b32 exec_lo, exec_lo, s0
	scratch_load_b64 v[68:69], off, off offset:136
	s_mov_b32 s0, exec_lo
	s_wait_loadcnt 0x0
	ds_store_b64 v1, v[68:69]
	s_wait_storecnt_dscnt 0x0
	s_barrier_signal -1
	s_barrier_wait -1
	s_wait_xcnt 0x0
	v_cmpx_gt_u32_e32 17, v0
	s_cbranch_execz .LBB31_480
; %bb.471:
	v_cmp_ne_u32_e32 vcc_lo, 1, v70
	s_cbranch_vccnz .LBB31_473
; %bb.472:
	scratch_load_b64 v[68:69], v47, off
	ds_load_b64 v[72:73], v1
	s_wait_loadcnt_dscnt 0x0
	v_pk_mul_f32 v[74:75], v[72:73], v[68:69] op_sel:[1,1] op_sel_hi:[0,1]
	s_delay_alu instid0(VALU_DEP_1) | instskip(SKIP_1) | instid1(VALU_DEP_2)
	v_pk_fma_f32 v[76:77], v[72:73], v[68:69], v[74:75] op_sel_hi:[1,0,1]
	v_pk_fma_f32 v[68:69], v[72:73], v[68:69], v[74:75] neg_lo:[0,0,1] neg_hi:[0,0,1]
	v_mov_b32_e32 v69, v77
	s_cbranch_execz .LBB31_474
	s_branch .LBB31_475
.LBB31_473:
                                        ; implicit-def: $vgpr68_vgpr69
.LBB31_474:
	ds_load_b64 v[68:69], v1
.LBB31_475:
	s_mov_b32 s2, exec_lo
	v_cmpx_ne_u32_e32 16, v0
	s_cbranch_execz .LBB31_479
; %bb.476:
	v_add_nc_u32_e32 v71, 0x108, v46
	v_add3_u32 v72, 0, v46, 8
	v_mov_b32_e32 v73, v0
	s_mov_b32 s3, 0
.LBB31_477:                             ; =>This Inner Loop Header: Depth=1
	scratch_load_b64 v[74:75], v72, off
	ds_load_b64 v[76:77], v71
	s_wait_xcnt 0x0
	v_dual_add_nc_u32 v71, 8, v71 :: v_dual_add_nc_u32 v72, 8, v72
	s_wait_loadcnt_dscnt 0x0
	v_pk_mul_f32 v[78:79], v[76:77], v[74:75] op_sel:[1,1] op_sel_hi:[0,1]
	s_delay_alu instid0(VALU_DEP_1) | instskip(SKIP_2) | instid1(VALU_DEP_3)
	v_pk_fma_f32 v[80:81], v[76:77], v[74:75], v[78:79] op_sel_hi:[1,0,1]
	v_add_nc_u32_e32 v73, 1, v73
	v_pk_fma_f32 v[74:75], v[76:77], v[74:75], v[78:79] neg_lo:[0,0,1] neg_hi:[0,0,1]
	v_mov_b32_e32 v75, v81
	s_delay_alu instid0(VALU_DEP_3) | instskip(NEXT) | instid1(VALU_DEP_2)
	v_cmp_lt_u32_e32 vcc_lo, 15, v73
	v_pk_add_f32 v[68:69], v[68:69], v[74:75]
	s_or_b32 s3, vcc_lo, s3
	s_delay_alu instid0(SALU_CYCLE_1)
	s_and_not1_b32 exec_lo, exec_lo, s3
	s_cbranch_execnz .LBB31_477
; %bb.478:
	s_or_b32 exec_lo, exec_lo, s3
.LBB31_479:
	s_delay_alu instid0(SALU_CYCLE_1) | instskip(SKIP_4) | instid1(VALU_DEP_1)
	s_or_b32 exec_lo, exec_lo, s2
	v_mov_b32_e32 v71, 0
	ds_load_b64 v[72:73], v71 offset:136
	s_wait_dscnt 0x0
	v_pk_mul_f32 v[74:75], v[68:69], v[72:73] op_sel:[1,1] op_sel_hi:[0,1]
	v_pk_fma_f32 v[76:77], v[68:69], v[72:73], v[74:75] op_sel_hi:[1,0,1]
	v_pk_fma_f32 v[68:69], v[68:69], v[72:73], v[74:75] neg_lo:[0,0,1] neg_hi:[0,0,1]
	s_delay_alu instid0(VALU_DEP_2)
	v_mov_b32_e32 v69, v77
	scratch_store_b64 off, v[68:69], off offset:136
.LBB31_480:
	s_wait_xcnt 0x0
	s_or_b32 exec_lo, exec_lo, s0
	scratch_load_b64 v[68:69], off, off offset:144
	s_mov_b32 s0, exec_lo
	s_wait_loadcnt 0x0
	ds_store_b64 v1, v[68:69]
	s_wait_storecnt_dscnt 0x0
	s_barrier_signal -1
	s_barrier_wait -1
	s_wait_xcnt 0x0
	v_cmpx_gt_u32_e32 18, v0
	s_cbranch_execz .LBB31_490
; %bb.481:
	v_cmp_ne_u32_e32 vcc_lo, 1, v70
	s_cbranch_vccnz .LBB31_483
; %bb.482:
	scratch_load_b64 v[68:69], v47, off
	ds_load_b64 v[72:73], v1
	s_wait_loadcnt_dscnt 0x0
	v_pk_mul_f32 v[74:75], v[72:73], v[68:69] op_sel:[1,1] op_sel_hi:[0,1]
	s_delay_alu instid0(VALU_DEP_1) | instskip(SKIP_1) | instid1(VALU_DEP_2)
	v_pk_fma_f32 v[76:77], v[72:73], v[68:69], v[74:75] op_sel_hi:[1,0,1]
	v_pk_fma_f32 v[68:69], v[72:73], v[68:69], v[74:75] neg_lo:[0,0,1] neg_hi:[0,0,1]
	v_mov_b32_e32 v69, v77
	s_cbranch_execz .LBB31_484
	s_branch .LBB31_485
.LBB31_483:
                                        ; implicit-def: $vgpr68_vgpr69
.LBB31_484:
	ds_load_b64 v[68:69], v1
.LBB31_485:
	s_mov_b32 s2, exec_lo
	v_cmpx_ne_u32_e32 17, v0
	s_cbranch_execz .LBB31_489
; %bb.486:
	v_add_nc_u32_e32 v71, 0x108, v46
	v_add3_u32 v72, 0, v46, 8
	v_mov_b32_e32 v73, v0
	s_mov_b32 s3, 0
.LBB31_487:                             ; =>This Inner Loop Header: Depth=1
	scratch_load_b64 v[74:75], v72, off
	ds_load_b64 v[76:77], v71
	s_wait_xcnt 0x0
	v_dual_add_nc_u32 v71, 8, v71 :: v_dual_add_nc_u32 v72, 8, v72
	s_wait_loadcnt_dscnt 0x0
	v_pk_mul_f32 v[78:79], v[76:77], v[74:75] op_sel:[1,1] op_sel_hi:[0,1]
	s_delay_alu instid0(VALU_DEP_1) | instskip(SKIP_2) | instid1(VALU_DEP_3)
	v_pk_fma_f32 v[80:81], v[76:77], v[74:75], v[78:79] op_sel_hi:[1,0,1]
	v_add_nc_u32_e32 v73, 1, v73
	v_pk_fma_f32 v[74:75], v[76:77], v[74:75], v[78:79] neg_lo:[0,0,1] neg_hi:[0,0,1]
	v_mov_b32_e32 v75, v81
	s_delay_alu instid0(VALU_DEP_3) | instskip(NEXT) | instid1(VALU_DEP_2)
	v_cmp_lt_u32_e32 vcc_lo, 16, v73
	v_pk_add_f32 v[68:69], v[68:69], v[74:75]
	s_or_b32 s3, vcc_lo, s3
	s_delay_alu instid0(SALU_CYCLE_1)
	s_and_not1_b32 exec_lo, exec_lo, s3
	s_cbranch_execnz .LBB31_487
; %bb.488:
	s_or_b32 exec_lo, exec_lo, s3
.LBB31_489:
	s_delay_alu instid0(SALU_CYCLE_1) | instskip(SKIP_4) | instid1(VALU_DEP_1)
	s_or_b32 exec_lo, exec_lo, s2
	v_mov_b32_e32 v71, 0
	ds_load_b64 v[72:73], v71 offset:144
	s_wait_dscnt 0x0
	v_pk_mul_f32 v[74:75], v[68:69], v[72:73] op_sel:[1,1] op_sel_hi:[0,1]
	v_pk_fma_f32 v[76:77], v[68:69], v[72:73], v[74:75] op_sel_hi:[1,0,1]
	v_pk_fma_f32 v[68:69], v[68:69], v[72:73], v[74:75] neg_lo:[0,0,1] neg_hi:[0,0,1]
	s_delay_alu instid0(VALU_DEP_2)
	v_mov_b32_e32 v69, v77
	scratch_store_b64 off, v[68:69], off offset:144
.LBB31_490:
	s_wait_xcnt 0x0
	s_or_b32 exec_lo, exec_lo, s0
	scratch_load_b64 v[68:69], off, off offset:152
	s_mov_b32 s0, exec_lo
	s_wait_loadcnt 0x0
	ds_store_b64 v1, v[68:69]
	s_wait_storecnt_dscnt 0x0
	s_barrier_signal -1
	s_barrier_wait -1
	s_wait_xcnt 0x0
	v_cmpx_gt_u32_e32 19, v0
	s_cbranch_execz .LBB31_500
; %bb.491:
	v_cmp_ne_u32_e32 vcc_lo, 1, v70
	s_cbranch_vccnz .LBB31_493
; %bb.492:
	scratch_load_b64 v[68:69], v47, off
	ds_load_b64 v[72:73], v1
	s_wait_loadcnt_dscnt 0x0
	v_pk_mul_f32 v[74:75], v[72:73], v[68:69] op_sel:[1,1] op_sel_hi:[0,1]
	s_delay_alu instid0(VALU_DEP_1) | instskip(SKIP_1) | instid1(VALU_DEP_2)
	v_pk_fma_f32 v[76:77], v[72:73], v[68:69], v[74:75] op_sel_hi:[1,0,1]
	v_pk_fma_f32 v[68:69], v[72:73], v[68:69], v[74:75] neg_lo:[0,0,1] neg_hi:[0,0,1]
	v_mov_b32_e32 v69, v77
	s_cbranch_execz .LBB31_494
	s_branch .LBB31_495
.LBB31_493:
                                        ; implicit-def: $vgpr68_vgpr69
.LBB31_494:
	ds_load_b64 v[68:69], v1
.LBB31_495:
	s_mov_b32 s2, exec_lo
	v_cmpx_ne_u32_e32 18, v0
	s_cbranch_execz .LBB31_499
; %bb.496:
	v_add_nc_u32_e32 v71, 0x108, v46
	v_add3_u32 v72, 0, v46, 8
	v_mov_b32_e32 v73, v0
	s_mov_b32 s3, 0
.LBB31_497:                             ; =>This Inner Loop Header: Depth=1
	scratch_load_b64 v[74:75], v72, off
	ds_load_b64 v[76:77], v71
	s_wait_xcnt 0x0
	v_dual_add_nc_u32 v71, 8, v71 :: v_dual_add_nc_u32 v72, 8, v72
	s_wait_loadcnt_dscnt 0x0
	v_pk_mul_f32 v[78:79], v[76:77], v[74:75] op_sel:[1,1] op_sel_hi:[0,1]
	s_delay_alu instid0(VALU_DEP_1) | instskip(SKIP_2) | instid1(VALU_DEP_3)
	v_pk_fma_f32 v[80:81], v[76:77], v[74:75], v[78:79] op_sel_hi:[1,0,1]
	v_add_nc_u32_e32 v73, 1, v73
	v_pk_fma_f32 v[74:75], v[76:77], v[74:75], v[78:79] neg_lo:[0,0,1] neg_hi:[0,0,1]
	v_mov_b32_e32 v75, v81
	s_delay_alu instid0(VALU_DEP_3) | instskip(NEXT) | instid1(VALU_DEP_2)
	v_cmp_lt_u32_e32 vcc_lo, 17, v73
	v_pk_add_f32 v[68:69], v[68:69], v[74:75]
	s_or_b32 s3, vcc_lo, s3
	s_delay_alu instid0(SALU_CYCLE_1)
	s_and_not1_b32 exec_lo, exec_lo, s3
	s_cbranch_execnz .LBB31_497
; %bb.498:
	s_or_b32 exec_lo, exec_lo, s3
.LBB31_499:
	s_delay_alu instid0(SALU_CYCLE_1) | instskip(SKIP_4) | instid1(VALU_DEP_1)
	s_or_b32 exec_lo, exec_lo, s2
	v_mov_b32_e32 v71, 0
	ds_load_b64 v[72:73], v71 offset:152
	s_wait_dscnt 0x0
	v_pk_mul_f32 v[74:75], v[68:69], v[72:73] op_sel:[1,1] op_sel_hi:[0,1]
	v_pk_fma_f32 v[76:77], v[68:69], v[72:73], v[74:75] op_sel_hi:[1,0,1]
	v_pk_fma_f32 v[68:69], v[68:69], v[72:73], v[74:75] neg_lo:[0,0,1] neg_hi:[0,0,1]
	s_delay_alu instid0(VALU_DEP_2)
	v_mov_b32_e32 v69, v77
	scratch_store_b64 off, v[68:69], off offset:152
.LBB31_500:
	s_wait_xcnt 0x0
	s_or_b32 exec_lo, exec_lo, s0
	scratch_load_b64 v[68:69], off, off offset:160
	s_mov_b32 s0, exec_lo
	s_wait_loadcnt 0x0
	ds_store_b64 v1, v[68:69]
	s_wait_storecnt_dscnt 0x0
	s_barrier_signal -1
	s_barrier_wait -1
	s_wait_xcnt 0x0
	v_cmpx_gt_u32_e32 20, v0
	s_cbranch_execz .LBB31_510
; %bb.501:
	v_cmp_ne_u32_e32 vcc_lo, 1, v70
	s_cbranch_vccnz .LBB31_503
; %bb.502:
	scratch_load_b64 v[68:69], v47, off
	ds_load_b64 v[72:73], v1
	s_wait_loadcnt_dscnt 0x0
	v_pk_mul_f32 v[74:75], v[72:73], v[68:69] op_sel:[1,1] op_sel_hi:[0,1]
	s_delay_alu instid0(VALU_DEP_1) | instskip(SKIP_1) | instid1(VALU_DEP_2)
	v_pk_fma_f32 v[76:77], v[72:73], v[68:69], v[74:75] op_sel_hi:[1,0,1]
	v_pk_fma_f32 v[68:69], v[72:73], v[68:69], v[74:75] neg_lo:[0,0,1] neg_hi:[0,0,1]
	v_mov_b32_e32 v69, v77
	s_cbranch_execz .LBB31_504
	s_branch .LBB31_505
.LBB31_503:
                                        ; implicit-def: $vgpr68_vgpr69
.LBB31_504:
	ds_load_b64 v[68:69], v1
.LBB31_505:
	s_mov_b32 s2, exec_lo
	v_cmpx_ne_u32_e32 19, v0
	s_cbranch_execz .LBB31_509
; %bb.506:
	v_add_nc_u32_e32 v71, 0x108, v46
	v_add3_u32 v72, 0, v46, 8
	v_mov_b32_e32 v73, v0
	s_mov_b32 s3, 0
.LBB31_507:                             ; =>This Inner Loop Header: Depth=1
	scratch_load_b64 v[74:75], v72, off
	ds_load_b64 v[76:77], v71
	s_wait_xcnt 0x0
	v_dual_add_nc_u32 v71, 8, v71 :: v_dual_add_nc_u32 v72, 8, v72
	s_wait_loadcnt_dscnt 0x0
	v_pk_mul_f32 v[78:79], v[76:77], v[74:75] op_sel:[1,1] op_sel_hi:[0,1]
	s_delay_alu instid0(VALU_DEP_1) | instskip(SKIP_2) | instid1(VALU_DEP_3)
	v_pk_fma_f32 v[80:81], v[76:77], v[74:75], v[78:79] op_sel_hi:[1,0,1]
	v_add_nc_u32_e32 v73, 1, v73
	v_pk_fma_f32 v[74:75], v[76:77], v[74:75], v[78:79] neg_lo:[0,0,1] neg_hi:[0,0,1]
	v_mov_b32_e32 v75, v81
	s_delay_alu instid0(VALU_DEP_3) | instskip(NEXT) | instid1(VALU_DEP_2)
	v_cmp_lt_u32_e32 vcc_lo, 18, v73
	v_pk_add_f32 v[68:69], v[68:69], v[74:75]
	s_or_b32 s3, vcc_lo, s3
	s_delay_alu instid0(SALU_CYCLE_1)
	s_and_not1_b32 exec_lo, exec_lo, s3
	s_cbranch_execnz .LBB31_507
; %bb.508:
	s_or_b32 exec_lo, exec_lo, s3
.LBB31_509:
	s_delay_alu instid0(SALU_CYCLE_1) | instskip(SKIP_4) | instid1(VALU_DEP_1)
	s_or_b32 exec_lo, exec_lo, s2
	v_mov_b32_e32 v71, 0
	ds_load_b64 v[72:73], v71 offset:160
	s_wait_dscnt 0x0
	v_pk_mul_f32 v[74:75], v[68:69], v[72:73] op_sel:[1,1] op_sel_hi:[0,1]
	v_pk_fma_f32 v[76:77], v[68:69], v[72:73], v[74:75] op_sel_hi:[1,0,1]
	v_pk_fma_f32 v[68:69], v[68:69], v[72:73], v[74:75] neg_lo:[0,0,1] neg_hi:[0,0,1]
	s_delay_alu instid0(VALU_DEP_2)
	v_mov_b32_e32 v69, v77
	scratch_store_b64 off, v[68:69], off offset:160
.LBB31_510:
	s_wait_xcnt 0x0
	s_or_b32 exec_lo, exec_lo, s0
	scratch_load_b64 v[68:69], off, off offset:168
	s_mov_b32 s0, exec_lo
	s_wait_loadcnt 0x0
	ds_store_b64 v1, v[68:69]
	s_wait_storecnt_dscnt 0x0
	s_barrier_signal -1
	s_barrier_wait -1
	s_wait_xcnt 0x0
	v_cmpx_gt_u32_e32 21, v0
	s_cbranch_execz .LBB31_520
; %bb.511:
	v_cmp_ne_u32_e32 vcc_lo, 1, v70
	s_cbranch_vccnz .LBB31_513
; %bb.512:
	scratch_load_b64 v[68:69], v47, off
	ds_load_b64 v[72:73], v1
	s_wait_loadcnt_dscnt 0x0
	v_pk_mul_f32 v[74:75], v[72:73], v[68:69] op_sel:[1,1] op_sel_hi:[0,1]
	s_delay_alu instid0(VALU_DEP_1) | instskip(SKIP_1) | instid1(VALU_DEP_2)
	v_pk_fma_f32 v[76:77], v[72:73], v[68:69], v[74:75] op_sel_hi:[1,0,1]
	v_pk_fma_f32 v[68:69], v[72:73], v[68:69], v[74:75] neg_lo:[0,0,1] neg_hi:[0,0,1]
	v_mov_b32_e32 v69, v77
	s_cbranch_execz .LBB31_514
	s_branch .LBB31_515
.LBB31_513:
                                        ; implicit-def: $vgpr68_vgpr69
.LBB31_514:
	ds_load_b64 v[68:69], v1
.LBB31_515:
	s_mov_b32 s2, exec_lo
	v_cmpx_ne_u32_e32 20, v0
	s_cbranch_execz .LBB31_519
; %bb.516:
	v_add_nc_u32_e32 v71, 0x108, v46
	v_add3_u32 v72, 0, v46, 8
	v_mov_b32_e32 v73, v0
	s_mov_b32 s3, 0
.LBB31_517:                             ; =>This Inner Loop Header: Depth=1
	scratch_load_b64 v[74:75], v72, off
	ds_load_b64 v[76:77], v71
	s_wait_xcnt 0x0
	v_dual_add_nc_u32 v71, 8, v71 :: v_dual_add_nc_u32 v72, 8, v72
	s_wait_loadcnt_dscnt 0x0
	v_pk_mul_f32 v[78:79], v[76:77], v[74:75] op_sel:[1,1] op_sel_hi:[0,1]
	s_delay_alu instid0(VALU_DEP_1) | instskip(SKIP_2) | instid1(VALU_DEP_3)
	v_pk_fma_f32 v[80:81], v[76:77], v[74:75], v[78:79] op_sel_hi:[1,0,1]
	v_add_nc_u32_e32 v73, 1, v73
	v_pk_fma_f32 v[74:75], v[76:77], v[74:75], v[78:79] neg_lo:[0,0,1] neg_hi:[0,0,1]
	v_mov_b32_e32 v75, v81
	s_delay_alu instid0(VALU_DEP_3) | instskip(NEXT) | instid1(VALU_DEP_2)
	v_cmp_lt_u32_e32 vcc_lo, 19, v73
	v_pk_add_f32 v[68:69], v[68:69], v[74:75]
	s_or_b32 s3, vcc_lo, s3
	s_delay_alu instid0(SALU_CYCLE_1)
	s_and_not1_b32 exec_lo, exec_lo, s3
	s_cbranch_execnz .LBB31_517
; %bb.518:
	s_or_b32 exec_lo, exec_lo, s3
.LBB31_519:
	s_delay_alu instid0(SALU_CYCLE_1) | instskip(SKIP_4) | instid1(VALU_DEP_1)
	s_or_b32 exec_lo, exec_lo, s2
	v_mov_b32_e32 v71, 0
	ds_load_b64 v[72:73], v71 offset:168
	s_wait_dscnt 0x0
	v_pk_mul_f32 v[74:75], v[68:69], v[72:73] op_sel:[1,1] op_sel_hi:[0,1]
	v_pk_fma_f32 v[76:77], v[68:69], v[72:73], v[74:75] op_sel_hi:[1,0,1]
	v_pk_fma_f32 v[68:69], v[68:69], v[72:73], v[74:75] neg_lo:[0,0,1] neg_hi:[0,0,1]
	s_delay_alu instid0(VALU_DEP_2)
	v_mov_b32_e32 v69, v77
	scratch_store_b64 off, v[68:69], off offset:168
.LBB31_520:
	s_wait_xcnt 0x0
	s_or_b32 exec_lo, exec_lo, s0
	scratch_load_b64 v[68:69], off, off offset:176
	s_mov_b32 s0, exec_lo
	s_wait_loadcnt 0x0
	ds_store_b64 v1, v[68:69]
	s_wait_storecnt_dscnt 0x0
	s_barrier_signal -1
	s_barrier_wait -1
	s_wait_xcnt 0x0
	v_cmpx_gt_u32_e32 22, v0
	s_cbranch_execz .LBB31_530
; %bb.521:
	v_cmp_ne_u32_e32 vcc_lo, 1, v70
	s_cbranch_vccnz .LBB31_523
; %bb.522:
	scratch_load_b64 v[68:69], v47, off
	ds_load_b64 v[72:73], v1
	s_wait_loadcnt_dscnt 0x0
	v_pk_mul_f32 v[74:75], v[72:73], v[68:69] op_sel:[1,1] op_sel_hi:[0,1]
	s_delay_alu instid0(VALU_DEP_1) | instskip(SKIP_1) | instid1(VALU_DEP_2)
	v_pk_fma_f32 v[76:77], v[72:73], v[68:69], v[74:75] op_sel_hi:[1,0,1]
	v_pk_fma_f32 v[68:69], v[72:73], v[68:69], v[74:75] neg_lo:[0,0,1] neg_hi:[0,0,1]
	v_mov_b32_e32 v69, v77
	s_cbranch_execz .LBB31_524
	s_branch .LBB31_525
.LBB31_523:
                                        ; implicit-def: $vgpr68_vgpr69
.LBB31_524:
	ds_load_b64 v[68:69], v1
.LBB31_525:
	s_mov_b32 s2, exec_lo
	v_cmpx_ne_u32_e32 21, v0
	s_cbranch_execz .LBB31_529
; %bb.526:
	v_add_nc_u32_e32 v71, 0x108, v46
	v_add3_u32 v72, 0, v46, 8
	v_mov_b32_e32 v73, v0
	s_mov_b32 s3, 0
.LBB31_527:                             ; =>This Inner Loop Header: Depth=1
	scratch_load_b64 v[74:75], v72, off
	ds_load_b64 v[76:77], v71
	s_wait_xcnt 0x0
	v_dual_add_nc_u32 v71, 8, v71 :: v_dual_add_nc_u32 v72, 8, v72
	s_wait_loadcnt_dscnt 0x0
	v_pk_mul_f32 v[78:79], v[76:77], v[74:75] op_sel:[1,1] op_sel_hi:[0,1]
	s_delay_alu instid0(VALU_DEP_1) | instskip(SKIP_2) | instid1(VALU_DEP_3)
	v_pk_fma_f32 v[80:81], v[76:77], v[74:75], v[78:79] op_sel_hi:[1,0,1]
	v_add_nc_u32_e32 v73, 1, v73
	v_pk_fma_f32 v[74:75], v[76:77], v[74:75], v[78:79] neg_lo:[0,0,1] neg_hi:[0,0,1]
	v_mov_b32_e32 v75, v81
	s_delay_alu instid0(VALU_DEP_3) | instskip(NEXT) | instid1(VALU_DEP_2)
	v_cmp_lt_u32_e32 vcc_lo, 20, v73
	v_pk_add_f32 v[68:69], v[68:69], v[74:75]
	s_or_b32 s3, vcc_lo, s3
	s_delay_alu instid0(SALU_CYCLE_1)
	s_and_not1_b32 exec_lo, exec_lo, s3
	s_cbranch_execnz .LBB31_527
; %bb.528:
	s_or_b32 exec_lo, exec_lo, s3
.LBB31_529:
	s_delay_alu instid0(SALU_CYCLE_1) | instskip(SKIP_4) | instid1(VALU_DEP_1)
	s_or_b32 exec_lo, exec_lo, s2
	v_mov_b32_e32 v71, 0
	ds_load_b64 v[72:73], v71 offset:176
	s_wait_dscnt 0x0
	v_pk_mul_f32 v[74:75], v[68:69], v[72:73] op_sel:[1,1] op_sel_hi:[0,1]
	v_pk_fma_f32 v[76:77], v[68:69], v[72:73], v[74:75] op_sel_hi:[1,0,1]
	v_pk_fma_f32 v[68:69], v[68:69], v[72:73], v[74:75] neg_lo:[0,0,1] neg_hi:[0,0,1]
	s_delay_alu instid0(VALU_DEP_2)
	v_mov_b32_e32 v69, v77
	scratch_store_b64 off, v[68:69], off offset:176
.LBB31_530:
	s_wait_xcnt 0x0
	s_or_b32 exec_lo, exec_lo, s0
	scratch_load_b64 v[68:69], off, off offset:184
	s_mov_b32 s0, exec_lo
	s_wait_loadcnt 0x0
	ds_store_b64 v1, v[68:69]
	s_wait_storecnt_dscnt 0x0
	s_barrier_signal -1
	s_barrier_wait -1
	s_wait_xcnt 0x0
	v_cmpx_gt_u32_e32 23, v0
	s_cbranch_execz .LBB31_540
; %bb.531:
	v_cmp_ne_u32_e32 vcc_lo, 1, v70
	s_cbranch_vccnz .LBB31_533
; %bb.532:
	scratch_load_b64 v[68:69], v47, off
	ds_load_b64 v[72:73], v1
	s_wait_loadcnt_dscnt 0x0
	v_pk_mul_f32 v[74:75], v[72:73], v[68:69] op_sel:[1,1] op_sel_hi:[0,1]
	s_delay_alu instid0(VALU_DEP_1) | instskip(SKIP_1) | instid1(VALU_DEP_2)
	v_pk_fma_f32 v[76:77], v[72:73], v[68:69], v[74:75] op_sel_hi:[1,0,1]
	v_pk_fma_f32 v[68:69], v[72:73], v[68:69], v[74:75] neg_lo:[0,0,1] neg_hi:[0,0,1]
	v_mov_b32_e32 v69, v77
	s_cbranch_execz .LBB31_534
	s_branch .LBB31_535
.LBB31_533:
                                        ; implicit-def: $vgpr68_vgpr69
.LBB31_534:
	ds_load_b64 v[68:69], v1
.LBB31_535:
	s_mov_b32 s2, exec_lo
	v_cmpx_ne_u32_e32 22, v0
	s_cbranch_execz .LBB31_539
; %bb.536:
	v_add_nc_u32_e32 v71, 0x108, v46
	v_add3_u32 v72, 0, v46, 8
	v_mov_b32_e32 v73, v0
	s_mov_b32 s3, 0
.LBB31_537:                             ; =>This Inner Loop Header: Depth=1
	scratch_load_b64 v[74:75], v72, off
	ds_load_b64 v[76:77], v71
	s_wait_xcnt 0x0
	v_dual_add_nc_u32 v71, 8, v71 :: v_dual_add_nc_u32 v72, 8, v72
	s_wait_loadcnt_dscnt 0x0
	v_pk_mul_f32 v[78:79], v[76:77], v[74:75] op_sel:[1,1] op_sel_hi:[0,1]
	s_delay_alu instid0(VALU_DEP_1) | instskip(SKIP_2) | instid1(VALU_DEP_3)
	v_pk_fma_f32 v[80:81], v[76:77], v[74:75], v[78:79] op_sel_hi:[1,0,1]
	v_add_nc_u32_e32 v73, 1, v73
	v_pk_fma_f32 v[74:75], v[76:77], v[74:75], v[78:79] neg_lo:[0,0,1] neg_hi:[0,0,1]
	v_mov_b32_e32 v75, v81
	s_delay_alu instid0(VALU_DEP_3) | instskip(NEXT) | instid1(VALU_DEP_2)
	v_cmp_lt_u32_e32 vcc_lo, 21, v73
	v_pk_add_f32 v[68:69], v[68:69], v[74:75]
	s_or_b32 s3, vcc_lo, s3
	s_delay_alu instid0(SALU_CYCLE_1)
	s_and_not1_b32 exec_lo, exec_lo, s3
	s_cbranch_execnz .LBB31_537
; %bb.538:
	s_or_b32 exec_lo, exec_lo, s3
.LBB31_539:
	s_delay_alu instid0(SALU_CYCLE_1) | instskip(SKIP_4) | instid1(VALU_DEP_1)
	s_or_b32 exec_lo, exec_lo, s2
	v_mov_b32_e32 v71, 0
	ds_load_b64 v[72:73], v71 offset:184
	s_wait_dscnt 0x0
	v_pk_mul_f32 v[74:75], v[68:69], v[72:73] op_sel:[1,1] op_sel_hi:[0,1]
	v_pk_fma_f32 v[76:77], v[68:69], v[72:73], v[74:75] op_sel_hi:[1,0,1]
	v_pk_fma_f32 v[68:69], v[68:69], v[72:73], v[74:75] neg_lo:[0,0,1] neg_hi:[0,0,1]
	s_delay_alu instid0(VALU_DEP_2)
	v_mov_b32_e32 v69, v77
	scratch_store_b64 off, v[68:69], off offset:184
.LBB31_540:
	s_wait_xcnt 0x0
	s_or_b32 exec_lo, exec_lo, s0
	scratch_load_b64 v[68:69], off, off offset:192
	s_mov_b32 s0, exec_lo
	s_wait_loadcnt 0x0
	ds_store_b64 v1, v[68:69]
	s_wait_storecnt_dscnt 0x0
	s_barrier_signal -1
	s_barrier_wait -1
	s_wait_xcnt 0x0
	v_cmpx_gt_u32_e32 24, v0
	s_cbranch_execz .LBB31_550
; %bb.541:
	v_cmp_ne_u32_e32 vcc_lo, 1, v70
	s_cbranch_vccnz .LBB31_543
; %bb.542:
	scratch_load_b64 v[68:69], v47, off
	ds_load_b64 v[72:73], v1
	s_wait_loadcnt_dscnt 0x0
	v_pk_mul_f32 v[74:75], v[72:73], v[68:69] op_sel:[1,1] op_sel_hi:[0,1]
	s_delay_alu instid0(VALU_DEP_1) | instskip(SKIP_1) | instid1(VALU_DEP_2)
	v_pk_fma_f32 v[76:77], v[72:73], v[68:69], v[74:75] op_sel_hi:[1,0,1]
	v_pk_fma_f32 v[68:69], v[72:73], v[68:69], v[74:75] neg_lo:[0,0,1] neg_hi:[0,0,1]
	v_mov_b32_e32 v69, v77
	s_cbranch_execz .LBB31_544
	s_branch .LBB31_545
.LBB31_543:
                                        ; implicit-def: $vgpr68_vgpr69
.LBB31_544:
	ds_load_b64 v[68:69], v1
.LBB31_545:
	s_mov_b32 s2, exec_lo
	v_cmpx_ne_u32_e32 23, v0
	s_cbranch_execz .LBB31_549
; %bb.546:
	v_add_nc_u32_e32 v71, 0x108, v46
	v_add3_u32 v72, 0, v46, 8
	v_mov_b32_e32 v73, v0
	s_mov_b32 s3, 0
.LBB31_547:                             ; =>This Inner Loop Header: Depth=1
	scratch_load_b64 v[74:75], v72, off
	ds_load_b64 v[76:77], v71
	s_wait_xcnt 0x0
	v_dual_add_nc_u32 v71, 8, v71 :: v_dual_add_nc_u32 v72, 8, v72
	s_wait_loadcnt_dscnt 0x0
	v_pk_mul_f32 v[78:79], v[76:77], v[74:75] op_sel:[1,1] op_sel_hi:[0,1]
	s_delay_alu instid0(VALU_DEP_1) | instskip(SKIP_2) | instid1(VALU_DEP_3)
	v_pk_fma_f32 v[80:81], v[76:77], v[74:75], v[78:79] op_sel_hi:[1,0,1]
	v_add_nc_u32_e32 v73, 1, v73
	v_pk_fma_f32 v[74:75], v[76:77], v[74:75], v[78:79] neg_lo:[0,0,1] neg_hi:[0,0,1]
	v_mov_b32_e32 v75, v81
	s_delay_alu instid0(VALU_DEP_3) | instskip(NEXT) | instid1(VALU_DEP_2)
	v_cmp_lt_u32_e32 vcc_lo, 22, v73
	v_pk_add_f32 v[68:69], v[68:69], v[74:75]
	s_or_b32 s3, vcc_lo, s3
	s_delay_alu instid0(SALU_CYCLE_1)
	s_and_not1_b32 exec_lo, exec_lo, s3
	s_cbranch_execnz .LBB31_547
; %bb.548:
	s_or_b32 exec_lo, exec_lo, s3
.LBB31_549:
	s_delay_alu instid0(SALU_CYCLE_1) | instskip(SKIP_4) | instid1(VALU_DEP_1)
	s_or_b32 exec_lo, exec_lo, s2
	v_mov_b32_e32 v71, 0
	ds_load_b64 v[72:73], v71 offset:192
	s_wait_dscnt 0x0
	v_pk_mul_f32 v[74:75], v[68:69], v[72:73] op_sel:[1,1] op_sel_hi:[0,1]
	v_pk_fma_f32 v[76:77], v[68:69], v[72:73], v[74:75] op_sel_hi:[1,0,1]
	v_pk_fma_f32 v[68:69], v[68:69], v[72:73], v[74:75] neg_lo:[0,0,1] neg_hi:[0,0,1]
	s_delay_alu instid0(VALU_DEP_2)
	v_mov_b32_e32 v69, v77
	scratch_store_b64 off, v[68:69], off offset:192
.LBB31_550:
	s_wait_xcnt 0x0
	s_or_b32 exec_lo, exec_lo, s0
	scratch_load_b64 v[68:69], off, off offset:200
	s_mov_b32 s0, exec_lo
	s_wait_loadcnt 0x0
	ds_store_b64 v1, v[68:69]
	s_wait_storecnt_dscnt 0x0
	s_barrier_signal -1
	s_barrier_wait -1
	s_wait_xcnt 0x0
	v_cmpx_gt_u32_e32 25, v0
	s_cbranch_execz .LBB31_560
; %bb.551:
	v_cmp_ne_u32_e32 vcc_lo, 1, v70
	s_cbranch_vccnz .LBB31_553
; %bb.552:
	scratch_load_b64 v[68:69], v47, off
	ds_load_b64 v[72:73], v1
	s_wait_loadcnt_dscnt 0x0
	v_pk_mul_f32 v[74:75], v[72:73], v[68:69] op_sel:[1,1] op_sel_hi:[0,1]
	s_delay_alu instid0(VALU_DEP_1) | instskip(SKIP_1) | instid1(VALU_DEP_2)
	v_pk_fma_f32 v[76:77], v[72:73], v[68:69], v[74:75] op_sel_hi:[1,0,1]
	v_pk_fma_f32 v[68:69], v[72:73], v[68:69], v[74:75] neg_lo:[0,0,1] neg_hi:[0,0,1]
	v_mov_b32_e32 v69, v77
	s_cbranch_execz .LBB31_554
	s_branch .LBB31_555
.LBB31_553:
                                        ; implicit-def: $vgpr68_vgpr69
.LBB31_554:
	ds_load_b64 v[68:69], v1
.LBB31_555:
	s_mov_b32 s2, exec_lo
	v_cmpx_ne_u32_e32 24, v0
	s_cbranch_execz .LBB31_559
; %bb.556:
	v_add_nc_u32_e32 v71, 0x108, v46
	v_add3_u32 v72, 0, v46, 8
	v_mov_b32_e32 v73, v0
	s_mov_b32 s3, 0
.LBB31_557:                             ; =>This Inner Loop Header: Depth=1
	scratch_load_b64 v[74:75], v72, off
	ds_load_b64 v[76:77], v71
	s_wait_xcnt 0x0
	v_dual_add_nc_u32 v71, 8, v71 :: v_dual_add_nc_u32 v72, 8, v72
	s_wait_loadcnt_dscnt 0x0
	v_pk_mul_f32 v[78:79], v[76:77], v[74:75] op_sel:[1,1] op_sel_hi:[0,1]
	s_delay_alu instid0(VALU_DEP_1) | instskip(SKIP_2) | instid1(VALU_DEP_3)
	v_pk_fma_f32 v[80:81], v[76:77], v[74:75], v[78:79] op_sel_hi:[1,0,1]
	v_add_nc_u32_e32 v73, 1, v73
	v_pk_fma_f32 v[74:75], v[76:77], v[74:75], v[78:79] neg_lo:[0,0,1] neg_hi:[0,0,1]
	v_mov_b32_e32 v75, v81
	s_delay_alu instid0(VALU_DEP_3) | instskip(NEXT) | instid1(VALU_DEP_2)
	v_cmp_lt_u32_e32 vcc_lo, 23, v73
	v_pk_add_f32 v[68:69], v[68:69], v[74:75]
	s_or_b32 s3, vcc_lo, s3
	s_delay_alu instid0(SALU_CYCLE_1)
	s_and_not1_b32 exec_lo, exec_lo, s3
	s_cbranch_execnz .LBB31_557
; %bb.558:
	s_or_b32 exec_lo, exec_lo, s3
.LBB31_559:
	s_delay_alu instid0(SALU_CYCLE_1) | instskip(SKIP_4) | instid1(VALU_DEP_1)
	s_or_b32 exec_lo, exec_lo, s2
	v_mov_b32_e32 v71, 0
	ds_load_b64 v[72:73], v71 offset:200
	s_wait_dscnt 0x0
	v_pk_mul_f32 v[74:75], v[68:69], v[72:73] op_sel:[1,1] op_sel_hi:[0,1]
	v_pk_fma_f32 v[76:77], v[68:69], v[72:73], v[74:75] op_sel_hi:[1,0,1]
	v_pk_fma_f32 v[68:69], v[68:69], v[72:73], v[74:75] neg_lo:[0,0,1] neg_hi:[0,0,1]
	s_delay_alu instid0(VALU_DEP_2)
	v_mov_b32_e32 v69, v77
	scratch_store_b64 off, v[68:69], off offset:200
.LBB31_560:
	s_wait_xcnt 0x0
	s_or_b32 exec_lo, exec_lo, s0
	scratch_load_b64 v[68:69], off, off offset:208
	s_mov_b32 s0, exec_lo
	s_wait_loadcnt 0x0
	ds_store_b64 v1, v[68:69]
	s_wait_storecnt_dscnt 0x0
	s_barrier_signal -1
	s_barrier_wait -1
	s_wait_xcnt 0x0
	v_cmpx_gt_u32_e32 26, v0
	s_cbranch_execz .LBB31_570
; %bb.561:
	v_cmp_ne_u32_e32 vcc_lo, 1, v70
	s_cbranch_vccnz .LBB31_563
; %bb.562:
	scratch_load_b64 v[68:69], v47, off
	ds_load_b64 v[72:73], v1
	s_wait_loadcnt_dscnt 0x0
	v_pk_mul_f32 v[74:75], v[72:73], v[68:69] op_sel:[1,1] op_sel_hi:[0,1]
	s_delay_alu instid0(VALU_DEP_1) | instskip(SKIP_1) | instid1(VALU_DEP_2)
	v_pk_fma_f32 v[76:77], v[72:73], v[68:69], v[74:75] op_sel_hi:[1,0,1]
	v_pk_fma_f32 v[68:69], v[72:73], v[68:69], v[74:75] neg_lo:[0,0,1] neg_hi:[0,0,1]
	v_mov_b32_e32 v69, v77
	s_cbranch_execz .LBB31_564
	s_branch .LBB31_565
.LBB31_563:
                                        ; implicit-def: $vgpr68_vgpr69
.LBB31_564:
	ds_load_b64 v[68:69], v1
.LBB31_565:
	s_mov_b32 s2, exec_lo
	v_cmpx_ne_u32_e32 25, v0
	s_cbranch_execz .LBB31_569
; %bb.566:
	v_add_nc_u32_e32 v71, 0x108, v46
	v_add3_u32 v72, 0, v46, 8
	v_mov_b32_e32 v73, v0
	s_mov_b32 s3, 0
.LBB31_567:                             ; =>This Inner Loop Header: Depth=1
	scratch_load_b64 v[74:75], v72, off
	ds_load_b64 v[76:77], v71
	s_wait_xcnt 0x0
	v_dual_add_nc_u32 v71, 8, v71 :: v_dual_add_nc_u32 v72, 8, v72
	s_wait_loadcnt_dscnt 0x0
	v_pk_mul_f32 v[78:79], v[76:77], v[74:75] op_sel:[1,1] op_sel_hi:[0,1]
	s_delay_alu instid0(VALU_DEP_1) | instskip(SKIP_2) | instid1(VALU_DEP_3)
	v_pk_fma_f32 v[80:81], v[76:77], v[74:75], v[78:79] op_sel_hi:[1,0,1]
	v_add_nc_u32_e32 v73, 1, v73
	v_pk_fma_f32 v[74:75], v[76:77], v[74:75], v[78:79] neg_lo:[0,0,1] neg_hi:[0,0,1]
	v_mov_b32_e32 v75, v81
	s_delay_alu instid0(VALU_DEP_3) | instskip(NEXT) | instid1(VALU_DEP_2)
	v_cmp_lt_u32_e32 vcc_lo, 24, v73
	v_pk_add_f32 v[68:69], v[68:69], v[74:75]
	s_or_b32 s3, vcc_lo, s3
	s_delay_alu instid0(SALU_CYCLE_1)
	s_and_not1_b32 exec_lo, exec_lo, s3
	s_cbranch_execnz .LBB31_567
; %bb.568:
	s_or_b32 exec_lo, exec_lo, s3
.LBB31_569:
	s_delay_alu instid0(SALU_CYCLE_1) | instskip(SKIP_4) | instid1(VALU_DEP_1)
	s_or_b32 exec_lo, exec_lo, s2
	v_mov_b32_e32 v71, 0
	ds_load_b64 v[72:73], v71 offset:208
	s_wait_dscnt 0x0
	v_pk_mul_f32 v[74:75], v[68:69], v[72:73] op_sel:[1,1] op_sel_hi:[0,1]
	v_pk_fma_f32 v[76:77], v[68:69], v[72:73], v[74:75] op_sel_hi:[1,0,1]
	v_pk_fma_f32 v[68:69], v[68:69], v[72:73], v[74:75] neg_lo:[0,0,1] neg_hi:[0,0,1]
	s_delay_alu instid0(VALU_DEP_2)
	v_mov_b32_e32 v69, v77
	scratch_store_b64 off, v[68:69], off offset:208
.LBB31_570:
	s_wait_xcnt 0x0
	s_or_b32 exec_lo, exec_lo, s0
	scratch_load_b64 v[68:69], off, off offset:216
	s_mov_b32 s0, exec_lo
	s_wait_loadcnt 0x0
	ds_store_b64 v1, v[68:69]
	s_wait_storecnt_dscnt 0x0
	s_barrier_signal -1
	s_barrier_wait -1
	s_wait_xcnt 0x0
	v_cmpx_gt_u32_e32 27, v0
	s_cbranch_execz .LBB31_580
; %bb.571:
	v_cmp_ne_u32_e32 vcc_lo, 1, v70
	s_cbranch_vccnz .LBB31_573
; %bb.572:
	scratch_load_b64 v[68:69], v47, off
	ds_load_b64 v[72:73], v1
	s_wait_loadcnt_dscnt 0x0
	v_pk_mul_f32 v[74:75], v[72:73], v[68:69] op_sel:[1,1] op_sel_hi:[0,1]
	s_delay_alu instid0(VALU_DEP_1) | instskip(SKIP_1) | instid1(VALU_DEP_2)
	v_pk_fma_f32 v[76:77], v[72:73], v[68:69], v[74:75] op_sel_hi:[1,0,1]
	v_pk_fma_f32 v[68:69], v[72:73], v[68:69], v[74:75] neg_lo:[0,0,1] neg_hi:[0,0,1]
	v_mov_b32_e32 v69, v77
	s_cbranch_execz .LBB31_574
	s_branch .LBB31_575
.LBB31_573:
                                        ; implicit-def: $vgpr68_vgpr69
.LBB31_574:
	ds_load_b64 v[68:69], v1
.LBB31_575:
	s_mov_b32 s2, exec_lo
	v_cmpx_ne_u32_e32 26, v0
	s_cbranch_execz .LBB31_579
; %bb.576:
	v_add_nc_u32_e32 v71, 0x108, v46
	v_add3_u32 v72, 0, v46, 8
	v_mov_b32_e32 v73, v0
	s_mov_b32 s3, 0
.LBB31_577:                             ; =>This Inner Loop Header: Depth=1
	scratch_load_b64 v[74:75], v72, off
	ds_load_b64 v[76:77], v71
	s_wait_xcnt 0x0
	v_dual_add_nc_u32 v71, 8, v71 :: v_dual_add_nc_u32 v72, 8, v72
	s_wait_loadcnt_dscnt 0x0
	v_pk_mul_f32 v[78:79], v[76:77], v[74:75] op_sel:[1,1] op_sel_hi:[0,1]
	s_delay_alu instid0(VALU_DEP_1) | instskip(SKIP_2) | instid1(VALU_DEP_3)
	v_pk_fma_f32 v[80:81], v[76:77], v[74:75], v[78:79] op_sel_hi:[1,0,1]
	v_add_nc_u32_e32 v73, 1, v73
	v_pk_fma_f32 v[74:75], v[76:77], v[74:75], v[78:79] neg_lo:[0,0,1] neg_hi:[0,0,1]
	v_mov_b32_e32 v75, v81
	s_delay_alu instid0(VALU_DEP_3) | instskip(NEXT) | instid1(VALU_DEP_2)
	v_cmp_lt_u32_e32 vcc_lo, 25, v73
	v_pk_add_f32 v[68:69], v[68:69], v[74:75]
	s_or_b32 s3, vcc_lo, s3
	s_delay_alu instid0(SALU_CYCLE_1)
	s_and_not1_b32 exec_lo, exec_lo, s3
	s_cbranch_execnz .LBB31_577
; %bb.578:
	s_or_b32 exec_lo, exec_lo, s3
.LBB31_579:
	s_delay_alu instid0(SALU_CYCLE_1) | instskip(SKIP_4) | instid1(VALU_DEP_1)
	s_or_b32 exec_lo, exec_lo, s2
	v_mov_b32_e32 v71, 0
	ds_load_b64 v[72:73], v71 offset:216
	s_wait_dscnt 0x0
	v_pk_mul_f32 v[74:75], v[68:69], v[72:73] op_sel:[1,1] op_sel_hi:[0,1]
	v_pk_fma_f32 v[76:77], v[68:69], v[72:73], v[74:75] op_sel_hi:[1,0,1]
	v_pk_fma_f32 v[68:69], v[68:69], v[72:73], v[74:75] neg_lo:[0,0,1] neg_hi:[0,0,1]
	s_delay_alu instid0(VALU_DEP_2)
	v_mov_b32_e32 v69, v77
	scratch_store_b64 off, v[68:69], off offset:216
.LBB31_580:
	s_wait_xcnt 0x0
	s_or_b32 exec_lo, exec_lo, s0
	scratch_load_b64 v[68:69], off, off offset:224
	s_mov_b32 s0, exec_lo
	s_wait_loadcnt 0x0
	ds_store_b64 v1, v[68:69]
	s_wait_storecnt_dscnt 0x0
	s_barrier_signal -1
	s_barrier_wait -1
	s_wait_xcnt 0x0
	v_cmpx_gt_u32_e32 28, v0
	s_cbranch_execz .LBB31_590
; %bb.581:
	v_cmp_ne_u32_e32 vcc_lo, 1, v70
	s_cbranch_vccnz .LBB31_583
; %bb.582:
	scratch_load_b64 v[68:69], v47, off
	ds_load_b64 v[72:73], v1
	s_wait_loadcnt_dscnt 0x0
	v_pk_mul_f32 v[74:75], v[72:73], v[68:69] op_sel:[1,1] op_sel_hi:[0,1]
	s_delay_alu instid0(VALU_DEP_1) | instskip(SKIP_1) | instid1(VALU_DEP_2)
	v_pk_fma_f32 v[76:77], v[72:73], v[68:69], v[74:75] op_sel_hi:[1,0,1]
	v_pk_fma_f32 v[68:69], v[72:73], v[68:69], v[74:75] neg_lo:[0,0,1] neg_hi:[0,0,1]
	v_mov_b32_e32 v69, v77
	s_cbranch_execz .LBB31_584
	s_branch .LBB31_585
.LBB31_583:
                                        ; implicit-def: $vgpr68_vgpr69
.LBB31_584:
	ds_load_b64 v[68:69], v1
.LBB31_585:
	s_mov_b32 s2, exec_lo
	v_cmpx_ne_u32_e32 27, v0
	s_cbranch_execz .LBB31_589
; %bb.586:
	v_add_nc_u32_e32 v71, 0x108, v46
	v_add3_u32 v72, 0, v46, 8
	v_mov_b32_e32 v73, v0
	s_mov_b32 s3, 0
.LBB31_587:                             ; =>This Inner Loop Header: Depth=1
	scratch_load_b64 v[74:75], v72, off
	ds_load_b64 v[76:77], v71
	s_wait_xcnt 0x0
	v_dual_add_nc_u32 v71, 8, v71 :: v_dual_add_nc_u32 v72, 8, v72
	s_wait_loadcnt_dscnt 0x0
	v_pk_mul_f32 v[78:79], v[76:77], v[74:75] op_sel:[1,1] op_sel_hi:[0,1]
	s_delay_alu instid0(VALU_DEP_1) | instskip(SKIP_2) | instid1(VALU_DEP_3)
	v_pk_fma_f32 v[80:81], v[76:77], v[74:75], v[78:79] op_sel_hi:[1,0,1]
	v_add_nc_u32_e32 v73, 1, v73
	v_pk_fma_f32 v[74:75], v[76:77], v[74:75], v[78:79] neg_lo:[0,0,1] neg_hi:[0,0,1]
	v_mov_b32_e32 v75, v81
	s_delay_alu instid0(VALU_DEP_3) | instskip(NEXT) | instid1(VALU_DEP_2)
	v_cmp_lt_u32_e32 vcc_lo, 26, v73
	v_pk_add_f32 v[68:69], v[68:69], v[74:75]
	s_or_b32 s3, vcc_lo, s3
	s_delay_alu instid0(SALU_CYCLE_1)
	s_and_not1_b32 exec_lo, exec_lo, s3
	s_cbranch_execnz .LBB31_587
; %bb.588:
	s_or_b32 exec_lo, exec_lo, s3
.LBB31_589:
	s_delay_alu instid0(SALU_CYCLE_1) | instskip(SKIP_4) | instid1(VALU_DEP_1)
	s_or_b32 exec_lo, exec_lo, s2
	v_mov_b32_e32 v71, 0
	ds_load_b64 v[72:73], v71 offset:224
	s_wait_dscnt 0x0
	v_pk_mul_f32 v[74:75], v[68:69], v[72:73] op_sel:[1,1] op_sel_hi:[0,1]
	v_pk_fma_f32 v[76:77], v[68:69], v[72:73], v[74:75] op_sel_hi:[1,0,1]
	v_pk_fma_f32 v[68:69], v[68:69], v[72:73], v[74:75] neg_lo:[0,0,1] neg_hi:[0,0,1]
	s_delay_alu instid0(VALU_DEP_2)
	v_mov_b32_e32 v69, v77
	scratch_store_b64 off, v[68:69], off offset:224
.LBB31_590:
	s_wait_xcnt 0x0
	s_or_b32 exec_lo, exec_lo, s0
	scratch_load_b64 v[68:69], off, off offset:232
	s_mov_b32 s0, exec_lo
	s_wait_loadcnt 0x0
	ds_store_b64 v1, v[68:69]
	s_wait_storecnt_dscnt 0x0
	s_barrier_signal -1
	s_barrier_wait -1
	s_wait_xcnt 0x0
	v_cmpx_gt_u32_e32 29, v0
	s_cbranch_execz .LBB31_600
; %bb.591:
	v_cmp_ne_u32_e32 vcc_lo, 1, v70
	s_cbranch_vccnz .LBB31_593
; %bb.592:
	scratch_load_b64 v[68:69], v47, off
	ds_load_b64 v[72:73], v1
	s_wait_loadcnt_dscnt 0x0
	v_pk_mul_f32 v[74:75], v[72:73], v[68:69] op_sel:[1,1] op_sel_hi:[0,1]
	s_delay_alu instid0(VALU_DEP_1) | instskip(SKIP_1) | instid1(VALU_DEP_2)
	v_pk_fma_f32 v[76:77], v[72:73], v[68:69], v[74:75] op_sel_hi:[1,0,1]
	v_pk_fma_f32 v[68:69], v[72:73], v[68:69], v[74:75] neg_lo:[0,0,1] neg_hi:[0,0,1]
	v_mov_b32_e32 v69, v77
	s_cbranch_execz .LBB31_594
	s_branch .LBB31_595
.LBB31_593:
                                        ; implicit-def: $vgpr68_vgpr69
.LBB31_594:
	ds_load_b64 v[68:69], v1
.LBB31_595:
	s_mov_b32 s2, exec_lo
	v_cmpx_ne_u32_e32 28, v0
	s_cbranch_execz .LBB31_599
; %bb.596:
	v_add_nc_u32_e32 v71, 0x108, v46
	v_add3_u32 v72, 0, v46, 8
	v_mov_b32_e32 v73, v0
	s_mov_b32 s3, 0
.LBB31_597:                             ; =>This Inner Loop Header: Depth=1
	scratch_load_b64 v[74:75], v72, off
	ds_load_b64 v[76:77], v71
	s_wait_xcnt 0x0
	v_dual_add_nc_u32 v71, 8, v71 :: v_dual_add_nc_u32 v72, 8, v72
	s_wait_loadcnt_dscnt 0x0
	v_pk_mul_f32 v[78:79], v[76:77], v[74:75] op_sel:[1,1] op_sel_hi:[0,1]
	s_delay_alu instid0(VALU_DEP_1) | instskip(SKIP_2) | instid1(VALU_DEP_3)
	v_pk_fma_f32 v[80:81], v[76:77], v[74:75], v[78:79] op_sel_hi:[1,0,1]
	v_add_nc_u32_e32 v73, 1, v73
	v_pk_fma_f32 v[74:75], v[76:77], v[74:75], v[78:79] neg_lo:[0,0,1] neg_hi:[0,0,1]
	v_mov_b32_e32 v75, v81
	s_delay_alu instid0(VALU_DEP_3) | instskip(NEXT) | instid1(VALU_DEP_2)
	v_cmp_lt_u32_e32 vcc_lo, 27, v73
	v_pk_add_f32 v[68:69], v[68:69], v[74:75]
	s_or_b32 s3, vcc_lo, s3
	s_delay_alu instid0(SALU_CYCLE_1)
	s_and_not1_b32 exec_lo, exec_lo, s3
	s_cbranch_execnz .LBB31_597
; %bb.598:
	s_or_b32 exec_lo, exec_lo, s3
.LBB31_599:
	s_delay_alu instid0(SALU_CYCLE_1) | instskip(SKIP_4) | instid1(VALU_DEP_1)
	s_or_b32 exec_lo, exec_lo, s2
	v_mov_b32_e32 v71, 0
	ds_load_b64 v[72:73], v71 offset:232
	s_wait_dscnt 0x0
	v_pk_mul_f32 v[74:75], v[68:69], v[72:73] op_sel:[1,1] op_sel_hi:[0,1]
	v_pk_fma_f32 v[76:77], v[68:69], v[72:73], v[74:75] op_sel_hi:[1,0,1]
	v_pk_fma_f32 v[68:69], v[68:69], v[72:73], v[74:75] neg_lo:[0,0,1] neg_hi:[0,0,1]
	s_delay_alu instid0(VALU_DEP_2)
	v_mov_b32_e32 v69, v77
	scratch_store_b64 off, v[68:69], off offset:232
.LBB31_600:
	s_wait_xcnt 0x0
	s_or_b32 exec_lo, exec_lo, s0
	scratch_load_b64 v[68:69], off, off offset:240
	v_cmp_gt_u32_e64 s0, 30, v0
	s_wait_loadcnt 0x0
	ds_store_b64 v1, v[68:69]
	s_wait_storecnt_dscnt 0x0
	s_barrier_signal -1
	s_barrier_wait -1
	s_wait_xcnt 0x0
	s_and_saveexec_b32 s2, s0
	s_cbranch_execz .LBB31_610
; %bb.601:
	v_cmp_ne_u32_e32 vcc_lo, 1, v70
	s_cbranch_vccnz .LBB31_603
; %bb.602:
	scratch_load_b64 v[68:69], v47, off
	ds_load_b64 v[72:73], v1
	s_wait_loadcnt_dscnt 0x0
	v_pk_mul_f32 v[74:75], v[72:73], v[68:69] op_sel:[1,1] op_sel_hi:[0,1]
	s_delay_alu instid0(VALU_DEP_1) | instskip(SKIP_1) | instid1(VALU_DEP_2)
	v_pk_fma_f32 v[76:77], v[72:73], v[68:69], v[74:75] op_sel_hi:[1,0,1]
	v_pk_fma_f32 v[68:69], v[72:73], v[68:69], v[74:75] neg_lo:[0,0,1] neg_hi:[0,0,1]
	v_mov_b32_e32 v69, v77
	s_cbranch_execz .LBB31_604
	s_branch .LBB31_605
.LBB31_603:
                                        ; implicit-def: $vgpr68_vgpr69
.LBB31_604:
	ds_load_b64 v[68:69], v1
.LBB31_605:
	s_mov_b32 s3, exec_lo
	v_cmpx_ne_u32_e32 29, v0
	s_cbranch_execz .LBB31_609
; %bb.606:
	v_add_nc_u32_e32 v71, 0x108, v46
	v_add3_u32 v72, 0, v46, 8
	v_mov_b32_e32 v73, v0
	s_mov_b32 s4, 0
.LBB31_607:                             ; =>This Inner Loop Header: Depth=1
	scratch_load_b64 v[74:75], v72, off
	ds_load_b64 v[76:77], v71
	s_wait_xcnt 0x0
	v_dual_add_nc_u32 v71, 8, v71 :: v_dual_add_nc_u32 v72, 8, v72
	s_wait_loadcnt_dscnt 0x0
	v_pk_mul_f32 v[78:79], v[76:77], v[74:75] op_sel:[1,1] op_sel_hi:[0,1]
	s_delay_alu instid0(VALU_DEP_1) | instskip(SKIP_2) | instid1(VALU_DEP_3)
	v_pk_fma_f32 v[80:81], v[76:77], v[74:75], v[78:79] op_sel_hi:[1,0,1]
	v_add_nc_u32_e32 v73, 1, v73
	v_pk_fma_f32 v[74:75], v[76:77], v[74:75], v[78:79] neg_lo:[0,0,1] neg_hi:[0,0,1]
	v_mov_b32_e32 v75, v81
	s_delay_alu instid0(VALU_DEP_3) | instskip(NEXT) | instid1(VALU_DEP_2)
	v_cmp_lt_u32_e32 vcc_lo, 28, v73
	v_pk_add_f32 v[68:69], v[68:69], v[74:75]
	s_or_b32 s4, vcc_lo, s4
	s_delay_alu instid0(SALU_CYCLE_1)
	s_and_not1_b32 exec_lo, exec_lo, s4
	s_cbranch_execnz .LBB31_607
; %bb.608:
	s_or_b32 exec_lo, exec_lo, s4
.LBB31_609:
	s_delay_alu instid0(SALU_CYCLE_1) | instskip(SKIP_4) | instid1(VALU_DEP_1)
	s_or_b32 exec_lo, exec_lo, s3
	v_mov_b32_e32 v71, 0
	ds_load_b64 v[72:73], v71 offset:240
	s_wait_dscnt 0x0
	v_pk_mul_f32 v[74:75], v[68:69], v[72:73] op_sel:[1,1] op_sel_hi:[0,1]
	v_pk_fma_f32 v[76:77], v[68:69], v[72:73], v[74:75] op_sel_hi:[1,0,1]
	v_pk_fma_f32 v[68:69], v[68:69], v[72:73], v[74:75] neg_lo:[0,0,1] neg_hi:[0,0,1]
	s_delay_alu instid0(VALU_DEP_2)
	v_mov_b32_e32 v69, v77
	scratch_store_b64 off, v[68:69], off offset:240
.LBB31_610:
	s_wait_xcnt 0x0
	s_or_b32 exec_lo, exec_lo, s2
	scratch_load_b64 v[68:69], off, off offset:248
	s_mov_b32 s2, exec_lo
                                        ; implicit-def: $vgpr84
                                        ; implicit-def: $sgpr4
	s_wait_loadcnt 0x0
	ds_store_b64 v1, v[68:69]
	s_wait_storecnt_dscnt 0x0
	s_barrier_signal -1
	s_barrier_wait -1
	s_wait_xcnt 0x0
	v_cmpx_ne_u32_e32 31, v0
	s_cbranch_execz .LBB31_620
; %bb.611:
	v_cmp_ne_u32_e32 vcc_lo, 1, v70
	s_cbranch_vccnz .LBB31_613
; %bb.612:
	scratch_load_b64 v[70:71], v47, off
	ds_load_b64 v[72:73], v1
	s_wait_loadcnt_dscnt 0x0
	v_dual_mul_f32 v47, v73, v71 :: v_dual_mul_f32 v69, v72, v71
	s_delay_alu instid0(VALU_DEP_1)
	v_dual_fma_f32 v68, v72, v70, -v47 :: v_dual_fmac_f32 v69, v73, v70
	s_cbranch_execz .LBB31_614
	s_branch .LBB31_615
.LBB31_613:
                                        ; implicit-def: $vgpr69
.LBB31_614:
	ds_load_b64 v[68:69], v1
.LBB31_615:
	s_and_saveexec_b32 s3, s0
	s_cbranch_execz .LBB31_619
; %bb.616:
	v_add_nc_u32_e32 v1, 0x108, v46
	v_add3_u32 v46, 0, v46, 8
	s_mov_b32 s0, 0
.LBB31_617:                             ; =>This Inner Loop Header: Depth=1
	scratch_load_b64 v[70:71], v46, off
	ds_load_b64 v[72:73], v1
	s_wait_loadcnt_dscnt 0x0
	v_dual_add_nc_u32 v1, 8, v1 :: v_dual_mul_f32 v47, v73, v71
	v_dual_mul_f32 v71, v72, v71 :: v_dual_add_nc_u32 v0, 1, v0
	s_delay_alu instid0(VALU_DEP_2) | instskip(NEXT) | instid1(VALU_DEP_2)
	v_fma_f32 v47, v72, v70, -v47
	v_fmac_f32_e32 v71, v73, v70
	s_delay_alu instid0(VALU_DEP_3) | instskip(NEXT) | instid1(VALU_DEP_3)
	v_cmp_lt_u32_e32 vcc_lo, 29, v0
	v_dual_add_nc_u32 v46, 8, v46 :: v_dual_add_f32 v68, v68, v47
	s_delay_alu instid0(VALU_DEP_3) | instskip(SKIP_1) | instid1(SALU_CYCLE_1)
	v_add_f32_e32 v69, v69, v71
	s_or_b32 s0, vcc_lo, s0
	s_and_not1_b32 exec_lo, exec_lo, s0
	s_cbranch_execnz .LBB31_617
; %bb.618:
	s_or_b32 exec_lo, exec_lo, s0
.LBB31_619:
	s_delay_alu instid0(SALU_CYCLE_1)
	s_or_b32 exec_lo, exec_lo, s3
	v_mov_b32_e32 v0, 0
	s_movk_i32 s4, 0xfc
	s_or_b32 s1, s1, exec_lo
	ds_load_b64 v[0:1], v0 offset:248
	s_wait_dscnt 0x0
	v_dual_mul_f32 v46, v69, v1 :: v_dual_mul_f32 v84, v68, v1
	s_delay_alu instid0(VALU_DEP_1)
	v_dual_fma_f32 v1, v68, v0, -v46 :: v_dual_fmac_f32 v84, v69, v0
	scratch_store_b32 off, v1, off offset:248
.LBB31_620:
	s_wait_xcnt 0x0
	s_or_b32 exec_lo, exec_lo, s2
.LBB31_621:
	v_lshl_add_u64 v[80:81], v[4:5], 3, s[6:7]
	v_lshl_add_u64 v[82:83], v[6:7], 3, s[6:7]
	;; [unrolled: 1-line block ×30, first 2 shown]
	s_and_saveexec_b32 s0, s1
	s_cbranch_execz .LBB31_623
; %bb.622:
	scratch_store_b32 off, v84, s4
.LBB31_623:
	s_wait_xcnt 0x0
	s_or_b32 exec_lo, exec_lo, s0
	s_clause 0x6
	scratch_load_b128 v[48:51], off, off
	scratch_load_b128 v[52:55], off, off offset:16
	scratch_load_b128 v[56:59], off, off offset:32
	;; [unrolled: 1-line block ×6, first 2 shown]
	s_wait_loadcnt 0x6
	s_clause 0x1
	global_store_b64 v[2:3], v[48:49], off
	global_store_b64 v[8:9], v[50:51], off
	s_clause 0x1
	scratch_load_b128 v[48:51], off, off offset:112
	scratch_load_b128 v[92:95], off, off offset:128
	s_wait_loadcnt 0x7
	s_clause 0x1
	global_store_b64 v[80:81], v[52:53], off
	global_store_b64 v[82:83], v[54:55], off
	s_clause 0x1
	scratch_load_b128 v[52:55], off, off offset:144
	scratch_load_b128 v[80:83], off, off offset:160
	;; [unrolled: 7-line block ×4, first 2 shown]
	s_wait_loadcnt 0xa
	s_clause 0x1
	global_store_b64 v[68:69], v[64:65], off
	global_store_b64 v[70:71], v[66:67], off
	scratch_load_b128 v[64:67], off, off offset:240
	s_wait_loadcnt 0xa
	s_clause 0x1
	global_store_b64 v[6:7], v[84:85], off
	global_store_b64 v[10:11], v[86:87], off
	s_wait_loadcnt 0x9
	s_clause 0x1
	global_store_b64 v[12:13], v[88:89], off
	global_store_b64 v[14:15], v[90:91], off
	;; [unrolled: 4-line block ×11, first 2 shown]
.LBB31_624:
	s_sendmsg sendmsg(MSG_DEALLOC_VGPRS)
	s_endpgm
	.section	.rodata,"a",@progbits
	.p2align	6, 0x0
	.amdhsa_kernel _ZN9rocsolver6v33100L18trti2_kernel_smallILi32E19rocblas_complex_numIfEPS3_EEv13rocblas_fill_17rocblas_diagonal_T1_iil
		.amdhsa_group_segment_fixed_size 512
		.amdhsa_private_segment_fixed_size 272
		.amdhsa_kernarg_size 32
		.amdhsa_user_sgpr_count 2
		.amdhsa_user_sgpr_dispatch_ptr 0
		.amdhsa_user_sgpr_queue_ptr 0
		.amdhsa_user_sgpr_kernarg_segment_ptr 1
		.amdhsa_user_sgpr_dispatch_id 0
		.amdhsa_user_sgpr_kernarg_preload_length 0
		.amdhsa_user_sgpr_kernarg_preload_offset 0
		.amdhsa_user_sgpr_private_segment_size 0
		.amdhsa_wavefront_size32 1
		.amdhsa_uses_dynamic_stack 0
		.amdhsa_enable_private_segment 1
		.amdhsa_system_sgpr_workgroup_id_x 1
		.amdhsa_system_sgpr_workgroup_id_y 0
		.amdhsa_system_sgpr_workgroup_id_z 0
		.amdhsa_system_sgpr_workgroup_info 0
		.amdhsa_system_vgpr_workitem_id 0
		.amdhsa_next_free_vgpr 96
		.amdhsa_next_free_sgpr 23
		.amdhsa_named_barrier_count 0
		.amdhsa_reserve_vcc 1
		.amdhsa_float_round_mode_32 0
		.amdhsa_float_round_mode_16_64 0
		.amdhsa_float_denorm_mode_32 3
		.amdhsa_float_denorm_mode_16_64 3
		.amdhsa_fp16_overflow 0
		.amdhsa_memory_ordered 1
		.amdhsa_forward_progress 1
		.amdhsa_inst_pref_size 189
		.amdhsa_round_robin_scheduling 0
		.amdhsa_exception_fp_ieee_invalid_op 0
		.amdhsa_exception_fp_denorm_src 0
		.amdhsa_exception_fp_ieee_div_zero 0
		.amdhsa_exception_fp_ieee_overflow 0
		.amdhsa_exception_fp_ieee_underflow 0
		.amdhsa_exception_fp_ieee_inexact 0
		.amdhsa_exception_int_div_zero 0
	.end_amdhsa_kernel
	.section	.text._ZN9rocsolver6v33100L18trti2_kernel_smallILi32E19rocblas_complex_numIfEPS3_EEv13rocblas_fill_17rocblas_diagonal_T1_iil,"axG",@progbits,_ZN9rocsolver6v33100L18trti2_kernel_smallILi32E19rocblas_complex_numIfEPS3_EEv13rocblas_fill_17rocblas_diagonal_T1_iil,comdat
.Lfunc_end31:
	.size	_ZN9rocsolver6v33100L18trti2_kernel_smallILi32E19rocblas_complex_numIfEPS3_EEv13rocblas_fill_17rocblas_diagonal_T1_iil, .Lfunc_end31-_ZN9rocsolver6v33100L18trti2_kernel_smallILi32E19rocblas_complex_numIfEPS3_EEv13rocblas_fill_17rocblas_diagonal_T1_iil
                                        ; -- End function
	.set _ZN9rocsolver6v33100L18trti2_kernel_smallILi32E19rocblas_complex_numIfEPS3_EEv13rocblas_fill_17rocblas_diagonal_T1_iil.num_vgpr, 96
	.set _ZN9rocsolver6v33100L18trti2_kernel_smallILi32E19rocblas_complex_numIfEPS3_EEv13rocblas_fill_17rocblas_diagonal_T1_iil.num_agpr, 0
	.set _ZN9rocsolver6v33100L18trti2_kernel_smallILi32E19rocblas_complex_numIfEPS3_EEv13rocblas_fill_17rocblas_diagonal_T1_iil.numbered_sgpr, 23
	.set _ZN9rocsolver6v33100L18trti2_kernel_smallILi32E19rocblas_complex_numIfEPS3_EEv13rocblas_fill_17rocblas_diagonal_T1_iil.num_named_barrier, 0
	.set _ZN9rocsolver6v33100L18trti2_kernel_smallILi32E19rocblas_complex_numIfEPS3_EEv13rocblas_fill_17rocblas_diagonal_T1_iil.private_seg_size, 272
	.set _ZN9rocsolver6v33100L18trti2_kernel_smallILi32E19rocblas_complex_numIfEPS3_EEv13rocblas_fill_17rocblas_diagonal_T1_iil.uses_vcc, 1
	.set _ZN9rocsolver6v33100L18trti2_kernel_smallILi32E19rocblas_complex_numIfEPS3_EEv13rocblas_fill_17rocblas_diagonal_T1_iil.uses_flat_scratch, 1
	.set _ZN9rocsolver6v33100L18trti2_kernel_smallILi32E19rocblas_complex_numIfEPS3_EEv13rocblas_fill_17rocblas_diagonal_T1_iil.has_dyn_sized_stack, 0
	.set _ZN9rocsolver6v33100L18trti2_kernel_smallILi32E19rocblas_complex_numIfEPS3_EEv13rocblas_fill_17rocblas_diagonal_T1_iil.has_recursion, 0
	.set _ZN9rocsolver6v33100L18trti2_kernel_smallILi32E19rocblas_complex_numIfEPS3_EEv13rocblas_fill_17rocblas_diagonal_T1_iil.has_indirect_call, 0
	.section	.AMDGPU.csdata,"",@progbits
; Kernel info:
; codeLenInByte = 24120
; TotalNumSgprs: 25
; NumVgprs: 96
; ScratchSize: 272
; MemoryBound: 0
; FloatMode: 240
; IeeeMode: 1
; LDSByteSize: 512 bytes/workgroup (compile time only)
; SGPRBlocks: 0
; VGPRBlocks: 5
; NumSGPRsForWavesPerEU: 25
; NumVGPRsForWavesPerEU: 96
; NamedBarCnt: 0
; Occupancy: 10
; WaveLimiterHint : 0
; COMPUTE_PGM_RSRC2:SCRATCH_EN: 1
; COMPUTE_PGM_RSRC2:USER_SGPR: 2
; COMPUTE_PGM_RSRC2:TRAP_HANDLER: 0
; COMPUTE_PGM_RSRC2:TGID_X_EN: 1
; COMPUTE_PGM_RSRC2:TGID_Y_EN: 0
; COMPUTE_PGM_RSRC2:TGID_Z_EN: 0
; COMPUTE_PGM_RSRC2:TIDIG_COMP_CNT: 0
	.section	.text._ZN9rocsolver6v33100L18trti2_kernel_smallILi33E19rocblas_complex_numIfEPS3_EEv13rocblas_fill_17rocblas_diagonal_T1_iil,"axG",@progbits,_ZN9rocsolver6v33100L18trti2_kernel_smallILi33E19rocblas_complex_numIfEPS3_EEv13rocblas_fill_17rocblas_diagonal_T1_iil,comdat
	.globl	_ZN9rocsolver6v33100L18trti2_kernel_smallILi33E19rocblas_complex_numIfEPS3_EEv13rocblas_fill_17rocblas_diagonal_T1_iil ; -- Begin function _ZN9rocsolver6v33100L18trti2_kernel_smallILi33E19rocblas_complex_numIfEPS3_EEv13rocblas_fill_17rocblas_diagonal_T1_iil
	.p2align	8
	.type	_ZN9rocsolver6v33100L18trti2_kernel_smallILi33E19rocblas_complex_numIfEPS3_EEv13rocblas_fill_17rocblas_diagonal_T1_iil,@function
_ZN9rocsolver6v33100L18trti2_kernel_smallILi33E19rocblas_complex_numIfEPS3_EEv13rocblas_fill_17rocblas_diagonal_T1_iil: ; @_ZN9rocsolver6v33100L18trti2_kernel_smallILi33E19rocblas_complex_numIfEPS3_EEv13rocblas_fill_17rocblas_diagonal_T1_iil
; %bb.0:
	s_mov_b32 s2, exec_lo
	v_cmpx_gt_u32_e32 33, v0
	s_cbranch_execz .LBB32_644
; %bb.1:
	s_load_b256 s[4:11], s[0:1], 0x0
	s_wait_xcnt 0x0
	s_bfe_u32 s0, ttmp6, 0x4000c
	s_and_b32 s1, ttmp6, 15
	s_add_co_i32 s0, s0, 1
	s_getreg_b32 s2, hwreg(HW_REG_IB_STS2, 6, 4)
	s_mul_i32 s0, ttmp9, s0
	v_lshlrev_b32_e32 v46, 3, v0
	s_add_co_i32 s0, s1, s0
	v_mov_b32_e32 v47, 0
	s_wait_kmcnt 0x0
	v_add3_u32 v2, s9, s9, v0
	s_ashr_i32 s1, s8, 31
	s_cmp_eq_u32 s2, 0
	s_cselect_b32 s2, ttmp9, s0
	s_delay_alu instid0(VALU_DEP_1)
	v_add_nc_u32_e32 v6, s9, v2
	s_ashr_i32 s3, s2, 31
	s_mov_b32 s0, s8
	s_mul_u64 s[2:3], s[10:11], s[2:3]
	s_lshl_b64 s[0:1], s[0:1], 3
	v_add_nc_u32_e32 v10, s9, v6
	s_lshl_b64 s[2:3], s[2:3], 3
	s_delay_alu instid0(SALU_CYCLE_1) | instskip(NEXT) | instid1(VALU_DEP_1)
	s_add_nc_u64 s[2:3], s[6:7], s[2:3]
	v_add_nc_u32_e32 v12, s9, v10
	s_add_nc_u64 s[6:7], s[2:3], s[0:1]
	s_mov_b32 s0, s9
	s_ashr_i32 s1, s9, 31
	s_cmp_lg_u32 s5, 0x84
	v_add_nc_u32_e32 v14, s9, v12
	s_cselect_b32 s3, -1, 0
	v_add_nc_u64_e32 v[4:5], s[6:7], v[46:47]
	s_and_b32 vcc_lo, exec_lo, s3
	s_delay_alu instid0(VALU_DEP_2) | instskip(NEXT) | instid1(VALU_DEP_2)
	v_add_nc_u32_e32 v16, s9, v14
	v_lshl_add_u64 v[8:9], s[0:1], 3, v[4:5]
	s_delay_alu instid0(VALU_DEP_2)
	v_add_nc_u32_e32 v18, s9, v16
	s_clause 0x1
	global_load_b64 v[48:49], v10, s[6:7] scale_offset
	global_load_b64 v[50:51], v12, s[6:7] scale_offset
	s_mov_b32 s0, -1
	s_clause 0x3
	global_load_b64 v[52:53], v0, s[6:7] scale_offset
	global_load_b64 v[54:55], v[8:9], off
	global_load_b64 v[56:57], v2, s[6:7] scale_offset
	global_load_b64 v[58:59], v6, s[6:7] scale_offset
	v_add_nc_u32_e32 v20, s9, v18
	s_clause 0x1
	global_load_b64 v[60:61], v14, s[6:7] scale_offset
	global_load_b64 v[62:63], v16, s[6:7] scale_offset
	v_add_nc_u32_e32 v22, s9, v20
	s_delay_alu instid0(VALU_DEP_1) | instskip(NEXT) | instid1(VALU_DEP_1)
	v_add_nc_u32_e32 v24, s9, v22
	v_add_nc_u32_e32 v26, s9, v24
	s_delay_alu instid0(VALU_DEP_1) | instskip(NEXT) | instid1(VALU_DEP_1)
	v_add_nc_u32_e32 v28, s9, v26
	v_add_nc_u32_e32 v30, s9, v28
	s_clause 0x3
	global_load_b64 v[64:65], v18, s[6:7] scale_offset
	global_load_b64 v[66:67], v20, s[6:7] scale_offset
	;; [unrolled: 1-line block ×4, first 2 shown]
	v_add_nc_u32_e32 v32, s9, v30
	s_delay_alu instid0(VALU_DEP_1) | instskip(NEXT) | instid1(VALU_DEP_1)
	v_add_nc_u32_e32 v34, s9, v32
	v_add_nc_u32_e32 v36, s9, v34
	s_delay_alu instid0(VALU_DEP_1)
	v_add_nc_u32_e32 v38, s9, v36
	s_clause 0x3
	global_load_b64 v[72:73], v26, s[6:7] scale_offset
	global_load_b64 v[74:75], v28, s[6:7] scale_offset
	;; [unrolled: 1-line block ×4, first 2 shown]
	v_add_nc_u32_e32 v40, s9, v38
	s_delay_alu instid0(VALU_DEP_1) | instskip(NEXT) | instid1(VALU_DEP_1)
	v_add_nc_u32_e32 v42, s9, v40
	v_add_nc_u32_e32 v44, s9, v42
	s_clause 0x5
	global_load_b64 v[80:81], v34, s[6:7] scale_offset
	global_load_b64 v[82:83], v36, s[6:7] scale_offset
	;; [unrolled: 1-line block ×6, first 2 shown]
	s_wait_loadcnt 0x14
	scratch_store_b128 off, v[48:51], off offset:32
	s_wait_xcnt 0x0
	v_add_nc_u32_e32 v48, s9, v44
	s_wait_loadcnt 0x12
	scratch_store_b128 off, v[52:55], off
	s_wait_loadcnt 0x10
	scratch_store_b128 off, v[56:59], off offset:16
	s_wait_loadcnt 0xe
	scratch_store_b128 off, v[60:63], off offset:48
	v_add_nc_u32_e32 v50, s9, v48
	s_wait_xcnt 0x2
	s_delay_alu instid0(VALU_DEP_1) | instskip(NEXT) | instid1(VALU_DEP_1)
	v_add_nc_u32_e32 v52, s9, v50
	v_add_nc_u32_e32 v54, s9, v52
	s_wait_xcnt 0x1
	s_delay_alu instid0(VALU_DEP_1) | instskip(NEXT) | instid1(VALU_DEP_1)
	v_add_nc_u32_e32 v56, s9, v54
	v_add_nc_u32_e32 v58, s9, v56
	s_wait_loadcnt 0xc
	scratch_store_b128 off, v[64:67], off offset:64
	s_wait_loadcnt 0xa
	scratch_store_b128 off, v[68:71], off offset:80
	s_wait_xcnt 0x2
	v_add_nc_u32_e32 v60, s9, v58
	s_clause 0x1
	global_load_b64 v[92:93], v48, s[6:7] scale_offset
	global_load_b64 v[94:95], v50, s[6:7] scale_offset
	s_wait_loadcnt 0xa
	scratch_store_b128 off, v[72:75], off offset:96
	s_wait_loadcnt 0x8
	scratch_store_b128 off, v[76:79], off offset:112
	v_add_nc_u32_e32 v62, s9, v60
	s_wait_xcnt 0x5
	s_delay_alu instid0(VALU_DEP_1)
	v_add_nc_u32_e32 v64, s9, v62
	s_clause 0x3
	global_load_b64 v[70:71], v52, s[6:7] scale_offset
	global_load_b64 v[72:73], v54, s[6:7] scale_offset
	;; [unrolled: 1-line block ×4, first 2 shown]
	v_add_nc_u32_e32 v66, s9, v64
	s_wait_loadcnt 0xa
	scratch_store_b128 off, v[80:83], off offset:128
	s_wait_loadcnt 0x8
	scratch_store_b128 off, v[84:87], off offset:144
	;; [unrolled: 2-line block ×3, first 2 shown]
	v_add_nc_u32_e32 v68, s9, v66
	s_clause 0x4
	global_load_b64 v[78:79], v60, s[6:7] scale_offset
	global_load_b64 v[80:81], v62, s[6:7] scale_offset
	;; [unrolled: 1-line block ×5, first 2 shown]
	s_wait_loadcnt 0x9
	scratch_store_b128 off, v[92:95], off offset:176
	s_wait_loadcnt 0x7
	scratch_store_b128 off, v[70:73], off offset:192
	s_wait_loadcnt 0x5
	scratch_store_b128 off, v[74:77], off offset:208
	s_wait_loadcnt 0x3
	scratch_store_b128 off, v[78:81], off offset:224
	s_wait_loadcnt 0x1
	scratch_store_b128 off, v[82:85], off offset:240
	s_wait_loadcnt 0x0
	scratch_store_b64 off, v[86:87], off offset:256
	s_cbranch_vccz .LBB32_7
; %bb.2:
	scratch_load_b64 v[70:71], v0, off scale_offset
                                        ; implicit-def: $vgpr75
                                        ; implicit-def: $vgpr72
	s_wait_loadcnt 0x0
	v_cmp_ngt_f32_e64 s0, |v70|, |v71|
	s_wait_xcnt 0x0
	s_and_saveexec_b32 s1, s0
	s_delay_alu instid0(SALU_CYCLE_1)
	s_xor_b32 s0, exec_lo, s1
	s_cbranch_execz .LBB32_4
; %bb.3:
	v_div_scale_f32 v1, null, v71, v71, v70
	v_div_scale_f32 v11, vcc_lo, v70, v71, v70
	s_delay_alu instid0(VALU_DEP_2) | instskip(SKIP_1) | instid1(TRANS32_DEP_1)
	v_rcp_f32_e32 v3, v1
	v_nop
	v_fma_f32 v7, -v1, v3, 1.0
	s_delay_alu instid0(VALU_DEP_1) | instskip(NEXT) | instid1(VALU_DEP_1)
	v_fmac_f32_e32 v3, v7, v3
	v_mul_f32_e32 v7, v11, v3
	s_delay_alu instid0(VALU_DEP_1) | instskip(NEXT) | instid1(VALU_DEP_1)
	v_fma_f32 v13, -v1, v7, v11
	v_fmac_f32_e32 v7, v13, v3
	s_delay_alu instid0(VALU_DEP_1) | instskip(NEXT) | instid1(VALU_DEP_1)
	v_fma_f32 v1, -v1, v7, v11
	v_div_fmas_f32 v1, v1, v3, v7
	s_delay_alu instid0(VALU_DEP_1) | instskip(NEXT) | instid1(VALU_DEP_1)
	v_div_fixup_f32 v1, v1, v71, v70
	v_fmac_f32_e32 v71, v70, v1
	s_delay_alu instid0(VALU_DEP_1) | instskip(NEXT) | instid1(VALU_DEP_1)
	v_div_scale_f32 v3, null, v71, v71, -1.0
	v_rcp_f32_e32 v7, v3
	v_nop
	s_delay_alu instid0(TRANS32_DEP_1) | instskip(NEXT) | instid1(VALU_DEP_1)
	v_fma_f32 v11, -v3, v7, 1.0
	v_fmac_f32_e32 v7, v11, v7
	v_div_scale_f32 v11, vcc_lo, -1.0, v71, -1.0
	s_delay_alu instid0(VALU_DEP_1) | instskip(NEXT) | instid1(VALU_DEP_1)
	v_mul_f32_e32 v13, v11, v7
	v_fma_f32 v15, -v3, v13, v11
	s_delay_alu instid0(VALU_DEP_1) | instskip(NEXT) | instid1(VALU_DEP_1)
	v_fmac_f32_e32 v13, v15, v7
	v_fma_f32 v3, -v3, v13, v11
	s_delay_alu instid0(VALU_DEP_1) | instskip(NEXT) | instid1(VALU_DEP_1)
	v_div_fmas_f32 v3, v3, v7, v13
	v_div_fixup_f32 v75, v3, v71, -1.0
                                        ; implicit-def: $vgpr70_vgpr71
	s_delay_alu instid0(VALU_DEP_1) | instskip(NEXT) | instid1(VALU_DEP_1)
	v_mul_f32_e32 v72, v1, v75
	v_xor_b32_e32 v74, 0x80000000, v72
.LBB32_4:
	s_or_saveexec_b32 s0, s0
	v_lshl_add_u32 v1, v0, 3, 0
	s_xor_b32 exec_lo, exec_lo, s0
	s_cbranch_execz .LBB32_6
; %bb.5:
	v_div_scale_f32 v3, null, v70, v70, v71
	v_div_scale_f32 v13, vcc_lo, v71, v70, v71
	s_delay_alu instid0(VALU_DEP_2) | instskip(SKIP_1) | instid1(TRANS32_DEP_1)
	v_rcp_f32_e32 v7, v3
	v_nop
	v_fma_f32 v11, -v3, v7, 1.0
	s_delay_alu instid0(VALU_DEP_1) | instskip(NEXT) | instid1(VALU_DEP_1)
	v_fmac_f32_e32 v7, v11, v7
	v_mul_f32_e32 v11, v13, v7
	s_delay_alu instid0(VALU_DEP_1) | instskip(NEXT) | instid1(VALU_DEP_1)
	v_fma_f32 v15, -v3, v11, v13
	v_fmac_f32_e32 v11, v15, v7
	s_delay_alu instid0(VALU_DEP_1) | instskip(NEXT) | instid1(VALU_DEP_1)
	v_fma_f32 v3, -v3, v11, v13
	v_div_fmas_f32 v3, v3, v7, v11
	s_delay_alu instid0(VALU_DEP_1) | instskip(NEXT) | instid1(VALU_DEP_1)
	v_div_fixup_f32 v3, v3, v70, v71
	v_fmac_f32_e32 v70, v71, v3
	s_delay_alu instid0(VALU_DEP_1) | instskip(SKIP_1) | instid1(VALU_DEP_2)
	v_div_scale_f32 v7, null, v70, v70, 1.0
	v_div_scale_f32 v15, vcc_lo, 1.0, v70, 1.0
	v_rcp_f32_e32 v11, v7
	v_nop
	s_delay_alu instid0(TRANS32_DEP_1) | instskip(NEXT) | instid1(VALU_DEP_1)
	v_fma_f32 v13, -v7, v11, 1.0
	v_fmac_f32_e32 v11, v13, v11
	s_delay_alu instid0(VALU_DEP_1) | instskip(NEXT) | instid1(VALU_DEP_1)
	v_mul_f32_e32 v13, v15, v11
	v_fma_f32 v17, -v7, v13, v15
	s_delay_alu instid0(VALU_DEP_1) | instskip(NEXT) | instid1(VALU_DEP_1)
	v_fmac_f32_e32 v13, v17, v11
	v_fma_f32 v7, -v7, v13, v15
	s_delay_alu instid0(VALU_DEP_1) | instskip(NEXT) | instid1(VALU_DEP_1)
	v_div_fmas_f32 v7, v7, v11, v13
	v_div_fixup_f32 v74, v7, v70, 1.0
	s_delay_alu instid0(VALU_DEP_1)
	v_xor_b32_e32 v72, 0x80000000, v74
	v_mul_f32_e64 v75, v3, -v74
.LBB32_6:
	s_or_b32 exec_lo, exec_lo, s0
	s_delay_alu instid0(VALU_DEP_1)
	v_xor_b32_e32 v73, 0x80000000, v75
	s_mov_b32 s0, 0
	scratch_store_b64 v1, v[74:75], off
	ds_store_b64 v46, v[72:73]
.LBB32_7:
	s_and_b32 vcc_lo, exec_lo, s0
	s_cbranch_vccz .LBB32_9
; %bb.8:
	s_mov_b64 s[0:1], 0xbf800000
	s_wait_xcnt 0x4
	v_mov_b64_e32 v[70:71], s[0:1]
	ds_store_b64 v46, v[70:71]
.LBB32_9:
	v_dual_ashrrev_i32 v3, 31, v2 :: v_dual_ashrrev_i32 v13, 31, v12
	v_dual_ashrrev_i32 v7, 31, v6 :: v_dual_ashrrev_i32 v17, 31, v16
	;; [unrolled: 1-line block ×15, first 2 shown]
	v_dual_ashrrev_i32 v67, 31, v66 :: v_dual_mov_b32 v47, v46
	s_wait_xcnt 0x0
	v_add_nc_u32_e32 v1, 0x110, v46
	s_cmp_eq_u32 s4, 0x79
	s_cbranch_scc1 .LBB32_13
; %bb.10:
	scratch_load_b64 v[70:71], off, off offset:248
	v_cmp_eq_u32_e64 s0, 32, v0
	s_movk_i32 s1, 0x50
	s_movk_i32 s2, 0x60
	;; [unrolled: 1-line block ×11, first 2 shown]
	s_wait_loadcnt 0x0
	ds_store_b64 v1, v[70:71]
	s_wait_storecnt_dscnt 0x0
	s_barrier_signal -1
	s_barrier_wait -1
	s_wait_xcnt 0x0
	s_and_saveexec_b32 s4, s0
	s_cbranch_execz .LBB32_17
; %bb.11:
	s_and_b32 vcc_lo, exec_lo, s3
	s_cbranch_vccz .LBB32_14
; %bb.12:
	scratch_load_b64 v[70:71], v47, off
	ds_load_b64 v[72:73], v1
	s_wait_loadcnt_dscnt 0x0
	v_pk_mul_f32 v[74:75], v[72:73], v[70:71] op_sel:[1,1] op_sel_hi:[0,1]
	v_pk_mul_f32 v[76:77], v[72:73], v[70:71] op_sel_hi:[1,0]
	s_delay_alu instid0(VALU_DEP_2) | instskip(NEXT) | instid1(VALU_DEP_2)
	v_pk_fma_f32 v[70:71], v[72:73], v[70:71], v[74:75] op_sel_hi:[1,0,1]
	v_sub_f32_e32 v70, v76, v74
	s_cbranch_execz .LBB32_15
	s_branch .LBB32_16
.LBB32_13:
	s_mov_b32 s1, 0
                                        ; implicit-def: $vgpr86
                                        ; implicit-def: $sgpr4
	s_cbranch_execnz .LBB32_326
	s_branch .LBB32_641
.LBB32_14:
                                        ; implicit-def: $vgpr71
.LBB32_15:
	ds_load_b64 v[70:71], v1
.LBB32_16:
	s_wait_dscnt 0x0
	v_dual_mov_b32 v72, 0 :: v_dual_mov_b32 v74, v71
	v_mov_b32_e32 v75, v70
	ds_load_b64 v[72:73], v72 offset:248
	s_wait_dscnt 0x0
	v_pk_mul_f32 v[74:75], v[74:75], v[72:73] op_sel:[0,1]
	s_delay_alu instid0(VALU_DEP_1) | instskip(SKIP_1) | instid1(VALU_DEP_2)
	v_pk_fma_f32 v[76:77], v[70:71], v[72:73], v[74:75] op_sel_hi:[1,0,1]
	v_pk_fma_f32 v[70:71], v[70:71], v[72:73], v[74:75] neg_lo:[0,0,1] neg_hi:[0,0,1]
	v_mov_b32_e32 v71, v77
	scratch_store_b64 off, v[70:71], off offset:248
.LBB32_17:
	s_wait_xcnt 0x0
	s_or_b32 exec_lo, exec_lo, s4
	scratch_load_b64 v[70:71], off, off offset:240
	s_mov_b32 s11, s2
	v_cmp_lt_u32_e64 s2, 30, v0
	s_mov_b32 s4, 16
	s_mov_b32 s5, 32
	;; [unrolled: 1-line block ×5, first 2 shown]
	s_wait_loadcnt 0x0
	ds_store_b64 v1, v[70:71]
	s_wait_storecnt_dscnt 0x0
	s_barrier_signal -1
	s_barrier_wait -1
	s_wait_xcnt 0x0
	s_and_saveexec_b32 s1, s2
	s_cbranch_execz .LBB32_25
; %bb.18:
	s_and_not1_b32 vcc_lo, exec_lo, s3
	s_cbranch_vccnz .LBB32_20
; %bb.19:
	scratch_load_b64 v[70:71], v47, off
	ds_load_b64 v[72:73], v1
	s_wait_loadcnt_dscnt 0x0
	v_pk_mul_f32 v[74:75], v[72:73], v[70:71] op_sel:[1,1] op_sel_hi:[0,1]
	s_delay_alu instid0(VALU_DEP_1) | instskip(SKIP_1) | instid1(VALU_DEP_2)
	v_pk_fma_f32 v[76:77], v[72:73], v[70:71], v[74:75] op_sel_hi:[1,0,1]
	v_pk_fma_f32 v[70:71], v[72:73], v[70:71], v[74:75] neg_lo:[0,0,1] neg_hi:[0,0,1]
	v_mov_b32_e32 v71, v77
	s_cbranch_execz .LBB32_21
	s_branch .LBB32_22
.LBB32_20:
                                        ; implicit-def: $vgpr70_vgpr71
.LBB32_21:
	ds_load_b64 v[70:71], v1
.LBB32_22:
	s_and_saveexec_b32 s21, s0
	s_cbranch_execz .LBB32_24
; %bb.23:
	scratch_load_b64 v[72:73], off, off offset:248
	v_mov_b32_e32 v74, 0
	ds_load_b64 v[74:75], v74 offset:520
	s_wait_loadcnt_dscnt 0x0
	v_pk_mul_f32 v[76:77], v[74:75], v[72:73] op_sel:[1,1] op_sel_hi:[0,1]
	s_delay_alu instid0(VALU_DEP_1) | instskip(SKIP_1) | instid1(VALU_DEP_2)
	v_pk_fma_f32 v[78:79], v[74:75], v[72:73], v[76:77] op_sel_hi:[1,0,1]
	v_pk_fma_f32 v[72:73], v[74:75], v[72:73], v[76:77] neg_lo:[0,0,1] neg_hi:[0,0,1]
	v_mov_b32_e32 v73, v79
	s_delay_alu instid0(VALU_DEP_1)
	v_pk_add_f32 v[70:71], v[70:71], v[72:73]
.LBB32_24:
	s_or_b32 exec_lo, exec_lo, s21
	v_mov_b32_e32 v72, 0
	ds_load_b64 v[72:73], v72 offset:240
	s_wait_dscnt 0x0
	v_pk_mul_f32 v[74:75], v[70:71], v[72:73] op_sel:[1,1] op_sel_hi:[0,1]
	s_delay_alu instid0(VALU_DEP_1) | instskip(SKIP_1) | instid1(VALU_DEP_2)
	v_pk_fma_f32 v[76:77], v[70:71], v[72:73], v[74:75] op_sel_hi:[1,0,1]
	v_pk_fma_f32 v[70:71], v[70:71], v[72:73], v[74:75] neg_lo:[0,0,1] neg_hi:[0,0,1]
	v_mov_b32_e32 v71, v77
	scratch_store_b64 off, v[70:71], off offset:240
.LBB32_25:
	s_wait_xcnt 0x0
	s_or_b32 exec_lo, exec_lo, s1
	scratch_load_b64 v[70:71], off, off offset:232
	v_cmp_lt_u32_e64 s1, 29, v0
	s_wait_loadcnt 0x0
	ds_store_b64 v1, v[70:71]
	s_wait_storecnt_dscnt 0x0
	s_barrier_signal -1
	s_barrier_wait -1
	s_wait_xcnt 0x0
	s_and_saveexec_b32 s0, s1
	s_cbranch_execz .LBB32_35
; %bb.26:
	s_and_not1_b32 vcc_lo, exec_lo, s3
	s_cbranch_vccnz .LBB32_28
; %bb.27:
	scratch_load_b64 v[70:71], v47, off
	ds_load_b64 v[72:73], v1
	s_wait_loadcnt_dscnt 0x0
	v_pk_mul_f32 v[74:75], v[72:73], v[70:71] op_sel:[1,1] op_sel_hi:[0,1]
	s_delay_alu instid0(VALU_DEP_1) | instskip(SKIP_1) | instid1(VALU_DEP_2)
	v_pk_fma_f32 v[76:77], v[72:73], v[70:71], v[74:75] op_sel_hi:[1,0,1]
	v_pk_fma_f32 v[70:71], v[72:73], v[70:71], v[74:75] neg_lo:[0,0,1] neg_hi:[0,0,1]
	v_mov_b32_e32 v71, v77
	s_cbranch_execz .LBB32_29
	s_branch .LBB32_30
.LBB32_28:
                                        ; implicit-def: $vgpr70_vgpr71
.LBB32_29:
	ds_load_b64 v[70:71], v1
.LBB32_30:
	s_and_saveexec_b32 s21, s2
	s_cbranch_execz .LBB32_34
; %bb.31:
	v_subrev_nc_u32_e32 v72, 30, v0
	s_movk_i32 s22, 0x200
	s_mov_b32 s2, 0
.LBB32_32:                              ; =>This Inner Loop Header: Depth=1
	scratch_load_b64 v[74:75], off, s20
	v_dual_mov_b32 v73, s22 :: v_dual_add_nc_u32 v72, -1, v72
	s_add_co_i32 s22, s22, 8
	s_wait_xcnt 0x0
	s_add_co_i32 s20, s20, 8
	ds_load_b64 v[76:77], v73
	v_cmp_eq_u32_e32 vcc_lo, 0, v72
	s_or_b32 s2, vcc_lo, s2
	s_wait_loadcnt_dscnt 0x0
	v_pk_mul_f32 v[78:79], v[76:77], v[74:75] op_sel:[1,1] op_sel_hi:[0,1]
	s_delay_alu instid0(VALU_DEP_1) | instskip(SKIP_1) | instid1(VALU_DEP_2)
	v_pk_fma_f32 v[80:81], v[76:77], v[74:75], v[78:79] op_sel_hi:[1,0,1]
	v_pk_fma_f32 v[74:75], v[76:77], v[74:75], v[78:79] neg_lo:[0,0,1] neg_hi:[0,0,1]
	v_mov_b32_e32 v75, v81
	s_delay_alu instid0(VALU_DEP_1)
	v_pk_add_f32 v[70:71], v[70:71], v[74:75]
	s_and_not1_b32 exec_lo, exec_lo, s2
	s_cbranch_execnz .LBB32_32
; %bb.33:
	s_or_b32 exec_lo, exec_lo, s2
.LBB32_34:
	s_delay_alu instid0(SALU_CYCLE_1) | instskip(SKIP_4) | instid1(VALU_DEP_1)
	s_or_b32 exec_lo, exec_lo, s21
	v_mov_b32_e32 v72, 0
	ds_load_b64 v[72:73], v72 offset:232
	s_wait_dscnt 0x0
	v_pk_mul_f32 v[74:75], v[70:71], v[72:73] op_sel:[1,1] op_sel_hi:[0,1]
	v_pk_fma_f32 v[76:77], v[70:71], v[72:73], v[74:75] op_sel_hi:[1,0,1]
	v_pk_fma_f32 v[70:71], v[70:71], v[72:73], v[74:75] neg_lo:[0,0,1] neg_hi:[0,0,1]
	s_delay_alu instid0(VALU_DEP_2)
	v_mov_b32_e32 v71, v77
	scratch_store_b64 off, v[70:71], off offset:232
.LBB32_35:
	s_wait_xcnt 0x0
	s_or_b32 exec_lo, exec_lo, s0
	scratch_load_b64 v[70:71], off, off offset:224
	v_cmp_lt_u32_e64 s0, 28, v0
	s_wait_loadcnt 0x0
	ds_store_b64 v1, v[70:71]
	s_wait_storecnt_dscnt 0x0
	s_barrier_signal -1
	s_barrier_wait -1
	s_wait_xcnt 0x0
	s_and_saveexec_b32 s2, s0
	s_cbranch_execz .LBB32_45
; %bb.36:
	s_and_not1_b32 vcc_lo, exec_lo, s3
	s_cbranch_vccnz .LBB32_38
; %bb.37:
	scratch_load_b64 v[70:71], v47, off
	ds_load_b64 v[72:73], v1
	s_wait_loadcnt_dscnt 0x0
	v_pk_mul_f32 v[74:75], v[72:73], v[70:71] op_sel:[1,1] op_sel_hi:[0,1]
	s_delay_alu instid0(VALU_DEP_1) | instskip(SKIP_1) | instid1(VALU_DEP_2)
	v_pk_fma_f32 v[76:77], v[72:73], v[70:71], v[74:75] op_sel_hi:[1,0,1]
	v_pk_fma_f32 v[70:71], v[72:73], v[70:71], v[74:75] neg_lo:[0,0,1] neg_hi:[0,0,1]
	v_mov_b32_e32 v71, v77
	s_cbranch_execz .LBB32_39
	s_branch .LBB32_40
.LBB32_38:
                                        ; implicit-def: $vgpr70_vgpr71
.LBB32_39:
	ds_load_b64 v[70:71], v1
.LBB32_40:
	s_and_saveexec_b32 s20, s1
	s_cbranch_execz .LBB32_44
; %bb.41:
	v_subrev_nc_u32_e32 v72, 29, v0
	s_movk_i32 s1, 0xe8
	s_movk_i32 s22, 0x1f8
	s_mov_b32 s21, 0
.LBB32_42:                              ; =>This Inner Loop Header: Depth=1
	scratch_load_b64 v[74:75], off, s1
	v_dual_mov_b32 v73, s22 :: v_dual_add_nc_u32 v72, -1, v72
	s_add_co_i32 s22, s22, 8
	s_wait_xcnt 0x0
	s_add_co_i32 s1, s1, 8
	ds_load_b64 v[76:77], v73
	v_cmp_eq_u32_e32 vcc_lo, 0, v72
	s_or_b32 s21, vcc_lo, s21
	s_wait_loadcnt_dscnt 0x0
	v_pk_mul_f32 v[78:79], v[76:77], v[74:75] op_sel:[1,1] op_sel_hi:[0,1]
	s_delay_alu instid0(VALU_DEP_1) | instskip(SKIP_1) | instid1(VALU_DEP_2)
	v_pk_fma_f32 v[80:81], v[76:77], v[74:75], v[78:79] op_sel_hi:[1,0,1]
	v_pk_fma_f32 v[74:75], v[76:77], v[74:75], v[78:79] neg_lo:[0,0,1] neg_hi:[0,0,1]
	v_mov_b32_e32 v75, v81
	s_delay_alu instid0(VALU_DEP_1)
	v_pk_add_f32 v[70:71], v[70:71], v[74:75]
	s_and_not1_b32 exec_lo, exec_lo, s21
	s_cbranch_execnz .LBB32_42
; %bb.43:
	s_or_b32 exec_lo, exec_lo, s21
.LBB32_44:
	s_delay_alu instid0(SALU_CYCLE_1) | instskip(SKIP_4) | instid1(VALU_DEP_1)
	s_or_b32 exec_lo, exec_lo, s20
	v_mov_b32_e32 v72, 0
	ds_load_b64 v[72:73], v72 offset:224
	s_wait_dscnt 0x0
	v_pk_mul_f32 v[74:75], v[70:71], v[72:73] op_sel:[1,1] op_sel_hi:[0,1]
	v_pk_fma_f32 v[76:77], v[70:71], v[72:73], v[74:75] op_sel_hi:[1,0,1]
	v_pk_fma_f32 v[70:71], v[70:71], v[72:73], v[74:75] neg_lo:[0,0,1] neg_hi:[0,0,1]
	s_delay_alu instid0(VALU_DEP_2)
	v_mov_b32_e32 v71, v77
	scratch_store_b64 off, v[70:71], off offset:224
.LBB32_45:
	s_wait_xcnt 0x0
	s_or_b32 exec_lo, exec_lo, s2
	scratch_load_b64 v[70:71], off, off offset:216
	v_cmp_lt_u32_e64 s1, 27, v0
	s_wait_loadcnt 0x0
	ds_store_b64 v1, v[70:71]
	s_wait_storecnt_dscnt 0x0
	s_barrier_signal -1
	s_barrier_wait -1
	s_wait_xcnt 0x0
	s_and_saveexec_b32 s2, s1
	s_cbranch_execz .LBB32_55
; %bb.46:
	s_and_not1_b32 vcc_lo, exec_lo, s3
	s_cbranch_vccnz .LBB32_48
; %bb.47:
	scratch_load_b64 v[70:71], v47, off
	ds_load_b64 v[72:73], v1
	s_wait_loadcnt_dscnt 0x0
	v_pk_mul_f32 v[74:75], v[72:73], v[70:71] op_sel:[1,1] op_sel_hi:[0,1]
	s_delay_alu instid0(VALU_DEP_1) | instskip(SKIP_1) | instid1(VALU_DEP_2)
	v_pk_fma_f32 v[76:77], v[72:73], v[70:71], v[74:75] op_sel_hi:[1,0,1]
	v_pk_fma_f32 v[70:71], v[72:73], v[70:71], v[74:75] neg_lo:[0,0,1] neg_hi:[0,0,1]
	v_mov_b32_e32 v71, v77
	s_cbranch_execz .LBB32_49
	s_branch .LBB32_50
.LBB32_48:
                                        ; implicit-def: $vgpr70_vgpr71
.LBB32_49:
	ds_load_b64 v[70:71], v1
.LBB32_50:
	s_and_saveexec_b32 s20, s0
	s_cbranch_execz .LBB32_54
; %bb.51:
	v_subrev_nc_u32_e32 v72, 28, v0
	s_movk_i32 s21, 0x1f0
	s_mov_b32 s0, 0
.LBB32_52:                              ; =>This Inner Loop Header: Depth=1
	scratch_load_b64 v[74:75], off, s19
	v_dual_mov_b32 v73, s21 :: v_dual_add_nc_u32 v72, -1, v72
	s_add_co_i32 s21, s21, 8
	s_wait_xcnt 0x0
	s_add_co_i32 s19, s19, 8
	ds_load_b64 v[76:77], v73
	v_cmp_eq_u32_e32 vcc_lo, 0, v72
	s_or_b32 s0, vcc_lo, s0
	s_wait_loadcnt_dscnt 0x0
	v_pk_mul_f32 v[78:79], v[76:77], v[74:75] op_sel:[1,1] op_sel_hi:[0,1]
	s_delay_alu instid0(VALU_DEP_1) | instskip(SKIP_1) | instid1(VALU_DEP_2)
	v_pk_fma_f32 v[80:81], v[76:77], v[74:75], v[78:79] op_sel_hi:[1,0,1]
	v_pk_fma_f32 v[74:75], v[76:77], v[74:75], v[78:79] neg_lo:[0,0,1] neg_hi:[0,0,1]
	v_mov_b32_e32 v75, v81
	s_delay_alu instid0(VALU_DEP_1)
	v_pk_add_f32 v[70:71], v[70:71], v[74:75]
	s_and_not1_b32 exec_lo, exec_lo, s0
	s_cbranch_execnz .LBB32_52
; %bb.53:
	s_or_b32 exec_lo, exec_lo, s0
.LBB32_54:
	s_delay_alu instid0(SALU_CYCLE_1) | instskip(SKIP_4) | instid1(VALU_DEP_1)
	s_or_b32 exec_lo, exec_lo, s20
	v_mov_b32_e32 v72, 0
	ds_load_b64 v[72:73], v72 offset:216
	s_wait_dscnt 0x0
	v_pk_mul_f32 v[74:75], v[70:71], v[72:73] op_sel:[1,1] op_sel_hi:[0,1]
	v_pk_fma_f32 v[76:77], v[70:71], v[72:73], v[74:75] op_sel_hi:[1,0,1]
	v_pk_fma_f32 v[70:71], v[70:71], v[72:73], v[74:75] neg_lo:[0,0,1] neg_hi:[0,0,1]
	s_delay_alu instid0(VALU_DEP_2)
	v_mov_b32_e32 v71, v77
	scratch_store_b64 off, v[70:71], off offset:216
.LBB32_55:
	s_wait_xcnt 0x0
	s_or_b32 exec_lo, exec_lo, s2
	scratch_load_b64 v[70:71], off, off offset:208
	v_cmp_lt_u32_e64 s0, 26, v0
	s_wait_loadcnt 0x0
	ds_store_b64 v1, v[70:71]
	s_wait_storecnt_dscnt 0x0
	s_barrier_signal -1
	s_barrier_wait -1
	s_wait_xcnt 0x0
	s_and_saveexec_b32 s2, s0
	s_cbranch_execz .LBB32_65
; %bb.56:
	s_and_not1_b32 vcc_lo, exec_lo, s3
	s_cbranch_vccnz .LBB32_58
; %bb.57:
	scratch_load_b64 v[70:71], v47, off
	ds_load_b64 v[72:73], v1
	s_wait_loadcnt_dscnt 0x0
	v_pk_mul_f32 v[74:75], v[72:73], v[70:71] op_sel:[1,1] op_sel_hi:[0,1]
	s_delay_alu instid0(VALU_DEP_1) | instskip(SKIP_1) | instid1(VALU_DEP_2)
	v_pk_fma_f32 v[76:77], v[72:73], v[70:71], v[74:75] op_sel_hi:[1,0,1]
	v_pk_fma_f32 v[70:71], v[72:73], v[70:71], v[74:75] neg_lo:[0,0,1] neg_hi:[0,0,1]
	v_mov_b32_e32 v71, v77
	s_cbranch_execz .LBB32_59
	s_branch .LBB32_60
.LBB32_58:
                                        ; implicit-def: $vgpr70_vgpr71
.LBB32_59:
	ds_load_b64 v[70:71], v1
.LBB32_60:
	s_and_saveexec_b32 s19, s1
	s_cbranch_execz .LBB32_64
; %bb.61:
	v_subrev_nc_u32_e32 v72, 27, v0
	s_movk_i32 s1, 0xd8
	s_movk_i32 s21, 0x1e8
	s_mov_b32 s20, 0
.LBB32_62:                              ; =>This Inner Loop Header: Depth=1
	scratch_load_b64 v[74:75], off, s1
	v_dual_mov_b32 v73, s21 :: v_dual_add_nc_u32 v72, -1, v72
	s_add_co_i32 s21, s21, 8
	s_wait_xcnt 0x0
	s_add_co_i32 s1, s1, 8
	ds_load_b64 v[76:77], v73
	v_cmp_eq_u32_e32 vcc_lo, 0, v72
	s_or_b32 s20, vcc_lo, s20
	s_wait_loadcnt_dscnt 0x0
	v_pk_mul_f32 v[78:79], v[76:77], v[74:75] op_sel:[1,1] op_sel_hi:[0,1]
	s_delay_alu instid0(VALU_DEP_1) | instskip(SKIP_1) | instid1(VALU_DEP_2)
	v_pk_fma_f32 v[80:81], v[76:77], v[74:75], v[78:79] op_sel_hi:[1,0,1]
	v_pk_fma_f32 v[74:75], v[76:77], v[74:75], v[78:79] neg_lo:[0,0,1] neg_hi:[0,0,1]
	v_mov_b32_e32 v75, v81
	s_delay_alu instid0(VALU_DEP_1)
	v_pk_add_f32 v[70:71], v[70:71], v[74:75]
	s_and_not1_b32 exec_lo, exec_lo, s20
	s_cbranch_execnz .LBB32_62
; %bb.63:
	s_or_b32 exec_lo, exec_lo, s20
.LBB32_64:
	s_delay_alu instid0(SALU_CYCLE_1) | instskip(SKIP_4) | instid1(VALU_DEP_1)
	s_or_b32 exec_lo, exec_lo, s19
	v_mov_b32_e32 v72, 0
	ds_load_b64 v[72:73], v72 offset:208
	s_wait_dscnt 0x0
	v_pk_mul_f32 v[74:75], v[70:71], v[72:73] op_sel:[1,1] op_sel_hi:[0,1]
	v_pk_fma_f32 v[76:77], v[70:71], v[72:73], v[74:75] op_sel_hi:[1,0,1]
	v_pk_fma_f32 v[70:71], v[70:71], v[72:73], v[74:75] neg_lo:[0,0,1] neg_hi:[0,0,1]
	s_delay_alu instid0(VALU_DEP_2)
	v_mov_b32_e32 v71, v77
	scratch_store_b64 off, v[70:71], off offset:208
.LBB32_65:
	s_wait_xcnt 0x0
	s_or_b32 exec_lo, exec_lo, s2
	scratch_load_b64 v[70:71], off, off offset:200
	v_cmp_lt_u32_e64 s1, 25, v0
	s_wait_loadcnt 0x0
	ds_store_b64 v1, v[70:71]
	s_wait_storecnt_dscnt 0x0
	s_barrier_signal -1
	s_barrier_wait -1
	s_wait_xcnt 0x0
	s_and_saveexec_b32 s2, s1
	s_cbranch_execz .LBB32_75
; %bb.66:
	s_and_not1_b32 vcc_lo, exec_lo, s3
	s_cbranch_vccnz .LBB32_68
; %bb.67:
	scratch_load_b64 v[70:71], v47, off
	ds_load_b64 v[72:73], v1
	s_wait_loadcnt_dscnt 0x0
	v_pk_mul_f32 v[74:75], v[72:73], v[70:71] op_sel:[1,1] op_sel_hi:[0,1]
	s_delay_alu instid0(VALU_DEP_1) | instskip(SKIP_1) | instid1(VALU_DEP_2)
	v_pk_fma_f32 v[76:77], v[72:73], v[70:71], v[74:75] op_sel_hi:[1,0,1]
	v_pk_fma_f32 v[70:71], v[72:73], v[70:71], v[74:75] neg_lo:[0,0,1] neg_hi:[0,0,1]
	v_mov_b32_e32 v71, v77
	s_cbranch_execz .LBB32_69
	s_branch .LBB32_70
.LBB32_68:
                                        ; implicit-def: $vgpr70_vgpr71
.LBB32_69:
	ds_load_b64 v[70:71], v1
.LBB32_70:
	s_and_saveexec_b32 s19, s0
	s_cbranch_execz .LBB32_74
; %bb.71:
	v_subrev_nc_u32_e32 v72, 26, v0
	s_movk_i32 s20, 0x1e0
	s_mov_b32 s0, 0
.LBB32_72:                              ; =>This Inner Loop Header: Depth=1
	scratch_load_b64 v[74:75], off, s18
	v_dual_mov_b32 v73, s20 :: v_dual_add_nc_u32 v72, -1, v72
	s_add_co_i32 s20, s20, 8
	s_wait_xcnt 0x0
	s_add_co_i32 s18, s18, 8
	ds_load_b64 v[76:77], v73
	v_cmp_eq_u32_e32 vcc_lo, 0, v72
	s_or_b32 s0, vcc_lo, s0
	s_wait_loadcnt_dscnt 0x0
	v_pk_mul_f32 v[78:79], v[76:77], v[74:75] op_sel:[1,1] op_sel_hi:[0,1]
	s_delay_alu instid0(VALU_DEP_1) | instskip(SKIP_1) | instid1(VALU_DEP_2)
	v_pk_fma_f32 v[80:81], v[76:77], v[74:75], v[78:79] op_sel_hi:[1,0,1]
	v_pk_fma_f32 v[74:75], v[76:77], v[74:75], v[78:79] neg_lo:[0,0,1] neg_hi:[0,0,1]
	v_mov_b32_e32 v75, v81
	s_delay_alu instid0(VALU_DEP_1)
	v_pk_add_f32 v[70:71], v[70:71], v[74:75]
	s_and_not1_b32 exec_lo, exec_lo, s0
	s_cbranch_execnz .LBB32_72
; %bb.73:
	s_or_b32 exec_lo, exec_lo, s0
.LBB32_74:
	s_delay_alu instid0(SALU_CYCLE_1) | instskip(SKIP_4) | instid1(VALU_DEP_1)
	s_or_b32 exec_lo, exec_lo, s19
	v_mov_b32_e32 v72, 0
	ds_load_b64 v[72:73], v72 offset:200
	s_wait_dscnt 0x0
	v_pk_mul_f32 v[74:75], v[70:71], v[72:73] op_sel:[1,1] op_sel_hi:[0,1]
	v_pk_fma_f32 v[76:77], v[70:71], v[72:73], v[74:75] op_sel_hi:[1,0,1]
	v_pk_fma_f32 v[70:71], v[70:71], v[72:73], v[74:75] neg_lo:[0,0,1] neg_hi:[0,0,1]
	s_delay_alu instid0(VALU_DEP_2)
	v_mov_b32_e32 v71, v77
	scratch_store_b64 off, v[70:71], off offset:200
.LBB32_75:
	s_wait_xcnt 0x0
	s_or_b32 exec_lo, exec_lo, s2
	scratch_load_b64 v[70:71], off, off offset:192
	v_cmp_lt_u32_e64 s0, 24, v0
	s_wait_loadcnt 0x0
	ds_store_b64 v1, v[70:71]
	s_wait_storecnt_dscnt 0x0
	s_barrier_signal -1
	s_barrier_wait -1
	s_wait_xcnt 0x0
	s_and_saveexec_b32 s2, s0
	s_cbranch_execz .LBB32_85
; %bb.76:
	s_and_not1_b32 vcc_lo, exec_lo, s3
	s_cbranch_vccnz .LBB32_78
; %bb.77:
	scratch_load_b64 v[70:71], v47, off
	ds_load_b64 v[72:73], v1
	s_wait_loadcnt_dscnt 0x0
	v_pk_mul_f32 v[74:75], v[72:73], v[70:71] op_sel:[1,1] op_sel_hi:[0,1]
	s_delay_alu instid0(VALU_DEP_1) | instskip(SKIP_1) | instid1(VALU_DEP_2)
	v_pk_fma_f32 v[76:77], v[72:73], v[70:71], v[74:75] op_sel_hi:[1,0,1]
	v_pk_fma_f32 v[70:71], v[72:73], v[70:71], v[74:75] neg_lo:[0,0,1] neg_hi:[0,0,1]
	v_mov_b32_e32 v71, v77
	s_cbranch_execz .LBB32_79
	s_branch .LBB32_80
.LBB32_78:
                                        ; implicit-def: $vgpr70_vgpr71
.LBB32_79:
	ds_load_b64 v[70:71], v1
.LBB32_80:
	s_and_saveexec_b32 s18, s1
	s_cbranch_execz .LBB32_84
; %bb.81:
	v_subrev_nc_u32_e32 v72, 25, v0
	s_movk_i32 s1, 0xc8
	s_movk_i32 s20, 0x1d8
	s_mov_b32 s19, 0
.LBB32_82:                              ; =>This Inner Loop Header: Depth=1
	scratch_load_b64 v[74:75], off, s1
	v_dual_mov_b32 v73, s20 :: v_dual_add_nc_u32 v72, -1, v72
	s_add_co_i32 s20, s20, 8
	s_wait_xcnt 0x0
	s_add_co_i32 s1, s1, 8
	ds_load_b64 v[76:77], v73
	v_cmp_eq_u32_e32 vcc_lo, 0, v72
	s_or_b32 s19, vcc_lo, s19
	s_wait_loadcnt_dscnt 0x0
	v_pk_mul_f32 v[78:79], v[76:77], v[74:75] op_sel:[1,1] op_sel_hi:[0,1]
	s_delay_alu instid0(VALU_DEP_1) | instskip(SKIP_1) | instid1(VALU_DEP_2)
	v_pk_fma_f32 v[80:81], v[76:77], v[74:75], v[78:79] op_sel_hi:[1,0,1]
	v_pk_fma_f32 v[74:75], v[76:77], v[74:75], v[78:79] neg_lo:[0,0,1] neg_hi:[0,0,1]
	v_mov_b32_e32 v75, v81
	s_delay_alu instid0(VALU_DEP_1)
	v_pk_add_f32 v[70:71], v[70:71], v[74:75]
	s_and_not1_b32 exec_lo, exec_lo, s19
	s_cbranch_execnz .LBB32_82
; %bb.83:
	s_or_b32 exec_lo, exec_lo, s19
.LBB32_84:
	s_delay_alu instid0(SALU_CYCLE_1) | instskip(SKIP_4) | instid1(VALU_DEP_1)
	s_or_b32 exec_lo, exec_lo, s18
	v_mov_b32_e32 v72, 0
	ds_load_b64 v[72:73], v72 offset:192
	s_wait_dscnt 0x0
	v_pk_mul_f32 v[74:75], v[70:71], v[72:73] op_sel:[1,1] op_sel_hi:[0,1]
	v_pk_fma_f32 v[76:77], v[70:71], v[72:73], v[74:75] op_sel_hi:[1,0,1]
	v_pk_fma_f32 v[70:71], v[70:71], v[72:73], v[74:75] neg_lo:[0,0,1] neg_hi:[0,0,1]
	s_delay_alu instid0(VALU_DEP_2)
	v_mov_b32_e32 v71, v77
	scratch_store_b64 off, v[70:71], off offset:192
.LBB32_85:
	s_wait_xcnt 0x0
	s_or_b32 exec_lo, exec_lo, s2
	scratch_load_b64 v[70:71], off, off offset:184
	v_cmp_lt_u32_e64 s1, 23, v0
	s_wait_loadcnt 0x0
	ds_store_b64 v1, v[70:71]
	s_wait_storecnt_dscnt 0x0
	s_barrier_signal -1
	s_barrier_wait -1
	s_wait_xcnt 0x0
	s_and_saveexec_b32 s2, s1
	s_cbranch_execz .LBB32_95
; %bb.86:
	s_and_not1_b32 vcc_lo, exec_lo, s3
	s_cbranch_vccnz .LBB32_88
; %bb.87:
	scratch_load_b64 v[70:71], v47, off
	ds_load_b64 v[72:73], v1
	s_wait_loadcnt_dscnt 0x0
	v_pk_mul_f32 v[74:75], v[72:73], v[70:71] op_sel:[1,1] op_sel_hi:[0,1]
	s_delay_alu instid0(VALU_DEP_1) | instskip(SKIP_1) | instid1(VALU_DEP_2)
	v_pk_fma_f32 v[76:77], v[72:73], v[70:71], v[74:75] op_sel_hi:[1,0,1]
	v_pk_fma_f32 v[70:71], v[72:73], v[70:71], v[74:75] neg_lo:[0,0,1] neg_hi:[0,0,1]
	v_mov_b32_e32 v71, v77
	s_cbranch_execz .LBB32_89
	s_branch .LBB32_90
.LBB32_88:
                                        ; implicit-def: $vgpr70_vgpr71
.LBB32_89:
	ds_load_b64 v[70:71], v1
.LBB32_90:
	s_and_saveexec_b32 s18, s0
	s_cbranch_execz .LBB32_94
; %bb.91:
	v_subrev_nc_u32_e32 v72, 24, v0
	s_movk_i32 s19, 0x1d0
	s_mov_b32 s0, 0
.LBB32_92:                              ; =>This Inner Loop Header: Depth=1
	scratch_load_b64 v[74:75], off, s17
	v_dual_mov_b32 v73, s19 :: v_dual_add_nc_u32 v72, -1, v72
	s_add_co_i32 s19, s19, 8
	s_wait_xcnt 0x0
	s_add_co_i32 s17, s17, 8
	ds_load_b64 v[76:77], v73
	v_cmp_eq_u32_e32 vcc_lo, 0, v72
	s_or_b32 s0, vcc_lo, s0
	s_wait_loadcnt_dscnt 0x0
	v_pk_mul_f32 v[78:79], v[76:77], v[74:75] op_sel:[1,1] op_sel_hi:[0,1]
	s_delay_alu instid0(VALU_DEP_1) | instskip(SKIP_1) | instid1(VALU_DEP_2)
	v_pk_fma_f32 v[80:81], v[76:77], v[74:75], v[78:79] op_sel_hi:[1,0,1]
	v_pk_fma_f32 v[74:75], v[76:77], v[74:75], v[78:79] neg_lo:[0,0,1] neg_hi:[0,0,1]
	v_mov_b32_e32 v75, v81
	s_delay_alu instid0(VALU_DEP_1)
	v_pk_add_f32 v[70:71], v[70:71], v[74:75]
	s_and_not1_b32 exec_lo, exec_lo, s0
	s_cbranch_execnz .LBB32_92
; %bb.93:
	s_or_b32 exec_lo, exec_lo, s0
.LBB32_94:
	s_delay_alu instid0(SALU_CYCLE_1) | instskip(SKIP_4) | instid1(VALU_DEP_1)
	s_or_b32 exec_lo, exec_lo, s18
	v_mov_b32_e32 v72, 0
	ds_load_b64 v[72:73], v72 offset:184
	s_wait_dscnt 0x0
	v_pk_mul_f32 v[74:75], v[70:71], v[72:73] op_sel:[1,1] op_sel_hi:[0,1]
	v_pk_fma_f32 v[76:77], v[70:71], v[72:73], v[74:75] op_sel_hi:[1,0,1]
	v_pk_fma_f32 v[70:71], v[70:71], v[72:73], v[74:75] neg_lo:[0,0,1] neg_hi:[0,0,1]
	s_delay_alu instid0(VALU_DEP_2)
	v_mov_b32_e32 v71, v77
	scratch_store_b64 off, v[70:71], off offset:184
.LBB32_95:
	s_wait_xcnt 0x0
	s_or_b32 exec_lo, exec_lo, s2
	scratch_load_b64 v[70:71], off, off offset:176
	v_cmp_lt_u32_e64 s0, 22, v0
	s_wait_loadcnt 0x0
	ds_store_b64 v1, v[70:71]
	s_wait_storecnt_dscnt 0x0
	s_barrier_signal -1
	s_barrier_wait -1
	s_wait_xcnt 0x0
	s_and_saveexec_b32 s2, s0
	s_cbranch_execz .LBB32_105
; %bb.96:
	s_and_not1_b32 vcc_lo, exec_lo, s3
	s_cbranch_vccnz .LBB32_98
; %bb.97:
	scratch_load_b64 v[70:71], v47, off
	ds_load_b64 v[72:73], v1
	s_wait_loadcnt_dscnt 0x0
	v_pk_mul_f32 v[74:75], v[72:73], v[70:71] op_sel:[1,1] op_sel_hi:[0,1]
	s_delay_alu instid0(VALU_DEP_1) | instskip(SKIP_1) | instid1(VALU_DEP_2)
	v_pk_fma_f32 v[76:77], v[72:73], v[70:71], v[74:75] op_sel_hi:[1,0,1]
	v_pk_fma_f32 v[70:71], v[72:73], v[70:71], v[74:75] neg_lo:[0,0,1] neg_hi:[0,0,1]
	v_mov_b32_e32 v71, v77
	s_cbranch_execz .LBB32_99
	s_branch .LBB32_100
.LBB32_98:
                                        ; implicit-def: $vgpr70_vgpr71
.LBB32_99:
	ds_load_b64 v[70:71], v1
.LBB32_100:
	s_and_saveexec_b32 s17, s1
	s_cbranch_execz .LBB32_104
; %bb.101:
	v_subrev_nc_u32_e32 v72, 23, v0
	s_movk_i32 s1, 0xb8
	s_movk_i32 s19, 0x1c8
	s_mov_b32 s18, 0
.LBB32_102:                             ; =>This Inner Loop Header: Depth=1
	scratch_load_b64 v[74:75], off, s1
	v_dual_mov_b32 v73, s19 :: v_dual_add_nc_u32 v72, -1, v72
	s_add_co_i32 s19, s19, 8
	s_wait_xcnt 0x0
	s_add_co_i32 s1, s1, 8
	ds_load_b64 v[76:77], v73
	v_cmp_eq_u32_e32 vcc_lo, 0, v72
	s_or_b32 s18, vcc_lo, s18
	s_wait_loadcnt_dscnt 0x0
	v_pk_mul_f32 v[78:79], v[76:77], v[74:75] op_sel:[1,1] op_sel_hi:[0,1]
	s_delay_alu instid0(VALU_DEP_1) | instskip(SKIP_1) | instid1(VALU_DEP_2)
	v_pk_fma_f32 v[80:81], v[76:77], v[74:75], v[78:79] op_sel_hi:[1,0,1]
	v_pk_fma_f32 v[74:75], v[76:77], v[74:75], v[78:79] neg_lo:[0,0,1] neg_hi:[0,0,1]
	v_mov_b32_e32 v75, v81
	s_delay_alu instid0(VALU_DEP_1)
	v_pk_add_f32 v[70:71], v[70:71], v[74:75]
	s_and_not1_b32 exec_lo, exec_lo, s18
	s_cbranch_execnz .LBB32_102
; %bb.103:
	s_or_b32 exec_lo, exec_lo, s18
.LBB32_104:
	s_delay_alu instid0(SALU_CYCLE_1) | instskip(SKIP_4) | instid1(VALU_DEP_1)
	s_or_b32 exec_lo, exec_lo, s17
	v_mov_b32_e32 v72, 0
	ds_load_b64 v[72:73], v72 offset:176
	s_wait_dscnt 0x0
	v_pk_mul_f32 v[74:75], v[70:71], v[72:73] op_sel:[1,1] op_sel_hi:[0,1]
	v_pk_fma_f32 v[76:77], v[70:71], v[72:73], v[74:75] op_sel_hi:[1,0,1]
	v_pk_fma_f32 v[70:71], v[70:71], v[72:73], v[74:75] neg_lo:[0,0,1] neg_hi:[0,0,1]
	s_delay_alu instid0(VALU_DEP_2)
	v_mov_b32_e32 v71, v77
	scratch_store_b64 off, v[70:71], off offset:176
.LBB32_105:
	s_wait_xcnt 0x0
	s_or_b32 exec_lo, exec_lo, s2
	scratch_load_b64 v[70:71], off, off offset:168
	v_cmp_lt_u32_e64 s1, 21, v0
	s_wait_loadcnt 0x0
	ds_store_b64 v1, v[70:71]
	s_wait_storecnt_dscnt 0x0
	s_barrier_signal -1
	s_barrier_wait -1
	s_wait_xcnt 0x0
	s_and_saveexec_b32 s2, s1
	s_cbranch_execz .LBB32_115
; %bb.106:
	s_and_not1_b32 vcc_lo, exec_lo, s3
	s_cbranch_vccnz .LBB32_108
; %bb.107:
	scratch_load_b64 v[70:71], v47, off
	ds_load_b64 v[72:73], v1
	s_wait_loadcnt_dscnt 0x0
	v_pk_mul_f32 v[74:75], v[72:73], v[70:71] op_sel:[1,1] op_sel_hi:[0,1]
	s_delay_alu instid0(VALU_DEP_1) | instskip(SKIP_1) | instid1(VALU_DEP_2)
	v_pk_fma_f32 v[76:77], v[72:73], v[70:71], v[74:75] op_sel_hi:[1,0,1]
	v_pk_fma_f32 v[70:71], v[72:73], v[70:71], v[74:75] neg_lo:[0,0,1] neg_hi:[0,0,1]
	v_mov_b32_e32 v71, v77
	s_cbranch_execz .LBB32_109
	s_branch .LBB32_110
.LBB32_108:
                                        ; implicit-def: $vgpr70_vgpr71
.LBB32_109:
	ds_load_b64 v[70:71], v1
.LBB32_110:
	s_and_saveexec_b32 s17, s0
	s_cbranch_execz .LBB32_114
; %bb.111:
	v_subrev_nc_u32_e32 v72, 22, v0
	s_movk_i32 s18, 0x1c0
	s_mov_b32 s0, 0
.LBB32_112:                             ; =>This Inner Loop Header: Depth=1
	scratch_load_b64 v[74:75], off, s16
	v_dual_mov_b32 v73, s18 :: v_dual_add_nc_u32 v72, -1, v72
	s_add_co_i32 s18, s18, 8
	s_wait_xcnt 0x0
	s_add_co_i32 s16, s16, 8
	ds_load_b64 v[76:77], v73
	v_cmp_eq_u32_e32 vcc_lo, 0, v72
	s_or_b32 s0, vcc_lo, s0
	s_wait_loadcnt_dscnt 0x0
	v_pk_mul_f32 v[78:79], v[76:77], v[74:75] op_sel:[1,1] op_sel_hi:[0,1]
	s_delay_alu instid0(VALU_DEP_1) | instskip(SKIP_1) | instid1(VALU_DEP_2)
	v_pk_fma_f32 v[80:81], v[76:77], v[74:75], v[78:79] op_sel_hi:[1,0,1]
	v_pk_fma_f32 v[74:75], v[76:77], v[74:75], v[78:79] neg_lo:[0,0,1] neg_hi:[0,0,1]
	v_mov_b32_e32 v75, v81
	s_delay_alu instid0(VALU_DEP_1)
	v_pk_add_f32 v[70:71], v[70:71], v[74:75]
	s_and_not1_b32 exec_lo, exec_lo, s0
	s_cbranch_execnz .LBB32_112
; %bb.113:
	s_or_b32 exec_lo, exec_lo, s0
.LBB32_114:
	s_delay_alu instid0(SALU_CYCLE_1) | instskip(SKIP_4) | instid1(VALU_DEP_1)
	s_or_b32 exec_lo, exec_lo, s17
	v_mov_b32_e32 v72, 0
	ds_load_b64 v[72:73], v72 offset:168
	s_wait_dscnt 0x0
	v_pk_mul_f32 v[74:75], v[70:71], v[72:73] op_sel:[1,1] op_sel_hi:[0,1]
	v_pk_fma_f32 v[76:77], v[70:71], v[72:73], v[74:75] op_sel_hi:[1,0,1]
	v_pk_fma_f32 v[70:71], v[70:71], v[72:73], v[74:75] neg_lo:[0,0,1] neg_hi:[0,0,1]
	s_delay_alu instid0(VALU_DEP_2)
	v_mov_b32_e32 v71, v77
	scratch_store_b64 off, v[70:71], off offset:168
.LBB32_115:
	s_wait_xcnt 0x0
	s_or_b32 exec_lo, exec_lo, s2
	scratch_load_b64 v[70:71], off, off offset:160
	v_cmp_lt_u32_e64 s0, 20, v0
	s_wait_loadcnt 0x0
	ds_store_b64 v1, v[70:71]
	s_wait_storecnt_dscnt 0x0
	s_barrier_signal -1
	s_barrier_wait -1
	s_wait_xcnt 0x0
	s_and_saveexec_b32 s2, s0
	s_cbranch_execz .LBB32_125
; %bb.116:
	s_and_not1_b32 vcc_lo, exec_lo, s3
	s_cbranch_vccnz .LBB32_118
; %bb.117:
	scratch_load_b64 v[70:71], v47, off
	ds_load_b64 v[72:73], v1
	s_wait_loadcnt_dscnt 0x0
	v_pk_mul_f32 v[74:75], v[72:73], v[70:71] op_sel:[1,1] op_sel_hi:[0,1]
	s_delay_alu instid0(VALU_DEP_1) | instskip(SKIP_1) | instid1(VALU_DEP_2)
	v_pk_fma_f32 v[76:77], v[72:73], v[70:71], v[74:75] op_sel_hi:[1,0,1]
	v_pk_fma_f32 v[70:71], v[72:73], v[70:71], v[74:75] neg_lo:[0,0,1] neg_hi:[0,0,1]
	v_mov_b32_e32 v71, v77
	s_cbranch_execz .LBB32_119
	s_branch .LBB32_120
.LBB32_118:
                                        ; implicit-def: $vgpr70_vgpr71
.LBB32_119:
	ds_load_b64 v[70:71], v1
.LBB32_120:
	s_and_saveexec_b32 s16, s1
	s_cbranch_execz .LBB32_124
; %bb.121:
	v_subrev_nc_u32_e32 v72, 21, v0
	s_movk_i32 s1, 0xa8
	s_movk_i32 s18, 0x1b8
	s_mov_b32 s17, 0
.LBB32_122:                             ; =>This Inner Loop Header: Depth=1
	scratch_load_b64 v[74:75], off, s1
	v_dual_mov_b32 v73, s18 :: v_dual_add_nc_u32 v72, -1, v72
	s_add_co_i32 s18, s18, 8
	s_wait_xcnt 0x0
	s_add_co_i32 s1, s1, 8
	ds_load_b64 v[76:77], v73
	v_cmp_eq_u32_e32 vcc_lo, 0, v72
	s_or_b32 s17, vcc_lo, s17
	s_wait_loadcnt_dscnt 0x0
	v_pk_mul_f32 v[78:79], v[76:77], v[74:75] op_sel:[1,1] op_sel_hi:[0,1]
	s_delay_alu instid0(VALU_DEP_1) | instskip(SKIP_1) | instid1(VALU_DEP_2)
	v_pk_fma_f32 v[80:81], v[76:77], v[74:75], v[78:79] op_sel_hi:[1,0,1]
	v_pk_fma_f32 v[74:75], v[76:77], v[74:75], v[78:79] neg_lo:[0,0,1] neg_hi:[0,0,1]
	v_mov_b32_e32 v75, v81
	s_delay_alu instid0(VALU_DEP_1)
	v_pk_add_f32 v[70:71], v[70:71], v[74:75]
	s_and_not1_b32 exec_lo, exec_lo, s17
	s_cbranch_execnz .LBB32_122
; %bb.123:
	s_or_b32 exec_lo, exec_lo, s17
.LBB32_124:
	s_delay_alu instid0(SALU_CYCLE_1) | instskip(SKIP_4) | instid1(VALU_DEP_1)
	s_or_b32 exec_lo, exec_lo, s16
	v_mov_b32_e32 v72, 0
	ds_load_b64 v[72:73], v72 offset:160
	s_wait_dscnt 0x0
	v_pk_mul_f32 v[74:75], v[70:71], v[72:73] op_sel:[1,1] op_sel_hi:[0,1]
	v_pk_fma_f32 v[76:77], v[70:71], v[72:73], v[74:75] op_sel_hi:[1,0,1]
	v_pk_fma_f32 v[70:71], v[70:71], v[72:73], v[74:75] neg_lo:[0,0,1] neg_hi:[0,0,1]
	s_delay_alu instid0(VALU_DEP_2)
	v_mov_b32_e32 v71, v77
	scratch_store_b64 off, v[70:71], off offset:160
.LBB32_125:
	s_wait_xcnt 0x0
	s_or_b32 exec_lo, exec_lo, s2
	scratch_load_b64 v[70:71], off, off offset:152
	v_cmp_lt_u32_e64 s1, 19, v0
	s_wait_loadcnt 0x0
	ds_store_b64 v1, v[70:71]
	s_wait_storecnt_dscnt 0x0
	s_barrier_signal -1
	s_barrier_wait -1
	s_wait_xcnt 0x0
	s_and_saveexec_b32 s2, s1
	s_cbranch_execz .LBB32_135
; %bb.126:
	s_and_not1_b32 vcc_lo, exec_lo, s3
	s_cbranch_vccnz .LBB32_128
; %bb.127:
	scratch_load_b64 v[70:71], v47, off
	ds_load_b64 v[72:73], v1
	s_wait_loadcnt_dscnt 0x0
	v_pk_mul_f32 v[74:75], v[72:73], v[70:71] op_sel:[1,1] op_sel_hi:[0,1]
	s_delay_alu instid0(VALU_DEP_1) | instskip(SKIP_1) | instid1(VALU_DEP_2)
	v_pk_fma_f32 v[76:77], v[72:73], v[70:71], v[74:75] op_sel_hi:[1,0,1]
	v_pk_fma_f32 v[70:71], v[72:73], v[70:71], v[74:75] neg_lo:[0,0,1] neg_hi:[0,0,1]
	v_mov_b32_e32 v71, v77
	s_cbranch_execz .LBB32_129
	s_branch .LBB32_130
.LBB32_128:
                                        ; implicit-def: $vgpr70_vgpr71
.LBB32_129:
	ds_load_b64 v[70:71], v1
.LBB32_130:
	s_and_saveexec_b32 s16, s0
	s_cbranch_execz .LBB32_134
; %bb.131:
	v_subrev_nc_u32_e32 v72, 20, v0
	s_movk_i32 s17, 0x1b0
	s_mov_b32 s0, 0
.LBB32_132:                             ; =>This Inner Loop Header: Depth=1
	scratch_load_b64 v[74:75], off, s15
	v_dual_mov_b32 v73, s17 :: v_dual_add_nc_u32 v72, -1, v72
	s_add_co_i32 s17, s17, 8
	s_wait_xcnt 0x0
	s_add_co_i32 s15, s15, 8
	ds_load_b64 v[76:77], v73
	v_cmp_eq_u32_e32 vcc_lo, 0, v72
	s_or_b32 s0, vcc_lo, s0
	s_wait_loadcnt_dscnt 0x0
	v_pk_mul_f32 v[78:79], v[76:77], v[74:75] op_sel:[1,1] op_sel_hi:[0,1]
	s_delay_alu instid0(VALU_DEP_1) | instskip(SKIP_1) | instid1(VALU_DEP_2)
	v_pk_fma_f32 v[80:81], v[76:77], v[74:75], v[78:79] op_sel_hi:[1,0,1]
	v_pk_fma_f32 v[74:75], v[76:77], v[74:75], v[78:79] neg_lo:[0,0,1] neg_hi:[0,0,1]
	v_mov_b32_e32 v75, v81
	s_delay_alu instid0(VALU_DEP_1)
	v_pk_add_f32 v[70:71], v[70:71], v[74:75]
	s_and_not1_b32 exec_lo, exec_lo, s0
	s_cbranch_execnz .LBB32_132
; %bb.133:
	s_or_b32 exec_lo, exec_lo, s0
.LBB32_134:
	s_delay_alu instid0(SALU_CYCLE_1) | instskip(SKIP_4) | instid1(VALU_DEP_1)
	s_or_b32 exec_lo, exec_lo, s16
	v_mov_b32_e32 v72, 0
	ds_load_b64 v[72:73], v72 offset:152
	s_wait_dscnt 0x0
	v_pk_mul_f32 v[74:75], v[70:71], v[72:73] op_sel:[1,1] op_sel_hi:[0,1]
	v_pk_fma_f32 v[76:77], v[70:71], v[72:73], v[74:75] op_sel_hi:[1,0,1]
	v_pk_fma_f32 v[70:71], v[70:71], v[72:73], v[74:75] neg_lo:[0,0,1] neg_hi:[0,0,1]
	s_delay_alu instid0(VALU_DEP_2)
	v_mov_b32_e32 v71, v77
	scratch_store_b64 off, v[70:71], off offset:152
.LBB32_135:
	s_wait_xcnt 0x0
	s_or_b32 exec_lo, exec_lo, s2
	scratch_load_b64 v[70:71], off, off offset:144
	v_cmp_lt_u32_e64 s0, 18, v0
	s_wait_loadcnt 0x0
	ds_store_b64 v1, v[70:71]
	s_wait_storecnt_dscnt 0x0
	s_barrier_signal -1
	s_barrier_wait -1
	s_wait_xcnt 0x0
	s_and_saveexec_b32 s2, s0
	s_cbranch_execz .LBB32_145
; %bb.136:
	s_and_not1_b32 vcc_lo, exec_lo, s3
	s_cbranch_vccnz .LBB32_138
; %bb.137:
	scratch_load_b64 v[70:71], v47, off
	ds_load_b64 v[72:73], v1
	s_wait_loadcnt_dscnt 0x0
	v_pk_mul_f32 v[74:75], v[72:73], v[70:71] op_sel:[1,1] op_sel_hi:[0,1]
	s_delay_alu instid0(VALU_DEP_1) | instskip(SKIP_1) | instid1(VALU_DEP_2)
	v_pk_fma_f32 v[76:77], v[72:73], v[70:71], v[74:75] op_sel_hi:[1,0,1]
	v_pk_fma_f32 v[70:71], v[72:73], v[70:71], v[74:75] neg_lo:[0,0,1] neg_hi:[0,0,1]
	v_mov_b32_e32 v71, v77
	s_cbranch_execz .LBB32_139
	s_branch .LBB32_140
.LBB32_138:
                                        ; implicit-def: $vgpr70_vgpr71
.LBB32_139:
	ds_load_b64 v[70:71], v1
.LBB32_140:
	s_and_saveexec_b32 s15, s1
	s_cbranch_execz .LBB32_144
; %bb.141:
	v_subrev_nc_u32_e32 v72, 19, v0
	s_movk_i32 s1, 0x98
	s_movk_i32 s17, 0x1a8
	s_mov_b32 s16, 0
.LBB32_142:                             ; =>This Inner Loop Header: Depth=1
	scratch_load_b64 v[74:75], off, s1
	v_dual_mov_b32 v73, s17 :: v_dual_add_nc_u32 v72, -1, v72
	s_add_co_i32 s17, s17, 8
	s_wait_xcnt 0x0
	s_add_co_i32 s1, s1, 8
	ds_load_b64 v[76:77], v73
	v_cmp_eq_u32_e32 vcc_lo, 0, v72
	s_or_b32 s16, vcc_lo, s16
	s_wait_loadcnt_dscnt 0x0
	v_pk_mul_f32 v[78:79], v[76:77], v[74:75] op_sel:[1,1] op_sel_hi:[0,1]
	s_delay_alu instid0(VALU_DEP_1) | instskip(SKIP_1) | instid1(VALU_DEP_2)
	v_pk_fma_f32 v[80:81], v[76:77], v[74:75], v[78:79] op_sel_hi:[1,0,1]
	v_pk_fma_f32 v[74:75], v[76:77], v[74:75], v[78:79] neg_lo:[0,0,1] neg_hi:[0,0,1]
	v_mov_b32_e32 v75, v81
	s_delay_alu instid0(VALU_DEP_1)
	v_pk_add_f32 v[70:71], v[70:71], v[74:75]
	s_and_not1_b32 exec_lo, exec_lo, s16
	s_cbranch_execnz .LBB32_142
; %bb.143:
	s_or_b32 exec_lo, exec_lo, s16
.LBB32_144:
	s_delay_alu instid0(SALU_CYCLE_1) | instskip(SKIP_4) | instid1(VALU_DEP_1)
	s_or_b32 exec_lo, exec_lo, s15
	v_mov_b32_e32 v72, 0
	ds_load_b64 v[72:73], v72 offset:144
	s_wait_dscnt 0x0
	v_pk_mul_f32 v[74:75], v[70:71], v[72:73] op_sel:[1,1] op_sel_hi:[0,1]
	v_pk_fma_f32 v[76:77], v[70:71], v[72:73], v[74:75] op_sel_hi:[1,0,1]
	v_pk_fma_f32 v[70:71], v[70:71], v[72:73], v[74:75] neg_lo:[0,0,1] neg_hi:[0,0,1]
	s_delay_alu instid0(VALU_DEP_2)
	v_mov_b32_e32 v71, v77
	scratch_store_b64 off, v[70:71], off offset:144
.LBB32_145:
	s_wait_xcnt 0x0
	s_or_b32 exec_lo, exec_lo, s2
	scratch_load_b64 v[70:71], off, off offset:136
	v_cmp_lt_u32_e64 s1, 17, v0
	s_wait_loadcnt 0x0
	ds_store_b64 v1, v[70:71]
	s_wait_storecnt_dscnt 0x0
	s_barrier_signal -1
	s_barrier_wait -1
	s_wait_xcnt 0x0
	s_and_saveexec_b32 s2, s1
	s_cbranch_execz .LBB32_155
; %bb.146:
	s_and_not1_b32 vcc_lo, exec_lo, s3
	s_cbranch_vccnz .LBB32_148
; %bb.147:
	scratch_load_b64 v[70:71], v47, off
	ds_load_b64 v[72:73], v1
	s_wait_loadcnt_dscnt 0x0
	v_pk_mul_f32 v[74:75], v[72:73], v[70:71] op_sel:[1,1] op_sel_hi:[0,1]
	s_delay_alu instid0(VALU_DEP_1) | instskip(SKIP_1) | instid1(VALU_DEP_2)
	v_pk_fma_f32 v[76:77], v[72:73], v[70:71], v[74:75] op_sel_hi:[1,0,1]
	v_pk_fma_f32 v[70:71], v[72:73], v[70:71], v[74:75] neg_lo:[0,0,1] neg_hi:[0,0,1]
	v_mov_b32_e32 v71, v77
	s_cbranch_execz .LBB32_149
	s_branch .LBB32_150
.LBB32_148:
                                        ; implicit-def: $vgpr70_vgpr71
.LBB32_149:
	ds_load_b64 v[70:71], v1
.LBB32_150:
	s_and_saveexec_b32 s15, s0
	s_cbranch_execz .LBB32_154
; %bb.151:
	v_subrev_nc_u32_e32 v72, 18, v0
	s_movk_i32 s16, 0x1a0
	s_mov_b32 s0, 0
.LBB32_152:                             ; =>This Inner Loop Header: Depth=1
	scratch_load_b64 v[74:75], off, s14
	v_dual_mov_b32 v73, s16 :: v_dual_add_nc_u32 v72, -1, v72
	s_add_co_i32 s16, s16, 8
	s_wait_xcnt 0x0
	s_add_co_i32 s14, s14, 8
	ds_load_b64 v[76:77], v73
	v_cmp_eq_u32_e32 vcc_lo, 0, v72
	s_or_b32 s0, vcc_lo, s0
	s_wait_loadcnt_dscnt 0x0
	v_pk_mul_f32 v[78:79], v[76:77], v[74:75] op_sel:[1,1] op_sel_hi:[0,1]
	s_delay_alu instid0(VALU_DEP_1) | instskip(SKIP_1) | instid1(VALU_DEP_2)
	v_pk_fma_f32 v[80:81], v[76:77], v[74:75], v[78:79] op_sel_hi:[1,0,1]
	v_pk_fma_f32 v[74:75], v[76:77], v[74:75], v[78:79] neg_lo:[0,0,1] neg_hi:[0,0,1]
	v_mov_b32_e32 v75, v81
	s_delay_alu instid0(VALU_DEP_1)
	v_pk_add_f32 v[70:71], v[70:71], v[74:75]
	s_and_not1_b32 exec_lo, exec_lo, s0
	s_cbranch_execnz .LBB32_152
; %bb.153:
	s_or_b32 exec_lo, exec_lo, s0
.LBB32_154:
	s_delay_alu instid0(SALU_CYCLE_1) | instskip(SKIP_4) | instid1(VALU_DEP_1)
	s_or_b32 exec_lo, exec_lo, s15
	v_mov_b32_e32 v72, 0
	ds_load_b64 v[72:73], v72 offset:136
	s_wait_dscnt 0x0
	v_pk_mul_f32 v[74:75], v[70:71], v[72:73] op_sel:[1,1] op_sel_hi:[0,1]
	v_pk_fma_f32 v[76:77], v[70:71], v[72:73], v[74:75] op_sel_hi:[1,0,1]
	v_pk_fma_f32 v[70:71], v[70:71], v[72:73], v[74:75] neg_lo:[0,0,1] neg_hi:[0,0,1]
	s_delay_alu instid0(VALU_DEP_2)
	v_mov_b32_e32 v71, v77
	scratch_store_b64 off, v[70:71], off offset:136
.LBB32_155:
	s_wait_xcnt 0x0
	s_or_b32 exec_lo, exec_lo, s2
	scratch_load_b64 v[70:71], off, off offset:128
	v_cmp_lt_u32_e64 s0, 16, v0
	s_wait_loadcnt 0x0
	ds_store_b64 v1, v[70:71]
	s_wait_storecnt_dscnt 0x0
	s_barrier_signal -1
	s_barrier_wait -1
	s_wait_xcnt 0x0
	s_and_saveexec_b32 s2, s0
	s_cbranch_execz .LBB32_165
; %bb.156:
	s_and_not1_b32 vcc_lo, exec_lo, s3
	s_cbranch_vccnz .LBB32_158
; %bb.157:
	scratch_load_b64 v[70:71], v47, off
	ds_load_b64 v[72:73], v1
	s_wait_loadcnt_dscnt 0x0
	v_pk_mul_f32 v[74:75], v[72:73], v[70:71] op_sel:[1,1] op_sel_hi:[0,1]
	s_delay_alu instid0(VALU_DEP_1) | instskip(SKIP_1) | instid1(VALU_DEP_2)
	v_pk_fma_f32 v[76:77], v[72:73], v[70:71], v[74:75] op_sel_hi:[1,0,1]
	v_pk_fma_f32 v[70:71], v[72:73], v[70:71], v[74:75] neg_lo:[0,0,1] neg_hi:[0,0,1]
	v_mov_b32_e32 v71, v77
	s_cbranch_execz .LBB32_159
	s_branch .LBB32_160
.LBB32_158:
                                        ; implicit-def: $vgpr70_vgpr71
.LBB32_159:
	ds_load_b64 v[70:71], v1
.LBB32_160:
	s_and_saveexec_b32 s14, s1
	s_cbranch_execz .LBB32_164
; %bb.161:
	v_subrev_nc_u32_e32 v72, 17, v0
	s_movk_i32 s1, 0x88
	s_movk_i32 s16, 0x198
	s_mov_b32 s15, 0
.LBB32_162:                             ; =>This Inner Loop Header: Depth=1
	scratch_load_b64 v[74:75], off, s1
	v_dual_mov_b32 v73, s16 :: v_dual_add_nc_u32 v72, -1, v72
	s_add_co_i32 s16, s16, 8
	s_wait_xcnt 0x0
	s_add_co_i32 s1, s1, 8
	ds_load_b64 v[76:77], v73
	v_cmp_eq_u32_e32 vcc_lo, 0, v72
	s_or_b32 s15, vcc_lo, s15
	s_wait_loadcnt_dscnt 0x0
	v_pk_mul_f32 v[78:79], v[76:77], v[74:75] op_sel:[1,1] op_sel_hi:[0,1]
	s_delay_alu instid0(VALU_DEP_1) | instskip(SKIP_1) | instid1(VALU_DEP_2)
	v_pk_fma_f32 v[80:81], v[76:77], v[74:75], v[78:79] op_sel_hi:[1,0,1]
	v_pk_fma_f32 v[74:75], v[76:77], v[74:75], v[78:79] neg_lo:[0,0,1] neg_hi:[0,0,1]
	v_mov_b32_e32 v75, v81
	s_delay_alu instid0(VALU_DEP_1)
	v_pk_add_f32 v[70:71], v[70:71], v[74:75]
	s_and_not1_b32 exec_lo, exec_lo, s15
	s_cbranch_execnz .LBB32_162
; %bb.163:
	s_or_b32 exec_lo, exec_lo, s15
.LBB32_164:
	s_delay_alu instid0(SALU_CYCLE_1) | instskip(SKIP_4) | instid1(VALU_DEP_1)
	s_or_b32 exec_lo, exec_lo, s14
	v_mov_b32_e32 v72, 0
	ds_load_b64 v[72:73], v72 offset:128
	s_wait_dscnt 0x0
	v_pk_mul_f32 v[74:75], v[70:71], v[72:73] op_sel:[1,1] op_sel_hi:[0,1]
	v_pk_fma_f32 v[76:77], v[70:71], v[72:73], v[74:75] op_sel_hi:[1,0,1]
	v_pk_fma_f32 v[70:71], v[70:71], v[72:73], v[74:75] neg_lo:[0,0,1] neg_hi:[0,0,1]
	s_delay_alu instid0(VALU_DEP_2)
	v_mov_b32_e32 v71, v77
	scratch_store_b64 off, v[70:71], off offset:128
.LBB32_165:
	s_wait_xcnt 0x0
	s_or_b32 exec_lo, exec_lo, s2
	scratch_load_b64 v[70:71], off, off offset:120
	v_cmp_lt_u32_e64 s1, 15, v0
	s_wait_loadcnt 0x0
	ds_store_b64 v1, v[70:71]
	s_wait_storecnt_dscnt 0x0
	s_barrier_signal -1
	s_barrier_wait -1
	s_wait_xcnt 0x0
	s_and_saveexec_b32 s2, s1
	s_cbranch_execz .LBB32_175
; %bb.166:
	s_and_not1_b32 vcc_lo, exec_lo, s3
	s_cbranch_vccnz .LBB32_168
; %bb.167:
	scratch_load_b64 v[70:71], v47, off
	ds_load_b64 v[72:73], v1
	s_wait_loadcnt_dscnt 0x0
	v_pk_mul_f32 v[74:75], v[72:73], v[70:71] op_sel:[1,1] op_sel_hi:[0,1]
	s_delay_alu instid0(VALU_DEP_1) | instskip(SKIP_1) | instid1(VALU_DEP_2)
	v_pk_fma_f32 v[76:77], v[72:73], v[70:71], v[74:75] op_sel_hi:[1,0,1]
	v_pk_fma_f32 v[70:71], v[72:73], v[70:71], v[74:75] neg_lo:[0,0,1] neg_hi:[0,0,1]
	v_mov_b32_e32 v71, v77
	s_cbranch_execz .LBB32_169
	s_branch .LBB32_170
.LBB32_168:
                                        ; implicit-def: $vgpr70_vgpr71
.LBB32_169:
	ds_load_b64 v[70:71], v1
.LBB32_170:
	s_and_saveexec_b32 s14, s0
	s_cbranch_execz .LBB32_174
; %bb.171:
	v_add_nc_u32_e32 v72, -16, v0
	s_movk_i32 s15, 0x190
	s_mov_b32 s0, 0
.LBB32_172:                             ; =>This Inner Loop Header: Depth=1
	scratch_load_b64 v[74:75], off, s13
	v_dual_mov_b32 v73, s15 :: v_dual_add_nc_u32 v72, -1, v72
	s_add_co_i32 s15, s15, 8
	s_wait_xcnt 0x0
	s_add_co_i32 s13, s13, 8
	ds_load_b64 v[76:77], v73
	v_cmp_eq_u32_e32 vcc_lo, 0, v72
	s_or_b32 s0, vcc_lo, s0
	s_wait_loadcnt_dscnt 0x0
	v_pk_mul_f32 v[78:79], v[76:77], v[74:75] op_sel:[1,1] op_sel_hi:[0,1]
	s_delay_alu instid0(VALU_DEP_1) | instskip(SKIP_1) | instid1(VALU_DEP_2)
	v_pk_fma_f32 v[80:81], v[76:77], v[74:75], v[78:79] op_sel_hi:[1,0,1]
	v_pk_fma_f32 v[74:75], v[76:77], v[74:75], v[78:79] neg_lo:[0,0,1] neg_hi:[0,0,1]
	v_mov_b32_e32 v75, v81
	s_delay_alu instid0(VALU_DEP_1)
	v_pk_add_f32 v[70:71], v[70:71], v[74:75]
	s_and_not1_b32 exec_lo, exec_lo, s0
	s_cbranch_execnz .LBB32_172
; %bb.173:
	s_or_b32 exec_lo, exec_lo, s0
.LBB32_174:
	s_delay_alu instid0(SALU_CYCLE_1) | instskip(SKIP_4) | instid1(VALU_DEP_1)
	s_or_b32 exec_lo, exec_lo, s14
	v_mov_b32_e32 v72, 0
	ds_load_b64 v[72:73], v72 offset:120
	s_wait_dscnt 0x0
	v_pk_mul_f32 v[74:75], v[70:71], v[72:73] op_sel:[1,1] op_sel_hi:[0,1]
	v_pk_fma_f32 v[76:77], v[70:71], v[72:73], v[74:75] op_sel_hi:[1,0,1]
	v_pk_fma_f32 v[70:71], v[70:71], v[72:73], v[74:75] neg_lo:[0,0,1] neg_hi:[0,0,1]
	s_delay_alu instid0(VALU_DEP_2)
	v_mov_b32_e32 v71, v77
	scratch_store_b64 off, v[70:71], off offset:120
.LBB32_175:
	s_wait_xcnt 0x0
	s_or_b32 exec_lo, exec_lo, s2
	scratch_load_b64 v[70:71], off, off offset:112
	v_cmp_lt_u32_e64 s0, 14, v0
	s_wait_loadcnt 0x0
	ds_store_b64 v1, v[70:71]
	s_wait_storecnt_dscnt 0x0
	s_barrier_signal -1
	s_barrier_wait -1
	s_wait_xcnt 0x0
	s_and_saveexec_b32 s2, s0
	s_cbranch_execz .LBB32_185
; %bb.176:
	s_and_not1_b32 vcc_lo, exec_lo, s3
	s_cbranch_vccnz .LBB32_178
; %bb.177:
	scratch_load_b64 v[70:71], v47, off
	ds_load_b64 v[72:73], v1
	s_wait_loadcnt_dscnt 0x0
	v_pk_mul_f32 v[74:75], v[72:73], v[70:71] op_sel:[1,1] op_sel_hi:[0,1]
	s_delay_alu instid0(VALU_DEP_1) | instskip(SKIP_1) | instid1(VALU_DEP_2)
	v_pk_fma_f32 v[76:77], v[72:73], v[70:71], v[74:75] op_sel_hi:[1,0,1]
	v_pk_fma_f32 v[70:71], v[72:73], v[70:71], v[74:75] neg_lo:[0,0,1] neg_hi:[0,0,1]
	v_mov_b32_e32 v71, v77
	s_cbranch_execz .LBB32_179
	s_branch .LBB32_180
.LBB32_178:
                                        ; implicit-def: $vgpr70_vgpr71
.LBB32_179:
	ds_load_b64 v[70:71], v1
.LBB32_180:
	s_and_saveexec_b32 s13, s1
	s_cbranch_execz .LBB32_184
; %bb.181:
	v_add_nc_u32_e32 v72, -15, v0
	s_movk_i32 s1, 0x78
	s_movk_i32 s15, 0x188
	s_mov_b32 s14, 0
.LBB32_182:                             ; =>This Inner Loop Header: Depth=1
	scratch_load_b64 v[74:75], off, s1
	v_dual_mov_b32 v73, s15 :: v_dual_add_nc_u32 v72, -1, v72
	s_add_co_i32 s15, s15, 8
	s_wait_xcnt 0x0
	s_add_co_i32 s1, s1, 8
	ds_load_b64 v[76:77], v73
	v_cmp_eq_u32_e32 vcc_lo, 0, v72
	s_or_b32 s14, vcc_lo, s14
	s_wait_loadcnt_dscnt 0x0
	v_pk_mul_f32 v[78:79], v[76:77], v[74:75] op_sel:[1,1] op_sel_hi:[0,1]
	s_delay_alu instid0(VALU_DEP_1) | instskip(SKIP_1) | instid1(VALU_DEP_2)
	v_pk_fma_f32 v[80:81], v[76:77], v[74:75], v[78:79] op_sel_hi:[1,0,1]
	v_pk_fma_f32 v[74:75], v[76:77], v[74:75], v[78:79] neg_lo:[0,0,1] neg_hi:[0,0,1]
	v_mov_b32_e32 v75, v81
	s_delay_alu instid0(VALU_DEP_1)
	v_pk_add_f32 v[70:71], v[70:71], v[74:75]
	s_and_not1_b32 exec_lo, exec_lo, s14
	s_cbranch_execnz .LBB32_182
; %bb.183:
	s_or_b32 exec_lo, exec_lo, s14
.LBB32_184:
	s_delay_alu instid0(SALU_CYCLE_1) | instskip(SKIP_4) | instid1(VALU_DEP_1)
	s_or_b32 exec_lo, exec_lo, s13
	v_mov_b32_e32 v72, 0
	ds_load_b64 v[72:73], v72 offset:112
	s_wait_dscnt 0x0
	v_pk_mul_f32 v[74:75], v[70:71], v[72:73] op_sel:[1,1] op_sel_hi:[0,1]
	v_pk_fma_f32 v[76:77], v[70:71], v[72:73], v[74:75] op_sel_hi:[1,0,1]
	v_pk_fma_f32 v[70:71], v[70:71], v[72:73], v[74:75] neg_lo:[0,0,1] neg_hi:[0,0,1]
	s_delay_alu instid0(VALU_DEP_2)
	v_mov_b32_e32 v71, v77
	scratch_store_b64 off, v[70:71], off offset:112
.LBB32_185:
	s_wait_xcnt 0x0
	s_or_b32 exec_lo, exec_lo, s2
	scratch_load_b64 v[70:71], off, off offset:104
	v_cmp_lt_u32_e64 s1, 13, v0
	s_wait_loadcnt 0x0
	ds_store_b64 v1, v[70:71]
	s_wait_storecnt_dscnt 0x0
	s_barrier_signal -1
	s_barrier_wait -1
	s_wait_xcnt 0x0
	s_and_saveexec_b32 s2, s1
	s_cbranch_execz .LBB32_195
; %bb.186:
	s_and_not1_b32 vcc_lo, exec_lo, s3
	s_cbranch_vccnz .LBB32_188
; %bb.187:
	scratch_load_b64 v[70:71], v47, off
	ds_load_b64 v[72:73], v1
	s_wait_loadcnt_dscnt 0x0
	v_pk_mul_f32 v[74:75], v[72:73], v[70:71] op_sel:[1,1] op_sel_hi:[0,1]
	s_delay_alu instid0(VALU_DEP_1) | instskip(SKIP_1) | instid1(VALU_DEP_2)
	v_pk_fma_f32 v[76:77], v[72:73], v[70:71], v[74:75] op_sel_hi:[1,0,1]
	v_pk_fma_f32 v[70:71], v[72:73], v[70:71], v[74:75] neg_lo:[0,0,1] neg_hi:[0,0,1]
	v_mov_b32_e32 v71, v77
	s_cbranch_execz .LBB32_189
	s_branch .LBB32_190
.LBB32_188:
                                        ; implicit-def: $vgpr70_vgpr71
.LBB32_189:
	ds_load_b64 v[70:71], v1
.LBB32_190:
	s_and_saveexec_b32 s13, s0
	s_cbranch_execz .LBB32_194
; %bb.191:
	v_add_nc_u32_e32 v72, -14, v0
	s_movk_i32 s14, 0x180
	s_mov_b32 s0, 0
.LBB32_192:                             ; =>This Inner Loop Header: Depth=1
	scratch_load_b64 v[74:75], off, s12
	v_dual_mov_b32 v73, s14 :: v_dual_add_nc_u32 v72, -1, v72
	s_add_co_i32 s14, s14, 8
	s_wait_xcnt 0x0
	s_add_co_i32 s12, s12, 8
	ds_load_b64 v[76:77], v73
	v_cmp_eq_u32_e32 vcc_lo, 0, v72
	s_or_b32 s0, vcc_lo, s0
	s_wait_loadcnt_dscnt 0x0
	v_pk_mul_f32 v[78:79], v[76:77], v[74:75] op_sel:[1,1] op_sel_hi:[0,1]
	s_delay_alu instid0(VALU_DEP_1) | instskip(SKIP_1) | instid1(VALU_DEP_2)
	v_pk_fma_f32 v[80:81], v[76:77], v[74:75], v[78:79] op_sel_hi:[1,0,1]
	v_pk_fma_f32 v[74:75], v[76:77], v[74:75], v[78:79] neg_lo:[0,0,1] neg_hi:[0,0,1]
	v_mov_b32_e32 v75, v81
	s_delay_alu instid0(VALU_DEP_1)
	v_pk_add_f32 v[70:71], v[70:71], v[74:75]
	s_and_not1_b32 exec_lo, exec_lo, s0
	s_cbranch_execnz .LBB32_192
; %bb.193:
	s_or_b32 exec_lo, exec_lo, s0
.LBB32_194:
	s_delay_alu instid0(SALU_CYCLE_1) | instskip(SKIP_4) | instid1(VALU_DEP_1)
	s_or_b32 exec_lo, exec_lo, s13
	v_mov_b32_e32 v72, 0
	ds_load_b64 v[72:73], v72 offset:104
	s_wait_dscnt 0x0
	v_pk_mul_f32 v[74:75], v[70:71], v[72:73] op_sel:[1,1] op_sel_hi:[0,1]
	v_pk_fma_f32 v[76:77], v[70:71], v[72:73], v[74:75] op_sel_hi:[1,0,1]
	v_pk_fma_f32 v[70:71], v[70:71], v[72:73], v[74:75] neg_lo:[0,0,1] neg_hi:[0,0,1]
	s_delay_alu instid0(VALU_DEP_2)
	v_mov_b32_e32 v71, v77
	scratch_store_b64 off, v[70:71], off offset:104
.LBB32_195:
	s_wait_xcnt 0x0
	s_or_b32 exec_lo, exec_lo, s2
	scratch_load_b64 v[70:71], off, off offset:96
	v_cmp_lt_u32_e64 s0, 12, v0
	s_wait_loadcnt 0x0
	ds_store_b64 v1, v[70:71]
	s_wait_storecnt_dscnt 0x0
	s_barrier_signal -1
	s_barrier_wait -1
	s_wait_xcnt 0x0
	s_and_saveexec_b32 s2, s0
	s_cbranch_execz .LBB32_205
; %bb.196:
	s_and_not1_b32 vcc_lo, exec_lo, s3
	s_cbranch_vccnz .LBB32_198
; %bb.197:
	scratch_load_b64 v[70:71], v47, off
	ds_load_b64 v[72:73], v1
	s_wait_loadcnt_dscnt 0x0
	v_pk_mul_f32 v[74:75], v[72:73], v[70:71] op_sel:[1,1] op_sel_hi:[0,1]
	s_delay_alu instid0(VALU_DEP_1) | instskip(SKIP_1) | instid1(VALU_DEP_2)
	v_pk_fma_f32 v[76:77], v[72:73], v[70:71], v[74:75] op_sel_hi:[1,0,1]
	v_pk_fma_f32 v[70:71], v[72:73], v[70:71], v[74:75] neg_lo:[0,0,1] neg_hi:[0,0,1]
	v_mov_b32_e32 v71, v77
	s_cbranch_execz .LBB32_199
	s_branch .LBB32_200
.LBB32_198:
                                        ; implicit-def: $vgpr70_vgpr71
.LBB32_199:
	ds_load_b64 v[70:71], v1
.LBB32_200:
	s_and_saveexec_b32 s12, s1
	s_cbranch_execz .LBB32_204
; %bb.201:
	v_add_nc_u32_e32 v72, -13, v0
	s_movk_i32 s1, 0x68
	s_movk_i32 s14, 0x178
	s_mov_b32 s13, 0
.LBB32_202:                             ; =>This Inner Loop Header: Depth=1
	scratch_load_b64 v[74:75], off, s1
	v_dual_mov_b32 v73, s14 :: v_dual_add_nc_u32 v72, -1, v72
	s_add_co_i32 s14, s14, 8
	s_wait_xcnt 0x0
	s_add_co_i32 s1, s1, 8
	ds_load_b64 v[76:77], v73
	v_cmp_eq_u32_e32 vcc_lo, 0, v72
	s_or_b32 s13, vcc_lo, s13
	s_wait_loadcnt_dscnt 0x0
	v_pk_mul_f32 v[78:79], v[76:77], v[74:75] op_sel:[1,1] op_sel_hi:[0,1]
	s_delay_alu instid0(VALU_DEP_1) | instskip(SKIP_1) | instid1(VALU_DEP_2)
	v_pk_fma_f32 v[80:81], v[76:77], v[74:75], v[78:79] op_sel_hi:[1,0,1]
	v_pk_fma_f32 v[74:75], v[76:77], v[74:75], v[78:79] neg_lo:[0,0,1] neg_hi:[0,0,1]
	v_mov_b32_e32 v75, v81
	s_delay_alu instid0(VALU_DEP_1)
	v_pk_add_f32 v[70:71], v[70:71], v[74:75]
	s_and_not1_b32 exec_lo, exec_lo, s13
	s_cbranch_execnz .LBB32_202
; %bb.203:
	s_or_b32 exec_lo, exec_lo, s13
.LBB32_204:
	s_delay_alu instid0(SALU_CYCLE_1) | instskip(SKIP_4) | instid1(VALU_DEP_1)
	s_or_b32 exec_lo, exec_lo, s12
	v_mov_b32_e32 v72, 0
	ds_load_b64 v[72:73], v72 offset:96
	s_wait_dscnt 0x0
	v_pk_mul_f32 v[74:75], v[70:71], v[72:73] op_sel:[1,1] op_sel_hi:[0,1]
	v_pk_fma_f32 v[76:77], v[70:71], v[72:73], v[74:75] op_sel_hi:[1,0,1]
	v_pk_fma_f32 v[70:71], v[70:71], v[72:73], v[74:75] neg_lo:[0,0,1] neg_hi:[0,0,1]
	s_delay_alu instid0(VALU_DEP_2)
	v_mov_b32_e32 v71, v77
	scratch_store_b64 off, v[70:71], off offset:96
.LBB32_205:
	s_wait_xcnt 0x0
	s_or_b32 exec_lo, exec_lo, s2
	scratch_load_b64 v[70:71], off, off offset:88
	v_cmp_lt_u32_e64 s1, 11, v0
	s_wait_loadcnt 0x0
	ds_store_b64 v1, v[70:71]
	s_wait_storecnt_dscnt 0x0
	s_barrier_signal -1
	s_barrier_wait -1
	s_wait_xcnt 0x0
	s_and_saveexec_b32 s2, s1
	s_cbranch_execz .LBB32_215
; %bb.206:
	s_and_not1_b32 vcc_lo, exec_lo, s3
	s_cbranch_vccnz .LBB32_208
; %bb.207:
	scratch_load_b64 v[70:71], v47, off
	ds_load_b64 v[72:73], v1
	s_wait_loadcnt_dscnt 0x0
	v_pk_mul_f32 v[74:75], v[72:73], v[70:71] op_sel:[1,1] op_sel_hi:[0,1]
	s_delay_alu instid0(VALU_DEP_1) | instskip(SKIP_1) | instid1(VALU_DEP_2)
	v_pk_fma_f32 v[76:77], v[72:73], v[70:71], v[74:75] op_sel_hi:[1,0,1]
	v_pk_fma_f32 v[70:71], v[72:73], v[70:71], v[74:75] neg_lo:[0,0,1] neg_hi:[0,0,1]
	v_mov_b32_e32 v71, v77
	s_cbranch_execz .LBB32_209
	s_branch .LBB32_210
.LBB32_208:
                                        ; implicit-def: $vgpr70_vgpr71
.LBB32_209:
	ds_load_b64 v[70:71], v1
.LBB32_210:
	s_and_saveexec_b32 s12, s0
	s_cbranch_execz .LBB32_214
; %bb.211:
	v_add_nc_u32_e32 v72, -12, v0
	s_movk_i32 s13, 0x170
	s_mov_b32 s0, 0
.LBB32_212:                             ; =>This Inner Loop Header: Depth=1
	scratch_load_b64 v[74:75], off, s11
	v_dual_mov_b32 v73, s13 :: v_dual_add_nc_u32 v72, -1, v72
	s_add_co_i32 s13, s13, 8
	s_wait_xcnt 0x0
	s_add_co_i32 s11, s11, 8
	ds_load_b64 v[76:77], v73
	v_cmp_eq_u32_e32 vcc_lo, 0, v72
	s_or_b32 s0, vcc_lo, s0
	s_wait_loadcnt_dscnt 0x0
	v_pk_mul_f32 v[78:79], v[76:77], v[74:75] op_sel:[1,1] op_sel_hi:[0,1]
	s_delay_alu instid0(VALU_DEP_1) | instskip(SKIP_1) | instid1(VALU_DEP_2)
	v_pk_fma_f32 v[80:81], v[76:77], v[74:75], v[78:79] op_sel_hi:[1,0,1]
	v_pk_fma_f32 v[74:75], v[76:77], v[74:75], v[78:79] neg_lo:[0,0,1] neg_hi:[0,0,1]
	v_mov_b32_e32 v75, v81
	s_delay_alu instid0(VALU_DEP_1)
	v_pk_add_f32 v[70:71], v[70:71], v[74:75]
	s_and_not1_b32 exec_lo, exec_lo, s0
	s_cbranch_execnz .LBB32_212
; %bb.213:
	s_or_b32 exec_lo, exec_lo, s0
.LBB32_214:
	s_delay_alu instid0(SALU_CYCLE_1) | instskip(SKIP_4) | instid1(VALU_DEP_1)
	s_or_b32 exec_lo, exec_lo, s12
	v_mov_b32_e32 v72, 0
	ds_load_b64 v[72:73], v72 offset:88
	s_wait_dscnt 0x0
	v_pk_mul_f32 v[74:75], v[70:71], v[72:73] op_sel:[1,1] op_sel_hi:[0,1]
	v_pk_fma_f32 v[76:77], v[70:71], v[72:73], v[74:75] op_sel_hi:[1,0,1]
	v_pk_fma_f32 v[70:71], v[70:71], v[72:73], v[74:75] neg_lo:[0,0,1] neg_hi:[0,0,1]
	s_delay_alu instid0(VALU_DEP_2)
	v_mov_b32_e32 v71, v77
	scratch_store_b64 off, v[70:71], off offset:88
.LBB32_215:
	s_wait_xcnt 0x0
	s_or_b32 exec_lo, exec_lo, s2
	scratch_load_b64 v[70:71], off, off offset:80
	v_cmp_lt_u32_e64 s0, 10, v0
	s_wait_loadcnt 0x0
	ds_store_b64 v1, v[70:71]
	s_wait_storecnt_dscnt 0x0
	s_barrier_signal -1
	s_barrier_wait -1
	s_wait_xcnt 0x0
	s_and_saveexec_b32 s2, s0
	s_cbranch_execz .LBB32_225
; %bb.216:
	s_and_not1_b32 vcc_lo, exec_lo, s3
	s_cbranch_vccnz .LBB32_218
; %bb.217:
	scratch_load_b64 v[70:71], v47, off
	ds_load_b64 v[72:73], v1
	s_wait_loadcnt_dscnt 0x0
	v_pk_mul_f32 v[74:75], v[72:73], v[70:71] op_sel:[1,1] op_sel_hi:[0,1]
	s_delay_alu instid0(VALU_DEP_1) | instskip(SKIP_1) | instid1(VALU_DEP_2)
	v_pk_fma_f32 v[76:77], v[72:73], v[70:71], v[74:75] op_sel_hi:[1,0,1]
	v_pk_fma_f32 v[70:71], v[72:73], v[70:71], v[74:75] neg_lo:[0,0,1] neg_hi:[0,0,1]
	v_mov_b32_e32 v71, v77
	s_cbranch_execz .LBB32_219
	s_branch .LBB32_220
.LBB32_218:
                                        ; implicit-def: $vgpr70_vgpr71
.LBB32_219:
	ds_load_b64 v[70:71], v1
.LBB32_220:
	s_and_saveexec_b32 s11, s1
	s_cbranch_execz .LBB32_224
; %bb.221:
	v_add_nc_u32_e32 v72, -11, v0
	s_movk_i32 s1, 0x58
	s_movk_i32 s13, 0x168
	s_mov_b32 s12, 0
.LBB32_222:                             ; =>This Inner Loop Header: Depth=1
	scratch_load_b64 v[74:75], off, s1
	v_dual_mov_b32 v73, s13 :: v_dual_add_nc_u32 v72, -1, v72
	s_add_co_i32 s13, s13, 8
	s_wait_xcnt 0x0
	s_add_co_i32 s1, s1, 8
	ds_load_b64 v[76:77], v73
	v_cmp_eq_u32_e32 vcc_lo, 0, v72
	s_or_b32 s12, vcc_lo, s12
	s_wait_loadcnt_dscnt 0x0
	v_pk_mul_f32 v[78:79], v[76:77], v[74:75] op_sel:[1,1] op_sel_hi:[0,1]
	s_delay_alu instid0(VALU_DEP_1) | instskip(SKIP_1) | instid1(VALU_DEP_2)
	v_pk_fma_f32 v[80:81], v[76:77], v[74:75], v[78:79] op_sel_hi:[1,0,1]
	v_pk_fma_f32 v[74:75], v[76:77], v[74:75], v[78:79] neg_lo:[0,0,1] neg_hi:[0,0,1]
	v_mov_b32_e32 v75, v81
	s_delay_alu instid0(VALU_DEP_1)
	v_pk_add_f32 v[70:71], v[70:71], v[74:75]
	s_and_not1_b32 exec_lo, exec_lo, s12
	s_cbranch_execnz .LBB32_222
; %bb.223:
	s_or_b32 exec_lo, exec_lo, s12
.LBB32_224:
	s_delay_alu instid0(SALU_CYCLE_1) | instskip(SKIP_4) | instid1(VALU_DEP_1)
	s_or_b32 exec_lo, exec_lo, s11
	v_mov_b32_e32 v72, 0
	ds_load_b64 v[72:73], v72 offset:80
	s_wait_dscnt 0x0
	v_pk_mul_f32 v[74:75], v[70:71], v[72:73] op_sel:[1,1] op_sel_hi:[0,1]
	v_pk_fma_f32 v[76:77], v[70:71], v[72:73], v[74:75] op_sel_hi:[1,0,1]
	v_pk_fma_f32 v[70:71], v[70:71], v[72:73], v[74:75] neg_lo:[0,0,1] neg_hi:[0,0,1]
	s_delay_alu instid0(VALU_DEP_2)
	v_mov_b32_e32 v71, v77
	scratch_store_b64 off, v[70:71], off offset:80
.LBB32_225:
	s_wait_xcnt 0x0
	s_or_b32 exec_lo, exec_lo, s2
	scratch_load_b64 v[70:71], off, off offset:72
	v_cmp_lt_u32_e64 s1, 9, v0
	s_wait_loadcnt 0x0
	ds_store_b64 v1, v[70:71]
	s_wait_storecnt_dscnt 0x0
	s_barrier_signal -1
	s_barrier_wait -1
	s_wait_xcnt 0x0
	s_and_saveexec_b32 s2, s1
	s_cbranch_execz .LBB32_235
; %bb.226:
	s_and_not1_b32 vcc_lo, exec_lo, s3
	s_cbranch_vccnz .LBB32_228
; %bb.227:
	scratch_load_b64 v[70:71], v47, off
	ds_load_b64 v[72:73], v1
	s_wait_loadcnt_dscnt 0x0
	v_pk_mul_f32 v[74:75], v[72:73], v[70:71] op_sel:[1,1] op_sel_hi:[0,1]
	s_delay_alu instid0(VALU_DEP_1) | instskip(SKIP_1) | instid1(VALU_DEP_2)
	v_pk_fma_f32 v[76:77], v[72:73], v[70:71], v[74:75] op_sel_hi:[1,0,1]
	v_pk_fma_f32 v[70:71], v[72:73], v[70:71], v[74:75] neg_lo:[0,0,1] neg_hi:[0,0,1]
	v_mov_b32_e32 v71, v77
	s_cbranch_execz .LBB32_229
	s_branch .LBB32_230
.LBB32_228:
                                        ; implicit-def: $vgpr70_vgpr71
.LBB32_229:
	ds_load_b64 v[70:71], v1
.LBB32_230:
	s_and_saveexec_b32 s11, s0
	s_cbranch_execz .LBB32_234
; %bb.231:
	v_add_nc_u32_e32 v72, -10, v0
	s_movk_i32 s12, 0x160
	s_mov_b32 s0, 0
.LBB32_232:                             ; =>This Inner Loop Header: Depth=1
	scratch_load_b64 v[74:75], off, s10
	v_dual_mov_b32 v73, s12 :: v_dual_add_nc_u32 v72, -1, v72
	s_add_co_i32 s12, s12, 8
	s_wait_xcnt 0x0
	s_add_co_i32 s10, s10, 8
	ds_load_b64 v[76:77], v73
	v_cmp_eq_u32_e32 vcc_lo, 0, v72
	s_or_b32 s0, vcc_lo, s0
	s_wait_loadcnt_dscnt 0x0
	v_pk_mul_f32 v[78:79], v[76:77], v[74:75] op_sel:[1,1] op_sel_hi:[0,1]
	s_delay_alu instid0(VALU_DEP_1) | instskip(SKIP_1) | instid1(VALU_DEP_2)
	v_pk_fma_f32 v[80:81], v[76:77], v[74:75], v[78:79] op_sel_hi:[1,0,1]
	v_pk_fma_f32 v[74:75], v[76:77], v[74:75], v[78:79] neg_lo:[0,0,1] neg_hi:[0,0,1]
	v_mov_b32_e32 v75, v81
	s_delay_alu instid0(VALU_DEP_1)
	v_pk_add_f32 v[70:71], v[70:71], v[74:75]
	s_and_not1_b32 exec_lo, exec_lo, s0
	s_cbranch_execnz .LBB32_232
; %bb.233:
	s_or_b32 exec_lo, exec_lo, s0
.LBB32_234:
	s_delay_alu instid0(SALU_CYCLE_1) | instskip(SKIP_4) | instid1(VALU_DEP_1)
	s_or_b32 exec_lo, exec_lo, s11
	v_mov_b32_e32 v72, 0
	ds_load_b64 v[72:73], v72 offset:72
	s_wait_dscnt 0x0
	v_pk_mul_f32 v[74:75], v[70:71], v[72:73] op_sel:[1,1] op_sel_hi:[0,1]
	v_pk_fma_f32 v[76:77], v[70:71], v[72:73], v[74:75] op_sel_hi:[1,0,1]
	v_pk_fma_f32 v[70:71], v[70:71], v[72:73], v[74:75] neg_lo:[0,0,1] neg_hi:[0,0,1]
	s_delay_alu instid0(VALU_DEP_2)
	v_mov_b32_e32 v71, v77
	scratch_store_b64 off, v[70:71], off offset:72
.LBB32_235:
	s_wait_xcnt 0x0
	s_or_b32 exec_lo, exec_lo, s2
	scratch_load_b64 v[70:71], off, off offset:64
	v_cmp_lt_u32_e64 s0, 8, v0
	s_wait_loadcnt 0x0
	ds_store_b64 v1, v[70:71]
	s_wait_storecnt_dscnt 0x0
	s_barrier_signal -1
	s_barrier_wait -1
	s_wait_xcnt 0x0
	s_and_saveexec_b32 s2, s0
	s_cbranch_execz .LBB32_245
; %bb.236:
	s_and_not1_b32 vcc_lo, exec_lo, s3
	s_cbranch_vccnz .LBB32_238
; %bb.237:
	scratch_load_b64 v[70:71], v47, off
	ds_load_b64 v[72:73], v1
	s_wait_loadcnt_dscnt 0x0
	v_pk_mul_f32 v[74:75], v[72:73], v[70:71] op_sel:[1,1] op_sel_hi:[0,1]
	s_delay_alu instid0(VALU_DEP_1) | instskip(SKIP_1) | instid1(VALU_DEP_2)
	v_pk_fma_f32 v[76:77], v[72:73], v[70:71], v[74:75] op_sel_hi:[1,0,1]
	v_pk_fma_f32 v[70:71], v[72:73], v[70:71], v[74:75] neg_lo:[0,0,1] neg_hi:[0,0,1]
	v_mov_b32_e32 v71, v77
	s_cbranch_execz .LBB32_239
	s_branch .LBB32_240
.LBB32_238:
                                        ; implicit-def: $vgpr70_vgpr71
.LBB32_239:
	ds_load_b64 v[70:71], v1
.LBB32_240:
	s_and_saveexec_b32 s10, s1
	s_cbranch_execz .LBB32_244
; %bb.241:
	v_add_nc_u32_e32 v72, -9, v0
	s_movk_i32 s1, 0x48
	s_movk_i32 s12, 0x158
	s_mov_b32 s11, 0
.LBB32_242:                             ; =>This Inner Loop Header: Depth=1
	scratch_load_b64 v[74:75], off, s1
	v_dual_mov_b32 v73, s12 :: v_dual_add_nc_u32 v72, -1, v72
	s_add_co_i32 s12, s12, 8
	s_wait_xcnt 0x0
	s_add_co_i32 s1, s1, 8
	ds_load_b64 v[76:77], v73
	v_cmp_eq_u32_e32 vcc_lo, 0, v72
	s_or_b32 s11, vcc_lo, s11
	s_wait_loadcnt_dscnt 0x0
	v_pk_mul_f32 v[78:79], v[76:77], v[74:75] op_sel:[1,1] op_sel_hi:[0,1]
	s_delay_alu instid0(VALU_DEP_1) | instskip(SKIP_1) | instid1(VALU_DEP_2)
	v_pk_fma_f32 v[80:81], v[76:77], v[74:75], v[78:79] op_sel_hi:[1,0,1]
	v_pk_fma_f32 v[74:75], v[76:77], v[74:75], v[78:79] neg_lo:[0,0,1] neg_hi:[0,0,1]
	v_mov_b32_e32 v75, v81
	s_delay_alu instid0(VALU_DEP_1)
	v_pk_add_f32 v[70:71], v[70:71], v[74:75]
	s_and_not1_b32 exec_lo, exec_lo, s11
	s_cbranch_execnz .LBB32_242
; %bb.243:
	s_or_b32 exec_lo, exec_lo, s11
.LBB32_244:
	s_delay_alu instid0(SALU_CYCLE_1) | instskip(SKIP_4) | instid1(VALU_DEP_1)
	s_or_b32 exec_lo, exec_lo, s10
	v_mov_b32_e32 v72, 0
	ds_load_b64 v[72:73], v72 offset:64
	s_wait_dscnt 0x0
	v_pk_mul_f32 v[74:75], v[70:71], v[72:73] op_sel:[1,1] op_sel_hi:[0,1]
	v_pk_fma_f32 v[76:77], v[70:71], v[72:73], v[74:75] op_sel_hi:[1,0,1]
	v_pk_fma_f32 v[70:71], v[70:71], v[72:73], v[74:75] neg_lo:[0,0,1] neg_hi:[0,0,1]
	s_delay_alu instid0(VALU_DEP_2)
	v_mov_b32_e32 v71, v77
	scratch_store_b64 off, v[70:71], off offset:64
.LBB32_245:
	s_wait_xcnt 0x0
	s_or_b32 exec_lo, exec_lo, s2
	scratch_load_b64 v[70:71], off, off offset:56
	v_cmp_lt_u32_e64 s1, 7, v0
	s_wait_loadcnt 0x0
	ds_store_b64 v1, v[70:71]
	s_wait_storecnt_dscnt 0x0
	s_barrier_signal -1
	s_barrier_wait -1
	s_wait_xcnt 0x0
	s_and_saveexec_b32 s2, s1
	s_cbranch_execz .LBB32_255
; %bb.246:
	s_and_not1_b32 vcc_lo, exec_lo, s3
	s_cbranch_vccnz .LBB32_248
; %bb.247:
	scratch_load_b64 v[70:71], v47, off
	ds_load_b64 v[72:73], v1
	s_wait_loadcnt_dscnt 0x0
	v_pk_mul_f32 v[74:75], v[72:73], v[70:71] op_sel:[1,1] op_sel_hi:[0,1]
	s_delay_alu instid0(VALU_DEP_1) | instskip(SKIP_1) | instid1(VALU_DEP_2)
	v_pk_fma_f32 v[76:77], v[72:73], v[70:71], v[74:75] op_sel_hi:[1,0,1]
	v_pk_fma_f32 v[70:71], v[72:73], v[70:71], v[74:75] neg_lo:[0,0,1] neg_hi:[0,0,1]
	v_mov_b32_e32 v71, v77
	s_cbranch_execz .LBB32_249
	s_branch .LBB32_250
.LBB32_248:
                                        ; implicit-def: $vgpr70_vgpr71
.LBB32_249:
	ds_load_b64 v[70:71], v1
.LBB32_250:
	s_and_saveexec_b32 s10, s0
	s_cbranch_execz .LBB32_254
; %bb.251:
	v_add_nc_u32_e32 v72, -8, v0
	s_movk_i32 s11, 0x150
	s_mov_b32 s0, 0
.LBB32_252:                             ; =>This Inner Loop Header: Depth=1
	scratch_load_b64 v[74:75], off, s9
	v_dual_mov_b32 v73, s11 :: v_dual_add_nc_u32 v72, -1, v72
	s_add_co_i32 s11, s11, 8
	s_wait_xcnt 0x0
	s_add_co_i32 s9, s9, 8
	ds_load_b64 v[76:77], v73
	v_cmp_eq_u32_e32 vcc_lo, 0, v72
	s_or_b32 s0, vcc_lo, s0
	s_wait_loadcnt_dscnt 0x0
	v_pk_mul_f32 v[78:79], v[76:77], v[74:75] op_sel:[1,1] op_sel_hi:[0,1]
	s_delay_alu instid0(VALU_DEP_1) | instskip(SKIP_1) | instid1(VALU_DEP_2)
	v_pk_fma_f32 v[80:81], v[76:77], v[74:75], v[78:79] op_sel_hi:[1,0,1]
	v_pk_fma_f32 v[74:75], v[76:77], v[74:75], v[78:79] neg_lo:[0,0,1] neg_hi:[0,0,1]
	v_mov_b32_e32 v75, v81
	s_delay_alu instid0(VALU_DEP_1)
	v_pk_add_f32 v[70:71], v[70:71], v[74:75]
	s_and_not1_b32 exec_lo, exec_lo, s0
	s_cbranch_execnz .LBB32_252
; %bb.253:
	s_or_b32 exec_lo, exec_lo, s0
.LBB32_254:
	s_delay_alu instid0(SALU_CYCLE_1) | instskip(SKIP_4) | instid1(VALU_DEP_1)
	s_or_b32 exec_lo, exec_lo, s10
	v_mov_b32_e32 v72, 0
	ds_load_b64 v[72:73], v72 offset:56
	s_wait_dscnt 0x0
	v_pk_mul_f32 v[74:75], v[70:71], v[72:73] op_sel:[1,1] op_sel_hi:[0,1]
	v_pk_fma_f32 v[76:77], v[70:71], v[72:73], v[74:75] op_sel_hi:[1,0,1]
	v_pk_fma_f32 v[70:71], v[70:71], v[72:73], v[74:75] neg_lo:[0,0,1] neg_hi:[0,0,1]
	s_delay_alu instid0(VALU_DEP_2)
	v_mov_b32_e32 v71, v77
	scratch_store_b64 off, v[70:71], off offset:56
.LBB32_255:
	s_wait_xcnt 0x0
	s_or_b32 exec_lo, exec_lo, s2
	scratch_load_b64 v[70:71], off, off offset:48
	v_cmp_lt_u32_e64 s0, 6, v0
	s_wait_loadcnt 0x0
	ds_store_b64 v1, v[70:71]
	s_wait_storecnt_dscnt 0x0
	s_barrier_signal -1
	s_barrier_wait -1
	s_wait_xcnt 0x0
	s_and_saveexec_b32 s2, s0
	s_cbranch_execz .LBB32_265
; %bb.256:
	s_and_not1_b32 vcc_lo, exec_lo, s3
	s_cbranch_vccnz .LBB32_258
; %bb.257:
	scratch_load_b64 v[70:71], v47, off
	ds_load_b64 v[72:73], v1
	s_wait_loadcnt_dscnt 0x0
	v_pk_mul_f32 v[74:75], v[72:73], v[70:71] op_sel:[1,1] op_sel_hi:[0,1]
	s_delay_alu instid0(VALU_DEP_1) | instskip(SKIP_1) | instid1(VALU_DEP_2)
	v_pk_fma_f32 v[76:77], v[72:73], v[70:71], v[74:75] op_sel_hi:[1,0,1]
	v_pk_fma_f32 v[70:71], v[72:73], v[70:71], v[74:75] neg_lo:[0,0,1] neg_hi:[0,0,1]
	v_mov_b32_e32 v71, v77
	s_cbranch_execz .LBB32_259
	s_branch .LBB32_260
.LBB32_258:
                                        ; implicit-def: $vgpr70_vgpr71
.LBB32_259:
	ds_load_b64 v[70:71], v1
.LBB32_260:
	s_and_saveexec_b32 s9, s1
	s_cbranch_execz .LBB32_264
; %bb.261:
	v_add_nc_u32_e32 v72, -7, v0
	s_mov_b32 s1, 56
	s_movk_i32 s11, 0x148
	s_mov_b32 s10, 0
.LBB32_262:                             ; =>This Inner Loop Header: Depth=1
	scratch_load_b64 v[74:75], off, s1
	v_dual_mov_b32 v73, s11 :: v_dual_add_nc_u32 v72, -1, v72
	s_add_co_i32 s11, s11, 8
	s_wait_xcnt 0x0
	s_add_co_i32 s1, s1, 8
	ds_load_b64 v[76:77], v73
	v_cmp_eq_u32_e32 vcc_lo, 0, v72
	s_or_b32 s10, vcc_lo, s10
	s_wait_loadcnt_dscnt 0x0
	v_pk_mul_f32 v[78:79], v[76:77], v[74:75] op_sel:[1,1] op_sel_hi:[0,1]
	s_delay_alu instid0(VALU_DEP_1) | instskip(SKIP_1) | instid1(VALU_DEP_2)
	v_pk_fma_f32 v[80:81], v[76:77], v[74:75], v[78:79] op_sel_hi:[1,0,1]
	v_pk_fma_f32 v[74:75], v[76:77], v[74:75], v[78:79] neg_lo:[0,0,1] neg_hi:[0,0,1]
	v_mov_b32_e32 v75, v81
	s_delay_alu instid0(VALU_DEP_1)
	v_pk_add_f32 v[70:71], v[70:71], v[74:75]
	s_and_not1_b32 exec_lo, exec_lo, s10
	s_cbranch_execnz .LBB32_262
; %bb.263:
	s_or_b32 exec_lo, exec_lo, s10
.LBB32_264:
	s_delay_alu instid0(SALU_CYCLE_1) | instskip(SKIP_4) | instid1(VALU_DEP_1)
	s_or_b32 exec_lo, exec_lo, s9
	v_mov_b32_e32 v72, 0
	ds_load_b64 v[72:73], v72 offset:48
	s_wait_dscnt 0x0
	v_pk_mul_f32 v[74:75], v[70:71], v[72:73] op_sel:[1,1] op_sel_hi:[0,1]
	v_pk_fma_f32 v[76:77], v[70:71], v[72:73], v[74:75] op_sel_hi:[1,0,1]
	v_pk_fma_f32 v[70:71], v[70:71], v[72:73], v[74:75] neg_lo:[0,0,1] neg_hi:[0,0,1]
	s_delay_alu instid0(VALU_DEP_2)
	v_mov_b32_e32 v71, v77
	scratch_store_b64 off, v[70:71], off offset:48
.LBB32_265:
	s_wait_xcnt 0x0
	s_or_b32 exec_lo, exec_lo, s2
	scratch_load_b64 v[70:71], off, off offset:40
	v_cmp_lt_u32_e64 s1, 5, v0
	s_wait_loadcnt 0x0
	ds_store_b64 v1, v[70:71]
	s_wait_storecnt_dscnt 0x0
	s_barrier_signal -1
	s_barrier_wait -1
	s_wait_xcnt 0x0
	s_and_saveexec_b32 s2, s1
	s_cbranch_execz .LBB32_275
; %bb.266:
	s_and_not1_b32 vcc_lo, exec_lo, s3
	s_cbranch_vccnz .LBB32_268
; %bb.267:
	scratch_load_b64 v[70:71], v47, off
	ds_load_b64 v[72:73], v1
	s_wait_loadcnt_dscnt 0x0
	v_pk_mul_f32 v[74:75], v[72:73], v[70:71] op_sel:[1,1] op_sel_hi:[0,1]
	s_delay_alu instid0(VALU_DEP_1) | instskip(SKIP_1) | instid1(VALU_DEP_2)
	v_pk_fma_f32 v[76:77], v[72:73], v[70:71], v[74:75] op_sel_hi:[1,0,1]
	v_pk_fma_f32 v[70:71], v[72:73], v[70:71], v[74:75] neg_lo:[0,0,1] neg_hi:[0,0,1]
	v_mov_b32_e32 v71, v77
	s_cbranch_execz .LBB32_269
	s_branch .LBB32_270
.LBB32_268:
                                        ; implicit-def: $vgpr70_vgpr71
.LBB32_269:
	ds_load_b64 v[70:71], v1
.LBB32_270:
	s_and_saveexec_b32 s9, s0
	s_cbranch_execz .LBB32_274
; %bb.271:
	v_add_nc_u32_e32 v72, -6, v0
	s_movk_i32 s10, 0x140
	s_mov_b32 s0, 0
.LBB32_272:                             ; =>This Inner Loop Header: Depth=1
	scratch_load_b64 v[74:75], off, s8
	v_dual_mov_b32 v73, s10 :: v_dual_add_nc_u32 v72, -1, v72
	s_add_co_i32 s10, s10, 8
	s_wait_xcnt 0x0
	s_add_co_i32 s8, s8, 8
	ds_load_b64 v[76:77], v73
	v_cmp_eq_u32_e32 vcc_lo, 0, v72
	s_or_b32 s0, vcc_lo, s0
	s_wait_loadcnt_dscnt 0x0
	v_pk_mul_f32 v[78:79], v[76:77], v[74:75] op_sel:[1,1] op_sel_hi:[0,1]
	s_delay_alu instid0(VALU_DEP_1) | instskip(SKIP_1) | instid1(VALU_DEP_2)
	v_pk_fma_f32 v[80:81], v[76:77], v[74:75], v[78:79] op_sel_hi:[1,0,1]
	v_pk_fma_f32 v[74:75], v[76:77], v[74:75], v[78:79] neg_lo:[0,0,1] neg_hi:[0,0,1]
	v_mov_b32_e32 v75, v81
	s_delay_alu instid0(VALU_DEP_1)
	v_pk_add_f32 v[70:71], v[70:71], v[74:75]
	s_and_not1_b32 exec_lo, exec_lo, s0
	s_cbranch_execnz .LBB32_272
; %bb.273:
	s_or_b32 exec_lo, exec_lo, s0
.LBB32_274:
	s_delay_alu instid0(SALU_CYCLE_1) | instskip(SKIP_4) | instid1(VALU_DEP_1)
	s_or_b32 exec_lo, exec_lo, s9
	v_mov_b32_e32 v72, 0
	ds_load_b64 v[72:73], v72 offset:40
	s_wait_dscnt 0x0
	v_pk_mul_f32 v[74:75], v[70:71], v[72:73] op_sel:[1,1] op_sel_hi:[0,1]
	v_pk_fma_f32 v[76:77], v[70:71], v[72:73], v[74:75] op_sel_hi:[1,0,1]
	v_pk_fma_f32 v[70:71], v[70:71], v[72:73], v[74:75] neg_lo:[0,0,1] neg_hi:[0,0,1]
	s_delay_alu instid0(VALU_DEP_2)
	v_mov_b32_e32 v71, v77
	scratch_store_b64 off, v[70:71], off offset:40
.LBB32_275:
	s_wait_xcnt 0x0
	s_or_b32 exec_lo, exec_lo, s2
	scratch_load_b64 v[70:71], off, off offset:32
	v_cmp_lt_u32_e64 s0, 4, v0
	s_wait_loadcnt 0x0
	ds_store_b64 v1, v[70:71]
	s_wait_storecnt_dscnt 0x0
	s_barrier_signal -1
	s_barrier_wait -1
	s_wait_xcnt 0x0
	s_and_saveexec_b32 s2, s0
	s_cbranch_execz .LBB32_285
; %bb.276:
	s_and_not1_b32 vcc_lo, exec_lo, s3
	s_cbranch_vccnz .LBB32_278
; %bb.277:
	scratch_load_b64 v[70:71], v47, off
	ds_load_b64 v[72:73], v1
	s_wait_loadcnt_dscnt 0x0
	v_pk_mul_f32 v[74:75], v[72:73], v[70:71] op_sel:[1,1] op_sel_hi:[0,1]
	s_delay_alu instid0(VALU_DEP_1) | instskip(SKIP_1) | instid1(VALU_DEP_2)
	v_pk_fma_f32 v[76:77], v[72:73], v[70:71], v[74:75] op_sel_hi:[1,0,1]
	v_pk_fma_f32 v[70:71], v[72:73], v[70:71], v[74:75] neg_lo:[0,0,1] neg_hi:[0,0,1]
	v_mov_b32_e32 v71, v77
	s_cbranch_execz .LBB32_279
	s_branch .LBB32_280
.LBB32_278:
                                        ; implicit-def: $vgpr70_vgpr71
.LBB32_279:
	ds_load_b64 v[70:71], v1
.LBB32_280:
	s_and_saveexec_b32 s8, s1
	s_cbranch_execz .LBB32_284
; %bb.281:
	v_add_nc_u32_e32 v72, -5, v0
	s_mov_b32 s1, 40
	s_movk_i32 s10, 0x138
	s_mov_b32 s9, 0
.LBB32_282:                             ; =>This Inner Loop Header: Depth=1
	scratch_load_b64 v[74:75], off, s1
	v_dual_mov_b32 v73, s10 :: v_dual_add_nc_u32 v72, -1, v72
	s_add_co_i32 s10, s10, 8
	s_wait_xcnt 0x0
	s_add_co_i32 s1, s1, 8
	ds_load_b64 v[76:77], v73
	v_cmp_eq_u32_e32 vcc_lo, 0, v72
	s_or_b32 s9, vcc_lo, s9
	s_wait_loadcnt_dscnt 0x0
	v_pk_mul_f32 v[78:79], v[76:77], v[74:75] op_sel:[1,1] op_sel_hi:[0,1]
	s_delay_alu instid0(VALU_DEP_1) | instskip(SKIP_1) | instid1(VALU_DEP_2)
	v_pk_fma_f32 v[80:81], v[76:77], v[74:75], v[78:79] op_sel_hi:[1,0,1]
	v_pk_fma_f32 v[74:75], v[76:77], v[74:75], v[78:79] neg_lo:[0,0,1] neg_hi:[0,0,1]
	v_mov_b32_e32 v75, v81
	s_delay_alu instid0(VALU_DEP_1)
	v_pk_add_f32 v[70:71], v[70:71], v[74:75]
	s_and_not1_b32 exec_lo, exec_lo, s9
	s_cbranch_execnz .LBB32_282
; %bb.283:
	s_or_b32 exec_lo, exec_lo, s9
.LBB32_284:
	s_delay_alu instid0(SALU_CYCLE_1) | instskip(SKIP_4) | instid1(VALU_DEP_1)
	s_or_b32 exec_lo, exec_lo, s8
	v_mov_b32_e32 v72, 0
	ds_load_b64 v[72:73], v72 offset:32
	s_wait_dscnt 0x0
	v_pk_mul_f32 v[74:75], v[70:71], v[72:73] op_sel:[1,1] op_sel_hi:[0,1]
	v_pk_fma_f32 v[76:77], v[70:71], v[72:73], v[74:75] op_sel_hi:[1,0,1]
	v_pk_fma_f32 v[70:71], v[70:71], v[72:73], v[74:75] neg_lo:[0,0,1] neg_hi:[0,0,1]
	s_delay_alu instid0(VALU_DEP_2)
	v_mov_b32_e32 v71, v77
	scratch_store_b64 off, v[70:71], off offset:32
.LBB32_285:
	s_wait_xcnt 0x0
	s_or_b32 exec_lo, exec_lo, s2
	scratch_load_b64 v[70:71], off, off offset:24
	v_cmp_lt_u32_e64 s2, 3, v0
	s_wait_loadcnt 0x0
	ds_store_b64 v1, v[70:71]
	s_wait_storecnt_dscnt 0x0
	s_barrier_signal -1
	s_barrier_wait -1
	s_wait_xcnt 0x0
	s_and_saveexec_b32 s1, s2
	s_cbranch_execz .LBB32_295
; %bb.286:
	s_and_not1_b32 vcc_lo, exec_lo, s3
	s_cbranch_vccnz .LBB32_288
; %bb.287:
	scratch_load_b64 v[70:71], v47, off
	ds_load_b64 v[72:73], v1
	s_wait_loadcnt_dscnt 0x0
	v_pk_mul_f32 v[74:75], v[72:73], v[70:71] op_sel:[1,1] op_sel_hi:[0,1]
	s_delay_alu instid0(VALU_DEP_1) | instskip(SKIP_1) | instid1(VALU_DEP_2)
	v_pk_fma_f32 v[76:77], v[72:73], v[70:71], v[74:75] op_sel_hi:[1,0,1]
	v_pk_fma_f32 v[70:71], v[72:73], v[70:71], v[74:75] neg_lo:[0,0,1] neg_hi:[0,0,1]
	v_mov_b32_e32 v71, v77
	s_cbranch_execz .LBB32_289
	s_branch .LBB32_290
.LBB32_288:
                                        ; implicit-def: $vgpr70_vgpr71
.LBB32_289:
	ds_load_b64 v[70:71], v1
.LBB32_290:
	s_and_saveexec_b32 s8, s0
	s_cbranch_execz .LBB32_294
; %bb.291:
	v_add_nc_u32_e32 v72, -4, v0
	s_movk_i32 s9, 0x130
	s_mov_b32 s0, 0
.LBB32_292:                             ; =>This Inner Loop Header: Depth=1
	scratch_load_b64 v[74:75], off, s5
	v_dual_mov_b32 v73, s9 :: v_dual_add_nc_u32 v72, -1, v72
	s_add_co_i32 s9, s9, 8
	s_wait_xcnt 0x0
	s_add_co_i32 s5, s5, 8
	ds_load_b64 v[76:77], v73
	v_cmp_eq_u32_e32 vcc_lo, 0, v72
	s_or_b32 s0, vcc_lo, s0
	s_wait_loadcnt_dscnt 0x0
	v_pk_mul_f32 v[78:79], v[76:77], v[74:75] op_sel:[1,1] op_sel_hi:[0,1]
	s_delay_alu instid0(VALU_DEP_1) | instskip(SKIP_1) | instid1(VALU_DEP_2)
	v_pk_fma_f32 v[80:81], v[76:77], v[74:75], v[78:79] op_sel_hi:[1,0,1]
	v_pk_fma_f32 v[74:75], v[76:77], v[74:75], v[78:79] neg_lo:[0,0,1] neg_hi:[0,0,1]
	v_mov_b32_e32 v75, v81
	s_delay_alu instid0(VALU_DEP_1)
	v_pk_add_f32 v[70:71], v[70:71], v[74:75]
	s_and_not1_b32 exec_lo, exec_lo, s0
	s_cbranch_execnz .LBB32_292
; %bb.293:
	s_or_b32 exec_lo, exec_lo, s0
.LBB32_294:
	s_delay_alu instid0(SALU_CYCLE_1) | instskip(SKIP_4) | instid1(VALU_DEP_1)
	s_or_b32 exec_lo, exec_lo, s8
	v_mov_b32_e32 v72, 0
	ds_load_b64 v[72:73], v72 offset:24
	s_wait_dscnt 0x0
	v_pk_mul_f32 v[74:75], v[70:71], v[72:73] op_sel:[1,1] op_sel_hi:[0,1]
	v_pk_fma_f32 v[76:77], v[70:71], v[72:73], v[74:75] op_sel_hi:[1,0,1]
	v_pk_fma_f32 v[70:71], v[70:71], v[72:73], v[74:75] neg_lo:[0,0,1] neg_hi:[0,0,1]
	s_delay_alu instid0(VALU_DEP_2)
	v_mov_b32_e32 v71, v77
	scratch_store_b64 off, v[70:71], off offset:24
.LBB32_295:
	s_wait_xcnt 0x0
	s_or_b32 exec_lo, exec_lo, s1
	scratch_load_b64 v[70:71], off, off offset:16
	v_cmp_lt_u32_e64 s1, 2, v0
	s_wait_loadcnt 0x0
	ds_store_b64 v1, v[70:71]
	s_wait_storecnt_dscnt 0x0
	s_barrier_signal -1
	s_barrier_wait -1
	s_wait_xcnt 0x0
	s_and_saveexec_b32 s0, s1
	s_cbranch_execz .LBB32_305
; %bb.296:
	s_and_not1_b32 vcc_lo, exec_lo, s3
	s_cbranch_vccnz .LBB32_298
; %bb.297:
	scratch_load_b64 v[70:71], v47, off
	ds_load_b64 v[72:73], v1
	s_wait_loadcnt_dscnt 0x0
	v_pk_mul_f32 v[74:75], v[72:73], v[70:71] op_sel:[1,1] op_sel_hi:[0,1]
	s_delay_alu instid0(VALU_DEP_1) | instskip(SKIP_1) | instid1(VALU_DEP_2)
	v_pk_fma_f32 v[76:77], v[72:73], v[70:71], v[74:75] op_sel_hi:[1,0,1]
	v_pk_fma_f32 v[70:71], v[72:73], v[70:71], v[74:75] neg_lo:[0,0,1] neg_hi:[0,0,1]
	v_mov_b32_e32 v71, v77
	s_cbranch_execz .LBB32_299
	s_branch .LBB32_300
.LBB32_298:
                                        ; implicit-def: $vgpr70_vgpr71
.LBB32_299:
	ds_load_b64 v[70:71], v1
.LBB32_300:
	s_and_saveexec_b32 s5, s2
	s_cbranch_execz .LBB32_304
; %bb.301:
	v_add_nc_u32_e32 v72, -3, v0
	s_mov_b32 s2, 24
	s_movk_i32 s9, 0x128
	s_mov_b32 s8, 0
.LBB32_302:                             ; =>This Inner Loop Header: Depth=1
	scratch_load_b64 v[74:75], off, s2
	v_dual_mov_b32 v73, s9 :: v_dual_add_nc_u32 v72, -1, v72
	s_add_co_i32 s9, s9, 8
	s_wait_xcnt 0x0
	s_add_co_i32 s2, s2, 8
	ds_load_b64 v[76:77], v73
	v_cmp_eq_u32_e32 vcc_lo, 0, v72
	s_or_b32 s8, vcc_lo, s8
	s_wait_loadcnt_dscnt 0x0
	v_pk_mul_f32 v[78:79], v[76:77], v[74:75] op_sel:[1,1] op_sel_hi:[0,1]
	s_delay_alu instid0(VALU_DEP_1) | instskip(SKIP_1) | instid1(VALU_DEP_2)
	v_pk_fma_f32 v[80:81], v[76:77], v[74:75], v[78:79] op_sel_hi:[1,0,1]
	v_pk_fma_f32 v[74:75], v[76:77], v[74:75], v[78:79] neg_lo:[0,0,1] neg_hi:[0,0,1]
	v_mov_b32_e32 v75, v81
	s_delay_alu instid0(VALU_DEP_1)
	v_pk_add_f32 v[70:71], v[70:71], v[74:75]
	s_and_not1_b32 exec_lo, exec_lo, s8
	s_cbranch_execnz .LBB32_302
; %bb.303:
	s_or_b32 exec_lo, exec_lo, s8
.LBB32_304:
	s_delay_alu instid0(SALU_CYCLE_1) | instskip(SKIP_4) | instid1(VALU_DEP_1)
	s_or_b32 exec_lo, exec_lo, s5
	v_mov_b32_e32 v72, 0
	ds_load_b64 v[72:73], v72 offset:16
	s_wait_dscnt 0x0
	v_pk_mul_f32 v[74:75], v[70:71], v[72:73] op_sel:[1,1] op_sel_hi:[0,1]
	v_pk_fma_f32 v[76:77], v[70:71], v[72:73], v[74:75] op_sel_hi:[1,0,1]
	v_pk_fma_f32 v[70:71], v[70:71], v[72:73], v[74:75] neg_lo:[0,0,1] neg_hi:[0,0,1]
	s_delay_alu instid0(VALU_DEP_2)
	v_mov_b32_e32 v71, v77
	scratch_store_b64 off, v[70:71], off offset:16
.LBB32_305:
	s_wait_xcnt 0x0
	s_or_b32 exec_lo, exec_lo, s0
	scratch_load_b64 v[70:71], off, off offset:8
	v_cmp_lt_u32_e64 s0, 1, v0
	s_wait_loadcnt 0x0
	ds_store_b64 v1, v[70:71]
	s_wait_storecnt_dscnt 0x0
	s_barrier_signal -1
	s_barrier_wait -1
	s_wait_xcnt 0x0
	s_and_saveexec_b32 s2, s0
	s_cbranch_execz .LBB32_315
; %bb.306:
	s_and_not1_b32 vcc_lo, exec_lo, s3
	s_cbranch_vccnz .LBB32_308
; %bb.307:
	scratch_load_b64 v[70:71], v47, off
	ds_load_b64 v[72:73], v1
	s_wait_loadcnt_dscnt 0x0
	v_pk_mul_f32 v[74:75], v[72:73], v[70:71] op_sel:[1,1] op_sel_hi:[0,1]
	s_delay_alu instid0(VALU_DEP_1) | instskip(SKIP_1) | instid1(VALU_DEP_2)
	v_pk_fma_f32 v[76:77], v[72:73], v[70:71], v[74:75] op_sel_hi:[1,0,1]
	v_pk_fma_f32 v[70:71], v[72:73], v[70:71], v[74:75] neg_lo:[0,0,1] neg_hi:[0,0,1]
	v_mov_b32_e32 v71, v77
	s_cbranch_execz .LBB32_309
	s_branch .LBB32_310
.LBB32_308:
                                        ; implicit-def: $vgpr70_vgpr71
.LBB32_309:
	ds_load_b64 v[70:71], v1
.LBB32_310:
	s_and_saveexec_b32 s5, s1
	s_cbranch_execz .LBB32_314
; %bb.311:
	v_add_nc_u32_e32 v72, -2, v0
	s_movk_i32 s8, 0x120
	s_mov_b32 s1, 0
.LBB32_312:                             ; =>This Inner Loop Header: Depth=1
	scratch_load_b64 v[74:75], off, s4
	v_dual_mov_b32 v73, s8 :: v_dual_add_nc_u32 v72, -1, v72
	s_add_co_i32 s8, s8, 8
	s_wait_xcnt 0x0
	s_add_co_i32 s4, s4, 8
	ds_load_b64 v[76:77], v73
	v_cmp_eq_u32_e32 vcc_lo, 0, v72
	s_or_b32 s1, vcc_lo, s1
	s_wait_loadcnt_dscnt 0x0
	v_pk_mul_f32 v[78:79], v[76:77], v[74:75] op_sel:[1,1] op_sel_hi:[0,1]
	s_delay_alu instid0(VALU_DEP_1) | instskip(SKIP_1) | instid1(VALU_DEP_2)
	v_pk_fma_f32 v[80:81], v[76:77], v[74:75], v[78:79] op_sel_hi:[1,0,1]
	v_pk_fma_f32 v[74:75], v[76:77], v[74:75], v[78:79] neg_lo:[0,0,1] neg_hi:[0,0,1]
	v_mov_b32_e32 v75, v81
	s_delay_alu instid0(VALU_DEP_1)
	v_pk_add_f32 v[70:71], v[70:71], v[74:75]
	s_and_not1_b32 exec_lo, exec_lo, s1
	s_cbranch_execnz .LBB32_312
; %bb.313:
	s_or_b32 exec_lo, exec_lo, s1
.LBB32_314:
	s_delay_alu instid0(SALU_CYCLE_1) | instskip(SKIP_4) | instid1(VALU_DEP_1)
	s_or_b32 exec_lo, exec_lo, s5
	v_mov_b32_e32 v72, 0
	ds_load_b64 v[72:73], v72 offset:8
	s_wait_dscnt 0x0
	v_pk_mul_f32 v[74:75], v[70:71], v[72:73] op_sel:[1,1] op_sel_hi:[0,1]
	v_pk_fma_f32 v[76:77], v[70:71], v[72:73], v[74:75] op_sel_hi:[1,0,1]
	v_pk_fma_f32 v[70:71], v[70:71], v[72:73], v[74:75] neg_lo:[0,0,1] neg_hi:[0,0,1]
	s_delay_alu instid0(VALU_DEP_2)
	v_mov_b32_e32 v71, v77
	scratch_store_b64 off, v[70:71], off offset:8
.LBB32_315:
	s_wait_xcnt 0x0
	s_or_b32 exec_lo, exec_lo, s2
	scratch_load_b64 v[70:71], off, off
	s_mov_b32 s2, 0
	s_mov_b32 s1, 0
	s_mov_b32 s5, exec_lo
                                        ; implicit-def: $vgpr86
                                        ; implicit-def: $sgpr4
	s_wait_loadcnt 0x0
	ds_store_b64 v1, v[70:71]
	s_wait_storecnt_dscnt 0x0
	s_barrier_signal -1
	s_barrier_wait -1
	s_wait_xcnt 0x0
	v_cmpx_ne_u32_e32 0, v0
	s_cbranch_execz .LBB32_325
; %bb.316:
	s_and_not1_b32 vcc_lo, exec_lo, s3
	s_cbranch_vccnz .LBB32_318
; %bb.317:
	scratch_load_b64 v[72:73], v47, off
	ds_load_b64 v[74:75], v1
	s_wait_loadcnt_dscnt 0x0
	v_dual_mul_f32 v70, v75, v73 :: v_dual_mul_f32 v71, v74, v73
	s_delay_alu instid0(VALU_DEP_1)
	v_dual_fma_f32 v70, v74, v72, -v70 :: v_dual_fmac_f32 v71, v75, v72
	s_and_not1_b32 vcc_lo, exec_lo, s1
	s_cbranch_vccz .LBB32_319
	s_branch .LBB32_320
.LBB32_318:
                                        ; implicit-def: $vgpr70
.LBB32_319:
	ds_load_b64 v[70:71], v1
.LBB32_320:
	s_and_saveexec_b32 s1, s0
	s_cbranch_execz .LBB32_324
; %bb.321:
	v_add_nc_u32_e32 v72, -1, v0
	s_or_b32 s0, 0, 8
	s_movk_i32 s8, 0x118
	s_mov_b32 s4, 0
.LBB32_322:                             ; =>This Inner Loop Header: Depth=1
	scratch_load_b64 v[74:75], off, s0
	v_mov_b32_e32 v73, s8
	s_add_co_i32 s8, s8, 8
	s_wait_xcnt 0x0
	s_add_co_i32 s0, s0, 8
	v_add_nc_u32_e32 v72, -1, v72
	ds_load_b64 v[76:77], v73
	v_cmp_eq_u32_e32 vcc_lo, 0, v72
	s_or_b32 s4, vcc_lo, s4
	s_wait_loadcnt_dscnt 0x0
	v_dual_mul_f32 v73, v77, v75 :: v_dual_mul_f32 v75, v76, v75
	s_delay_alu instid0(VALU_DEP_1) | instskip(NEXT) | instid1(VALU_DEP_1)
	v_dual_fma_f32 v73, v76, v74, -v73 :: v_dual_fmac_f32 v75, v77, v74
	v_dual_add_f32 v70, v70, v73 :: v_dual_add_f32 v71, v71, v75
	s_and_not1_b32 exec_lo, exec_lo, s4
	s_cbranch_execnz .LBB32_322
; %bb.323:
	s_or_b32 exec_lo, exec_lo, s4
.LBB32_324:
	s_delay_alu instid0(SALU_CYCLE_1)
	s_or_b32 exec_lo, exec_lo, s1
	v_mov_b32_e32 v72, 0
	s_mov_b32 s1, exec_lo
	s_or_b32 s4, 0, 4
	ds_load_b64 v[72:73], v72
	s_wait_dscnt 0x0
	v_dual_mul_f32 v74, v71, v73 :: v_dual_mul_f32 v86, v70, v73
	s_delay_alu instid0(VALU_DEP_1) | instskip(NEXT) | instid1(VALU_DEP_2)
	v_fma_f32 v70, v70, v72, -v74
	v_fmac_f32_e32 v86, v71, v72
	scratch_store_b32 off, v70, off
.LBB32_325:
	s_wait_xcnt 0x0
	s_or_b32 exec_lo, exec_lo, s5
	s_delay_alu instid0(SALU_CYCLE_1)
	s_and_b32 vcc_lo, exec_lo, s2
	s_cbranch_vccz .LBB32_641
.LBB32_326:
	scratch_load_b64 v[70:71], off, off offset:8
	v_cmp_eq_u32_e64 s0, 0, v0
	s_wait_loadcnt 0x0
	ds_store_b64 v1, v[70:71]
	s_wait_storecnt_dscnt 0x0
	s_barrier_signal -1
	s_barrier_wait -1
	s_wait_xcnt 0x0
	s_and_saveexec_b32 s2, s0
	s_cbranch_execz .LBB32_332
; %bb.327:
	s_and_b32 vcc_lo, exec_lo, s3
	s_cbranch_vccz .LBB32_329
; %bb.328:
	scratch_load_b64 v[70:71], v47, off
	ds_load_b64 v[72:73], v1
	s_wait_loadcnt_dscnt 0x0
	v_pk_mul_f32 v[74:75], v[72:73], v[70:71] op_sel:[1,1] op_sel_hi:[0,1]
	v_pk_mul_f32 v[76:77], v[72:73], v[70:71] op_sel_hi:[1,0]
	s_delay_alu instid0(VALU_DEP_2) | instskip(NEXT) | instid1(VALU_DEP_2)
	v_pk_fma_f32 v[70:71], v[72:73], v[70:71], v[74:75] op_sel_hi:[1,0,1]
	v_sub_f32_e32 v70, v76, v74
	s_cbranch_execz .LBB32_330
	s_branch .LBB32_331
.LBB32_329:
                                        ; implicit-def: $vgpr71
.LBB32_330:
	ds_load_b64 v[70:71], v1
.LBB32_331:
	s_wait_dscnt 0x0
	v_dual_mov_b32 v72, 0 :: v_dual_mov_b32 v74, v71
	v_mov_b32_e32 v75, v70
	ds_load_b64 v[72:73], v72 offset:8
	s_wait_dscnt 0x0
	v_pk_mul_f32 v[74:75], v[74:75], v[72:73] op_sel:[0,1]
	s_delay_alu instid0(VALU_DEP_1) | instskip(SKIP_1) | instid1(VALU_DEP_2)
	v_pk_fma_f32 v[76:77], v[70:71], v[72:73], v[74:75] op_sel_hi:[1,0,1]
	v_pk_fma_f32 v[70:71], v[70:71], v[72:73], v[74:75] neg_lo:[0,0,1] neg_hi:[0,0,1]
	v_mov_b32_e32 v71, v77
	scratch_store_b64 off, v[70:71], off offset:8
.LBB32_332:
	s_wait_xcnt 0x0
	s_or_b32 exec_lo, exec_lo, s2
	scratch_load_b64 v[70:71], off, off offset:16
	v_cndmask_b32_e64 v72, 0, 1, s3
	s_mov_b32 s2, exec_lo
	s_wait_loadcnt 0x0
	ds_store_b64 v1, v[70:71]
	s_wait_storecnt_dscnt 0x0
	s_barrier_signal -1
	s_barrier_wait -1
	s_wait_xcnt 0x0
	v_cmpx_gt_u32_e32 2, v0
	s_cbranch_execz .LBB32_340
; %bb.333:
	s_and_not1_b32 vcc_lo, exec_lo, s3
	s_cbranch_vccnz .LBB32_335
; %bb.334:
	scratch_load_b64 v[70:71], v47, off
	ds_load_b64 v[74:75], v1
	s_wait_loadcnt_dscnt 0x0
	v_pk_mul_f32 v[76:77], v[74:75], v[70:71] op_sel:[1,1] op_sel_hi:[0,1]
	s_delay_alu instid0(VALU_DEP_1) | instskip(SKIP_1) | instid1(VALU_DEP_2)
	v_pk_fma_f32 v[78:79], v[74:75], v[70:71], v[76:77] op_sel_hi:[1,0,1]
	v_pk_fma_f32 v[70:71], v[74:75], v[70:71], v[76:77] neg_lo:[0,0,1] neg_hi:[0,0,1]
	v_mov_b32_e32 v71, v79
	s_cbranch_execz .LBB32_336
	s_branch .LBB32_337
.LBB32_335:
                                        ; implicit-def: $vgpr70_vgpr71
.LBB32_336:
	ds_load_b64 v[70:71], v1
.LBB32_337:
	s_and_saveexec_b32 s3, s0
	s_cbranch_execz .LBB32_339
; %bb.338:
	scratch_load_b64 v[74:75], off, off offset:8
	v_mov_b32_e32 v73, 0
	ds_load_b64 v[76:77], v73 offset:280
	s_wait_loadcnt_dscnt 0x0
	v_pk_mul_f32 v[78:79], v[76:77], v[74:75] op_sel:[1,1] op_sel_hi:[0,1]
	s_delay_alu instid0(VALU_DEP_1) | instskip(SKIP_1) | instid1(VALU_DEP_2)
	v_pk_fma_f32 v[80:81], v[76:77], v[74:75], v[78:79] op_sel_hi:[1,0,1]
	v_pk_fma_f32 v[74:75], v[76:77], v[74:75], v[78:79] neg_lo:[0,0,1] neg_hi:[0,0,1]
	v_mov_b32_e32 v75, v81
	s_delay_alu instid0(VALU_DEP_1)
	v_pk_add_f32 v[70:71], v[70:71], v[74:75]
.LBB32_339:
	s_or_b32 exec_lo, exec_lo, s3
	v_mov_b32_e32 v73, 0
	ds_load_b64 v[74:75], v73 offset:16
	s_wait_dscnt 0x0
	v_pk_mul_f32 v[76:77], v[70:71], v[74:75] op_sel:[1,1] op_sel_hi:[0,1]
	s_delay_alu instid0(VALU_DEP_1) | instskip(SKIP_1) | instid1(VALU_DEP_2)
	v_pk_fma_f32 v[78:79], v[70:71], v[74:75], v[76:77] op_sel_hi:[1,0,1]
	v_pk_fma_f32 v[70:71], v[70:71], v[74:75], v[76:77] neg_lo:[0,0,1] neg_hi:[0,0,1]
	v_mov_b32_e32 v71, v79
	scratch_store_b64 off, v[70:71], off offset:16
.LBB32_340:
	s_wait_xcnt 0x0
	s_or_b32 exec_lo, exec_lo, s2
	scratch_load_b64 v[70:71], off, off offset:24
	s_mov_b32 s2, exec_lo
	s_wait_loadcnt 0x0
	ds_store_b64 v1, v[70:71]
	s_wait_storecnt_dscnt 0x0
	s_barrier_signal -1
	s_barrier_wait -1
	s_wait_xcnt 0x0
	v_cmpx_gt_u32_e32 3, v0
	s_cbranch_execz .LBB32_350
; %bb.341:
	v_cmp_ne_u32_e32 vcc_lo, 1, v72
	s_cbranch_vccnz .LBB32_343
; %bb.342:
	scratch_load_b64 v[70:71], v47, off
	ds_load_b64 v[74:75], v1
	s_wait_loadcnt_dscnt 0x0
	v_pk_mul_f32 v[76:77], v[74:75], v[70:71] op_sel:[1,1] op_sel_hi:[0,1]
	s_delay_alu instid0(VALU_DEP_1) | instskip(SKIP_1) | instid1(VALU_DEP_2)
	v_pk_fma_f32 v[78:79], v[74:75], v[70:71], v[76:77] op_sel_hi:[1,0,1]
	v_pk_fma_f32 v[70:71], v[74:75], v[70:71], v[76:77] neg_lo:[0,0,1] neg_hi:[0,0,1]
	v_mov_b32_e32 v71, v79
	s_cbranch_execz .LBB32_344
	s_branch .LBB32_345
.LBB32_343:
                                        ; implicit-def: $vgpr70_vgpr71
.LBB32_344:
	ds_load_b64 v[70:71], v1
.LBB32_345:
	s_mov_b32 s3, exec_lo
	v_cmpx_ne_u32_e32 2, v0
	s_cbranch_execz .LBB32_349
; %bb.346:
	scratch_load_b64 v[74:75], v47, off offset:8
	ds_load_b64 v[76:77], v1 offset:8
	s_wait_loadcnt_dscnt 0x0
	v_pk_mul_f32 v[78:79], v[76:77], v[74:75] op_sel:[1,1] op_sel_hi:[0,1]
	s_delay_alu instid0(VALU_DEP_1) | instskip(SKIP_1) | instid1(VALU_DEP_2)
	v_pk_fma_f32 v[80:81], v[76:77], v[74:75], v[78:79] op_sel_hi:[1,0,1]
	v_pk_fma_f32 v[74:75], v[76:77], v[74:75], v[78:79] neg_lo:[0,0,1] neg_hi:[0,0,1]
	v_mov_b32_e32 v75, v81
	s_delay_alu instid0(VALU_DEP_1)
	v_pk_add_f32 v[70:71], v[70:71], v[74:75]
	s_and_saveexec_b32 s4, s0
	s_cbranch_execz .LBB32_348
; %bb.347:
	scratch_load_b64 v[74:75], off, off offset:16
	v_mov_b32_e32 v73, 0
	ds_load_b64 v[76:77], v73 offset:288
	s_wait_loadcnt_dscnt 0x0
	v_pk_mul_f32 v[78:79], v[76:77], v[74:75] op_sel:[1,1] op_sel_hi:[0,1]
	s_delay_alu instid0(VALU_DEP_1) | instskip(SKIP_1) | instid1(VALU_DEP_2)
	v_pk_fma_f32 v[80:81], v[76:77], v[74:75], v[78:79] op_sel_hi:[1,0,1]
	v_pk_fma_f32 v[74:75], v[76:77], v[74:75], v[78:79] neg_lo:[0,0,1] neg_hi:[0,0,1]
	v_mov_b32_e32 v75, v81
	s_delay_alu instid0(VALU_DEP_1)
	v_pk_add_f32 v[70:71], v[70:71], v[74:75]
.LBB32_348:
	s_or_b32 exec_lo, exec_lo, s4
.LBB32_349:
	s_delay_alu instid0(SALU_CYCLE_1) | instskip(SKIP_4) | instid1(VALU_DEP_1)
	s_or_b32 exec_lo, exec_lo, s3
	v_mov_b32_e32 v73, 0
	ds_load_b64 v[74:75], v73 offset:24
	s_wait_dscnt 0x0
	v_pk_mul_f32 v[76:77], v[70:71], v[74:75] op_sel:[1,1] op_sel_hi:[0,1]
	v_pk_fma_f32 v[78:79], v[70:71], v[74:75], v[76:77] op_sel_hi:[1,0,1]
	v_pk_fma_f32 v[70:71], v[70:71], v[74:75], v[76:77] neg_lo:[0,0,1] neg_hi:[0,0,1]
	s_delay_alu instid0(VALU_DEP_2)
	v_mov_b32_e32 v71, v79
	scratch_store_b64 off, v[70:71], off offset:24
.LBB32_350:
	s_wait_xcnt 0x0
	s_or_b32 exec_lo, exec_lo, s2
	scratch_load_b64 v[70:71], off, off offset:32
	s_mov_b32 s0, exec_lo
	s_wait_loadcnt 0x0
	ds_store_b64 v1, v[70:71]
	s_wait_storecnt_dscnt 0x0
	s_barrier_signal -1
	s_barrier_wait -1
	s_wait_xcnt 0x0
	v_cmpx_gt_u32_e32 4, v0
	s_cbranch_execz .LBB32_360
; %bb.351:
	v_cmp_ne_u32_e32 vcc_lo, 1, v72
	s_cbranch_vccnz .LBB32_353
; %bb.352:
	scratch_load_b64 v[70:71], v47, off
	ds_load_b64 v[74:75], v1
	s_wait_loadcnt_dscnt 0x0
	v_pk_mul_f32 v[76:77], v[74:75], v[70:71] op_sel:[1,1] op_sel_hi:[0,1]
	s_delay_alu instid0(VALU_DEP_1) | instskip(SKIP_1) | instid1(VALU_DEP_2)
	v_pk_fma_f32 v[78:79], v[74:75], v[70:71], v[76:77] op_sel_hi:[1,0,1]
	v_pk_fma_f32 v[70:71], v[74:75], v[70:71], v[76:77] neg_lo:[0,0,1] neg_hi:[0,0,1]
	v_mov_b32_e32 v71, v79
	s_cbranch_execz .LBB32_354
	s_branch .LBB32_355
.LBB32_353:
                                        ; implicit-def: $vgpr70_vgpr71
.LBB32_354:
	ds_load_b64 v[70:71], v1
.LBB32_355:
	s_mov_b32 s2, exec_lo
	v_cmpx_ne_u32_e32 3, v0
	s_cbranch_execz .LBB32_359
; %bb.356:
	v_add_nc_u32_e32 v73, 0x118, v46
	v_add3_u32 v74, 0, v46, 8
	v_mov_b32_e32 v75, v0
	s_mov_b32 s3, 0
.LBB32_357:                             ; =>This Inner Loop Header: Depth=1
	scratch_load_b64 v[76:77], v74, off
	ds_load_b64 v[78:79], v73
	s_wait_xcnt 0x0
	v_dual_add_nc_u32 v73, 8, v73 :: v_dual_add_nc_u32 v74, 8, v74
	s_wait_loadcnt_dscnt 0x0
	v_pk_mul_f32 v[80:81], v[78:79], v[76:77] op_sel:[1,1] op_sel_hi:[0,1]
	s_delay_alu instid0(VALU_DEP_1) | instskip(SKIP_2) | instid1(VALU_DEP_3)
	v_pk_fma_f32 v[82:83], v[78:79], v[76:77], v[80:81] op_sel_hi:[1,0,1]
	v_add_nc_u32_e32 v75, 1, v75
	v_pk_fma_f32 v[76:77], v[78:79], v[76:77], v[80:81] neg_lo:[0,0,1] neg_hi:[0,0,1]
	v_mov_b32_e32 v77, v83
	s_delay_alu instid0(VALU_DEP_3) | instskip(NEXT) | instid1(VALU_DEP_2)
	v_cmp_lt_u32_e32 vcc_lo, 2, v75
	v_pk_add_f32 v[70:71], v[70:71], v[76:77]
	s_or_b32 s3, vcc_lo, s3
	s_delay_alu instid0(SALU_CYCLE_1)
	s_and_not1_b32 exec_lo, exec_lo, s3
	s_cbranch_execnz .LBB32_357
; %bb.358:
	s_or_b32 exec_lo, exec_lo, s3
.LBB32_359:
	s_delay_alu instid0(SALU_CYCLE_1) | instskip(SKIP_4) | instid1(VALU_DEP_1)
	s_or_b32 exec_lo, exec_lo, s2
	v_mov_b32_e32 v73, 0
	ds_load_b64 v[74:75], v73 offset:32
	s_wait_dscnt 0x0
	v_pk_mul_f32 v[76:77], v[70:71], v[74:75] op_sel:[1,1] op_sel_hi:[0,1]
	v_pk_fma_f32 v[78:79], v[70:71], v[74:75], v[76:77] op_sel_hi:[1,0,1]
	v_pk_fma_f32 v[70:71], v[70:71], v[74:75], v[76:77] neg_lo:[0,0,1] neg_hi:[0,0,1]
	s_delay_alu instid0(VALU_DEP_2)
	v_mov_b32_e32 v71, v79
	scratch_store_b64 off, v[70:71], off offset:32
.LBB32_360:
	s_wait_xcnt 0x0
	s_or_b32 exec_lo, exec_lo, s0
	scratch_load_b64 v[70:71], off, off offset:40
	s_mov_b32 s0, exec_lo
	s_wait_loadcnt 0x0
	ds_store_b64 v1, v[70:71]
	s_wait_storecnt_dscnt 0x0
	s_barrier_signal -1
	s_barrier_wait -1
	s_wait_xcnt 0x0
	v_cmpx_gt_u32_e32 5, v0
	s_cbranch_execz .LBB32_370
; %bb.361:
	v_cmp_ne_u32_e32 vcc_lo, 1, v72
	s_cbranch_vccnz .LBB32_363
; %bb.362:
	scratch_load_b64 v[70:71], v47, off
	ds_load_b64 v[74:75], v1
	s_wait_loadcnt_dscnt 0x0
	v_pk_mul_f32 v[76:77], v[74:75], v[70:71] op_sel:[1,1] op_sel_hi:[0,1]
	s_delay_alu instid0(VALU_DEP_1) | instskip(SKIP_1) | instid1(VALU_DEP_2)
	v_pk_fma_f32 v[78:79], v[74:75], v[70:71], v[76:77] op_sel_hi:[1,0,1]
	v_pk_fma_f32 v[70:71], v[74:75], v[70:71], v[76:77] neg_lo:[0,0,1] neg_hi:[0,0,1]
	v_mov_b32_e32 v71, v79
	s_cbranch_execz .LBB32_364
	s_branch .LBB32_365
.LBB32_363:
                                        ; implicit-def: $vgpr70_vgpr71
.LBB32_364:
	ds_load_b64 v[70:71], v1
.LBB32_365:
	s_mov_b32 s2, exec_lo
	v_cmpx_ne_u32_e32 4, v0
	s_cbranch_execz .LBB32_369
; %bb.366:
	v_add_nc_u32_e32 v73, 0x118, v46
	v_add3_u32 v74, 0, v46, 8
	v_mov_b32_e32 v75, v0
	s_mov_b32 s3, 0
.LBB32_367:                             ; =>This Inner Loop Header: Depth=1
	scratch_load_b64 v[76:77], v74, off
	ds_load_b64 v[78:79], v73
	s_wait_xcnt 0x0
	v_dual_add_nc_u32 v73, 8, v73 :: v_dual_add_nc_u32 v74, 8, v74
	s_wait_loadcnt_dscnt 0x0
	v_pk_mul_f32 v[80:81], v[78:79], v[76:77] op_sel:[1,1] op_sel_hi:[0,1]
	s_delay_alu instid0(VALU_DEP_1) | instskip(SKIP_2) | instid1(VALU_DEP_3)
	v_pk_fma_f32 v[82:83], v[78:79], v[76:77], v[80:81] op_sel_hi:[1,0,1]
	v_add_nc_u32_e32 v75, 1, v75
	v_pk_fma_f32 v[76:77], v[78:79], v[76:77], v[80:81] neg_lo:[0,0,1] neg_hi:[0,0,1]
	v_mov_b32_e32 v77, v83
	s_delay_alu instid0(VALU_DEP_3) | instskip(NEXT) | instid1(VALU_DEP_2)
	v_cmp_lt_u32_e32 vcc_lo, 3, v75
	v_pk_add_f32 v[70:71], v[70:71], v[76:77]
	s_or_b32 s3, vcc_lo, s3
	s_delay_alu instid0(SALU_CYCLE_1)
	s_and_not1_b32 exec_lo, exec_lo, s3
	s_cbranch_execnz .LBB32_367
; %bb.368:
	s_or_b32 exec_lo, exec_lo, s3
.LBB32_369:
	s_delay_alu instid0(SALU_CYCLE_1) | instskip(SKIP_4) | instid1(VALU_DEP_1)
	s_or_b32 exec_lo, exec_lo, s2
	v_mov_b32_e32 v73, 0
	ds_load_b64 v[74:75], v73 offset:40
	s_wait_dscnt 0x0
	v_pk_mul_f32 v[76:77], v[70:71], v[74:75] op_sel:[1,1] op_sel_hi:[0,1]
	v_pk_fma_f32 v[78:79], v[70:71], v[74:75], v[76:77] op_sel_hi:[1,0,1]
	v_pk_fma_f32 v[70:71], v[70:71], v[74:75], v[76:77] neg_lo:[0,0,1] neg_hi:[0,0,1]
	s_delay_alu instid0(VALU_DEP_2)
	v_mov_b32_e32 v71, v79
	scratch_store_b64 off, v[70:71], off offset:40
.LBB32_370:
	s_wait_xcnt 0x0
	s_or_b32 exec_lo, exec_lo, s0
	scratch_load_b64 v[70:71], off, off offset:48
	s_mov_b32 s0, exec_lo
	s_wait_loadcnt 0x0
	ds_store_b64 v1, v[70:71]
	s_wait_storecnt_dscnt 0x0
	s_barrier_signal -1
	s_barrier_wait -1
	s_wait_xcnt 0x0
	v_cmpx_gt_u32_e32 6, v0
	s_cbranch_execz .LBB32_380
; %bb.371:
	v_cmp_ne_u32_e32 vcc_lo, 1, v72
	s_cbranch_vccnz .LBB32_373
; %bb.372:
	scratch_load_b64 v[70:71], v47, off
	ds_load_b64 v[74:75], v1
	s_wait_loadcnt_dscnt 0x0
	v_pk_mul_f32 v[76:77], v[74:75], v[70:71] op_sel:[1,1] op_sel_hi:[0,1]
	s_delay_alu instid0(VALU_DEP_1) | instskip(SKIP_1) | instid1(VALU_DEP_2)
	v_pk_fma_f32 v[78:79], v[74:75], v[70:71], v[76:77] op_sel_hi:[1,0,1]
	v_pk_fma_f32 v[70:71], v[74:75], v[70:71], v[76:77] neg_lo:[0,0,1] neg_hi:[0,0,1]
	v_mov_b32_e32 v71, v79
	s_cbranch_execz .LBB32_374
	s_branch .LBB32_375
.LBB32_373:
                                        ; implicit-def: $vgpr70_vgpr71
.LBB32_374:
	ds_load_b64 v[70:71], v1
.LBB32_375:
	s_mov_b32 s2, exec_lo
	v_cmpx_ne_u32_e32 5, v0
	s_cbranch_execz .LBB32_379
; %bb.376:
	v_add_nc_u32_e32 v73, 0x118, v46
	v_add3_u32 v74, 0, v46, 8
	v_mov_b32_e32 v75, v0
	s_mov_b32 s3, 0
.LBB32_377:                             ; =>This Inner Loop Header: Depth=1
	scratch_load_b64 v[76:77], v74, off
	ds_load_b64 v[78:79], v73
	s_wait_xcnt 0x0
	v_dual_add_nc_u32 v73, 8, v73 :: v_dual_add_nc_u32 v74, 8, v74
	s_wait_loadcnt_dscnt 0x0
	v_pk_mul_f32 v[80:81], v[78:79], v[76:77] op_sel:[1,1] op_sel_hi:[0,1]
	s_delay_alu instid0(VALU_DEP_1) | instskip(SKIP_2) | instid1(VALU_DEP_3)
	v_pk_fma_f32 v[82:83], v[78:79], v[76:77], v[80:81] op_sel_hi:[1,0,1]
	v_add_nc_u32_e32 v75, 1, v75
	v_pk_fma_f32 v[76:77], v[78:79], v[76:77], v[80:81] neg_lo:[0,0,1] neg_hi:[0,0,1]
	v_mov_b32_e32 v77, v83
	s_delay_alu instid0(VALU_DEP_3) | instskip(NEXT) | instid1(VALU_DEP_2)
	v_cmp_lt_u32_e32 vcc_lo, 4, v75
	v_pk_add_f32 v[70:71], v[70:71], v[76:77]
	s_or_b32 s3, vcc_lo, s3
	s_delay_alu instid0(SALU_CYCLE_1)
	s_and_not1_b32 exec_lo, exec_lo, s3
	s_cbranch_execnz .LBB32_377
; %bb.378:
	s_or_b32 exec_lo, exec_lo, s3
.LBB32_379:
	s_delay_alu instid0(SALU_CYCLE_1) | instskip(SKIP_4) | instid1(VALU_DEP_1)
	s_or_b32 exec_lo, exec_lo, s2
	v_mov_b32_e32 v73, 0
	ds_load_b64 v[74:75], v73 offset:48
	s_wait_dscnt 0x0
	v_pk_mul_f32 v[76:77], v[70:71], v[74:75] op_sel:[1,1] op_sel_hi:[0,1]
	v_pk_fma_f32 v[78:79], v[70:71], v[74:75], v[76:77] op_sel_hi:[1,0,1]
	v_pk_fma_f32 v[70:71], v[70:71], v[74:75], v[76:77] neg_lo:[0,0,1] neg_hi:[0,0,1]
	s_delay_alu instid0(VALU_DEP_2)
	v_mov_b32_e32 v71, v79
	scratch_store_b64 off, v[70:71], off offset:48
.LBB32_380:
	s_wait_xcnt 0x0
	s_or_b32 exec_lo, exec_lo, s0
	scratch_load_b64 v[70:71], off, off offset:56
	s_mov_b32 s0, exec_lo
	s_wait_loadcnt 0x0
	ds_store_b64 v1, v[70:71]
	s_wait_storecnt_dscnt 0x0
	s_barrier_signal -1
	s_barrier_wait -1
	s_wait_xcnt 0x0
	v_cmpx_gt_u32_e32 7, v0
	s_cbranch_execz .LBB32_390
; %bb.381:
	v_cmp_ne_u32_e32 vcc_lo, 1, v72
	s_cbranch_vccnz .LBB32_383
; %bb.382:
	scratch_load_b64 v[70:71], v47, off
	ds_load_b64 v[74:75], v1
	s_wait_loadcnt_dscnt 0x0
	v_pk_mul_f32 v[76:77], v[74:75], v[70:71] op_sel:[1,1] op_sel_hi:[0,1]
	s_delay_alu instid0(VALU_DEP_1) | instskip(SKIP_1) | instid1(VALU_DEP_2)
	v_pk_fma_f32 v[78:79], v[74:75], v[70:71], v[76:77] op_sel_hi:[1,0,1]
	v_pk_fma_f32 v[70:71], v[74:75], v[70:71], v[76:77] neg_lo:[0,0,1] neg_hi:[0,0,1]
	v_mov_b32_e32 v71, v79
	s_cbranch_execz .LBB32_384
	s_branch .LBB32_385
.LBB32_383:
                                        ; implicit-def: $vgpr70_vgpr71
.LBB32_384:
	ds_load_b64 v[70:71], v1
.LBB32_385:
	s_mov_b32 s2, exec_lo
	v_cmpx_ne_u32_e32 6, v0
	s_cbranch_execz .LBB32_389
; %bb.386:
	v_add_nc_u32_e32 v73, 0x118, v46
	v_add3_u32 v74, 0, v46, 8
	v_mov_b32_e32 v75, v0
	s_mov_b32 s3, 0
.LBB32_387:                             ; =>This Inner Loop Header: Depth=1
	scratch_load_b64 v[76:77], v74, off
	ds_load_b64 v[78:79], v73
	s_wait_xcnt 0x0
	v_dual_add_nc_u32 v73, 8, v73 :: v_dual_add_nc_u32 v74, 8, v74
	s_wait_loadcnt_dscnt 0x0
	v_pk_mul_f32 v[80:81], v[78:79], v[76:77] op_sel:[1,1] op_sel_hi:[0,1]
	s_delay_alu instid0(VALU_DEP_1) | instskip(SKIP_2) | instid1(VALU_DEP_3)
	v_pk_fma_f32 v[82:83], v[78:79], v[76:77], v[80:81] op_sel_hi:[1,0,1]
	v_add_nc_u32_e32 v75, 1, v75
	v_pk_fma_f32 v[76:77], v[78:79], v[76:77], v[80:81] neg_lo:[0,0,1] neg_hi:[0,0,1]
	v_mov_b32_e32 v77, v83
	s_delay_alu instid0(VALU_DEP_3) | instskip(NEXT) | instid1(VALU_DEP_2)
	v_cmp_lt_u32_e32 vcc_lo, 5, v75
	v_pk_add_f32 v[70:71], v[70:71], v[76:77]
	s_or_b32 s3, vcc_lo, s3
	s_delay_alu instid0(SALU_CYCLE_1)
	s_and_not1_b32 exec_lo, exec_lo, s3
	s_cbranch_execnz .LBB32_387
; %bb.388:
	s_or_b32 exec_lo, exec_lo, s3
.LBB32_389:
	s_delay_alu instid0(SALU_CYCLE_1) | instskip(SKIP_4) | instid1(VALU_DEP_1)
	s_or_b32 exec_lo, exec_lo, s2
	v_mov_b32_e32 v73, 0
	ds_load_b64 v[74:75], v73 offset:56
	s_wait_dscnt 0x0
	v_pk_mul_f32 v[76:77], v[70:71], v[74:75] op_sel:[1,1] op_sel_hi:[0,1]
	v_pk_fma_f32 v[78:79], v[70:71], v[74:75], v[76:77] op_sel_hi:[1,0,1]
	v_pk_fma_f32 v[70:71], v[70:71], v[74:75], v[76:77] neg_lo:[0,0,1] neg_hi:[0,0,1]
	s_delay_alu instid0(VALU_DEP_2)
	v_mov_b32_e32 v71, v79
	scratch_store_b64 off, v[70:71], off offset:56
.LBB32_390:
	s_wait_xcnt 0x0
	s_or_b32 exec_lo, exec_lo, s0
	scratch_load_b64 v[70:71], off, off offset:64
	s_mov_b32 s0, exec_lo
	s_wait_loadcnt 0x0
	ds_store_b64 v1, v[70:71]
	s_wait_storecnt_dscnt 0x0
	s_barrier_signal -1
	s_barrier_wait -1
	s_wait_xcnt 0x0
	v_cmpx_gt_u32_e32 8, v0
	s_cbranch_execz .LBB32_400
; %bb.391:
	v_cmp_ne_u32_e32 vcc_lo, 1, v72
	s_cbranch_vccnz .LBB32_393
; %bb.392:
	scratch_load_b64 v[70:71], v47, off
	ds_load_b64 v[74:75], v1
	s_wait_loadcnt_dscnt 0x0
	v_pk_mul_f32 v[76:77], v[74:75], v[70:71] op_sel:[1,1] op_sel_hi:[0,1]
	s_delay_alu instid0(VALU_DEP_1) | instskip(SKIP_1) | instid1(VALU_DEP_2)
	v_pk_fma_f32 v[78:79], v[74:75], v[70:71], v[76:77] op_sel_hi:[1,0,1]
	v_pk_fma_f32 v[70:71], v[74:75], v[70:71], v[76:77] neg_lo:[0,0,1] neg_hi:[0,0,1]
	v_mov_b32_e32 v71, v79
	s_cbranch_execz .LBB32_394
	s_branch .LBB32_395
.LBB32_393:
                                        ; implicit-def: $vgpr70_vgpr71
.LBB32_394:
	ds_load_b64 v[70:71], v1
.LBB32_395:
	s_mov_b32 s2, exec_lo
	v_cmpx_ne_u32_e32 7, v0
	s_cbranch_execz .LBB32_399
; %bb.396:
	v_add_nc_u32_e32 v73, 0x118, v46
	v_add3_u32 v74, 0, v46, 8
	v_mov_b32_e32 v75, v0
	s_mov_b32 s3, 0
.LBB32_397:                             ; =>This Inner Loop Header: Depth=1
	scratch_load_b64 v[76:77], v74, off
	ds_load_b64 v[78:79], v73
	s_wait_xcnt 0x0
	v_dual_add_nc_u32 v73, 8, v73 :: v_dual_add_nc_u32 v74, 8, v74
	s_wait_loadcnt_dscnt 0x0
	v_pk_mul_f32 v[80:81], v[78:79], v[76:77] op_sel:[1,1] op_sel_hi:[0,1]
	s_delay_alu instid0(VALU_DEP_1) | instskip(SKIP_2) | instid1(VALU_DEP_3)
	v_pk_fma_f32 v[82:83], v[78:79], v[76:77], v[80:81] op_sel_hi:[1,0,1]
	v_add_nc_u32_e32 v75, 1, v75
	v_pk_fma_f32 v[76:77], v[78:79], v[76:77], v[80:81] neg_lo:[0,0,1] neg_hi:[0,0,1]
	v_mov_b32_e32 v77, v83
	s_delay_alu instid0(VALU_DEP_3) | instskip(NEXT) | instid1(VALU_DEP_2)
	v_cmp_lt_u32_e32 vcc_lo, 6, v75
	v_pk_add_f32 v[70:71], v[70:71], v[76:77]
	s_or_b32 s3, vcc_lo, s3
	s_delay_alu instid0(SALU_CYCLE_1)
	s_and_not1_b32 exec_lo, exec_lo, s3
	s_cbranch_execnz .LBB32_397
; %bb.398:
	s_or_b32 exec_lo, exec_lo, s3
.LBB32_399:
	s_delay_alu instid0(SALU_CYCLE_1) | instskip(SKIP_4) | instid1(VALU_DEP_1)
	s_or_b32 exec_lo, exec_lo, s2
	v_mov_b32_e32 v73, 0
	ds_load_b64 v[74:75], v73 offset:64
	s_wait_dscnt 0x0
	v_pk_mul_f32 v[76:77], v[70:71], v[74:75] op_sel:[1,1] op_sel_hi:[0,1]
	v_pk_fma_f32 v[78:79], v[70:71], v[74:75], v[76:77] op_sel_hi:[1,0,1]
	v_pk_fma_f32 v[70:71], v[70:71], v[74:75], v[76:77] neg_lo:[0,0,1] neg_hi:[0,0,1]
	s_delay_alu instid0(VALU_DEP_2)
	v_mov_b32_e32 v71, v79
	scratch_store_b64 off, v[70:71], off offset:64
.LBB32_400:
	s_wait_xcnt 0x0
	s_or_b32 exec_lo, exec_lo, s0
	scratch_load_b64 v[70:71], off, off offset:72
	s_mov_b32 s0, exec_lo
	s_wait_loadcnt 0x0
	ds_store_b64 v1, v[70:71]
	s_wait_storecnt_dscnt 0x0
	s_barrier_signal -1
	s_barrier_wait -1
	s_wait_xcnt 0x0
	v_cmpx_gt_u32_e32 9, v0
	s_cbranch_execz .LBB32_410
; %bb.401:
	v_cmp_ne_u32_e32 vcc_lo, 1, v72
	s_cbranch_vccnz .LBB32_403
; %bb.402:
	scratch_load_b64 v[70:71], v47, off
	ds_load_b64 v[74:75], v1
	s_wait_loadcnt_dscnt 0x0
	v_pk_mul_f32 v[76:77], v[74:75], v[70:71] op_sel:[1,1] op_sel_hi:[0,1]
	s_delay_alu instid0(VALU_DEP_1) | instskip(SKIP_1) | instid1(VALU_DEP_2)
	v_pk_fma_f32 v[78:79], v[74:75], v[70:71], v[76:77] op_sel_hi:[1,0,1]
	v_pk_fma_f32 v[70:71], v[74:75], v[70:71], v[76:77] neg_lo:[0,0,1] neg_hi:[0,0,1]
	v_mov_b32_e32 v71, v79
	s_cbranch_execz .LBB32_404
	s_branch .LBB32_405
.LBB32_403:
                                        ; implicit-def: $vgpr70_vgpr71
.LBB32_404:
	ds_load_b64 v[70:71], v1
.LBB32_405:
	s_mov_b32 s2, exec_lo
	v_cmpx_ne_u32_e32 8, v0
	s_cbranch_execz .LBB32_409
; %bb.406:
	v_add_nc_u32_e32 v73, 0x118, v46
	v_add3_u32 v74, 0, v46, 8
	v_mov_b32_e32 v75, v0
	s_mov_b32 s3, 0
.LBB32_407:                             ; =>This Inner Loop Header: Depth=1
	scratch_load_b64 v[76:77], v74, off
	ds_load_b64 v[78:79], v73
	s_wait_xcnt 0x0
	v_dual_add_nc_u32 v73, 8, v73 :: v_dual_add_nc_u32 v74, 8, v74
	s_wait_loadcnt_dscnt 0x0
	v_pk_mul_f32 v[80:81], v[78:79], v[76:77] op_sel:[1,1] op_sel_hi:[0,1]
	s_delay_alu instid0(VALU_DEP_1) | instskip(SKIP_2) | instid1(VALU_DEP_3)
	v_pk_fma_f32 v[82:83], v[78:79], v[76:77], v[80:81] op_sel_hi:[1,0,1]
	v_add_nc_u32_e32 v75, 1, v75
	v_pk_fma_f32 v[76:77], v[78:79], v[76:77], v[80:81] neg_lo:[0,0,1] neg_hi:[0,0,1]
	v_mov_b32_e32 v77, v83
	s_delay_alu instid0(VALU_DEP_3) | instskip(NEXT) | instid1(VALU_DEP_2)
	v_cmp_lt_u32_e32 vcc_lo, 7, v75
	v_pk_add_f32 v[70:71], v[70:71], v[76:77]
	s_or_b32 s3, vcc_lo, s3
	s_delay_alu instid0(SALU_CYCLE_1)
	s_and_not1_b32 exec_lo, exec_lo, s3
	s_cbranch_execnz .LBB32_407
; %bb.408:
	s_or_b32 exec_lo, exec_lo, s3
.LBB32_409:
	s_delay_alu instid0(SALU_CYCLE_1) | instskip(SKIP_4) | instid1(VALU_DEP_1)
	s_or_b32 exec_lo, exec_lo, s2
	v_mov_b32_e32 v73, 0
	ds_load_b64 v[74:75], v73 offset:72
	s_wait_dscnt 0x0
	v_pk_mul_f32 v[76:77], v[70:71], v[74:75] op_sel:[1,1] op_sel_hi:[0,1]
	v_pk_fma_f32 v[78:79], v[70:71], v[74:75], v[76:77] op_sel_hi:[1,0,1]
	v_pk_fma_f32 v[70:71], v[70:71], v[74:75], v[76:77] neg_lo:[0,0,1] neg_hi:[0,0,1]
	s_delay_alu instid0(VALU_DEP_2)
	v_mov_b32_e32 v71, v79
	scratch_store_b64 off, v[70:71], off offset:72
.LBB32_410:
	s_wait_xcnt 0x0
	s_or_b32 exec_lo, exec_lo, s0
	scratch_load_b64 v[70:71], off, off offset:80
	s_mov_b32 s0, exec_lo
	s_wait_loadcnt 0x0
	ds_store_b64 v1, v[70:71]
	s_wait_storecnt_dscnt 0x0
	s_barrier_signal -1
	s_barrier_wait -1
	s_wait_xcnt 0x0
	v_cmpx_gt_u32_e32 10, v0
	s_cbranch_execz .LBB32_420
; %bb.411:
	v_cmp_ne_u32_e32 vcc_lo, 1, v72
	s_cbranch_vccnz .LBB32_413
; %bb.412:
	scratch_load_b64 v[70:71], v47, off
	ds_load_b64 v[74:75], v1
	s_wait_loadcnt_dscnt 0x0
	v_pk_mul_f32 v[76:77], v[74:75], v[70:71] op_sel:[1,1] op_sel_hi:[0,1]
	s_delay_alu instid0(VALU_DEP_1) | instskip(SKIP_1) | instid1(VALU_DEP_2)
	v_pk_fma_f32 v[78:79], v[74:75], v[70:71], v[76:77] op_sel_hi:[1,0,1]
	v_pk_fma_f32 v[70:71], v[74:75], v[70:71], v[76:77] neg_lo:[0,0,1] neg_hi:[0,0,1]
	v_mov_b32_e32 v71, v79
	s_cbranch_execz .LBB32_414
	s_branch .LBB32_415
.LBB32_413:
                                        ; implicit-def: $vgpr70_vgpr71
.LBB32_414:
	ds_load_b64 v[70:71], v1
.LBB32_415:
	s_mov_b32 s2, exec_lo
	v_cmpx_ne_u32_e32 9, v0
	s_cbranch_execz .LBB32_419
; %bb.416:
	v_add_nc_u32_e32 v73, 0x118, v46
	v_add3_u32 v74, 0, v46, 8
	v_mov_b32_e32 v75, v0
	s_mov_b32 s3, 0
.LBB32_417:                             ; =>This Inner Loop Header: Depth=1
	scratch_load_b64 v[76:77], v74, off
	ds_load_b64 v[78:79], v73
	s_wait_xcnt 0x0
	v_dual_add_nc_u32 v73, 8, v73 :: v_dual_add_nc_u32 v74, 8, v74
	s_wait_loadcnt_dscnt 0x0
	v_pk_mul_f32 v[80:81], v[78:79], v[76:77] op_sel:[1,1] op_sel_hi:[0,1]
	s_delay_alu instid0(VALU_DEP_1) | instskip(SKIP_2) | instid1(VALU_DEP_3)
	v_pk_fma_f32 v[82:83], v[78:79], v[76:77], v[80:81] op_sel_hi:[1,0,1]
	v_add_nc_u32_e32 v75, 1, v75
	v_pk_fma_f32 v[76:77], v[78:79], v[76:77], v[80:81] neg_lo:[0,0,1] neg_hi:[0,0,1]
	v_mov_b32_e32 v77, v83
	s_delay_alu instid0(VALU_DEP_3) | instskip(NEXT) | instid1(VALU_DEP_2)
	v_cmp_lt_u32_e32 vcc_lo, 8, v75
	v_pk_add_f32 v[70:71], v[70:71], v[76:77]
	s_or_b32 s3, vcc_lo, s3
	s_delay_alu instid0(SALU_CYCLE_1)
	s_and_not1_b32 exec_lo, exec_lo, s3
	s_cbranch_execnz .LBB32_417
; %bb.418:
	s_or_b32 exec_lo, exec_lo, s3
.LBB32_419:
	s_delay_alu instid0(SALU_CYCLE_1) | instskip(SKIP_4) | instid1(VALU_DEP_1)
	s_or_b32 exec_lo, exec_lo, s2
	v_mov_b32_e32 v73, 0
	ds_load_b64 v[74:75], v73 offset:80
	s_wait_dscnt 0x0
	v_pk_mul_f32 v[76:77], v[70:71], v[74:75] op_sel:[1,1] op_sel_hi:[0,1]
	v_pk_fma_f32 v[78:79], v[70:71], v[74:75], v[76:77] op_sel_hi:[1,0,1]
	v_pk_fma_f32 v[70:71], v[70:71], v[74:75], v[76:77] neg_lo:[0,0,1] neg_hi:[0,0,1]
	s_delay_alu instid0(VALU_DEP_2)
	v_mov_b32_e32 v71, v79
	scratch_store_b64 off, v[70:71], off offset:80
.LBB32_420:
	s_wait_xcnt 0x0
	s_or_b32 exec_lo, exec_lo, s0
	scratch_load_b64 v[70:71], off, off offset:88
	s_mov_b32 s0, exec_lo
	s_wait_loadcnt 0x0
	ds_store_b64 v1, v[70:71]
	s_wait_storecnt_dscnt 0x0
	s_barrier_signal -1
	s_barrier_wait -1
	s_wait_xcnt 0x0
	v_cmpx_gt_u32_e32 11, v0
	s_cbranch_execz .LBB32_430
; %bb.421:
	v_cmp_ne_u32_e32 vcc_lo, 1, v72
	s_cbranch_vccnz .LBB32_423
; %bb.422:
	scratch_load_b64 v[70:71], v47, off
	ds_load_b64 v[74:75], v1
	s_wait_loadcnt_dscnt 0x0
	v_pk_mul_f32 v[76:77], v[74:75], v[70:71] op_sel:[1,1] op_sel_hi:[0,1]
	s_delay_alu instid0(VALU_DEP_1) | instskip(SKIP_1) | instid1(VALU_DEP_2)
	v_pk_fma_f32 v[78:79], v[74:75], v[70:71], v[76:77] op_sel_hi:[1,0,1]
	v_pk_fma_f32 v[70:71], v[74:75], v[70:71], v[76:77] neg_lo:[0,0,1] neg_hi:[0,0,1]
	v_mov_b32_e32 v71, v79
	s_cbranch_execz .LBB32_424
	s_branch .LBB32_425
.LBB32_423:
                                        ; implicit-def: $vgpr70_vgpr71
.LBB32_424:
	ds_load_b64 v[70:71], v1
.LBB32_425:
	s_mov_b32 s2, exec_lo
	v_cmpx_ne_u32_e32 10, v0
	s_cbranch_execz .LBB32_429
; %bb.426:
	v_add_nc_u32_e32 v73, 0x118, v46
	v_add3_u32 v74, 0, v46, 8
	v_mov_b32_e32 v75, v0
	s_mov_b32 s3, 0
.LBB32_427:                             ; =>This Inner Loop Header: Depth=1
	scratch_load_b64 v[76:77], v74, off
	ds_load_b64 v[78:79], v73
	s_wait_xcnt 0x0
	v_dual_add_nc_u32 v73, 8, v73 :: v_dual_add_nc_u32 v74, 8, v74
	s_wait_loadcnt_dscnt 0x0
	v_pk_mul_f32 v[80:81], v[78:79], v[76:77] op_sel:[1,1] op_sel_hi:[0,1]
	s_delay_alu instid0(VALU_DEP_1) | instskip(SKIP_2) | instid1(VALU_DEP_3)
	v_pk_fma_f32 v[82:83], v[78:79], v[76:77], v[80:81] op_sel_hi:[1,0,1]
	v_add_nc_u32_e32 v75, 1, v75
	v_pk_fma_f32 v[76:77], v[78:79], v[76:77], v[80:81] neg_lo:[0,0,1] neg_hi:[0,0,1]
	v_mov_b32_e32 v77, v83
	s_delay_alu instid0(VALU_DEP_3) | instskip(NEXT) | instid1(VALU_DEP_2)
	v_cmp_lt_u32_e32 vcc_lo, 9, v75
	v_pk_add_f32 v[70:71], v[70:71], v[76:77]
	s_or_b32 s3, vcc_lo, s3
	s_delay_alu instid0(SALU_CYCLE_1)
	s_and_not1_b32 exec_lo, exec_lo, s3
	s_cbranch_execnz .LBB32_427
; %bb.428:
	s_or_b32 exec_lo, exec_lo, s3
.LBB32_429:
	s_delay_alu instid0(SALU_CYCLE_1) | instskip(SKIP_4) | instid1(VALU_DEP_1)
	s_or_b32 exec_lo, exec_lo, s2
	v_mov_b32_e32 v73, 0
	ds_load_b64 v[74:75], v73 offset:88
	s_wait_dscnt 0x0
	v_pk_mul_f32 v[76:77], v[70:71], v[74:75] op_sel:[1,1] op_sel_hi:[0,1]
	v_pk_fma_f32 v[78:79], v[70:71], v[74:75], v[76:77] op_sel_hi:[1,0,1]
	v_pk_fma_f32 v[70:71], v[70:71], v[74:75], v[76:77] neg_lo:[0,0,1] neg_hi:[0,0,1]
	s_delay_alu instid0(VALU_DEP_2)
	v_mov_b32_e32 v71, v79
	scratch_store_b64 off, v[70:71], off offset:88
.LBB32_430:
	s_wait_xcnt 0x0
	s_or_b32 exec_lo, exec_lo, s0
	scratch_load_b64 v[70:71], off, off offset:96
	s_mov_b32 s0, exec_lo
	s_wait_loadcnt 0x0
	ds_store_b64 v1, v[70:71]
	s_wait_storecnt_dscnt 0x0
	s_barrier_signal -1
	s_barrier_wait -1
	s_wait_xcnt 0x0
	v_cmpx_gt_u32_e32 12, v0
	s_cbranch_execz .LBB32_440
; %bb.431:
	v_cmp_ne_u32_e32 vcc_lo, 1, v72
	s_cbranch_vccnz .LBB32_433
; %bb.432:
	scratch_load_b64 v[70:71], v47, off
	ds_load_b64 v[74:75], v1
	s_wait_loadcnt_dscnt 0x0
	v_pk_mul_f32 v[76:77], v[74:75], v[70:71] op_sel:[1,1] op_sel_hi:[0,1]
	s_delay_alu instid0(VALU_DEP_1) | instskip(SKIP_1) | instid1(VALU_DEP_2)
	v_pk_fma_f32 v[78:79], v[74:75], v[70:71], v[76:77] op_sel_hi:[1,0,1]
	v_pk_fma_f32 v[70:71], v[74:75], v[70:71], v[76:77] neg_lo:[0,0,1] neg_hi:[0,0,1]
	v_mov_b32_e32 v71, v79
	s_cbranch_execz .LBB32_434
	s_branch .LBB32_435
.LBB32_433:
                                        ; implicit-def: $vgpr70_vgpr71
.LBB32_434:
	ds_load_b64 v[70:71], v1
.LBB32_435:
	s_mov_b32 s2, exec_lo
	v_cmpx_ne_u32_e32 11, v0
	s_cbranch_execz .LBB32_439
; %bb.436:
	v_add_nc_u32_e32 v73, 0x118, v46
	v_add3_u32 v74, 0, v46, 8
	v_mov_b32_e32 v75, v0
	s_mov_b32 s3, 0
.LBB32_437:                             ; =>This Inner Loop Header: Depth=1
	scratch_load_b64 v[76:77], v74, off
	ds_load_b64 v[78:79], v73
	s_wait_xcnt 0x0
	v_dual_add_nc_u32 v73, 8, v73 :: v_dual_add_nc_u32 v74, 8, v74
	s_wait_loadcnt_dscnt 0x0
	v_pk_mul_f32 v[80:81], v[78:79], v[76:77] op_sel:[1,1] op_sel_hi:[0,1]
	s_delay_alu instid0(VALU_DEP_1) | instskip(SKIP_2) | instid1(VALU_DEP_3)
	v_pk_fma_f32 v[82:83], v[78:79], v[76:77], v[80:81] op_sel_hi:[1,0,1]
	v_add_nc_u32_e32 v75, 1, v75
	v_pk_fma_f32 v[76:77], v[78:79], v[76:77], v[80:81] neg_lo:[0,0,1] neg_hi:[0,0,1]
	v_mov_b32_e32 v77, v83
	s_delay_alu instid0(VALU_DEP_3) | instskip(NEXT) | instid1(VALU_DEP_2)
	v_cmp_lt_u32_e32 vcc_lo, 10, v75
	v_pk_add_f32 v[70:71], v[70:71], v[76:77]
	s_or_b32 s3, vcc_lo, s3
	s_delay_alu instid0(SALU_CYCLE_1)
	s_and_not1_b32 exec_lo, exec_lo, s3
	s_cbranch_execnz .LBB32_437
; %bb.438:
	s_or_b32 exec_lo, exec_lo, s3
.LBB32_439:
	s_delay_alu instid0(SALU_CYCLE_1) | instskip(SKIP_4) | instid1(VALU_DEP_1)
	s_or_b32 exec_lo, exec_lo, s2
	v_mov_b32_e32 v73, 0
	ds_load_b64 v[74:75], v73 offset:96
	s_wait_dscnt 0x0
	v_pk_mul_f32 v[76:77], v[70:71], v[74:75] op_sel:[1,1] op_sel_hi:[0,1]
	v_pk_fma_f32 v[78:79], v[70:71], v[74:75], v[76:77] op_sel_hi:[1,0,1]
	v_pk_fma_f32 v[70:71], v[70:71], v[74:75], v[76:77] neg_lo:[0,0,1] neg_hi:[0,0,1]
	s_delay_alu instid0(VALU_DEP_2)
	v_mov_b32_e32 v71, v79
	scratch_store_b64 off, v[70:71], off offset:96
.LBB32_440:
	s_wait_xcnt 0x0
	s_or_b32 exec_lo, exec_lo, s0
	scratch_load_b64 v[70:71], off, off offset:104
	s_mov_b32 s0, exec_lo
	s_wait_loadcnt 0x0
	ds_store_b64 v1, v[70:71]
	s_wait_storecnt_dscnt 0x0
	s_barrier_signal -1
	s_barrier_wait -1
	s_wait_xcnt 0x0
	v_cmpx_gt_u32_e32 13, v0
	s_cbranch_execz .LBB32_450
; %bb.441:
	v_cmp_ne_u32_e32 vcc_lo, 1, v72
	s_cbranch_vccnz .LBB32_443
; %bb.442:
	scratch_load_b64 v[70:71], v47, off
	ds_load_b64 v[74:75], v1
	s_wait_loadcnt_dscnt 0x0
	v_pk_mul_f32 v[76:77], v[74:75], v[70:71] op_sel:[1,1] op_sel_hi:[0,1]
	s_delay_alu instid0(VALU_DEP_1) | instskip(SKIP_1) | instid1(VALU_DEP_2)
	v_pk_fma_f32 v[78:79], v[74:75], v[70:71], v[76:77] op_sel_hi:[1,0,1]
	v_pk_fma_f32 v[70:71], v[74:75], v[70:71], v[76:77] neg_lo:[0,0,1] neg_hi:[0,0,1]
	v_mov_b32_e32 v71, v79
	s_cbranch_execz .LBB32_444
	s_branch .LBB32_445
.LBB32_443:
                                        ; implicit-def: $vgpr70_vgpr71
.LBB32_444:
	ds_load_b64 v[70:71], v1
.LBB32_445:
	s_mov_b32 s2, exec_lo
	v_cmpx_ne_u32_e32 12, v0
	s_cbranch_execz .LBB32_449
; %bb.446:
	v_add_nc_u32_e32 v73, 0x118, v46
	v_add3_u32 v74, 0, v46, 8
	v_mov_b32_e32 v75, v0
	s_mov_b32 s3, 0
.LBB32_447:                             ; =>This Inner Loop Header: Depth=1
	scratch_load_b64 v[76:77], v74, off
	ds_load_b64 v[78:79], v73
	s_wait_xcnt 0x0
	v_dual_add_nc_u32 v73, 8, v73 :: v_dual_add_nc_u32 v74, 8, v74
	s_wait_loadcnt_dscnt 0x0
	v_pk_mul_f32 v[80:81], v[78:79], v[76:77] op_sel:[1,1] op_sel_hi:[0,1]
	s_delay_alu instid0(VALU_DEP_1) | instskip(SKIP_2) | instid1(VALU_DEP_3)
	v_pk_fma_f32 v[82:83], v[78:79], v[76:77], v[80:81] op_sel_hi:[1,0,1]
	v_add_nc_u32_e32 v75, 1, v75
	v_pk_fma_f32 v[76:77], v[78:79], v[76:77], v[80:81] neg_lo:[0,0,1] neg_hi:[0,0,1]
	v_mov_b32_e32 v77, v83
	s_delay_alu instid0(VALU_DEP_3) | instskip(NEXT) | instid1(VALU_DEP_2)
	v_cmp_lt_u32_e32 vcc_lo, 11, v75
	v_pk_add_f32 v[70:71], v[70:71], v[76:77]
	s_or_b32 s3, vcc_lo, s3
	s_delay_alu instid0(SALU_CYCLE_1)
	s_and_not1_b32 exec_lo, exec_lo, s3
	s_cbranch_execnz .LBB32_447
; %bb.448:
	s_or_b32 exec_lo, exec_lo, s3
.LBB32_449:
	s_delay_alu instid0(SALU_CYCLE_1) | instskip(SKIP_4) | instid1(VALU_DEP_1)
	s_or_b32 exec_lo, exec_lo, s2
	v_mov_b32_e32 v73, 0
	ds_load_b64 v[74:75], v73 offset:104
	s_wait_dscnt 0x0
	v_pk_mul_f32 v[76:77], v[70:71], v[74:75] op_sel:[1,1] op_sel_hi:[0,1]
	v_pk_fma_f32 v[78:79], v[70:71], v[74:75], v[76:77] op_sel_hi:[1,0,1]
	v_pk_fma_f32 v[70:71], v[70:71], v[74:75], v[76:77] neg_lo:[0,0,1] neg_hi:[0,0,1]
	s_delay_alu instid0(VALU_DEP_2)
	v_mov_b32_e32 v71, v79
	scratch_store_b64 off, v[70:71], off offset:104
.LBB32_450:
	s_wait_xcnt 0x0
	s_or_b32 exec_lo, exec_lo, s0
	scratch_load_b64 v[70:71], off, off offset:112
	s_mov_b32 s0, exec_lo
	s_wait_loadcnt 0x0
	ds_store_b64 v1, v[70:71]
	s_wait_storecnt_dscnt 0x0
	s_barrier_signal -1
	s_barrier_wait -1
	s_wait_xcnt 0x0
	v_cmpx_gt_u32_e32 14, v0
	s_cbranch_execz .LBB32_460
; %bb.451:
	v_cmp_ne_u32_e32 vcc_lo, 1, v72
	s_cbranch_vccnz .LBB32_453
; %bb.452:
	scratch_load_b64 v[70:71], v47, off
	ds_load_b64 v[74:75], v1
	s_wait_loadcnt_dscnt 0x0
	v_pk_mul_f32 v[76:77], v[74:75], v[70:71] op_sel:[1,1] op_sel_hi:[0,1]
	s_delay_alu instid0(VALU_DEP_1) | instskip(SKIP_1) | instid1(VALU_DEP_2)
	v_pk_fma_f32 v[78:79], v[74:75], v[70:71], v[76:77] op_sel_hi:[1,0,1]
	v_pk_fma_f32 v[70:71], v[74:75], v[70:71], v[76:77] neg_lo:[0,0,1] neg_hi:[0,0,1]
	v_mov_b32_e32 v71, v79
	s_cbranch_execz .LBB32_454
	s_branch .LBB32_455
.LBB32_453:
                                        ; implicit-def: $vgpr70_vgpr71
.LBB32_454:
	ds_load_b64 v[70:71], v1
.LBB32_455:
	s_mov_b32 s2, exec_lo
	v_cmpx_ne_u32_e32 13, v0
	s_cbranch_execz .LBB32_459
; %bb.456:
	v_add_nc_u32_e32 v73, 0x118, v46
	v_add3_u32 v74, 0, v46, 8
	v_mov_b32_e32 v75, v0
	s_mov_b32 s3, 0
.LBB32_457:                             ; =>This Inner Loop Header: Depth=1
	scratch_load_b64 v[76:77], v74, off
	ds_load_b64 v[78:79], v73
	s_wait_xcnt 0x0
	v_dual_add_nc_u32 v73, 8, v73 :: v_dual_add_nc_u32 v74, 8, v74
	s_wait_loadcnt_dscnt 0x0
	v_pk_mul_f32 v[80:81], v[78:79], v[76:77] op_sel:[1,1] op_sel_hi:[0,1]
	s_delay_alu instid0(VALU_DEP_1) | instskip(SKIP_2) | instid1(VALU_DEP_3)
	v_pk_fma_f32 v[82:83], v[78:79], v[76:77], v[80:81] op_sel_hi:[1,0,1]
	v_add_nc_u32_e32 v75, 1, v75
	v_pk_fma_f32 v[76:77], v[78:79], v[76:77], v[80:81] neg_lo:[0,0,1] neg_hi:[0,0,1]
	v_mov_b32_e32 v77, v83
	s_delay_alu instid0(VALU_DEP_3) | instskip(NEXT) | instid1(VALU_DEP_2)
	v_cmp_lt_u32_e32 vcc_lo, 12, v75
	v_pk_add_f32 v[70:71], v[70:71], v[76:77]
	s_or_b32 s3, vcc_lo, s3
	s_delay_alu instid0(SALU_CYCLE_1)
	s_and_not1_b32 exec_lo, exec_lo, s3
	s_cbranch_execnz .LBB32_457
; %bb.458:
	s_or_b32 exec_lo, exec_lo, s3
.LBB32_459:
	s_delay_alu instid0(SALU_CYCLE_1) | instskip(SKIP_4) | instid1(VALU_DEP_1)
	s_or_b32 exec_lo, exec_lo, s2
	v_mov_b32_e32 v73, 0
	ds_load_b64 v[74:75], v73 offset:112
	s_wait_dscnt 0x0
	v_pk_mul_f32 v[76:77], v[70:71], v[74:75] op_sel:[1,1] op_sel_hi:[0,1]
	v_pk_fma_f32 v[78:79], v[70:71], v[74:75], v[76:77] op_sel_hi:[1,0,1]
	v_pk_fma_f32 v[70:71], v[70:71], v[74:75], v[76:77] neg_lo:[0,0,1] neg_hi:[0,0,1]
	s_delay_alu instid0(VALU_DEP_2)
	v_mov_b32_e32 v71, v79
	scratch_store_b64 off, v[70:71], off offset:112
.LBB32_460:
	s_wait_xcnt 0x0
	s_or_b32 exec_lo, exec_lo, s0
	scratch_load_b64 v[70:71], off, off offset:120
	s_mov_b32 s0, exec_lo
	s_wait_loadcnt 0x0
	ds_store_b64 v1, v[70:71]
	s_wait_storecnt_dscnt 0x0
	s_barrier_signal -1
	s_barrier_wait -1
	s_wait_xcnt 0x0
	v_cmpx_gt_u32_e32 15, v0
	s_cbranch_execz .LBB32_470
; %bb.461:
	v_cmp_ne_u32_e32 vcc_lo, 1, v72
	s_cbranch_vccnz .LBB32_463
; %bb.462:
	scratch_load_b64 v[70:71], v47, off
	ds_load_b64 v[74:75], v1
	s_wait_loadcnt_dscnt 0x0
	v_pk_mul_f32 v[76:77], v[74:75], v[70:71] op_sel:[1,1] op_sel_hi:[0,1]
	s_delay_alu instid0(VALU_DEP_1) | instskip(SKIP_1) | instid1(VALU_DEP_2)
	v_pk_fma_f32 v[78:79], v[74:75], v[70:71], v[76:77] op_sel_hi:[1,0,1]
	v_pk_fma_f32 v[70:71], v[74:75], v[70:71], v[76:77] neg_lo:[0,0,1] neg_hi:[0,0,1]
	v_mov_b32_e32 v71, v79
	s_cbranch_execz .LBB32_464
	s_branch .LBB32_465
.LBB32_463:
                                        ; implicit-def: $vgpr70_vgpr71
.LBB32_464:
	ds_load_b64 v[70:71], v1
.LBB32_465:
	s_mov_b32 s2, exec_lo
	v_cmpx_ne_u32_e32 14, v0
	s_cbranch_execz .LBB32_469
; %bb.466:
	v_add_nc_u32_e32 v73, 0x118, v46
	v_add3_u32 v74, 0, v46, 8
	v_mov_b32_e32 v75, v0
	s_mov_b32 s3, 0
.LBB32_467:                             ; =>This Inner Loop Header: Depth=1
	scratch_load_b64 v[76:77], v74, off
	ds_load_b64 v[78:79], v73
	s_wait_xcnt 0x0
	v_dual_add_nc_u32 v73, 8, v73 :: v_dual_add_nc_u32 v74, 8, v74
	s_wait_loadcnt_dscnt 0x0
	v_pk_mul_f32 v[80:81], v[78:79], v[76:77] op_sel:[1,1] op_sel_hi:[0,1]
	s_delay_alu instid0(VALU_DEP_1) | instskip(SKIP_2) | instid1(VALU_DEP_3)
	v_pk_fma_f32 v[82:83], v[78:79], v[76:77], v[80:81] op_sel_hi:[1,0,1]
	v_add_nc_u32_e32 v75, 1, v75
	v_pk_fma_f32 v[76:77], v[78:79], v[76:77], v[80:81] neg_lo:[0,0,1] neg_hi:[0,0,1]
	v_mov_b32_e32 v77, v83
	s_delay_alu instid0(VALU_DEP_3) | instskip(NEXT) | instid1(VALU_DEP_2)
	v_cmp_lt_u32_e32 vcc_lo, 13, v75
	v_pk_add_f32 v[70:71], v[70:71], v[76:77]
	s_or_b32 s3, vcc_lo, s3
	s_delay_alu instid0(SALU_CYCLE_1)
	s_and_not1_b32 exec_lo, exec_lo, s3
	s_cbranch_execnz .LBB32_467
; %bb.468:
	s_or_b32 exec_lo, exec_lo, s3
.LBB32_469:
	s_delay_alu instid0(SALU_CYCLE_1) | instskip(SKIP_4) | instid1(VALU_DEP_1)
	s_or_b32 exec_lo, exec_lo, s2
	v_mov_b32_e32 v73, 0
	ds_load_b64 v[74:75], v73 offset:120
	s_wait_dscnt 0x0
	v_pk_mul_f32 v[76:77], v[70:71], v[74:75] op_sel:[1,1] op_sel_hi:[0,1]
	v_pk_fma_f32 v[78:79], v[70:71], v[74:75], v[76:77] op_sel_hi:[1,0,1]
	v_pk_fma_f32 v[70:71], v[70:71], v[74:75], v[76:77] neg_lo:[0,0,1] neg_hi:[0,0,1]
	s_delay_alu instid0(VALU_DEP_2)
	v_mov_b32_e32 v71, v79
	scratch_store_b64 off, v[70:71], off offset:120
.LBB32_470:
	s_wait_xcnt 0x0
	s_or_b32 exec_lo, exec_lo, s0
	scratch_load_b64 v[70:71], off, off offset:128
	s_mov_b32 s0, exec_lo
	s_wait_loadcnt 0x0
	ds_store_b64 v1, v[70:71]
	s_wait_storecnt_dscnt 0x0
	s_barrier_signal -1
	s_barrier_wait -1
	s_wait_xcnt 0x0
	v_cmpx_gt_u32_e32 16, v0
	s_cbranch_execz .LBB32_480
; %bb.471:
	v_cmp_ne_u32_e32 vcc_lo, 1, v72
	s_cbranch_vccnz .LBB32_473
; %bb.472:
	scratch_load_b64 v[70:71], v47, off
	ds_load_b64 v[74:75], v1
	s_wait_loadcnt_dscnt 0x0
	v_pk_mul_f32 v[76:77], v[74:75], v[70:71] op_sel:[1,1] op_sel_hi:[0,1]
	s_delay_alu instid0(VALU_DEP_1) | instskip(SKIP_1) | instid1(VALU_DEP_2)
	v_pk_fma_f32 v[78:79], v[74:75], v[70:71], v[76:77] op_sel_hi:[1,0,1]
	v_pk_fma_f32 v[70:71], v[74:75], v[70:71], v[76:77] neg_lo:[0,0,1] neg_hi:[0,0,1]
	v_mov_b32_e32 v71, v79
	s_cbranch_execz .LBB32_474
	s_branch .LBB32_475
.LBB32_473:
                                        ; implicit-def: $vgpr70_vgpr71
.LBB32_474:
	ds_load_b64 v[70:71], v1
.LBB32_475:
	s_mov_b32 s2, exec_lo
	v_cmpx_ne_u32_e32 15, v0
	s_cbranch_execz .LBB32_479
; %bb.476:
	v_add_nc_u32_e32 v73, 0x118, v46
	v_add3_u32 v74, 0, v46, 8
	v_mov_b32_e32 v75, v0
	s_mov_b32 s3, 0
.LBB32_477:                             ; =>This Inner Loop Header: Depth=1
	scratch_load_b64 v[76:77], v74, off
	ds_load_b64 v[78:79], v73
	s_wait_xcnt 0x0
	v_dual_add_nc_u32 v73, 8, v73 :: v_dual_add_nc_u32 v74, 8, v74
	s_wait_loadcnt_dscnt 0x0
	v_pk_mul_f32 v[80:81], v[78:79], v[76:77] op_sel:[1,1] op_sel_hi:[0,1]
	s_delay_alu instid0(VALU_DEP_1) | instskip(SKIP_2) | instid1(VALU_DEP_3)
	v_pk_fma_f32 v[82:83], v[78:79], v[76:77], v[80:81] op_sel_hi:[1,0,1]
	v_add_nc_u32_e32 v75, 1, v75
	v_pk_fma_f32 v[76:77], v[78:79], v[76:77], v[80:81] neg_lo:[0,0,1] neg_hi:[0,0,1]
	v_mov_b32_e32 v77, v83
	s_delay_alu instid0(VALU_DEP_3) | instskip(NEXT) | instid1(VALU_DEP_2)
	v_cmp_lt_u32_e32 vcc_lo, 14, v75
	v_pk_add_f32 v[70:71], v[70:71], v[76:77]
	s_or_b32 s3, vcc_lo, s3
	s_delay_alu instid0(SALU_CYCLE_1)
	s_and_not1_b32 exec_lo, exec_lo, s3
	s_cbranch_execnz .LBB32_477
; %bb.478:
	s_or_b32 exec_lo, exec_lo, s3
.LBB32_479:
	s_delay_alu instid0(SALU_CYCLE_1) | instskip(SKIP_4) | instid1(VALU_DEP_1)
	s_or_b32 exec_lo, exec_lo, s2
	v_mov_b32_e32 v73, 0
	ds_load_b64 v[74:75], v73 offset:128
	s_wait_dscnt 0x0
	v_pk_mul_f32 v[76:77], v[70:71], v[74:75] op_sel:[1,1] op_sel_hi:[0,1]
	v_pk_fma_f32 v[78:79], v[70:71], v[74:75], v[76:77] op_sel_hi:[1,0,1]
	v_pk_fma_f32 v[70:71], v[70:71], v[74:75], v[76:77] neg_lo:[0,0,1] neg_hi:[0,0,1]
	s_delay_alu instid0(VALU_DEP_2)
	v_mov_b32_e32 v71, v79
	scratch_store_b64 off, v[70:71], off offset:128
.LBB32_480:
	s_wait_xcnt 0x0
	s_or_b32 exec_lo, exec_lo, s0
	scratch_load_b64 v[70:71], off, off offset:136
	s_mov_b32 s0, exec_lo
	s_wait_loadcnt 0x0
	ds_store_b64 v1, v[70:71]
	s_wait_storecnt_dscnt 0x0
	s_barrier_signal -1
	s_barrier_wait -1
	s_wait_xcnt 0x0
	v_cmpx_gt_u32_e32 17, v0
	s_cbranch_execz .LBB32_490
; %bb.481:
	v_cmp_ne_u32_e32 vcc_lo, 1, v72
	s_cbranch_vccnz .LBB32_483
; %bb.482:
	scratch_load_b64 v[70:71], v47, off
	ds_load_b64 v[74:75], v1
	s_wait_loadcnt_dscnt 0x0
	v_pk_mul_f32 v[76:77], v[74:75], v[70:71] op_sel:[1,1] op_sel_hi:[0,1]
	s_delay_alu instid0(VALU_DEP_1) | instskip(SKIP_1) | instid1(VALU_DEP_2)
	v_pk_fma_f32 v[78:79], v[74:75], v[70:71], v[76:77] op_sel_hi:[1,0,1]
	v_pk_fma_f32 v[70:71], v[74:75], v[70:71], v[76:77] neg_lo:[0,0,1] neg_hi:[0,0,1]
	v_mov_b32_e32 v71, v79
	s_cbranch_execz .LBB32_484
	s_branch .LBB32_485
.LBB32_483:
                                        ; implicit-def: $vgpr70_vgpr71
.LBB32_484:
	ds_load_b64 v[70:71], v1
.LBB32_485:
	s_mov_b32 s2, exec_lo
	v_cmpx_ne_u32_e32 16, v0
	s_cbranch_execz .LBB32_489
; %bb.486:
	v_add_nc_u32_e32 v73, 0x118, v46
	v_add3_u32 v74, 0, v46, 8
	v_mov_b32_e32 v75, v0
	s_mov_b32 s3, 0
.LBB32_487:                             ; =>This Inner Loop Header: Depth=1
	scratch_load_b64 v[76:77], v74, off
	ds_load_b64 v[78:79], v73
	s_wait_xcnt 0x0
	v_dual_add_nc_u32 v73, 8, v73 :: v_dual_add_nc_u32 v74, 8, v74
	s_wait_loadcnt_dscnt 0x0
	v_pk_mul_f32 v[80:81], v[78:79], v[76:77] op_sel:[1,1] op_sel_hi:[0,1]
	s_delay_alu instid0(VALU_DEP_1) | instskip(SKIP_2) | instid1(VALU_DEP_3)
	v_pk_fma_f32 v[82:83], v[78:79], v[76:77], v[80:81] op_sel_hi:[1,0,1]
	v_add_nc_u32_e32 v75, 1, v75
	v_pk_fma_f32 v[76:77], v[78:79], v[76:77], v[80:81] neg_lo:[0,0,1] neg_hi:[0,0,1]
	v_mov_b32_e32 v77, v83
	s_delay_alu instid0(VALU_DEP_3) | instskip(NEXT) | instid1(VALU_DEP_2)
	v_cmp_lt_u32_e32 vcc_lo, 15, v75
	v_pk_add_f32 v[70:71], v[70:71], v[76:77]
	s_or_b32 s3, vcc_lo, s3
	s_delay_alu instid0(SALU_CYCLE_1)
	s_and_not1_b32 exec_lo, exec_lo, s3
	s_cbranch_execnz .LBB32_487
; %bb.488:
	s_or_b32 exec_lo, exec_lo, s3
.LBB32_489:
	s_delay_alu instid0(SALU_CYCLE_1) | instskip(SKIP_4) | instid1(VALU_DEP_1)
	s_or_b32 exec_lo, exec_lo, s2
	v_mov_b32_e32 v73, 0
	ds_load_b64 v[74:75], v73 offset:136
	s_wait_dscnt 0x0
	v_pk_mul_f32 v[76:77], v[70:71], v[74:75] op_sel:[1,1] op_sel_hi:[0,1]
	v_pk_fma_f32 v[78:79], v[70:71], v[74:75], v[76:77] op_sel_hi:[1,0,1]
	v_pk_fma_f32 v[70:71], v[70:71], v[74:75], v[76:77] neg_lo:[0,0,1] neg_hi:[0,0,1]
	s_delay_alu instid0(VALU_DEP_2)
	v_mov_b32_e32 v71, v79
	scratch_store_b64 off, v[70:71], off offset:136
.LBB32_490:
	s_wait_xcnt 0x0
	s_or_b32 exec_lo, exec_lo, s0
	scratch_load_b64 v[70:71], off, off offset:144
	s_mov_b32 s0, exec_lo
	s_wait_loadcnt 0x0
	ds_store_b64 v1, v[70:71]
	s_wait_storecnt_dscnt 0x0
	s_barrier_signal -1
	s_barrier_wait -1
	s_wait_xcnt 0x0
	v_cmpx_gt_u32_e32 18, v0
	s_cbranch_execz .LBB32_500
; %bb.491:
	v_cmp_ne_u32_e32 vcc_lo, 1, v72
	s_cbranch_vccnz .LBB32_493
; %bb.492:
	scratch_load_b64 v[70:71], v47, off
	ds_load_b64 v[74:75], v1
	s_wait_loadcnt_dscnt 0x0
	v_pk_mul_f32 v[76:77], v[74:75], v[70:71] op_sel:[1,1] op_sel_hi:[0,1]
	s_delay_alu instid0(VALU_DEP_1) | instskip(SKIP_1) | instid1(VALU_DEP_2)
	v_pk_fma_f32 v[78:79], v[74:75], v[70:71], v[76:77] op_sel_hi:[1,0,1]
	v_pk_fma_f32 v[70:71], v[74:75], v[70:71], v[76:77] neg_lo:[0,0,1] neg_hi:[0,0,1]
	v_mov_b32_e32 v71, v79
	s_cbranch_execz .LBB32_494
	s_branch .LBB32_495
.LBB32_493:
                                        ; implicit-def: $vgpr70_vgpr71
.LBB32_494:
	ds_load_b64 v[70:71], v1
.LBB32_495:
	s_mov_b32 s2, exec_lo
	v_cmpx_ne_u32_e32 17, v0
	s_cbranch_execz .LBB32_499
; %bb.496:
	v_add_nc_u32_e32 v73, 0x118, v46
	v_add3_u32 v74, 0, v46, 8
	v_mov_b32_e32 v75, v0
	s_mov_b32 s3, 0
.LBB32_497:                             ; =>This Inner Loop Header: Depth=1
	scratch_load_b64 v[76:77], v74, off
	ds_load_b64 v[78:79], v73
	s_wait_xcnt 0x0
	v_dual_add_nc_u32 v73, 8, v73 :: v_dual_add_nc_u32 v74, 8, v74
	s_wait_loadcnt_dscnt 0x0
	v_pk_mul_f32 v[80:81], v[78:79], v[76:77] op_sel:[1,1] op_sel_hi:[0,1]
	s_delay_alu instid0(VALU_DEP_1) | instskip(SKIP_2) | instid1(VALU_DEP_3)
	v_pk_fma_f32 v[82:83], v[78:79], v[76:77], v[80:81] op_sel_hi:[1,0,1]
	v_add_nc_u32_e32 v75, 1, v75
	v_pk_fma_f32 v[76:77], v[78:79], v[76:77], v[80:81] neg_lo:[0,0,1] neg_hi:[0,0,1]
	v_mov_b32_e32 v77, v83
	s_delay_alu instid0(VALU_DEP_3) | instskip(NEXT) | instid1(VALU_DEP_2)
	v_cmp_lt_u32_e32 vcc_lo, 16, v75
	v_pk_add_f32 v[70:71], v[70:71], v[76:77]
	s_or_b32 s3, vcc_lo, s3
	s_delay_alu instid0(SALU_CYCLE_1)
	s_and_not1_b32 exec_lo, exec_lo, s3
	s_cbranch_execnz .LBB32_497
; %bb.498:
	s_or_b32 exec_lo, exec_lo, s3
.LBB32_499:
	s_delay_alu instid0(SALU_CYCLE_1) | instskip(SKIP_4) | instid1(VALU_DEP_1)
	s_or_b32 exec_lo, exec_lo, s2
	v_mov_b32_e32 v73, 0
	ds_load_b64 v[74:75], v73 offset:144
	s_wait_dscnt 0x0
	v_pk_mul_f32 v[76:77], v[70:71], v[74:75] op_sel:[1,1] op_sel_hi:[0,1]
	v_pk_fma_f32 v[78:79], v[70:71], v[74:75], v[76:77] op_sel_hi:[1,0,1]
	v_pk_fma_f32 v[70:71], v[70:71], v[74:75], v[76:77] neg_lo:[0,0,1] neg_hi:[0,0,1]
	s_delay_alu instid0(VALU_DEP_2)
	v_mov_b32_e32 v71, v79
	scratch_store_b64 off, v[70:71], off offset:144
.LBB32_500:
	s_wait_xcnt 0x0
	s_or_b32 exec_lo, exec_lo, s0
	scratch_load_b64 v[70:71], off, off offset:152
	s_mov_b32 s0, exec_lo
	s_wait_loadcnt 0x0
	ds_store_b64 v1, v[70:71]
	s_wait_storecnt_dscnt 0x0
	s_barrier_signal -1
	s_barrier_wait -1
	s_wait_xcnt 0x0
	v_cmpx_gt_u32_e32 19, v0
	s_cbranch_execz .LBB32_510
; %bb.501:
	v_cmp_ne_u32_e32 vcc_lo, 1, v72
	s_cbranch_vccnz .LBB32_503
; %bb.502:
	scratch_load_b64 v[70:71], v47, off
	ds_load_b64 v[74:75], v1
	s_wait_loadcnt_dscnt 0x0
	v_pk_mul_f32 v[76:77], v[74:75], v[70:71] op_sel:[1,1] op_sel_hi:[0,1]
	s_delay_alu instid0(VALU_DEP_1) | instskip(SKIP_1) | instid1(VALU_DEP_2)
	v_pk_fma_f32 v[78:79], v[74:75], v[70:71], v[76:77] op_sel_hi:[1,0,1]
	v_pk_fma_f32 v[70:71], v[74:75], v[70:71], v[76:77] neg_lo:[0,0,1] neg_hi:[0,0,1]
	v_mov_b32_e32 v71, v79
	s_cbranch_execz .LBB32_504
	s_branch .LBB32_505
.LBB32_503:
                                        ; implicit-def: $vgpr70_vgpr71
.LBB32_504:
	ds_load_b64 v[70:71], v1
.LBB32_505:
	s_mov_b32 s2, exec_lo
	v_cmpx_ne_u32_e32 18, v0
	s_cbranch_execz .LBB32_509
; %bb.506:
	v_add_nc_u32_e32 v73, 0x118, v46
	v_add3_u32 v74, 0, v46, 8
	v_mov_b32_e32 v75, v0
	s_mov_b32 s3, 0
.LBB32_507:                             ; =>This Inner Loop Header: Depth=1
	scratch_load_b64 v[76:77], v74, off
	ds_load_b64 v[78:79], v73
	s_wait_xcnt 0x0
	v_dual_add_nc_u32 v73, 8, v73 :: v_dual_add_nc_u32 v74, 8, v74
	s_wait_loadcnt_dscnt 0x0
	v_pk_mul_f32 v[80:81], v[78:79], v[76:77] op_sel:[1,1] op_sel_hi:[0,1]
	s_delay_alu instid0(VALU_DEP_1) | instskip(SKIP_2) | instid1(VALU_DEP_3)
	v_pk_fma_f32 v[82:83], v[78:79], v[76:77], v[80:81] op_sel_hi:[1,0,1]
	v_add_nc_u32_e32 v75, 1, v75
	v_pk_fma_f32 v[76:77], v[78:79], v[76:77], v[80:81] neg_lo:[0,0,1] neg_hi:[0,0,1]
	v_mov_b32_e32 v77, v83
	s_delay_alu instid0(VALU_DEP_3) | instskip(NEXT) | instid1(VALU_DEP_2)
	v_cmp_lt_u32_e32 vcc_lo, 17, v75
	v_pk_add_f32 v[70:71], v[70:71], v[76:77]
	s_or_b32 s3, vcc_lo, s3
	s_delay_alu instid0(SALU_CYCLE_1)
	s_and_not1_b32 exec_lo, exec_lo, s3
	s_cbranch_execnz .LBB32_507
; %bb.508:
	s_or_b32 exec_lo, exec_lo, s3
.LBB32_509:
	s_delay_alu instid0(SALU_CYCLE_1) | instskip(SKIP_4) | instid1(VALU_DEP_1)
	s_or_b32 exec_lo, exec_lo, s2
	v_mov_b32_e32 v73, 0
	ds_load_b64 v[74:75], v73 offset:152
	s_wait_dscnt 0x0
	v_pk_mul_f32 v[76:77], v[70:71], v[74:75] op_sel:[1,1] op_sel_hi:[0,1]
	v_pk_fma_f32 v[78:79], v[70:71], v[74:75], v[76:77] op_sel_hi:[1,0,1]
	v_pk_fma_f32 v[70:71], v[70:71], v[74:75], v[76:77] neg_lo:[0,0,1] neg_hi:[0,0,1]
	s_delay_alu instid0(VALU_DEP_2)
	v_mov_b32_e32 v71, v79
	scratch_store_b64 off, v[70:71], off offset:152
.LBB32_510:
	s_wait_xcnt 0x0
	s_or_b32 exec_lo, exec_lo, s0
	scratch_load_b64 v[70:71], off, off offset:160
	s_mov_b32 s0, exec_lo
	s_wait_loadcnt 0x0
	ds_store_b64 v1, v[70:71]
	s_wait_storecnt_dscnt 0x0
	s_barrier_signal -1
	s_barrier_wait -1
	s_wait_xcnt 0x0
	v_cmpx_gt_u32_e32 20, v0
	s_cbranch_execz .LBB32_520
; %bb.511:
	v_cmp_ne_u32_e32 vcc_lo, 1, v72
	s_cbranch_vccnz .LBB32_513
; %bb.512:
	scratch_load_b64 v[70:71], v47, off
	ds_load_b64 v[74:75], v1
	s_wait_loadcnt_dscnt 0x0
	v_pk_mul_f32 v[76:77], v[74:75], v[70:71] op_sel:[1,1] op_sel_hi:[0,1]
	s_delay_alu instid0(VALU_DEP_1) | instskip(SKIP_1) | instid1(VALU_DEP_2)
	v_pk_fma_f32 v[78:79], v[74:75], v[70:71], v[76:77] op_sel_hi:[1,0,1]
	v_pk_fma_f32 v[70:71], v[74:75], v[70:71], v[76:77] neg_lo:[0,0,1] neg_hi:[0,0,1]
	v_mov_b32_e32 v71, v79
	s_cbranch_execz .LBB32_514
	s_branch .LBB32_515
.LBB32_513:
                                        ; implicit-def: $vgpr70_vgpr71
.LBB32_514:
	ds_load_b64 v[70:71], v1
.LBB32_515:
	s_mov_b32 s2, exec_lo
	v_cmpx_ne_u32_e32 19, v0
	s_cbranch_execz .LBB32_519
; %bb.516:
	v_add_nc_u32_e32 v73, 0x118, v46
	v_add3_u32 v74, 0, v46, 8
	v_mov_b32_e32 v75, v0
	s_mov_b32 s3, 0
.LBB32_517:                             ; =>This Inner Loop Header: Depth=1
	scratch_load_b64 v[76:77], v74, off
	ds_load_b64 v[78:79], v73
	s_wait_xcnt 0x0
	v_dual_add_nc_u32 v73, 8, v73 :: v_dual_add_nc_u32 v74, 8, v74
	s_wait_loadcnt_dscnt 0x0
	v_pk_mul_f32 v[80:81], v[78:79], v[76:77] op_sel:[1,1] op_sel_hi:[0,1]
	s_delay_alu instid0(VALU_DEP_1) | instskip(SKIP_2) | instid1(VALU_DEP_3)
	v_pk_fma_f32 v[82:83], v[78:79], v[76:77], v[80:81] op_sel_hi:[1,0,1]
	v_add_nc_u32_e32 v75, 1, v75
	v_pk_fma_f32 v[76:77], v[78:79], v[76:77], v[80:81] neg_lo:[0,0,1] neg_hi:[0,0,1]
	v_mov_b32_e32 v77, v83
	s_delay_alu instid0(VALU_DEP_3) | instskip(NEXT) | instid1(VALU_DEP_2)
	v_cmp_lt_u32_e32 vcc_lo, 18, v75
	v_pk_add_f32 v[70:71], v[70:71], v[76:77]
	s_or_b32 s3, vcc_lo, s3
	s_delay_alu instid0(SALU_CYCLE_1)
	s_and_not1_b32 exec_lo, exec_lo, s3
	s_cbranch_execnz .LBB32_517
; %bb.518:
	s_or_b32 exec_lo, exec_lo, s3
.LBB32_519:
	s_delay_alu instid0(SALU_CYCLE_1) | instskip(SKIP_4) | instid1(VALU_DEP_1)
	s_or_b32 exec_lo, exec_lo, s2
	v_mov_b32_e32 v73, 0
	ds_load_b64 v[74:75], v73 offset:160
	s_wait_dscnt 0x0
	v_pk_mul_f32 v[76:77], v[70:71], v[74:75] op_sel:[1,1] op_sel_hi:[0,1]
	v_pk_fma_f32 v[78:79], v[70:71], v[74:75], v[76:77] op_sel_hi:[1,0,1]
	v_pk_fma_f32 v[70:71], v[70:71], v[74:75], v[76:77] neg_lo:[0,0,1] neg_hi:[0,0,1]
	s_delay_alu instid0(VALU_DEP_2)
	v_mov_b32_e32 v71, v79
	scratch_store_b64 off, v[70:71], off offset:160
.LBB32_520:
	s_wait_xcnt 0x0
	s_or_b32 exec_lo, exec_lo, s0
	scratch_load_b64 v[70:71], off, off offset:168
	s_mov_b32 s0, exec_lo
	s_wait_loadcnt 0x0
	ds_store_b64 v1, v[70:71]
	s_wait_storecnt_dscnt 0x0
	s_barrier_signal -1
	s_barrier_wait -1
	s_wait_xcnt 0x0
	v_cmpx_gt_u32_e32 21, v0
	s_cbranch_execz .LBB32_530
; %bb.521:
	v_cmp_ne_u32_e32 vcc_lo, 1, v72
	s_cbranch_vccnz .LBB32_523
; %bb.522:
	scratch_load_b64 v[70:71], v47, off
	ds_load_b64 v[74:75], v1
	s_wait_loadcnt_dscnt 0x0
	v_pk_mul_f32 v[76:77], v[74:75], v[70:71] op_sel:[1,1] op_sel_hi:[0,1]
	s_delay_alu instid0(VALU_DEP_1) | instskip(SKIP_1) | instid1(VALU_DEP_2)
	v_pk_fma_f32 v[78:79], v[74:75], v[70:71], v[76:77] op_sel_hi:[1,0,1]
	v_pk_fma_f32 v[70:71], v[74:75], v[70:71], v[76:77] neg_lo:[0,0,1] neg_hi:[0,0,1]
	v_mov_b32_e32 v71, v79
	s_cbranch_execz .LBB32_524
	s_branch .LBB32_525
.LBB32_523:
                                        ; implicit-def: $vgpr70_vgpr71
.LBB32_524:
	ds_load_b64 v[70:71], v1
.LBB32_525:
	s_mov_b32 s2, exec_lo
	v_cmpx_ne_u32_e32 20, v0
	s_cbranch_execz .LBB32_529
; %bb.526:
	v_add_nc_u32_e32 v73, 0x118, v46
	v_add3_u32 v74, 0, v46, 8
	v_mov_b32_e32 v75, v0
	s_mov_b32 s3, 0
.LBB32_527:                             ; =>This Inner Loop Header: Depth=1
	scratch_load_b64 v[76:77], v74, off
	ds_load_b64 v[78:79], v73
	s_wait_xcnt 0x0
	v_dual_add_nc_u32 v73, 8, v73 :: v_dual_add_nc_u32 v74, 8, v74
	s_wait_loadcnt_dscnt 0x0
	v_pk_mul_f32 v[80:81], v[78:79], v[76:77] op_sel:[1,1] op_sel_hi:[0,1]
	s_delay_alu instid0(VALU_DEP_1) | instskip(SKIP_2) | instid1(VALU_DEP_3)
	v_pk_fma_f32 v[82:83], v[78:79], v[76:77], v[80:81] op_sel_hi:[1,0,1]
	v_add_nc_u32_e32 v75, 1, v75
	v_pk_fma_f32 v[76:77], v[78:79], v[76:77], v[80:81] neg_lo:[0,0,1] neg_hi:[0,0,1]
	v_mov_b32_e32 v77, v83
	s_delay_alu instid0(VALU_DEP_3) | instskip(NEXT) | instid1(VALU_DEP_2)
	v_cmp_lt_u32_e32 vcc_lo, 19, v75
	v_pk_add_f32 v[70:71], v[70:71], v[76:77]
	s_or_b32 s3, vcc_lo, s3
	s_delay_alu instid0(SALU_CYCLE_1)
	s_and_not1_b32 exec_lo, exec_lo, s3
	s_cbranch_execnz .LBB32_527
; %bb.528:
	s_or_b32 exec_lo, exec_lo, s3
.LBB32_529:
	s_delay_alu instid0(SALU_CYCLE_1) | instskip(SKIP_4) | instid1(VALU_DEP_1)
	s_or_b32 exec_lo, exec_lo, s2
	v_mov_b32_e32 v73, 0
	ds_load_b64 v[74:75], v73 offset:168
	s_wait_dscnt 0x0
	v_pk_mul_f32 v[76:77], v[70:71], v[74:75] op_sel:[1,1] op_sel_hi:[0,1]
	v_pk_fma_f32 v[78:79], v[70:71], v[74:75], v[76:77] op_sel_hi:[1,0,1]
	v_pk_fma_f32 v[70:71], v[70:71], v[74:75], v[76:77] neg_lo:[0,0,1] neg_hi:[0,0,1]
	s_delay_alu instid0(VALU_DEP_2)
	v_mov_b32_e32 v71, v79
	scratch_store_b64 off, v[70:71], off offset:168
.LBB32_530:
	s_wait_xcnt 0x0
	s_or_b32 exec_lo, exec_lo, s0
	scratch_load_b64 v[70:71], off, off offset:176
	s_mov_b32 s0, exec_lo
	s_wait_loadcnt 0x0
	ds_store_b64 v1, v[70:71]
	s_wait_storecnt_dscnt 0x0
	s_barrier_signal -1
	s_barrier_wait -1
	s_wait_xcnt 0x0
	v_cmpx_gt_u32_e32 22, v0
	s_cbranch_execz .LBB32_540
; %bb.531:
	v_cmp_ne_u32_e32 vcc_lo, 1, v72
	s_cbranch_vccnz .LBB32_533
; %bb.532:
	scratch_load_b64 v[70:71], v47, off
	ds_load_b64 v[74:75], v1
	s_wait_loadcnt_dscnt 0x0
	v_pk_mul_f32 v[76:77], v[74:75], v[70:71] op_sel:[1,1] op_sel_hi:[0,1]
	s_delay_alu instid0(VALU_DEP_1) | instskip(SKIP_1) | instid1(VALU_DEP_2)
	v_pk_fma_f32 v[78:79], v[74:75], v[70:71], v[76:77] op_sel_hi:[1,0,1]
	v_pk_fma_f32 v[70:71], v[74:75], v[70:71], v[76:77] neg_lo:[0,0,1] neg_hi:[0,0,1]
	v_mov_b32_e32 v71, v79
	s_cbranch_execz .LBB32_534
	s_branch .LBB32_535
.LBB32_533:
                                        ; implicit-def: $vgpr70_vgpr71
.LBB32_534:
	ds_load_b64 v[70:71], v1
.LBB32_535:
	s_mov_b32 s2, exec_lo
	v_cmpx_ne_u32_e32 21, v0
	s_cbranch_execz .LBB32_539
; %bb.536:
	v_add_nc_u32_e32 v73, 0x118, v46
	v_add3_u32 v74, 0, v46, 8
	v_mov_b32_e32 v75, v0
	s_mov_b32 s3, 0
.LBB32_537:                             ; =>This Inner Loop Header: Depth=1
	scratch_load_b64 v[76:77], v74, off
	ds_load_b64 v[78:79], v73
	s_wait_xcnt 0x0
	v_dual_add_nc_u32 v73, 8, v73 :: v_dual_add_nc_u32 v74, 8, v74
	s_wait_loadcnt_dscnt 0x0
	v_pk_mul_f32 v[80:81], v[78:79], v[76:77] op_sel:[1,1] op_sel_hi:[0,1]
	s_delay_alu instid0(VALU_DEP_1) | instskip(SKIP_2) | instid1(VALU_DEP_3)
	v_pk_fma_f32 v[82:83], v[78:79], v[76:77], v[80:81] op_sel_hi:[1,0,1]
	v_add_nc_u32_e32 v75, 1, v75
	v_pk_fma_f32 v[76:77], v[78:79], v[76:77], v[80:81] neg_lo:[0,0,1] neg_hi:[0,0,1]
	v_mov_b32_e32 v77, v83
	s_delay_alu instid0(VALU_DEP_3) | instskip(NEXT) | instid1(VALU_DEP_2)
	v_cmp_lt_u32_e32 vcc_lo, 20, v75
	v_pk_add_f32 v[70:71], v[70:71], v[76:77]
	s_or_b32 s3, vcc_lo, s3
	s_delay_alu instid0(SALU_CYCLE_1)
	s_and_not1_b32 exec_lo, exec_lo, s3
	s_cbranch_execnz .LBB32_537
; %bb.538:
	s_or_b32 exec_lo, exec_lo, s3
.LBB32_539:
	s_delay_alu instid0(SALU_CYCLE_1) | instskip(SKIP_4) | instid1(VALU_DEP_1)
	s_or_b32 exec_lo, exec_lo, s2
	v_mov_b32_e32 v73, 0
	ds_load_b64 v[74:75], v73 offset:176
	s_wait_dscnt 0x0
	v_pk_mul_f32 v[76:77], v[70:71], v[74:75] op_sel:[1,1] op_sel_hi:[0,1]
	v_pk_fma_f32 v[78:79], v[70:71], v[74:75], v[76:77] op_sel_hi:[1,0,1]
	v_pk_fma_f32 v[70:71], v[70:71], v[74:75], v[76:77] neg_lo:[0,0,1] neg_hi:[0,0,1]
	s_delay_alu instid0(VALU_DEP_2)
	v_mov_b32_e32 v71, v79
	scratch_store_b64 off, v[70:71], off offset:176
.LBB32_540:
	s_wait_xcnt 0x0
	s_or_b32 exec_lo, exec_lo, s0
	scratch_load_b64 v[70:71], off, off offset:184
	s_mov_b32 s0, exec_lo
	s_wait_loadcnt 0x0
	ds_store_b64 v1, v[70:71]
	s_wait_storecnt_dscnt 0x0
	s_barrier_signal -1
	s_barrier_wait -1
	s_wait_xcnt 0x0
	v_cmpx_gt_u32_e32 23, v0
	s_cbranch_execz .LBB32_550
; %bb.541:
	v_cmp_ne_u32_e32 vcc_lo, 1, v72
	s_cbranch_vccnz .LBB32_543
; %bb.542:
	scratch_load_b64 v[70:71], v47, off
	ds_load_b64 v[74:75], v1
	s_wait_loadcnt_dscnt 0x0
	v_pk_mul_f32 v[76:77], v[74:75], v[70:71] op_sel:[1,1] op_sel_hi:[0,1]
	s_delay_alu instid0(VALU_DEP_1) | instskip(SKIP_1) | instid1(VALU_DEP_2)
	v_pk_fma_f32 v[78:79], v[74:75], v[70:71], v[76:77] op_sel_hi:[1,0,1]
	v_pk_fma_f32 v[70:71], v[74:75], v[70:71], v[76:77] neg_lo:[0,0,1] neg_hi:[0,0,1]
	v_mov_b32_e32 v71, v79
	s_cbranch_execz .LBB32_544
	s_branch .LBB32_545
.LBB32_543:
                                        ; implicit-def: $vgpr70_vgpr71
.LBB32_544:
	ds_load_b64 v[70:71], v1
.LBB32_545:
	s_mov_b32 s2, exec_lo
	v_cmpx_ne_u32_e32 22, v0
	s_cbranch_execz .LBB32_549
; %bb.546:
	v_add_nc_u32_e32 v73, 0x118, v46
	v_add3_u32 v74, 0, v46, 8
	v_mov_b32_e32 v75, v0
	s_mov_b32 s3, 0
.LBB32_547:                             ; =>This Inner Loop Header: Depth=1
	scratch_load_b64 v[76:77], v74, off
	ds_load_b64 v[78:79], v73
	s_wait_xcnt 0x0
	v_dual_add_nc_u32 v73, 8, v73 :: v_dual_add_nc_u32 v74, 8, v74
	s_wait_loadcnt_dscnt 0x0
	v_pk_mul_f32 v[80:81], v[78:79], v[76:77] op_sel:[1,1] op_sel_hi:[0,1]
	s_delay_alu instid0(VALU_DEP_1) | instskip(SKIP_2) | instid1(VALU_DEP_3)
	v_pk_fma_f32 v[82:83], v[78:79], v[76:77], v[80:81] op_sel_hi:[1,0,1]
	v_add_nc_u32_e32 v75, 1, v75
	v_pk_fma_f32 v[76:77], v[78:79], v[76:77], v[80:81] neg_lo:[0,0,1] neg_hi:[0,0,1]
	v_mov_b32_e32 v77, v83
	s_delay_alu instid0(VALU_DEP_3) | instskip(NEXT) | instid1(VALU_DEP_2)
	v_cmp_lt_u32_e32 vcc_lo, 21, v75
	v_pk_add_f32 v[70:71], v[70:71], v[76:77]
	s_or_b32 s3, vcc_lo, s3
	s_delay_alu instid0(SALU_CYCLE_1)
	s_and_not1_b32 exec_lo, exec_lo, s3
	s_cbranch_execnz .LBB32_547
; %bb.548:
	s_or_b32 exec_lo, exec_lo, s3
.LBB32_549:
	s_delay_alu instid0(SALU_CYCLE_1) | instskip(SKIP_4) | instid1(VALU_DEP_1)
	s_or_b32 exec_lo, exec_lo, s2
	v_mov_b32_e32 v73, 0
	ds_load_b64 v[74:75], v73 offset:184
	s_wait_dscnt 0x0
	v_pk_mul_f32 v[76:77], v[70:71], v[74:75] op_sel:[1,1] op_sel_hi:[0,1]
	v_pk_fma_f32 v[78:79], v[70:71], v[74:75], v[76:77] op_sel_hi:[1,0,1]
	v_pk_fma_f32 v[70:71], v[70:71], v[74:75], v[76:77] neg_lo:[0,0,1] neg_hi:[0,0,1]
	s_delay_alu instid0(VALU_DEP_2)
	v_mov_b32_e32 v71, v79
	scratch_store_b64 off, v[70:71], off offset:184
.LBB32_550:
	s_wait_xcnt 0x0
	s_or_b32 exec_lo, exec_lo, s0
	scratch_load_b64 v[70:71], off, off offset:192
	s_mov_b32 s0, exec_lo
	s_wait_loadcnt 0x0
	ds_store_b64 v1, v[70:71]
	s_wait_storecnt_dscnt 0x0
	s_barrier_signal -1
	s_barrier_wait -1
	s_wait_xcnt 0x0
	v_cmpx_gt_u32_e32 24, v0
	s_cbranch_execz .LBB32_560
; %bb.551:
	v_cmp_ne_u32_e32 vcc_lo, 1, v72
	s_cbranch_vccnz .LBB32_553
; %bb.552:
	scratch_load_b64 v[70:71], v47, off
	ds_load_b64 v[74:75], v1
	s_wait_loadcnt_dscnt 0x0
	v_pk_mul_f32 v[76:77], v[74:75], v[70:71] op_sel:[1,1] op_sel_hi:[0,1]
	s_delay_alu instid0(VALU_DEP_1) | instskip(SKIP_1) | instid1(VALU_DEP_2)
	v_pk_fma_f32 v[78:79], v[74:75], v[70:71], v[76:77] op_sel_hi:[1,0,1]
	v_pk_fma_f32 v[70:71], v[74:75], v[70:71], v[76:77] neg_lo:[0,0,1] neg_hi:[0,0,1]
	v_mov_b32_e32 v71, v79
	s_cbranch_execz .LBB32_554
	s_branch .LBB32_555
.LBB32_553:
                                        ; implicit-def: $vgpr70_vgpr71
.LBB32_554:
	ds_load_b64 v[70:71], v1
.LBB32_555:
	s_mov_b32 s2, exec_lo
	v_cmpx_ne_u32_e32 23, v0
	s_cbranch_execz .LBB32_559
; %bb.556:
	v_add_nc_u32_e32 v73, 0x118, v46
	v_add3_u32 v74, 0, v46, 8
	v_mov_b32_e32 v75, v0
	s_mov_b32 s3, 0
.LBB32_557:                             ; =>This Inner Loop Header: Depth=1
	scratch_load_b64 v[76:77], v74, off
	ds_load_b64 v[78:79], v73
	s_wait_xcnt 0x0
	v_dual_add_nc_u32 v73, 8, v73 :: v_dual_add_nc_u32 v74, 8, v74
	s_wait_loadcnt_dscnt 0x0
	v_pk_mul_f32 v[80:81], v[78:79], v[76:77] op_sel:[1,1] op_sel_hi:[0,1]
	s_delay_alu instid0(VALU_DEP_1) | instskip(SKIP_2) | instid1(VALU_DEP_3)
	v_pk_fma_f32 v[82:83], v[78:79], v[76:77], v[80:81] op_sel_hi:[1,0,1]
	v_add_nc_u32_e32 v75, 1, v75
	v_pk_fma_f32 v[76:77], v[78:79], v[76:77], v[80:81] neg_lo:[0,0,1] neg_hi:[0,0,1]
	v_mov_b32_e32 v77, v83
	s_delay_alu instid0(VALU_DEP_3) | instskip(NEXT) | instid1(VALU_DEP_2)
	v_cmp_lt_u32_e32 vcc_lo, 22, v75
	v_pk_add_f32 v[70:71], v[70:71], v[76:77]
	s_or_b32 s3, vcc_lo, s3
	s_delay_alu instid0(SALU_CYCLE_1)
	s_and_not1_b32 exec_lo, exec_lo, s3
	s_cbranch_execnz .LBB32_557
; %bb.558:
	s_or_b32 exec_lo, exec_lo, s3
.LBB32_559:
	s_delay_alu instid0(SALU_CYCLE_1) | instskip(SKIP_4) | instid1(VALU_DEP_1)
	s_or_b32 exec_lo, exec_lo, s2
	v_mov_b32_e32 v73, 0
	ds_load_b64 v[74:75], v73 offset:192
	s_wait_dscnt 0x0
	v_pk_mul_f32 v[76:77], v[70:71], v[74:75] op_sel:[1,1] op_sel_hi:[0,1]
	v_pk_fma_f32 v[78:79], v[70:71], v[74:75], v[76:77] op_sel_hi:[1,0,1]
	v_pk_fma_f32 v[70:71], v[70:71], v[74:75], v[76:77] neg_lo:[0,0,1] neg_hi:[0,0,1]
	s_delay_alu instid0(VALU_DEP_2)
	v_mov_b32_e32 v71, v79
	scratch_store_b64 off, v[70:71], off offset:192
.LBB32_560:
	s_wait_xcnt 0x0
	s_or_b32 exec_lo, exec_lo, s0
	scratch_load_b64 v[70:71], off, off offset:200
	s_mov_b32 s0, exec_lo
	s_wait_loadcnt 0x0
	ds_store_b64 v1, v[70:71]
	s_wait_storecnt_dscnt 0x0
	s_barrier_signal -1
	s_barrier_wait -1
	s_wait_xcnt 0x0
	v_cmpx_gt_u32_e32 25, v0
	s_cbranch_execz .LBB32_570
; %bb.561:
	v_cmp_ne_u32_e32 vcc_lo, 1, v72
	s_cbranch_vccnz .LBB32_563
; %bb.562:
	scratch_load_b64 v[70:71], v47, off
	ds_load_b64 v[74:75], v1
	s_wait_loadcnt_dscnt 0x0
	v_pk_mul_f32 v[76:77], v[74:75], v[70:71] op_sel:[1,1] op_sel_hi:[0,1]
	s_delay_alu instid0(VALU_DEP_1) | instskip(SKIP_1) | instid1(VALU_DEP_2)
	v_pk_fma_f32 v[78:79], v[74:75], v[70:71], v[76:77] op_sel_hi:[1,0,1]
	v_pk_fma_f32 v[70:71], v[74:75], v[70:71], v[76:77] neg_lo:[0,0,1] neg_hi:[0,0,1]
	v_mov_b32_e32 v71, v79
	s_cbranch_execz .LBB32_564
	s_branch .LBB32_565
.LBB32_563:
                                        ; implicit-def: $vgpr70_vgpr71
.LBB32_564:
	ds_load_b64 v[70:71], v1
.LBB32_565:
	s_mov_b32 s2, exec_lo
	v_cmpx_ne_u32_e32 24, v0
	s_cbranch_execz .LBB32_569
; %bb.566:
	v_add_nc_u32_e32 v73, 0x118, v46
	v_add3_u32 v74, 0, v46, 8
	v_mov_b32_e32 v75, v0
	s_mov_b32 s3, 0
.LBB32_567:                             ; =>This Inner Loop Header: Depth=1
	scratch_load_b64 v[76:77], v74, off
	ds_load_b64 v[78:79], v73
	s_wait_xcnt 0x0
	v_dual_add_nc_u32 v73, 8, v73 :: v_dual_add_nc_u32 v74, 8, v74
	s_wait_loadcnt_dscnt 0x0
	v_pk_mul_f32 v[80:81], v[78:79], v[76:77] op_sel:[1,1] op_sel_hi:[0,1]
	s_delay_alu instid0(VALU_DEP_1) | instskip(SKIP_2) | instid1(VALU_DEP_3)
	v_pk_fma_f32 v[82:83], v[78:79], v[76:77], v[80:81] op_sel_hi:[1,0,1]
	v_add_nc_u32_e32 v75, 1, v75
	v_pk_fma_f32 v[76:77], v[78:79], v[76:77], v[80:81] neg_lo:[0,0,1] neg_hi:[0,0,1]
	v_mov_b32_e32 v77, v83
	s_delay_alu instid0(VALU_DEP_3) | instskip(NEXT) | instid1(VALU_DEP_2)
	v_cmp_lt_u32_e32 vcc_lo, 23, v75
	v_pk_add_f32 v[70:71], v[70:71], v[76:77]
	s_or_b32 s3, vcc_lo, s3
	s_delay_alu instid0(SALU_CYCLE_1)
	s_and_not1_b32 exec_lo, exec_lo, s3
	s_cbranch_execnz .LBB32_567
; %bb.568:
	s_or_b32 exec_lo, exec_lo, s3
.LBB32_569:
	s_delay_alu instid0(SALU_CYCLE_1) | instskip(SKIP_4) | instid1(VALU_DEP_1)
	s_or_b32 exec_lo, exec_lo, s2
	v_mov_b32_e32 v73, 0
	ds_load_b64 v[74:75], v73 offset:200
	s_wait_dscnt 0x0
	v_pk_mul_f32 v[76:77], v[70:71], v[74:75] op_sel:[1,1] op_sel_hi:[0,1]
	v_pk_fma_f32 v[78:79], v[70:71], v[74:75], v[76:77] op_sel_hi:[1,0,1]
	v_pk_fma_f32 v[70:71], v[70:71], v[74:75], v[76:77] neg_lo:[0,0,1] neg_hi:[0,0,1]
	s_delay_alu instid0(VALU_DEP_2)
	v_mov_b32_e32 v71, v79
	scratch_store_b64 off, v[70:71], off offset:200
.LBB32_570:
	s_wait_xcnt 0x0
	s_or_b32 exec_lo, exec_lo, s0
	scratch_load_b64 v[70:71], off, off offset:208
	s_mov_b32 s0, exec_lo
	s_wait_loadcnt 0x0
	ds_store_b64 v1, v[70:71]
	s_wait_storecnt_dscnt 0x0
	s_barrier_signal -1
	s_barrier_wait -1
	s_wait_xcnt 0x0
	v_cmpx_gt_u32_e32 26, v0
	s_cbranch_execz .LBB32_580
; %bb.571:
	v_cmp_ne_u32_e32 vcc_lo, 1, v72
	s_cbranch_vccnz .LBB32_573
; %bb.572:
	scratch_load_b64 v[70:71], v47, off
	ds_load_b64 v[74:75], v1
	s_wait_loadcnt_dscnt 0x0
	v_pk_mul_f32 v[76:77], v[74:75], v[70:71] op_sel:[1,1] op_sel_hi:[0,1]
	s_delay_alu instid0(VALU_DEP_1) | instskip(SKIP_1) | instid1(VALU_DEP_2)
	v_pk_fma_f32 v[78:79], v[74:75], v[70:71], v[76:77] op_sel_hi:[1,0,1]
	v_pk_fma_f32 v[70:71], v[74:75], v[70:71], v[76:77] neg_lo:[0,0,1] neg_hi:[0,0,1]
	v_mov_b32_e32 v71, v79
	s_cbranch_execz .LBB32_574
	s_branch .LBB32_575
.LBB32_573:
                                        ; implicit-def: $vgpr70_vgpr71
.LBB32_574:
	ds_load_b64 v[70:71], v1
.LBB32_575:
	s_mov_b32 s2, exec_lo
	v_cmpx_ne_u32_e32 25, v0
	s_cbranch_execz .LBB32_579
; %bb.576:
	v_add_nc_u32_e32 v73, 0x118, v46
	v_add3_u32 v74, 0, v46, 8
	v_mov_b32_e32 v75, v0
	s_mov_b32 s3, 0
.LBB32_577:                             ; =>This Inner Loop Header: Depth=1
	scratch_load_b64 v[76:77], v74, off
	ds_load_b64 v[78:79], v73
	s_wait_xcnt 0x0
	v_dual_add_nc_u32 v73, 8, v73 :: v_dual_add_nc_u32 v74, 8, v74
	s_wait_loadcnt_dscnt 0x0
	v_pk_mul_f32 v[80:81], v[78:79], v[76:77] op_sel:[1,1] op_sel_hi:[0,1]
	s_delay_alu instid0(VALU_DEP_1) | instskip(SKIP_2) | instid1(VALU_DEP_3)
	v_pk_fma_f32 v[82:83], v[78:79], v[76:77], v[80:81] op_sel_hi:[1,0,1]
	v_add_nc_u32_e32 v75, 1, v75
	v_pk_fma_f32 v[76:77], v[78:79], v[76:77], v[80:81] neg_lo:[0,0,1] neg_hi:[0,0,1]
	v_mov_b32_e32 v77, v83
	s_delay_alu instid0(VALU_DEP_3) | instskip(NEXT) | instid1(VALU_DEP_2)
	v_cmp_lt_u32_e32 vcc_lo, 24, v75
	v_pk_add_f32 v[70:71], v[70:71], v[76:77]
	s_or_b32 s3, vcc_lo, s3
	s_delay_alu instid0(SALU_CYCLE_1)
	s_and_not1_b32 exec_lo, exec_lo, s3
	s_cbranch_execnz .LBB32_577
; %bb.578:
	s_or_b32 exec_lo, exec_lo, s3
.LBB32_579:
	s_delay_alu instid0(SALU_CYCLE_1) | instskip(SKIP_4) | instid1(VALU_DEP_1)
	s_or_b32 exec_lo, exec_lo, s2
	v_mov_b32_e32 v73, 0
	ds_load_b64 v[74:75], v73 offset:208
	s_wait_dscnt 0x0
	v_pk_mul_f32 v[76:77], v[70:71], v[74:75] op_sel:[1,1] op_sel_hi:[0,1]
	v_pk_fma_f32 v[78:79], v[70:71], v[74:75], v[76:77] op_sel_hi:[1,0,1]
	v_pk_fma_f32 v[70:71], v[70:71], v[74:75], v[76:77] neg_lo:[0,0,1] neg_hi:[0,0,1]
	s_delay_alu instid0(VALU_DEP_2)
	v_mov_b32_e32 v71, v79
	scratch_store_b64 off, v[70:71], off offset:208
.LBB32_580:
	s_wait_xcnt 0x0
	s_or_b32 exec_lo, exec_lo, s0
	scratch_load_b64 v[70:71], off, off offset:216
	s_mov_b32 s0, exec_lo
	s_wait_loadcnt 0x0
	ds_store_b64 v1, v[70:71]
	s_wait_storecnt_dscnt 0x0
	s_barrier_signal -1
	s_barrier_wait -1
	s_wait_xcnt 0x0
	v_cmpx_gt_u32_e32 27, v0
	s_cbranch_execz .LBB32_590
; %bb.581:
	v_cmp_ne_u32_e32 vcc_lo, 1, v72
	s_cbranch_vccnz .LBB32_583
; %bb.582:
	scratch_load_b64 v[70:71], v47, off
	ds_load_b64 v[74:75], v1
	s_wait_loadcnt_dscnt 0x0
	v_pk_mul_f32 v[76:77], v[74:75], v[70:71] op_sel:[1,1] op_sel_hi:[0,1]
	s_delay_alu instid0(VALU_DEP_1) | instskip(SKIP_1) | instid1(VALU_DEP_2)
	v_pk_fma_f32 v[78:79], v[74:75], v[70:71], v[76:77] op_sel_hi:[1,0,1]
	v_pk_fma_f32 v[70:71], v[74:75], v[70:71], v[76:77] neg_lo:[0,0,1] neg_hi:[0,0,1]
	v_mov_b32_e32 v71, v79
	s_cbranch_execz .LBB32_584
	s_branch .LBB32_585
.LBB32_583:
                                        ; implicit-def: $vgpr70_vgpr71
.LBB32_584:
	ds_load_b64 v[70:71], v1
.LBB32_585:
	s_mov_b32 s2, exec_lo
	v_cmpx_ne_u32_e32 26, v0
	s_cbranch_execz .LBB32_589
; %bb.586:
	v_add_nc_u32_e32 v73, 0x118, v46
	v_add3_u32 v74, 0, v46, 8
	v_mov_b32_e32 v75, v0
	s_mov_b32 s3, 0
.LBB32_587:                             ; =>This Inner Loop Header: Depth=1
	scratch_load_b64 v[76:77], v74, off
	ds_load_b64 v[78:79], v73
	s_wait_xcnt 0x0
	v_dual_add_nc_u32 v73, 8, v73 :: v_dual_add_nc_u32 v74, 8, v74
	s_wait_loadcnt_dscnt 0x0
	v_pk_mul_f32 v[80:81], v[78:79], v[76:77] op_sel:[1,1] op_sel_hi:[0,1]
	s_delay_alu instid0(VALU_DEP_1) | instskip(SKIP_2) | instid1(VALU_DEP_3)
	v_pk_fma_f32 v[82:83], v[78:79], v[76:77], v[80:81] op_sel_hi:[1,0,1]
	v_add_nc_u32_e32 v75, 1, v75
	v_pk_fma_f32 v[76:77], v[78:79], v[76:77], v[80:81] neg_lo:[0,0,1] neg_hi:[0,0,1]
	v_mov_b32_e32 v77, v83
	s_delay_alu instid0(VALU_DEP_3) | instskip(NEXT) | instid1(VALU_DEP_2)
	v_cmp_lt_u32_e32 vcc_lo, 25, v75
	v_pk_add_f32 v[70:71], v[70:71], v[76:77]
	s_or_b32 s3, vcc_lo, s3
	s_delay_alu instid0(SALU_CYCLE_1)
	s_and_not1_b32 exec_lo, exec_lo, s3
	s_cbranch_execnz .LBB32_587
; %bb.588:
	s_or_b32 exec_lo, exec_lo, s3
.LBB32_589:
	s_delay_alu instid0(SALU_CYCLE_1) | instskip(SKIP_4) | instid1(VALU_DEP_1)
	s_or_b32 exec_lo, exec_lo, s2
	v_mov_b32_e32 v73, 0
	ds_load_b64 v[74:75], v73 offset:216
	s_wait_dscnt 0x0
	v_pk_mul_f32 v[76:77], v[70:71], v[74:75] op_sel:[1,1] op_sel_hi:[0,1]
	v_pk_fma_f32 v[78:79], v[70:71], v[74:75], v[76:77] op_sel_hi:[1,0,1]
	v_pk_fma_f32 v[70:71], v[70:71], v[74:75], v[76:77] neg_lo:[0,0,1] neg_hi:[0,0,1]
	s_delay_alu instid0(VALU_DEP_2)
	v_mov_b32_e32 v71, v79
	scratch_store_b64 off, v[70:71], off offset:216
.LBB32_590:
	s_wait_xcnt 0x0
	s_or_b32 exec_lo, exec_lo, s0
	scratch_load_b64 v[70:71], off, off offset:224
	s_mov_b32 s0, exec_lo
	s_wait_loadcnt 0x0
	ds_store_b64 v1, v[70:71]
	s_wait_storecnt_dscnt 0x0
	s_barrier_signal -1
	s_barrier_wait -1
	s_wait_xcnt 0x0
	v_cmpx_gt_u32_e32 28, v0
	s_cbranch_execz .LBB32_600
; %bb.591:
	v_cmp_ne_u32_e32 vcc_lo, 1, v72
	s_cbranch_vccnz .LBB32_593
; %bb.592:
	scratch_load_b64 v[70:71], v47, off
	ds_load_b64 v[74:75], v1
	s_wait_loadcnt_dscnt 0x0
	v_pk_mul_f32 v[76:77], v[74:75], v[70:71] op_sel:[1,1] op_sel_hi:[0,1]
	s_delay_alu instid0(VALU_DEP_1) | instskip(SKIP_1) | instid1(VALU_DEP_2)
	v_pk_fma_f32 v[78:79], v[74:75], v[70:71], v[76:77] op_sel_hi:[1,0,1]
	v_pk_fma_f32 v[70:71], v[74:75], v[70:71], v[76:77] neg_lo:[0,0,1] neg_hi:[0,0,1]
	v_mov_b32_e32 v71, v79
	s_cbranch_execz .LBB32_594
	s_branch .LBB32_595
.LBB32_593:
                                        ; implicit-def: $vgpr70_vgpr71
.LBB32_594:
	ds_load_b64 v[70:71], v1
.LBB32_595:
	s_mov_b32 s2, exec_lo
	v_cmpx_ne_u32_e32 27, v0
	s_cbranch_execz .LBB32_599
; %bb.596:
	v_add_nc_u32_e32 v73, 0x118, v46
	v_add3_u32 v74, 0, v46, 8
	v_mov_b32_e32 v75, v0
	s_mov_b32 s3, 0
.LBB32_597:                             ; =>This Inner Loop Header: Depth=1
	scratch_load_b64 v[76:77], v74, off
	ds_load_b64 v[78:79], v73
	s_wait_xcnt 0x0
	v_dual_add_nc_u32 v73, 8, v73 :: v_dual_add_nc_u32 v74, 8, v74
	s_wait_loadcnt_dscnt 0x0
	v_pk_mul_f32 v[80:81], v[78:79], v[76:77] op_sel:[1,1] op_sel_hi:[0,1]
	s_delay_alu instid0(VALU_DEP_1) | instskip(SKIP_2) | instid1(VALU_DEP_3)
	v_pk_fma_f32 v[82:83], v[78:79], v[76:77], v[80:81] op_sel_hi:[1,0,1]
	v_add_nc_u32_e32 v75, 1, v75
	v_pk_fma_f32 v[76:77], v[78:79], v[76:77], v[80:81] neg_lo:[0,0,1] neg_hi:[0,0,1]
	v_mov_b32_e32 v77, v83
	s_delay_alu instid0(VALU_DEP_3) | instskip(NEXT) | instid1(VALU_DEP_2)
	v_cmp_lt_u32_e32 vcc_lo, 26, v75
	v_pk_add_f32 v[70:71], v[70:71], v[76:77]
	s_or_b32 s3, vcc_lo, s3
	s_delay_alu instid0(SALU_CYCLE_1)
	s_and_not1_b32 exec_lo, exec_lo, s3
	s_cbranch_execnz .LBB32_597
; %bb.598:
	s_or_b32 exec_lo, exec_lo, s3
.LBB32_599:
	s_delay_alu instid0(SALU_CYCLE_1) | instskip(SKIP_4) | instid1(VALU_DEP_1)
	s_or_b32 exec_lo, exec_lo, s2
	v_mov_b32_e32 v73, 0
	ds_load_b64 v[74:75], v73 offset:224
	s_wait_dscnt 0x0
	v_pk_mul_f32 v[76:77], v[70:71], v[74:75] op_sel:[1,1] op_sel_hi:[0,1]
	v_pk_fma_f32 v[78:79], v[70:71], v[74:75], v[76:77] op_sel_hi:[1,0,1]
	v_pk_fma_f32 v[70:71], v[70:71], v[74:75], v[76:77] neg_lo:[0,0,1] neg_hi:[0,0,1]
	s_delay_alu instid0(VALU_DEP_2)
	v_mov_b32_e32 v71, v79
	scratch_store_b64 off, v[70:71], off offset:224
.LBB32_600:
	s_wait_xcnt 0x0
	s_or_b32 exec_lo, exec_lo, s0
	scratch_load_b64 v[70:71], off, off offset:232
	s_mov_b32 s0, exec_lo
	s_wait_loadcnt 0x0
	ds_store_b64 v1, v[70:71]
	s_wait_storecnt_dscnt 0x0
	s_barrier_signal -1
	s_barrier_wait -1
	s_wait_xcnt 0x0
	v_cmpx_gt_u32_e32 29, v0
	s_cbranch_execz .LBB32_610
; %bb.601:
	v_cmp_ne_u32_e32 vcc_lo, 1, v72
	s_cbranch_vccnz .LBB32_603
; %bb.602:
	scratch_load_b64 v[70:71], v47, off
	ds_load_b64 v[74:75], v1
	s_wait_loadcnt_dscnt 0x0
	v_pk_mul_f32 v[76:77], v[74:75], v[70:71] op_sel:[1,1] op_sel_hi:[0,1]
	s_delay_alu instid0(VALU_DEP_1) | instskip(SKIP_1) | instid1(VALU_DEP_2)
	v_pk_fma_f32 v[78:79], v[74:75], v[70:71], v[76:77] op_sel_hi:[1,0,1]
	v_pk_fma_f32 v[70:71], v[74:75], v[70:71], v[76:77] neg_lo:[0,0,1] neg_hi:[0,0,1]
	v_mov_b32_e32 v71, v79
	s_cbranch_execz .LBB32_604
	s_branch .LBB32_605
.LBB32_603:
                                        ; implicit-def: $vgpr70_vgpr71
.LBB32_604:
	ds_load_b64 v[70:71], v1
.LBB32_605:
	s_mov_b32 s2, exec_lo
	v_cmpx_ne_u32_e32 28, v0
	s_cbranch_execz .LBB32_609
; %bb.606:
	v_add_nc_u32_e32 v73, 0x118, v46
	v_add3_u32 v74, 0, v46, 8
	v_mov_b32_e32 v75, v0
	s_mov_b32 s3, 0
.LBB32_607:                             ; =>This Inner Loop Header: Depth=1
	scratch_load_b64 v[76:77], v74, off
	ds_load_b64 v[78:79], v73
	s_wait_xcnt 0x0
	v_dual_add_nc_u32 v73, 8, v73 :: v_dual_add_nc_u32 v74, 8, v74
	s_wait_loadcnt_dscnt 0x0
	v_pk_mul_f32 v[80:81], v[78:79], v[76:77] op_sel:[1,1] op_sel_hi:[0,1]
	s_delay_alu instid0(VALU_DEP_1) | instskip(SKIP_2) | instid1(VALU_DEP_3)
	v_pk_fma_f32 v[82:83], v[78:79], v[76:77], v[80:81] op_sel_hi:[1,0,1]
	v_add_nc_u32_e32 v75, 1, v75
	v_pk_fma_f32 v[76:77], v[78:79], v[76:77], v[80:81] neg_lo:[0,0,1] neg_hi:[0,0,1]
	v_mov_b32_e32 v77, v83
	s_delay_alu instid0(VALU_DEP_3) | instskip(NEXT) | instid1(VALU_DEP_2)
	v_cmp_lt_u32_e32 vcc_lo, 27, v75
	v_pk_add_f32 v[70:71], v[70:71], v[76:77]
	s_or_b32 s3, vcc_lo, s3
	s_delay_alu instid0(SALU_CYCLE_1)
	s_and_not1_b32 exec_lo, exec_lo, s3
	s_cbranch_execnz .LBB32_607
; %bb.608:
	s_or_b32 exec_lo, exec_lo, s3
.LBB32_609:
	s_delay_alu instid0(SALU_CYCLE_1) | instskip(SKIP_4) | instid1(VALU_DEP_1)
	s_or_b32 exec_lo, exec_lo, s2
	v_mov_b32_e32 v73, 0
	ds_load_b64 v[74:75], v73 offset:232
	s_wait_dscnt 0x0
	v_pk_mul_f32 v[76:77], v[70:71], v[74:75] op_sel:[1,1] op_sel_hi:[0,1]
	v_pk_fma_f32 v[78:79], v[70:71], v[74:75], v[76:77] op_sel_hi:[1,0,1]
	v_pk_fma_f32 v[70:71], v[70:71], v[74:75], v[76:77] neg_lo:[0,0,1] neg_hi:[0,0,1]
	s_delay_alu instid0(VALU_DEP_2)
	v_mov_b32_e32 v71, v79
	scratch_store_b64 off, v[70:71], off offset:232
.LBB32_610:
	s_wait_xcnt 0x0
	s_or_b32 exec_lo, exec_lo, s0
	scratch_load_b64 v[70:71], off, off offset:240
	s_mov_b32 s0, exec_lo
	s_wait_loadcnt 0x0
	ds_store_b64 v1, v[70:71]
	s_wait_storecnt_dscnt 0x0
	s_barrier_signal -1
	s_barrier_wait -1
	s_wait_xcnt 0x0
	v_cmpx_gt_u32_e32 30, v0
	s_cbranch_execz .LBB32_620
; %bb.611:
	v_cmp_ne_u32_e32 vcc_lo, 1, v72
	s_cbranch_vccnz .LBB32_613
; %bb.612:
	scratch_load_b64 v[70:71], v47, off
	ds_load_b64 v[74:75], v1
	s_wait_loadcnt_dscnt 0x0
	v_pk_mul_f32 v[76:77], v[74:75], v[70:71] op_sel:[1,1] op_sel_hi:[0,1]
	s_delay_alu instid0(VALU_DEP_1) | instskip(SKIP_1) | instid1(VALU_DEP_2)
	v_pk_fma_f32 v[78:79], v[74:75], v[70:71], v[76:77] op_sel_hi:[1,0,1]
	v_pk_fma_f32 v[70:71], v[74:75], v[70:71], v[76:77] neg_lo:[0,0,1] neg_hi:[0,0,1]
	v_mov_b32_e32 v71, v79
	s_cbranch_execz .LBB32_614
	s_branch .LBB32_615
.LBB32_613:
                                        ; implicit-def: $vgpr70_vgpr71
.LBB32_614:
	ds_load_b64 v[70:71], v1
.LBB32_615:
	s_mov_b32 s2, exec_lo
	v_cmpx_ne_u32_e32 29, v0
	s_cbranch_execz .LBB32_619
; %bb.616:
	v_add_nc_u32_e32 v73, 0x118, v46
	v_add3_u32 v74, 0, v46, 8
	v_mov_b32_e32 v75, v0
	s_mov_b32 s3, 0
.LBB32_617:                             ; =>This Inner Loop Header: Depth=1
	scratch_load_b64 v[76:77], v74, off
	ds_load_b64 v[78:79], v73
	s_wait_xcnt 0x0
	v_dual_add_nc_u32 v73, 8, v73 :: v_dual_add_nc_u32 v74, 8, v74
	s_wait_loadcnt_dscnt 0x0
	v_pk_mul_f32 v[80:81], v[78:79], v[76:77] op_sel:[1,1] op_sel_hi:[0,1]
	s_delay_alu instid0(VALU_DEP_1) | instskip(SKIP_2) | instid1(VALU_DEP_3)
	v_pk_fma_f32 v[82:83], v[78:79], v[76:77], v[80:81] op_sel_hi:[1,0,1]
	v_add_nc_u32_e32 v75, 1, v75
	v_pk_fma_f32 v[76:77], v[78:79], v[76:77], v[80:81] neg_lo:[0,0,1] neg_hi:[0,0,1]
	v_mov_b32_e32 v77, v83
	s_delay_alu instid0(VALU_DEP_3) | instskip(NEXT) | instid1(VALU_DEP_2)
	v_cmp_lt_u32_e32 vcc_lo, 28, v75
	v_pk_add_f32 v[70:71], v[70:71], v[76:77]
	s_or_b32 s3, vcc_lo, s3
	s_delay_alu instid0(SALU_CYCLE_1)
	s_and_not1_b32 exec_lo, exec_lo, s3
	s_cbranch_execnz .LBB32_617
; %bb.618:
	s_or_b32 exec_lo, exec_lo, s3
.LBB32_619:
	s_delay_alu instid0(SALU_CYCLE_1) | instskip(SKIP_4) | instid1(VALU_DEP_1)
	s_or_b32 exec_lo, exec_lo, s2
	v_mov_b32_e32 v73, 0
	ds_load_b64 v[74:75], v73 offset:240
	s_wait_dscnt 0x0
	v_pk_mul_f32 v[76:77], v[70:71], v[74:75] op_sel:[1,1] op_sel_hi:[0,1]
	v_pk_fma_f32 v[78:79], v[70:71], v[74:75], v[76:77] op_sel_hi:[1,0,1]
	v_pk_fma_f32 v[70:71], v[70:71], v[74:75], v[76:77] neg_lo:[0,0,1] neg_hi:[0,0,1]
	s_delay_alu instid0(VALU_DEP_2)
	v_mov_b32_e32 v71, v79
	scratch_store_b64 off, v[70:71], off offset:240
.LBB32_620:
	s_wait_xcnt 0x0
	s_or_b32 exec_lo, exec_lo, s0
	scratch_load_b64 v[70:71], off, off offset:248
	v_cmp_gt_u32_e64 s0, 31, v0
	s_wait_loadcnt 0x0
	ds_store_b64 v1, v[70:71]
	s_wait_storecnt_dscnt 0x0
	s_barrier_signal -1
	s_barrier_wait -1
	s_wait_xcnt 0x0
	s_and_saveexec_b32 s2, s0
	s_cbranch_execz .LBB32_630
; %bb.621:
	v_cmp_ne_u32_e32 vcc_lo, 1, v72
	s_cbranch_vccnz .LBB32_623
; %bb.622:
	scratch_load_b64 v[70:71], v47, off
	ds_load_b64 v[74:75], v1
	s_wait_loadcnt_dscnt 0x0
	v_pk_mul_f32 v[76:77], v[74:75], v[70:71] op_sel:[1,1] op_sel_hi:[0,1]
	s_delay_alu instid0(VALU_DEP_1) | instskip(SKIP_1) | instid1(VALU_DEP_2)
	v_pk_fma_f32 v[78:79], v[74:75], v[70:71], v[76:77] op_sel_hi:[1,0,1]
	v_pk_fma_f32 v[70:71], v[74:75], v[70:71], v[76:77] neg_lo:[0,0,1] neg_hi:[0,0,1]
	v_mov_b32_e32 v71, v79
	s_cbranch_execz .LBB32_624
	s_branch .LBB32_625
.LBB32_623:
                                        ; implicit-def: $vgpr70_vgpr71
.LBB32_624:
	ds_load_b64 v[70:71], v1
.LBB32_625:
	s_mov_b32 s3, exec_lo
	v_cmpx_ne_u32_e32 30, v0
	s_cbranch_execz .LBB32_629
; %bb.626:
	v_add_nc_u32_e32 v73, 0x118, v46
	v_add3_u32 v74, 0, v46, 8
	v_mov_b32_e32 v75, v0
	s_mov_b32 s4, 0
.LBB32_627:                             ; =>This Inner Loop Header: Depth=1
	scratch_load_b64 v[76:77], v74, off
	ds_load_b64 v[78:79], v73
	s_wait_xcnt 0x0
	v_dual_add_nc_u32 v73, 8, v73 :: v_dual_add_nc_u32 v74, 8, v74
	s_wait_loadcnt_dscnt 0x0
	v_pk_mul_f32 v[80:81], v[78:79], v[76:77] op_sel:[1,1] op_sel_hi:[0,1]
	s_delay_alu instid0(VALU_DEP_1) | instskip(SKIP_2) | instid1(VALU_DEP_3)
	v_pk_fma_f32 v[82:83], v[78:79], v[76:77], v[80:81] op_sel_hi:[1,0,1]
	v_add_nc_u32_e32 v75, 1, v75
	v_pk_fma_f32 v[76:77], v[78:79], v[76:77], v[80:81] neg_lo:[0,0,1] neg_hi:[0,0,1]
	v_mov_b32_e32 v77, v83
	s_delay_alu instid0(VALU_DEP_3) | instskip(NEXT) | instid1(VALU_DEP_2)
	v_cmp_lt_u32_e32 vcc_lo, 29, v75
	v_pk_add_f32 v[70:71], v[70:71], v[76:77]
	s_or_b32 s4, vcc_lo, s4
	s_delay_alu instid0(SALU_CYCLE_1)
	s_and_not1_b32 exec_lo, exec_lo, s4
	s_cbranch_execnz .LBB32_627
; %bb.628:
	s_or_b32 exec_lo, exec_lo, s4
.LBB32_629:
	s_delay_alu instid0(SALU_CYCLE_1) | instskip(SKIP_4) | instid1(VALU_DEP_1)
	s_or_b32 exec_lo, exec_lo, s3
	v_mov_b32_e32 v73, 0
	ds_load_b64 v[74:75], v73 offset:248
	s_wait_dscnt 0x0
	v_pk_mul_f32 v[76:77], v[70:71], v[74:75] op_sel:[1,1] op_sel_hi:[0,1]
	v_pk_fma_f32 v[78:79], v[70:71], v[74:75], v[76:77] op_sel_hi:[1,0,1]
	v_pk_fma_f32 v[70:71], v[70:71], v[74:75], v[76:77] neg_lo:[0,0,1] neg_hi:[0,0,1]
	s_delay_alu instid0(VALU_DEP_2)
	v_mov_b32_e32 v71, v79
	scratch_store_b64 off, v[70:71], off offset:248
.LBB32_630:
	s_wait_xcnt 0x0
	s_or_b32 exec_lo, exec_lo, s2
	scratch_load_b64 v[70:71], off, off offset:256
	s_mov_b32 s2, exec_lo
                                        ; implicit-def: $vgpr86
                                        ; implicit-def: $sgpr4
	s_wait_loadcnt 0x0
	ds_store_b64 v1, v[70:71]
	s_wait_storecnt_dscnt 0x0
	s_barrier_signal -1
	s_barrier_wait -1
	s_wait_xcnt 0x0
	v_cmpx_ne_u32_e32 32, v0
	s_cbranch_execz .LBB32_640
; %bb.631:
	v_cmp_ne_u32_e32 vcc_lo, 1, v72
	s_cbranch_vccnz .LBB32_633
; %bb.632:
	scratch_load_b64 v[72:73], v47, off
	ds_load_b64 v[74:75], v1
	s_wait_loadcnt_dscnt 0x0
	v_dual_mul_f32 v47, v75, v73 :: v_dual_mul_f32 v71, v74, v73
	s_delay_alu instid0(VALU_DEP_1) | instskip(NEXT) | instid1(VALU_DEP_2)
	v_fma_f32 v70, v74, v72, -v47
	v_fmac_f32_e32 v71, v75, v72
	s_cbranch_execz .LBB32_634
	s_branch .LBB32_635
.LBB32_633:
                                        ; implicit-def: $vgpr71
.LBB32_634:
	ds_load_b64 v[70:71], v1
.LBB32_635:
	s_and_saveexec_b32 s3, s0
	s_cbranch_execz .LBB32_639
; %bb.636:
	v_add_nc_u32_e32 v1, 0x118, v46
	v_add3_u32 v46, 0, v46, 8
	s_mov_b32 s0, 0
.LBB32_637:                             ; =>This Inner Loop Header: Depth=1
	scratch_load_b64 v[72:73], v46, off
	ds_load_b64 v[74:75], v1
	v_dual_add_nc_u32 v0, 1, v0 :: v_dual_add_nc_u32 v1, 8, v1
	s_delay_alu instid0(VALU_DEP_1) | instskip(SKIP_3) | instid1(VALU_DEP_1)
	v_cmp_lt_u32_e32 vcc_lo, 30, v0
	s_or_b32 s0, vcc_lo, s0
	s_wait_loadcnt_dscnt 0x0
	v_dual_mul_f32 v47, v75, v73 :: v_dual_mul_f32 v73, v74, v73
	v_dual_fma_f32 v47, v74, v72, -v47 :: v_dual_fmac_f32 v73, v75, v72
	s_delay_alu instid0(VALU_DEP_1) | instskip(NEXT) | instid1(VALU_DEP_2)
	v_dual_add_nc_u32 v46, 8, v46 :: v_dual_add_f32 v70, v70, v47
	v_add_f32_e32 v71, v71, v73
	s_and_not1_b32 exec_lo, exec_lo, s0
	s_cbranch_execnz .LBB32_637
; %bb.638:
	s_or_b32 exec_lo, exec_lo, s0
.LBB32_639:
	s_delay_alu instid0(SALU_CYCLE_1)
	s_or_b32 exec_lo, exec_lo, s3
	v_mov_b32_e32 v0, 0
	s_movk_i32 s4, 0x104
	s_or_b32 s1, s1, exec_lo
	ds_load_b64 v[0:1], v0 offset:256
	s_wait_dscnt 0x0
	v_dual_mul_f32 v46, v71, v1 :: v_dual_mul_f32 v86, v70, v1
	s_delay_alu instid0(VALU_DEP_1) | instskip(NEXT) | instid1(VALU_DEP_2)
	v_fma_f32 v1, v70, v0, -v46
	v_fmac_f32_e32 v86, v71, v0
	scratch_store_b32 off, v1, off offset:256
.LBB32_640:
	s_wait_xcnt 0x0
	s_or_b32 exec_lo, exec_lo, s2
.LBB32_641:
	v_lshl_add_u64 v[84:85], v[2:3], 3, s[6:7]
	v_lshl_add_u64 v[82:83], v[6:7], 3, s[6:7]
	;; [unrolled: 1-line block ×31, first 2 shown]
	s_and_saveexec_b32 s0, s1
	s_cbranch_execz .LBB32_643
; %bb.642:
	scratch_store_b32 off, v86, s4
.LBB32_643:
	s_wait_xcnt 0x0
	s_or_b32 exec_lo, exec_lo, s0
	s_clause 0x7
	scratch_load_b128 v[50:53], off, off
	scratch_load_b128 v[54:57], off, off offset:16
	scratch_load_b128 v[58:61], off, off offset:32
	;; [unrolled: 1-line block ×7, first 2 shown]
	s_wait_loadcnt 0x7
	s_clause 0x1
	global_store_b64 v[4:5], v[50:51], off
	global_store_b64 v[8:9], v[52:53], off
	s_wait_loadcnt 0x6
	s_clause 0x1
	global_store_b64 v[84:85], v[54:55], off
	global_store_b64 v[82:83], v[56:57], off
	;; [unrolled: 4-line block ×5, first 2 shown]
	s_clause 0x8
	scratch_load_b128 v[50:53], off, off offset:112
	scratch_load_b128 v[54:57], off, off offset:144
	;; [unrolled: 1-line block ×8, first 2 shown]
	scratch_load_b64 v[4:5], off, off offset:256
	s_wait_loadcnt 0xb
	s_clause 0x1
	global_store_b64 v[0:1], v[86:87], off
	global_store_b64 v[2:3], v[88:89], off
	s_wait_loadcnt 0xa
	s_clause 0x1
	global_store_b64 v[6:7], v[90:91], off
	global_store_b64 v[10:11], v[92:93], off
	;; [unrolled: 4-line block ×3, first 2 shown]
	global_store_b64 v[16:17], v[94:95], off
	global_store_b64 v[18:19], v[96:97], off
	s_wait_loadcnt 0x7
	s_clause 0x1
	global_store_b64 v[20:21], v[54:55], off
	global_store_b64 v[22:23], v[56:57], off
	s_wait_loadcnt 0x6
	s_clause 0x1
	;; [unrolled: 4-line block ×7, first 2 shown]
	global_store_b64 v[44:45], v[66:67], off
	global_store_b64 v[46:47], v[68:69], off
	s_wait_loadcnt 0x0
	global_store_b64 v[48:49], v[4:5], off
.LBB32_644:
	s_sendmsg sendmsg(MSG_DEALLOC_VGPRS)
	s_endpgm
	.section	.rodata,"a",@progbits
	.p2align	6, 0x0
	.amdhsa_kernel _ZN9rocsolver6v33100L18trti2_kernel_smallILi33E19rocblas_complex_numIfEPS3_EEv13rocblas_fill_17rocblas_diagonal_T1_iil
		.amdhsa_group_segment_fixed_size 536
		.amdhsa_private_segment_fixed_size 272
		.amdhsa_kernarg_size 32
		.amdhsa_user_sgpr_count 2
		.amdhsa_user_sgpr_dispatch_ptr 0
		.amdhsa_user_sgpr_queue_ptr 0
		.amdhsa_user_sgpr_kernarg_segment_ptr 1
		.amdhsa_user_sgpr_dispatch_id 0
		.amdhsa_user_sgpr_kernarg_preload_length 0
		.amdhsa_user_sgpr_kernarg_preload_offset 0
		.amdhsa_user_sgpr_private_segment_size 0
		.amdhsa_wavefront_size32 1
		.amdhsa_uses_dynamic_stack 0
		.amdhsa_enable_private_segment 1
		.amdhsa_system_sgpr_workgroup_id_x 1
		.amdhsa_system_sgpr_workgroup_id_y 0
		.amdhsa_system_sgpr_workgroup_id_z 0
		.amdhsa_system_sgpr_workgroup_info 0
		.amdhsa_system_vgpr_workitem_id 0
		.amdhsa_next_free_vgpr 98
		.amdhsa_next_free_sgpr 23
		.amdhsa_named_barrier_count 0
		.amdhsa_reserve_vcc 1
		.amdhsa_float_round_mode_32 0
		.amdhsa_float_round_mode_16_64 0
		.amdhsa_float_denorm_mode_32 3
		.amdhsa_float_denorm_mode_16_64 3
		.amdhsa_fp16_overflow 0
		.amdhsa_memory_ordered 1
		.amdhsa_forward_progress 1
		.amdhsa_inst_pref_size 195
		.amdhsa_round_robin_scheduling 0
		.amdhsa_exception_fp_ieee_invalid_op 0
		.amdhsa_exception_fp_denorm_src 0
		.amdhsa_exception_fp_ieee_div_zero 0
		.amdhsa_exception_fp_ieee_overflow 0
		.amdhsa_exception_fp_ieee_underflow 0
		.amdhsa_exception_fp_ieee_inexact 0
		.amdhsa_exception_int_div_zero 0
	.end_amdhsa_kernel
	.section	.text._ZN9rocsolver6v33100L18trti2_kernel_smallILi33E19rocblas_complex_numIfEPS3_EEv13rocblas_fill_17rocblas_diagonal_T1_iil,"axG",@progbits,_ZN9rocsolver6v33100L18trti2_kernel_smallILi33E19rocblas_complex_numIfEPS3_EEv13rocblas_fill_17rocblas_diagonal_T1_iil,comdat
.Lfunc_end32:
	.size	_ZN9rocsolver6v33100L18trti2_kernel_smallILi33E19rocblas_complex_numIfEPS3_EEv13rocblas_fill_17rocblas_diagonal_T1_iil, .Lfunc_end32-_ZN9rocsolver6v33100L18trti2_kernel_smallILi33E19rocblas_complex_numIfEPS3_EEv13rocblas_fill_17rocblas_diagonal_T1_iil
                                        ; -- End function
	.set _ZN9rocsolver6v33100L18trti2_kernel_smallILi33E19rocblas_complex_numIfEPS3_EEv13rocblas_fill_17rocblas_diagonal_T1_iil.num_vgpr, 98
	.set _ZN9rocsolver6v33100L18trti2_kernel_smallILi33E19rocblas_complex_numIfEPS3_EEv13rocblas_fill_17rocblas_diagonal_T1_iil.num_agpr, 0
	.set _ZN9rocsolver6v33100L18trti2_kernel_smallILi33E19rocblas_complex_numIfEPS3_EEv13rocblas_fill_17rocblas_diagonal_T1_iil.numbered_sgpr, 23
	.set _ZN9rocsolver6v33100L18trti2_kernel_smallILi33E19rocblas_complex_numIfEPS3_EEv13rocblas_fill_17rocblas_diagonal_T1_iil.num_named_barrier, 0
	.set _ZN9rocsolver6v33100L18trti2_kernel_smallILi33E19rocblas_complex_numIfEPS3_EEv13rocblas_fill_17rocblas_diagonal_T1_iil.private_seg_size, 272
	.set _ZN9rocsolver6v33100L18trti2_kernel_smallILi33E19rocblas_complex_numIfEPS3_EEv13rocblas_fill_17rocblas_diagonal_T1_iil.uses_vcc, 1
	.set _ZN9rocsolver6v33100L18trti2_kernel_smallILi33E19rocblas_complex_numIfEPS3_EEv13rocblas_fill_17rocblas_diagonal_T1_iil.uses_flat_scratch, 1
	.set _ZN9rocsolver6v33100L18trti2_kernel_smallILi33E19rocblas_complex_numIfEPS3_EEv13rocblas_fill_17rocblas_diagonal_T1_iil.has_dyn_sized_stack, 0
	.set _ZN9rocsolver6v33100L18trti2_kernel_smallILi33E19rocblas_complex_numIfEPS3_EEv13rocblas_fill_17rocblas_diagonal_T1_iil.has_recursion, 0
	.set _ZN9rocsolver6v33100L18trti2_kernel_smallILi33E19rocblas_complex_numIfEPS3_EEv13rocblas_fill_17rocblas_diagonal_T1_iil.has_indirect_call, 0
	.section	.AMDGPU.csdata,"",@progbits
; Kernel info:
; codeLenInByte = 24896
; TotalNumSgprs: 25
; NumVgprs: 98
; ScratchSize: 272
; MemoryBound: 0
; FloatMode: 240
; IeeeMode: 1
; LDSByteSize: 536 bytes/workgroup (compile time only)
; SGPRBlocks: 0
; VGPRBlocks: 6
; NumSGPRsForWavesPerEU: 25
; NumVGPRsForWavesPerEU: 98
; NamedBarCnt: 0
; Occupancy: 9
; WaveLimiterHint : 0
; COMPUTE_PGM_RSRC2:SCRATCH_EN: 1
; COMPUTE_PGM_RSRC2:USER_SGPR: 2
; COMPUTE_PGM_RSRC2:TRAP_HANDLER: 0
; COMPUTE_PGM_RSRC2:TGID_X_EN: 1
; COMPUTE_PGM_RSRC2:TGID_Y_EN: 0
; COMPUTE_PGM_RSRC2:TGID_Z_EN: 0
; COMPUTE_PGM_RSRC2:TIDIG_COMP_CNT: 0
	.section	.text._ZN9rocsolver6v33100L18trti2_kernel_smallILi34E19rocblas_complex_numIfEPS3_EEv13rocblas_fill_17rocblas_diagonal_T1_iil,"axG",@progbits,_ZN9rocsolver6v33100L18trti2_kernel_smallILi34E19rocblas_complex_numIfEPS3_EEv13rocblas_fill_17rocblas_diagonal_T1_iil,comdat
	.globl	_ZN9rocsolver6v33100L18trti2_kernel_smallILi34E19rocblas_complex_numIfEPS3_EEv13rocblas_fill_17rocblas_diagonal_T1_iil ; -- Begin function _ZN9rocsolver6v33100L18trti2_kernel_smallILi34E19rocblas_complex_numIfEPS3_EEv13rocblas_fill_17rocblas_diagonal_T1_iil
	.p2align	8
	.type	_ZN9rocsolver6v33100L18trti2_kernel_smallILi34E19rocblas_complex_numIfEPS3_EEv13rocblas_fill_17rocblas_diagonal_T1_iil,@function
_ZN9rocsolver6v33100L18trti2_kernel_smallILi34E19rocblas_complex_numIfEPS3_EEv13rocblas_fill_17rocblas_diagonal_T1_iil: ; @_ZN9rocsolver6v33100L18trti2_kernel_smallILi34E19rocblas_complex_numIfEPS3_EEv13rocblas_fill_17rocblas_diagonal_T1_iil
; %bb.0:
	s_mov_b32 s2, exec_lo
	v_cmpx_gt_u32_e32 34, v0
	s_cbranch_execz .LBB33_664
; %bb.1:
	s_load_b256 s[4:11], s[0:1], 0x0
	s_wait_xcnt 0x0
	s_bfe_u32 s0, ttmp6, 0x4000c
	s_and_b32 s1, ttmp6, 15
	s_add_co_i32 s0, s0, 1
	s_getreg_b32 s2, hwreg(HW_REG_IB_STS2, 6, 4)
	s_mul_i32 s0, ttmp9, s0
	v_dual_mov_b32 v37, 0 :: v_dual_lshlrev_b32 v36, 3, v0
	s_add_co_i32 s0, s1, s0
	s_wait_kmcnt 0x0
	v_add3_u32 v6, s9, s9, v0
	s_ashr_i32 s1, s8, 31
	s_cmp_eq_u32 s2, 0
	s_cselect_b32 s2, ttmp9, s0
	s_delay_alu instid0(VALU_DEP_1)
	v_add_nc_u32_e32 v8, s9, v6
	s_ashr_i32 s3, s2, 31
	s_mov_b32 s0, s8
	s_mul_u64 s[2:3], s[10:11], s[2:3]
	s_lshl_b64 s[0:1], s[0:1], 3
	v_add_nc_u32_e32 v10, s9, v8
	s_lshl_b64 s[2:3], s[2:3], 3
	s_delay_alu instid0(SALU_CYCLE_1) | instskip(NEXT) | instid1(SALU_CYCLE_1)
	s_add_nc_u64 s[2:3], s[6:7], s[2:3]
	s_add_nc_u64 s[6:7], s[2:3], s[0:1]
	s_delay_alu instid0(VALU_DEP_1)
	v_add_nc_u32_e32 v12, s9, v10
	v_add_nc_u64_e32 v[2:3], s[6:7], v[36:37]
	s_mov_b32 s0, s9
	s_ashr_i32 s1, s9, 31
	s_cmp_lg_u32 s5, 0x84
	v_add_nc_u32_e32 v14, s9, v12
	s_cselect_b32 s3, -1, 0
	s_delay_alu instid0(VALU_DEP_2) | instskip(SKIP_1) | instid1(VALU_DEP_2)
	v_lshl_add_u64 v[4:5], s[0:1], 3, v[2:3]
	s_mov_b32 s0, -1
	v_add_nc_u32_e32 v16, s9, v14
	s_and_b32 vcc_lo, exec_lo, s3
	s_delay_alu instid0(VALU_DEP_1)
	v_add_nc_u32_e32 v18, s9, v16
	s_clause 0x7
	global_load_b64 v[50:51], v10, s[6:7] scale_offset
	global_load_b64 v[52:53], v12, s[6:7] scale_offset
	;; [unrolled: 1-line block ×3, first 2 shown]
	global_load_b64 v[56:57], v[4:5], off
	global_load_b64 v[58:59], v6, s[6:7] scale_offset
	global_load_b64 v[60:61], v8, s[6:7] scale_offset
	;; [unrolled: 1-line block ×4, first 2 shown]
	v_add_nc_u32_e32 v20, s9, v18
	s_delay_alu instid0(VALU_DEP_1) | instskip(NEXT) | instid1(VALU_DEP_1)
	v_add_nc_u32_e32 v22, s9, v20
	v_add_nc_u32_e32 v24, s9, v22
	s_delay_alu instid0(VALU_DEP_1) | instskip(SKIP_4) | instid1(VALU_DEP_1)
	v_add_nc_u32_e32 v26, s9, v24
	s_clause 0x1
	global_load_b64 v[66:67], v18, s[6:7] scale_offset
	global_load_b64 v[68:69], v20, s[6:7] scale_offset
	v_add_nc_u32_e32 v28, s9, v26
	v_add_nc_u32_e32 v30, s9, v28
	s_clause 0x1
	global_load_b64 v[70:71], v22, s[6:7] scale_offset
	global_load_b64 v[72:73], v24, s[6:7] scale_offset
	v_add_nc_u32_e32 v32, s9, v30
	s_delay_alu instid0(VALU_DEP_1) | instskip(NEXT) | instid1(VALU_DEP_1)
	v_add_nc_u32_e32 v34, s9, v32
	v_add_nc_u32_e32 v38, s9, v34
	s_delay_alu instid0(VALU_DEP_1) | instskip(NEXT) | instid1(VALU_DEP_1)
	v_add_nc_u32_e32 v40, s9, v38
	;; [unrolled: 3-line block ×3, first 2 shown]
	v_add_nc_u32_e32 v46, s9, v44
	s_clause 0x7
	global_load_b64 v[74:75], v26, s[6:7] scale_offset
	global_load_b64 v[76:77], v28, s[6:7] scale_offset
	;; [unrolled: 1-line block ×8, first 2 shown]
	v_add_nc_u32_e32 v48, s9, v46
	s_wait_loadcnt 0x12
	scratch_store_b128 off, v[50:53], off offset:32
	s_wait_xcnt 0x0
	v_add_nc_u32_e32 v50, s9, v48
	s_clause 0x1
	global_load_b64 v[90:91], v44, s[6:7] scale_offset
	global_load_b64 v[92:93], v46, s[6:7] scale_offset
	s_wait_loadcnt 0x12
	scratch_store_b128 off, v[54:57], off
	v_add_nc_u32_e32 v52, s9, v50
	s_wait_xcnt 0x0
	s_delay_alu instid0(VALU_DEP_1)
	v_add_nc_u32_e32 v54, s9, v52
	s_clause 0x1
	global_load_b64 v[94:95], v48, s[6:7] scale_offset
	global_load_b64 v[96:97], v50, s[6:7] scale_offset
	s_wait_loadcnt 0x12
	scratch_store_b128 off, v[58:61], off offset:16
	s_wait_loadcnt 0x10
	scratch_store_b128 off, v[62:65], off offset:48
	v_add_nc_u32_e32 v56, s9, v54
	s_wait_loadcnt 0xe
	scratch_store_b128 off, v[66:69], off offset:64
	s_wait_xcnt 0x2
	v_add_nc_u32_e32 v58, s9, v56
	s_delay_alu instid0(VALU_DEP_1) | instskip(SKIP_4) | instid1(VALU_DEP_1)
	v_add_nc_u32_e32 v60, s9, v58
	s_wait_loadcnt 0xc
	scratch_store_b128 off, v[70:73], off offset:80
	s_wait_xcnt 0x2
	v_add_nc_u32_e32 v62, s9, v60
	v_add_nc_u32_e32 v64, s9, v62
	s_wait_xcnt 0x1
	s_delay_alu instid0(VALU_DEP_1) | instskip(NEXT) | instid1(VALU_DEP_1)
	v_add_nc_u32_e32 v66, s9, v64
	v_add_nc_u32_e32 v68, s9, v66
	s_wait_xcnt 0x0
	s_delay_alu instid0(VALU_DEP_1)
	v_add_nc_u32_e32 v70, s9, v68
	s_wait_loadcnt 0xa
	scratch_store_b128 off, v[74:77], off offset:96
	s_wait_loadcnt 0x8
	scratch_store_b128 off, v[78:81], off offset:112
	;; [unrolled: 2-line block ×3, first 2 shown]
	s_clause 0x3
	global_load_b64 v[72:73], v52, s[6:7] scale_offset
	global_load_b64 v[74:75], v54, s[6:7] scale_offset
	;; [unrolled: 1-line block ×4, first 2 shown]
	s_wait_loadcnt 0x8
	scratch_store_b128 off, v[86:89], off offset:144
	s_wait_loadcnt 0x6
	scratch_store_b128 off, v[90:93], off offset:160
	s_clause 0x3
	global_load_b64 v[80:81], v60, s[6:7] scale_offset
	global_load_b64 v[82:83], v62, s[6:7] scale_offset
	;; [unrolled: 1-line block ×4, first 2 shown]
	s_wait_loadcnt 0x8
	scratch_store_b128 off, v[94:97], off offset:176
	s_clause 0x1
	global_load_b64 v[88:89], v68, s[6:7] scale_offset
	global_load_b64 v[90:91], v70, s[6:7] scale_offset
	s_wait_loadcnt 0x8
	scratch_store_b128 off, v[72:75], off offset:192
	s_wait_loadcnt 0x6
	scratch_store_b128 off, v[76:79], off offset:208
	;; [unrolled: 2-line block ×5, first 2 shown]
	s_cbranch_vccz .LBB33_7
; %bb.2:
	scratch_load_b64 v[72:73], v0, off scale_offset
                                        ; implicit-def: $vgpr77
                                        ; implicit-def: $vgpr74
	s_wait_loadcnt 0x0
	v_cmp_ngt_f32_e64 s0, |v72|, |v73|
	s_wait_xcnt 0x0
	s_and_saveexec_b32 s1, s0
	s_delay_alu instid0(SALU_CYCLE_1)
	s_xor_b32 s0, exec_lo, s1
	s_cbranch_execz .LBB33_4
; %bb.3:
	v_div_scale_f32 v1, null, v73, v73, v72
	v_div_scale_f32 v11, vcc_lo, v72, v73, v72
	s_delay_alu instid0(VALU_DEP_2) | instskip(SKIP_1) | instid1(TRANS32_DEP_1)
	v_rcp_f32_e32 v7, v1
	v_nop
	v_fma_f32 v9, -v1, v7, 1.0
	s_delay_alu instid0(VALU_DEP_1) | instskip(NEXT) | instid1(VALU_DEP_1)
	v_fmac_f32_e32 v7, v9, v7
	v_mul_f32_e32 v9, v11, v7
	s_delay_alu instid0(VALU_DEP_1) | instskip(NEXT) | instid1(VALU_DEP_1)
	v_fma_f32 v13, -v1, v9, v11
	v_fmac_f32_e32 v9, v13, v7
	s_delay_alu instid0(VALU_DEP_1) | instskip(NEXT) | instid1(VALU_DEP_1)
	v_fma_f32 v1, -v1, v9, v11
	v_div_fmas_f32 v1, v1, v7, v9
	s_delay_alu instid0(VALU_DEP_1) | instskip(NEXT) | instid1(VALU_DEP_1)
	v_div_fixup_f32 v1, v1, v73, v72
	v_fmac_f32_e32 v73, v72, v1
	s_delay_alu instid0(VALU_DEP_1) | instskip(NEXT) | instid1(VALU_DEP_1)
	v_div_scale_f32 v7, null, v73, v73, -1.0
	v_rcp_f32_e32 v9, v7
	v_nop
	s_delay_alu instid0(TRANS32_DEP_1) | instskip(NEXT) | instid1(VALU_DEP_1)
	v_fma_f32 v11, -v7, v9, 1.0
	v_fmac_f32_e32 v9, v11, v9
	v_div_scale_f32 v11, vcc_lo, -1.0, v73, -1.0
	s_delay_alu instid0(VALU_DEP_1) | instskip(NEXT) | instid1(VALU_DEP_1)
	v_mul_f32_e32 v13, v11, v9
	v_fma_f32 v15, -v7, v13, v11
	s_delay_alu instid0(VALU_DEP_1) | instskip(NEXT) | instid1(VALU_DEP_1)
	v_fmac_f32_e32 v13, v15, v9
	v_fma_f32 v7, -v7, v13, v11
	s_delay_alu instid0(VALU_DEP_1) | instskip(NEXT) | instid1(VALU_DEP_1)
	v_div_fmas_f32 v7, v7, v9, v13
	v_div_fixup_f32 v77, v7, v73, -1.0
                                        ; implicit-def: $vgpr72_vgpr73
	s_delay_alu instid0(VALU_DEP_1) | instskip(NEXT) | instid1(VALU_DEP_1)
	v_mul_f32_e32 v74, v1, v77
	v_xor_b32_e32 v76, 0x80000000, v74
.LBB33_4:
	s_or_saveexec_b32 s0, s0
	v_lshl_add_u32 v1, v0, 3, 0
	s_xor_b32 exec_lo, exec_lo, s0
	s_cbranch_execz .LBB33_6
; %bb.5:
	v_div_scale_f32 v7, null, v72, v72, v73
	v_div_scale_f32 v13, vcc_lo, v73, v72, v73
	s_delay_alu instid0(VALU_DEP_2) | instskip(SKIP_1) | instid1(TRANS32_DEP_1)
	v_rcp_f32_e32 v9, v7
	v_nop
	v_fma_f32 v11, -v7, v9, 1.0
	s_delay_alu instid0(VALU_DEP_1) | instskip(NEXT) | instid1(VALU_DEP_1)
	v_fmac_f32_e32 v9, v11, v9
	v_mul_f32_e32 v11, v13, v9
	s_delay_alu instid0(VALU_DEP_1) | instskip(NEXT) | instid1(VALU_DEP_1)
	v_fma_f32 v15, -v7, v11, v13
	v_fmac_f32_e32 v11, v15, v9
	s_delay_alu instid0(VALU_DEP_1) | instskip(NEXT) | instid1(VALU_DEP_1)
	v_fma_f32 v7, -v7, v11, v13
	v_div_fmas_f32 v7, v7, v9, v11
	s_delay_alu instid0(VALU_DEP_1) | instskip(NEXT) | instid1(VALU_DEP_1)
	v_div_fixup_f32 v7, v7, v72, v73
	v_fmac_f32_e32 v72, v73, v7
	s_delay_alu instid0(VALU_DEP_1) | instskip(SKIP_1) | instid1(VALU_DEP_2)
	v_div_scale_f32 v9, null, v72, v72, 1.0
	v_div_scale_f32 v15, vcc_lo, 1.0, v72, 1.0
	v_rcp_f32_e32 v11, v9
	v_nop
	s_delay_alu instid0(TRANS32_DEP_1) | instskip(NEXT) | instid1(VALU_DEP_1)
	v_fma_f32 v13, -v9, v11, 1.0
	v_fmac_f32_e32 v11, v13, v11
	s_delay_alu instid0(VALU_DEP_1) | instskip(NEXT) | instid1(VALU_DEP_1)
	v_mul_f32_e32 v13, v15, v11
	v_fma_f32 v17, -v9, v13, v15
	s_delay_alu instid0(VALU_DEP_1) | instskip(NEXT) | instid1(VALU_DEP_1)
	v_fmac_f32_e32 v13, v17, v11
	v_fma_f32 v9, -v9, v13, v15
	s_delay_alu instid0(VALU_DEP_1) | instskip(NEXT) | instid1(VALU_DEP_1)
	v_div_fmas_f32 v9, v9, v11, v13
	v_div_fixup_f32 v76, v9, v72, 1.0
	s_delay_alu instid0(VALU_DEP_1)
	v_xor_b32_e32 v74, 0x80000000, v76
	v_mul_f32_e64 v77, v7, -v76
.LBB33_6:
	s_or_b32 exec_lo, exec_lo, s0
	s_delay_alu instid0(VALU_DEP_1)
	v_xor_b32_e32 v75, 0x80000000, v77
	s_mov_b32 s0, 0
	scratch_store_b64 v1, v[76:77], off
	ds_store_b64 v36, v[74:75]
.LBB33_7:
	s_and_b32 vcc_lo, exec_lo, s0
	s_cbranch_vccz .LBB33_9
; %bb.8:
	s_mov_b64 s[0:1], 0xbf800000
	s_wait_xcnt 0x4
	v_mov_b64_e32 v[72:73], s[0:1]
	ds_store_b64 v36, v[72:73]
.LBB33_9:
	v_dual_ashrrev_i32 v7, 31, v6 :: v_dual_ashrrev_i32 v9, 31, v8
	v_dual_ashrrev_i32 v11, 31, v10 :: v_dual_ashrrev_i32 v13, 31, v12
	;; [unrolled: 1-line block ×15, first 2 shown]
	v_dual_ashrrev_i32 v67, 31, v66 :: v_dual_mov_b32 v37, v36
	v_ashrrev_i32_e32 v71, 31, v70
	s_wait_xcnt 0x0
	v_add_nc_u32_e32 v1, 0x110, v36
	s_cmp_eq_u32 s4, 0x79
	s_cbranch_scc1 .LBB33_13
; %bb.10:
	scratch_load_b64 v[72:73], off, off offset:256
	v_cmp_eq_u32_e64 s0, 33, v0
	s_movk_i32 s1, 0x50
	s_movk_i32 s10, 0x60
	s_movk_i32 s11, 0x70
	s_movk_i32 s12, 0x80
	s_movk_i32 s13, 0x90
	s_movk_i32 s14, 0xa0
	s_movk_i32 s15, 0xb0
	s_movk_i32 s16, 0xc0
	s_movk_i32 s17, 0xd0
	s_movk_i32 s18, 0xe0
	s_movk_i32 s19, 0xf0
	s_wait_loadcnt 0x0
	ds_store_b64 v1, v[72:73]
	s_wait_storecnt_dscnt 0x0
	s_barrier_signal -1
	s_barrier_wait -1
	s_wait_xcnt 0x0
	s_and_saveexec_b32 s2, s0
	s_cbranch_execz .LBB33_17
; %bb.11:
	s_and_b32 vcc_lo, exec_lo, s3
	s_cbranch_vccz .LBB33_14
; %bb.12:
	scratch_load_b64 v[72:73], v37, off
	ds_load_b64 v[74:75], v1
	s_wait_loadcnt_dscnt 0x0
	v_pk_mul_f32 v[76:77], v[74:75], v[72:73] op_sel:[1,1] op_sel_hi:[0,1]
	v_pk_mul_f32 v[78:79], v[74:75], v[72:73] op_sel_hi:[1,0]
	s_delay_alu instid0(VALU_DEP_2) | instskip(NEXT) | instid1(VALU_DEP_2)
	v_pk_fma_f32 v[72:73], v[74:75], v[72:73], v[76:77] op_sel_hi:[1,0,1]
	v_sub_f32_e32 v72, v78, v76
	s_cbranch_execz .LBB33_15
	s_branch .LBB33_16
.LBB33_13:
	s_mov_b32 s1, 0
                                        ; implicit-def: $vgpr92
                                        ; implicit-def: $sgpr4
	s_cbranch_execnz .LBB33_336
	s_branch .LBB33_661
.LBB33_14:
                                        ; implicit-def: $vgpr73
.LBB33_15:
	ds_load_b64 v[72:73], v1
.LBB33_16:
	s_wait_dscnt 0x0
	v_dual_mov_b32 v74, 0 :: v_dual_mov_b32 v76, v73
	v_mov_b32_e32 v77, v72
	ds_load_b64 v[74:75], v74 offset:256
	s_wait_dscnt 0x0
	v_pk_mul_f32 v[76:77], v[76:77], v[74:75] op_sel:[0,1]
	s_delay_alu instid0(VALU_DEP_1) | instskip(SKIP_1) | instid1(VALU_DEP_2)
	v_pk_fma_f32 v[78:79], v[72:73], v[74:75], v[76:77] op_sel_hi:[1,0,1]
	v_pk_fma_f32 v[72:73], v[72:73], v[74:75], v[76:77] neg_lo:[0,0,1] neg_hi:[0,0,1]
	v_mov_b32_e32 v73, v79
	scratch_store_b64 off, v[72:73], off offset:256
.LBB33_17:
	s_wait_xcnt 0x0
	s_or_b32 exec_lo, exec_lo, s2
	scratch_load_b64 v[72:73], off, off offset:248
	s_mov_b32 s9, s1
	v_cmp_lt_u32_e64 s1, 31, v0
	s_mov_b32 s4, 16
	s_mov_b32 s5, 32
	;; [unrolled: 1-line block ×4, first 2 shown]
	s_wait_loadcnt 0x0
	ds_store_b64 v1, v[72:73]
	s_wait_storecnt_dscnt 0x0
	s_barrier_signal -1
	s_barrier_wait -1
	s_wait_xcnt 0x0
	s_and_saveexec_b32 s20, s1
	s_cbranch_execz .LBB33_25
; %bb.18:
	s_and_not1_b32 vcc_lo, exec_lo, s3
	s_cbranch_vccnz .LBB33_20
; %bb.19:
	scratch_load_b64 v[72:73], v37, off
	ds_load_b64 v[74:75], v1
	s_wait_loadcnt_dscnt 0x0
	v_pk_mul_f32 v[76:77], v[74:75], v[72:73] op_sel:[1,1] op_sel_hi:[0,1]
	s_delay_alu instid0(VALU_DEP_1) | instskip(SKIP_1) | instid1(VALU_DEP_2)
	v_pk_fma_f32 v[78:79], v[74:75], v[72:73], v[76:77] op_sel_hi:[1,0,1]
	v_pk_fma_f32 v[72:73], v[74:75], v[72:73], v[76:77] neg_lo:[0,0,1] neg_hi:[0,0,1]
	v_mov_b32_e32 v73, v79
	s_cbranch_execz .LBB33_21
	s_branch .LBB33_22
.LBB33_20:
                                        ; implicit-def: $vgpr72_vgpr73
.LBB33_21:
	ds_load_b64 v[72:73], v1
.LBB33_22:
	s_and_saveexec_b32 s21, s0
	s_cbranch_execz .LBB33_24
; %bb.23:
	scratch_load_b64 v[74:75], off, off offset:256
	v_mov_b32_e32 v76, 0
	ds_load_b64 v[76:77], v76 offset:528
	s_wait_loadcnt_dscnt 0x0
	v_pk_mul_f32 v[78:79], v[76:77], v[74:75] op_sel:[1,1] op_sel_hi:[0,1]
	s_delay_alu instid0(VALU_DEP_1) | instskip(SKIP_1) | instid1(VALU_DEP_2)
	v_pk_fma_f32 v[80:81], v[76:77], v[74:75], v[78:79] op_sel_hi:[1,0,1]
	v_pk_fma_f32 v[74:75], v[76:77], v[74:75], v[78:79] neg_lo:[0,0,1] neg_hi:[0,0,1]
	v_mov_b32_e32 v75, v81
	s_delay_alu instid0(VALU_DEP_1)
	v_pk_add_f32 v[72:73], v[72:73], v[74:75]
.LBB33_24:
	s_or_b32 exec_lo, exec_lo, s21
	v_mov_b32_e32 v74, 0
	ds_load_b64 v[74:75], v74 offset:248
	s_wait_dscnt 0x0
	v_pk_mul_f32 v[76:77], v[72:73], v[74:75] op_sel:[1,1] op_sel_hi:[0,1]
	s_delay_alu instid0(VALU_DEP_1) | instskip(SKIP_1) | instid1(VALU_DEP_2)
	v_pk_fma_f32 v[78:79], v[72:73], v[74:75], v[76:77] op_sel_hi:[1,0,1]
	v_pk_fma_f32 v[72:73], v[72:73], v[74:75], v[76:77] neg_lo:[0,0,1] neg_hi:[0,0,1]
	v_mov_b32_e32 v73, v79
	scratch_store_b64 off, v[72:73], off offset:248
.LBB33_25:
	s_wait_xcnt 0x0
	s_or_b32 exec_lo, exec_lo, s20
	scratch_load_b64 v[72:73], off, off offset:240
	v_cmp_lt_u32_e64 s0, 30, v0
	s_wait_loadcnt 0x0
	ds_store_b64 v1, v[72:73]
	s_wait_storecnt_dscnt 0x0
	s_barrier_signal -1
	s_barrier_wait -1
	s_wait_xcnt 0x0
	s_and_saveexec_b32 s20, s0
	s_cbranch_execz .LBB33_35
; %bb.26:
	s_and_not1_b32 vcc_lo, exec_lo, s3
	s_cbranch_vccnz .LBB33_28
; %bb.27:
	scratch_load_b64 v[72:73], v37, off
	ds_load_b64 v[74:75], v1
	s_wait_loadcnt_dscnt 0x0
	v_pk_mul_f32 v[76:77], v[74:75], v[72:73] op_sel:[1,1] op_sel_hi:[0,1]
	s_delay_alu instid0(VALU_DEP_1) | instskip(SKIP_1) | instid1(VALU_DEP_2)
	v_pk_fma_f32 v[78:79], v[74:75], v[72:73], v[76:77] op_sel_hi:[1,0,1]
	v_pk_fma_f32 v[72:73], v[74:75], v[72:73], v[76:77] neg_lo:[0,0,1] neg_hi:[0,0,1]
	v_mov_b32_e32 v73, v79
	s_cbranch_execz .LBB33_29
	s_branch .LBB33_30
.LBB33_28:
                                        ; implicit-def: $vgpr72_vgpr73
.LBB33_29:
	ds_load_b64 v[72:73], v1
.LBB33_30:
	s_and_saveexec_b32 s21, s1
	s_cbranch_execz .LBB33_34
; %bb.31:
	v_subrev_nc_u32_e32 v74, 31, v0
	s_movk_i32 s1, 0xf8
	s_movk_i32 s23, 0x208
	s_mov_b32 s22, 0
.LBB33_32:                              ; =>This Inner Loop Header: Depth=1
	scratch_load_b64 v[76:77], off, s1
	v_dual_mov_b32 v75, s23 :: v_dual_add_nc_u32 v74, -1, v74
	s_add_co_i32 s23, s23, 8
	s_wait_xcnt 0x0
	s_add_co_i32 s1, s1, 8
	ds_load_b64 v[78:79], v75
	v_cmp_eq_u32_e32 vcc_lo, 0, v74
	s_or_b32 s22, vcc_lo, s22
	s_wait_loadcnt_dscnt 0x0
	v_pk_mul_f32 v[80:81], v[78:79], v[76:77] op_sel:[1,1] op_sel_hi:[0,1]
	s_delay_alu instid0(VALU_DEP_1) | instskip(SKIP_1) | instid1(VALU_DEP_2)
	v_pk_fma_f32 v[82:83], v[78:79], v[76:77], v[80:81] op_sel_hi:[1,0,1]
	v_pk_fma_f32 v[76:77], v[78:79], v[76:77], v[80:81] neg_lo:[0,0,1] neg_hi:[0,0,1]
	v_mov_b32_e32 v77, v83
	s_delay_alu instid0(VALU_DEP_1)
	v_pk_add_f32 v[72:73], v[72:73], v[76:77]
	s_and_not1_b32 exec_lo, exec_lo, s22
	s_cbranch_execnz .LBB33_32
; %bb.33:
	s_or_b32 exec_lo, exec_lo, s22
.LBB33_34:
	s_delay_alu instid0(SALU_CYCLE_1) | instskip(SKIP_4) | instid1(VALU_DEP_1)
	s_or_b32 exec_lo, exec_lo, s21
	v_mov_b32_e32 v74, 0
	ds_load_b64 v[74:75], v74 offset:240
	s_wait_dscnt 0x0
	v_pk_mul_f32 v[76:77], v[72:73], v[74:75] op_sel:[1,1] op_sel_hi:[0,1]
	v_pk_fma_f32 v[78:79], v[72:73], v[74:75], v[76:77] op_sel_hi:[1,0,1]
	v_pk_fma_f32 v[72:73], v[72:73], v[74:75], v[76:77] neg_lo:[0,0,1] neg_hi:[0,0,1]
	s_delay_alu instid0(VALU_DEP_2)
	v_mov_b32_e32 v73, v79
	scratch_store_b64 off, v[72:73], off offset:240
.LBB33_35:
	s_wait_xcnt 0x0
	s_or_b32 exec_lo, exec_lo, s20
	scratch_load_b64 v[72:73], off, off offset:232
	v_cmp_lt_u32_e64 s1, 29, v0
	s_wait_loadcnt 0x0
	ds_store_b64 v1, v[72:73]
	s_wait_storecnt_dscnt 0x0
	s_barrier_signal -1
	s_barrier_wait -1
	s_wait_xcnt 0x0
	s_and_saveexec_b32 s20, s1
	s_cbranch_execz .LBB33_45
; %bb.36:
	s_and_not1_b32 vcc_lo, exec_lo, s3
	s_cbranch_vccnz .LBB33_38
; %bb.37:
	scratch_load_b64 v[72:73], v37, off
	ds_load_b64 v[74:75], v1
	s_wait_loadcnt_dscnt 0x0
	v_pk_mul_f32 v[76:77], v[74:75], v[72:73] op_sel:[1,1] op_sel_hi:[0,1]
	s_delay_alu instid0(VALU_DEP_1) | instskip(SKIP_1) | instid1(VALU_DEP_2)
	v_pk_fma_f32 v[78:79], v[74:75], v[72:73], v[76:77] op_sel_hi:[1,0,1]
	v_pk_fma_f32 v[72:73], v[74:75], v[72:73], v[76:77] neg_lo:[0,0,1] neg_hi:[0,0,1]
	v_mov_b32_e32 v73, v79
	s_cbranch_execz .LBB33_39
	s_branch .LBB33_40
.LBB33_38:
                                        ; implicit-def: $vgpr72_vgpr73
.LBB33_39:
	ds_load_b64 v[72:73], v1
.LBB33_40:
	s_and_saveexec_b32 s21, s0
	s_cbranch_execz .LBB33_44
; %bb.41:
	v_subrev_nc_u32_e32 v74, 30, v0
	s_movk_i32 s22, 0x200
	s_mov_b32 s0, 0
.LBB33_42:                              ; =>This Inner Loop Header: Depth=1
	scratch_load_b64 v[76:77], off, s19
	v_dual_mov_b32 v75, s22 :: v_dual_add_nc_u32 v74, -1, v74
	s_add_co_i32 s22, s22, 8
	s_wait_xcnt 0x0
	s_add_co_i32 s19, s19, 8
	ds_load_b64 v[78:79], v75
	v_cmp_eq_u32_e32 vcc_lo, 0, v74
	s_or_b32 s0, vcc_lo, s0
	s_wait_loadcnt_dscnt 0x0
	v_pk_mul_f32 v[80:81], v[78:79], v[76:77] op_sel:[1,1] op_sel_hi:[0,1]
	s_delay_alu instid0(VALU_DEP_1) | instskip(SKIP_1) | instid1(VALU_DEP_2)
	v_pk_fma_f32 v[82:83], v[78:79], v[76:77], v[80:81] op_sel_hi:[1,0,1]
	v_pk_fma_f32 v[76:77], v[78:79], v[76:77], v[80:81] neg_lo:[0,0,1] neg_hi:[0,0,1]
	v_mov_b32_e32 v77, v83
	s_delay_alu instid0(VALU_DEP_1)
	v_pk_add_f32 v[72:73], v[72:73], v[76:77]
	s_and_not1_b32 exec_lo, exec_lo, s0
	s_cbranch_execnz .LBB33_42
; %bb.43:
	s_or_b32 exec_lo, exec_lo, s0
.LBB33_44:
	s_delay_alu instid0(SALU_CYCLE_1) | instskip(SKIP_4) | instid1(VALU_DEP_1)
	s_or_b32 exec_lo, exec_lo, s21
	v_mov_b32_e32 v74, 0
	ds_load_b64 v[74:75], v74 offset:232
	s_wait_dscnt 0x0
	v_pk_mul_f32 v[76:77], v[72:73], v[74:75] op_sel:[1,1] op_sel_hi:[0,1]
	v_pk_fma_f32 v[78:79], v[72:73], v[74:75], v[76:77] op_sel_hi:[1,0,1]
	v_pk_fma_f32 v[72:73], v[72:73], v[74:75], v[76:77] neg_lo:[0,0,1] neg_hi:[0,0,1]
	s_delay_alu instid0(VALU_DEP_2)
	v_mov_b32_e32 v73, v79
	scratch_store_b64 off, v[72:73], off offset:232
.LBB33_45:
	s_wait_xcnt 0x0
	s_or_b32 exec_lo, exec_lo, s20
	scratch_load_b64 v[72:73], off, off offset:224
	v_cmp_lt_u32_e64 s0, 28, v0
	s_wait_loadcnt 0x0
	ds_store_b64 v1, v[72:73]
	s_wait_storecnt_dscnt 0x0
	s_barrier_signal -1
	s_barrier_wait -1
	s_wait_xcnt 0x0
	s_and_saveexec_b32 s19, s0
	s_cbranch_execz .LBB33_55
; %bb.46:
	s_and_not1_b32 vcc_lo, exec_lo, s3
	s_cbranch_vccnz .LBB33_48
; %bb.47:
	scratch_load_b64 v[72:73], v37, off
	ds_load_b64 v[74:75], v1
	s_wait_loadcnt_dscnt 0x0
	v_pk_mul_f32 v[76:77], v[74:75], v[72:73] op_sel:[1,1] op_sel_hi:[0,1]
	s_delay_alu instid0(VALU_DEP_1) | instskip(SKIP_1) | instid1(VALU_DEP_2)
	v_pk_fma_f32 v[78:79], v[74:75], v[72:73], v[76:77] op_sel_hi:[1,0,1]
	v_pk_fma_f32 v[72:73], v[74:75], v[72:73], v[76:77] neg_lo:[0,0,1] neg_hi:[0,0,1]
	v_mov_b32_e32 v73, v79
	s_cbranch_execz .LBB33_49
	s_branch .LBB33_50
.LBB33_48:
                                        ; implicit-def: $vgpr72_vgpr73
.LBB33_49:
	ds_load_b64 v[72:73], v1
.LBB33_50:
	s_and_saveexec_b32 s20, s1
	s_cbranch_execz .LBB33_54
; %bb.51:
	v_subrev_nc_u32_e32 v74, 29, v0
	s_movk_i32 s1, 0xe8
	s_movk_i32 s22, 0x1f8
	s_mov_b32 s21, 0
.LBB33_52:                              ; =>This Inner Loop Header: Depth=1
	scratch_load_b64 v[76:77], off, s1
	v_dual_mov_b32 v75, s22 :: v_dual_add_nc_u32 v74, -1, v74
	s_add_co_i32 s22, s22, 8
	s_wait_xcnt 0x0
	s_add_co_i32 s1, s1, 8
	ds_load_b64 v[78:79], v75
	v_cmp_eq_u32_e32 vcc_lo, 0, v74
	s_or_b32 s21, vcc_lo, s21
	s_wait_loadcnt_dscnt 0x0
	v_pk_mul_f32 v[80:81], v[78:79], v[76:77] op_sel:[1,1] op_sel_hi:[0,1]
	s_delay_alu instid0(VALU_DEP_1) | instskip(SKIP_1) | instid1(VALU_DEP_2)
	v_pk_fma_f32 v[82:83], v[78:79], v[76:77], v[80:81] op_sel_hi:[1,0,1]
	v_pk_fma_f32 v[76:77], v[78:79], v[76:77], v[80:81] neg_lo:[0,0,1] neg_hi:[0,0,1]
	v_mov_b32_e32 v77, v83
	s_delay_alu instid0(VALU_DEP_1)
	v_pk_add_f32 v[72:73], v[72:73], v[76:77]
	s_and_not1_b32 exec_lo, exec_lo, s21
	s_cbranch_execnz .LBB33_52
; %bb.53:
	s_or_b32 exec_lo, exec_lo, s21
.LBB33_54:
	s_delay_alu instid0(SALU_CYCLE_1) | instskip(SKIP_4) | instid1(VALU_DEP_1)
	s_or_b32 exec_lo, exec_lo, s20
	v_mov_b32_e32 v74, 0
	ds_load_b64 v[74:75], v74 offset:224
	s_wait_dscnt 0x0
	v_pk_mul_f32 v[76:77], v[72:73], v[74:75] op_sel:[1,1] op_sel_hi:[0,1]
	v_pk_fma_f32 v[78:79], v[72:73], v[74:75], v[76:77] op_sel_hi:[1,0,1]
	v_pk_fma_f32 v[72:73], v[72:73], v[74:75], v[76:77] neg_lo:[0,0,1] neg_hi:[0,0,1]
	s_delay_alu instid0(VALU_DEP_2)
	v_mov_b32_e32 v73, v79
	scratch_store_b64 off, v[72:73], off offset:224
.LBB33_55:
	s_wait_xcnt 0x0
	s_or_b32 exec_lo, exec_lo, s19
	scratch_load_b64 v[72:73], off, off offset:216
	v_cmp_lt_u32_e64 s1, 27, v0
	s_wait_loadcnt 0x0
	ds_store_b64 v1, v[72:73]
	s_wait_storecnt_dscnt 0x0
	s_barrier_signal -1
	s_barrier_wait -1
	s_wait_xcnt 0x0
	s_and_saveexec_b32 s19, s1
	s_cbranch_execz .LBB33_65
; %bb.56:
	s_and_not1_b32 vcc_lo, exec_lo, s3
	s_cbranch_vccnz .LBB33_58
; %bb.57:
	scratch_load_b64 v[72:73], v37, off
	ds_load_b64 v[74:75], v1
	s_wait_loadcnt_dscnt 0x0
	v_pk_mul_f32 v[76:77], v[74:75], v[72:73] op_sel:[1,1] op_sel_hi:[0,1]
	s_delay_alu instid0(VALU_DEP_1) | instskip(SKIP_1) | instid1(VALU_DEP_2)
	v_pk_fma_f32 v[78:79], v[74:75], v[72:73], v[76:77] op_sel_hi:[1,0,1]
	v_pk_fma_f32 v[72:73], v[74:75], v[72:73], v[76:77] neg_lo:[0,0,1] neg_hi:[0,0,1]
	v_mov_b32_e32 v73, v79
	s_cbranch_execz .LBB33_59
	s_branch .LBB33_60
.LBB33_58:
                                        ; implicit-def: $vgpr72_vgpr73
.LBB33_59:
	ds_load_b64 v[72:73], v1
.LBB33_60:
	s_and_saveexec_b32 s20, s0
	s_cbranch_execz .LBB33_64
; %bb.61:
	v_subrev_nc_u32_e32 v74, 28, v0
	s_movk_i32 s21, 0x1f0
	s_mov_b32 s0, 0
.LBB33_62:                              ; =>This Inner Loop Header: Depth=1
	scratch_load_b64 v[76:77], off, s18
	v_dual_mov_b32 v75, s21 :: v_dual_add_nc_u32 v74, -1, v74
	s_add_co_i32 s21, s21, 8
	s_wait_xcnt 0x0
	s_add_co_i32 s18, s18, 8
	ds_load_b64 v[78:79], v75
	v_cmp_eq_u32_e32 vcc_lo, 0, v74
	s_or_b32 s0, vcc_lo, s0
	s_wait_loadcnt_dscnt 0x0
	v_pk_mul_f32 v[80:81], v[78:79], v[76:77] op_sel:[1,1] op_sel_hi:[0,1]
	s_delay_alu instid0(VALU_DEP_1) | instskip(SKIP_1) | instid1(VALU_DEP_2)
	v_pk_fma_f32 v[82:83], v[78:79], v[76:77], v[80:81] op_sel_hi:[1,0,1]
	v_pk_fma_f32 v[76:77], v[78:79], v[76:77], v[80:81] neg_lo:[0,0,1] neg_hi:[0,0,1]
	v_mov_b32_e32 v77, v83
	s_delay_alu instid0(VALU_DEP_1)
	v_pk_add_f32 v[72:73], v[72:73], v[76:77]
	s_and_not1_b32 exec_lo, exec_lo, s0
	s_cbranch_execnz .LBB33_62
; %bb.63:
	s_or_b32 exec_lo, exec_lo, s0
.LBB33_64:
	s_delay_alu instid0(SALU_CYCLE_1) | instskip(SKIP_4) | instid1(VALU_DEP_1)
	s_or_b32 exec_lo, exec_lo, s20
	v_mov_b32_e32 v74, 0
	ds_load_b64 v[74:75], v74 offset:216
	s_wait_dscnt 0x0
	v_pk_mul_f32 v[76:77], v[72:73], v[74:75] op_sel:[1,1] op_sel_hi:[0,1]
	v_pk_fma_f32 v[78:79], v[72:73], v[74:75], v[76:77] op_sel_hi:[1,0,1]
	v_pk_fma_f32 v[72:73], v[72:73], v[74:75], v[76:77] neg_lo:[0,0,1] neg_hi:[0,0,1]
	s_delay_alu instid0(VALU_DEP_2)
	v_mov_b32_e32 v73, v79
	scratch_store_b64 off, v[72:73], off offset:216
.LBB33_65:
	s_wait_xcnt 0x0
	s_or_b32 exec_lo, exec_lo, s19
	scratch_load_b64 v[72:73], off, off offset:208
	v_cmp_lt_u32_e64 s0, 26, v0
	s_wait_loadcnt 0x0
	ds_store_b64 v1, v[72:73]
	s_wait_storecnt_dscnt 0x0
	s_barrier_signal -1
	s_barrier_wait -1
	s_wait_xcnt 0x0
	s_and_saveexec_b32 s18, s0
	s_cbranch_execz .LBB33_75
; %bb.66:
	s_and_not1_b32 vcc_lo, exec_lo, s3
	s_cbranch_vccnz .LBB33_68
; %bb.67:
	scratch_load_b64 v[72:73], v37, off
	ds_load_b64 v[74:75], v1
	s_wait_loadcnt_dscnt 0x0
	v_pk_mul_f32 v[76:77], v[74:75], v[72:73] op_sel:[1,1] op_sel_hi:[0,1]
	s_delay_alu instid0(VALU_DEP_1) | instskip(SKIP_1) | instid1(VALU_DEP_2)
	v_pk_fma_f32 v[78:79], v[74:75], v[72:73], v[76:77] op_sel_hi:[1,0,1]
	v_pk_fma_f32 v[72:73], v[74:75], v[72:73], v[76:77] neg_lo:[0,0,1] neg_hi:[0,0,1]
	v_mov_b32_e32 v73, v79
	s_cbranch_execz .LBB33_69
	s_branch .LBB33_70
.LBB33_68:
                                        ; implicit-def: $vgpr72_vgpr73
.LBB33_69:
	ds_load_b64 v[72:73], v1
.LBB33_70:
	s_and_saveexec_b32 s19, s1
	s_cbranch_execz .LBB33_74
; %bb.71:
	v_subrev_nc_u32_e32 v74, 27, v0
	s_movk_i32 s1, 0xd8
	s_movk_i32 s21, 0x1e8
	s_mov_b32 s20, 0
.LBB33_72:                              ; =>This Inner Loop Header: Depth=1
	scratch_load_b64 v[76:77], off, s1
	v_dual_mov_b32 v75, s21 :: v_dual_add_nc_u32 v74, -1, v74
	s_add_co_i32 s21, s21, 8
	s_wait_xcnt 0x0
	s_add_co_i32 s1, s1, 8
	ds_load_b64 v[78:79], v75
	v_cmp_eq_u32_e32 vcc_lo, 0, v74
	s_or_b32 s20, vcc_lo, s20
	s_wait_loadcnt_dscnt 0x0
	v_pk_mul_f32 v[80:81], v[78:79], v[76:77] op_sel:[1,1] op_sel_hi:[0,1]
	s_delay_alu instid0(VALU_DEP_1) | instskip(SKIP_1) | instid1(VALU_DEP_2)
	v_pk_fma_f32 v[82:83], v[78:79], v[76:77], v[80:81] op_sel_hi:[1,0,1]
	v_pk_fma_f32 v[76:77], v[78:79], v[76:77], v[80:81] neg_lo:[0,0,1] neg_hi:[0,0,1]
	v_mov_b32_e32 v77, v83
	s_delay_alu instid0(VALU_DEP_1)
	v_pk_add_f32 v[72:73], v[72:73], v[76:77]
	s_and_not1_b32 exec_lo, exec_lo, s20
	s_cbranch_execnz .LBB33_72
; %bb.73:
	s_or_b32 exec_lo, exec_lo, s20
.LBB33_74:
	s_delay_alu instid0(SALU_CYCLE_1) | instskip(SKIP_4) | instid1(VALU_DEP_1)
	s_or_b32 exec_lo, exec_lo, s19
	v_mov_b32_e32 v74, 0
	ds_load_b64 v[74:75], v74 offset:208
	s_wait_dscnt 0x0
	v_pk_mul_f32 v[76:77], v[72:73], v[74:75] op_sel:[1,1] op_sel_hi:[0,1]
	v_pk_fma_f32 v[78:79], v[72:73], v[74:75], v[76:77] op_sel_hi:[1,0,1]
	v_pk_fma_f32 v[72:73], v[72:73], v[74:75], v[76:77] neg_lo:[0,0,1] neg_hi:[0,0,1]
	s_delay_alu instid0(VALU_DEP_2)
	v_mov_b32_e32 v73, v79
	scratch_store_b64 off, v[72:73], off offset:208
.LBB33_75:
	s_wait_xcnt 0x0
	s_or_b32 exec_lo, exec_lo, s18
	scratch_load_b64 v[72:73], off, off offset:200
	v_cmp_lt_u32_e64 s1, 25, v0
	s_wait_loadcnt 0x0
	ds_store_b64 v1, v[72:73]
	s_wait_storecnt_dscnt 0x0
	s_barrier_signal -1
	s_barrier_wait -1
	s_wait_xcnt 0x0
	s_and_saveexec_b32 s18, s1
	s_cbranch_execz .LBB33_85
; %bb.76:
	s_and_not1_b32 vcc_lo, exec_lo, s3
	s_cbranch_vccnz .LBB33_78
; %bb.77:
	scratch_load_b64 v[72:73], v37, off
	ds_load_b64 v[74:75], v1
	s_wait_loadcnt_dscnt 0x0
	v_pk_mul_f32 v[76:77], v[74:75], v[72:73] op_sel:[1,1] op_sel_hi:[0,1]
	s_delay_alu instid0(VALU_DEP_1) | instskip(SKIP_1) | instid1(VALU_DEP_2)
	v_pk_fma_f32 v[78:79], v[74:75], v[72:73], v[76:77] op_sel_hi:[1,0,1]
	v_pk_fma_f32 v[72:73], v[74:75], v[72:73], v[76:77] neg_lo:[0,0,1] neg_hi:[0,0,1]
	v_mov_b32_e32 v73, v79
	s_cbranch_execz .LBB33_79
	s_branch .LBB33_80
.LBB33_78:
                                        ; implicit-def: $vgpr72_vgpr73
.LBB33_79:
	ds_load_b64 v[72:73], v1
.LBB33_80:
	s_and_saveexec_b32 s19, s0
	s_cbranch_execz .LBB33_84
; %bb.81:
	v_subrev_nc_u32_e32 v74, 26, v0
	s_movk_i32 s20, 0x1e0
	s_mov_b32 s0, 0
.LBB33_82:                              ; =>This Inner Loop Header: Depth=1
	scratch_load_b64 v[76:77], off, s17
	v_dual_mov_b32 v75, s20 :: v_dual_add_nc_u32 v74, -1, v74
	s_add_co_i32 s20, s20, 8
	s_wait_xcnt 0x0
	s_add_co_i32 s17, s17, 8
	ds_load_b64 v[78:79], v75
	v_cmp_eq_u32_e32 vcc_lo, 0, v74
	s_or_b32 s0, vcc_lo, s0
	s_wait_loadcnt_dscnt 0x0
	v_pk_mul_f32 v[80:81], v[78:79], v[76:77] op_sel:[1,1] op_sel_hi:[0,1]
	s_delay_alu instid0(VALU_DEP_1) | instskip(SKIP_1) | instid1(VALU_DEP_2)
	v_pk_fma_f32 v[82:83], v[78:79], v[76:77], v[80:81] op_sel_hi:[1,0,1]
	v_pk_fma_f32 v[76:77], v[78:79], v[76:77], v[80:81] neg_lo:[0,0,1] neg_hi:[0,0,1]
	v_mov_b32_e32 v77, v83
	s_delay_alu instid0(VALU_DEP_1)
	v_pk_add_f32 v[72:73], v[72:73], v[76:77]
	s_and_not1_b32 exec_lo, exec_lo, s0
	s_cbranch_execnz .LBB33_82
; %bb.83:
	s_or_b32 exec_lo, exec_lo, s0
.LBB33_84:
	s_delay_alu instid0(SALU_CYCLE_1) | instskip(SKIP_4) | instid1(VALU_DEP_1)
	s_or_b32 exec_lo, exec_lo, s19
	v_mov_b32_e32 v74, 0
	ds_load_b64 v[74:75], v74 offset:200
	s_wait_dscnt 0x0
	v_pk_mul_f32 v[76:77], v[72:73], v[74:75] op_sel:[1,1] op_sel_hi:[0,1]
	v_pk_fma_f32 v[78:79], v[72:73], v[74:75], v[76:77] op_sel_hi:[1,0,1]
	v_pk_fma_f32 v[72:73], v[72:73], v[74:75], v[76:77] neg_lo:[0,0,1] neg_hi:[0,0,1]
	s_delay_alu instid0(VALU_DEP_2)
	v_mov_b32_e32 v73, v79
	scratch_store_b64 off, v[72:73], off offset:200
.LBB33_85:
	s_wait_xcnt 0x0
	s_or_b32 exec_lo, exec_lo, s18
	scratch_load_b64 v[72:73], off, off offset:192
	v_cmp_lt_u32_e64 s0, 24, v0
	s_wait_loadcnt 0x0
	ds_store_b64 v1, v[72:73]
	s_wait_storecnt_dscnt 0x0
	s_barrier_signal -1
	s_barrier_wait -1
	s_wait_xcnt 0x0
	s_and_saveexec_b32 s17, s0
	s_cbranch_execz .LBB33_95
; %bb.86:
	s_and_not1_b32 vcc_lo, exec_lo, s3
	s_cbranch_vccnz .LBB33_88
; %bb.87:
	scratch_load_b64 v[72:73], v37, off
	ds_load_b64 v[74:75], v1
	s_wait_loadcnt_dscnt 0x0
	v_pk_mul_f32 v[76:77], v[74:75], v[72:73] op_sel:[1,1] op_sel_hi:[0,1]
	s_delay_alu instid0(VALU_DEP_1) | instskip(SKIP_1) | instid1(VALU_DEP_2)
	v_pk_fma_f32 v[78:79], v[74:75], v[72:73], v[76:77] op_sel_hi:[1,0,1]
	v_pk_fma_f32 v[72:73], v[74:75], v[72:73], v[76:77] neg_lo:[0,0,1] neg_hi:[0,0,1]
	v_mov_b32_e32 v73, v79
	s_cbranch_execz .LBB33_89
	s_branch .LBB33_90
.LBB33_88:
                                        ; implicit-def: $vgpr72_vgpr73
.LBB33_89:
	ds_load_b64 v[72:73], v1
.LBB33_90:
	s_and_saveexec_b32 s18, s1
	s_cbranch_execz .LBB33_94
; %bb.91:
	v_subrev_nc_u32_e32 v74, 25, v0
	s_movk_i32 s1, 0xc8
	s_movk_i32 s20, 0x1d8
	s_mov_b32 s19, 0
.LBB33_92:                              ; =>This Inner Loop Header: Depth=1
	scratch_load_b64 v[76:77], off, s1
	v_dual_mov_b32 v75, s20 :: v_dual_add_nc_u32 v74, -1, v74
	s_add_co_i32 s20, s20, 8
	s_wait_xcnt 0x0
	s_add_co_i32 s1, s1, 8
	ds_load_b64 v[78:79], v75
	v_cmp_eq_u32_e32 vcc_lo, 0, v74
	s_or_b32 s19, vcc_lo, s19
	s_wait_loadcnt_dscnt 0x0
	v_pk_mul_f32 v[80:81], v[78:79], v[76:77] op_sel:[1,1] op_sel_hi:[0,1]
	s_delay_alu instid0(VALU_DEP_1) | instskip(SKIP_1) | instid1(VALU_DEP_2)
	v_pk_fma_f32 v[82:83], v[78:79], v[76:77], v[80:81] op_sel_hi:[1,0,1]
	v_pk_fma_f32 v[76:77], v[78:79], v[76:77], v[80:81] neg_lo:[0,0,1] neg_hi:[0,0,1]
	v_mov_b32_e32 v77, v83
	s_delay_alu instid0(VALU_DEP_1)
	v_pk_add_f32 v[72:73], v[72:73], v[76:77]
	s_and_not1_b32 exec_lo, exec_lo, s19
	s_cbranch_execnz .LBB33_92
; %bb.93:
	s_or_b32 exec_lo, exec_lo, s19
.LBB33_94:
	s_delay_alu instid0(SALU_CYCLE_1) | instskip(SKIP_4) | instid1(VALU_DEP_1)
	s_or_b32 exec_lo, exec_lo, s18
	v_mov_b32_e32 v74, 0
	ds_load_b64 v[74:75], v74 offset:192
	s_wait_dscnt 0x0
	v_pk_mul_f32 v[76:77], v[72:73], v[74:75] op_sel:[1,1] op_sel_hi:[0,1]
	v_pk_fma_f32 v[78:79], v[72:73], v[74:75], v[76:77] op_sel_hi:[1,0,1]
	v_pk_fma_f32 v[72:73], v[72:73], v[74:75], v[76:77] neg_lo:[0,0,1] neg_hi:[0,0,1]
	s_delay_alu instid0(VALU_DEP_2)
	v_mov_b32_e32 v73, v79
	scratch_store_b64 off, v[72:73], off offset:192
.LBB33_95:
	s_wait_xcnt 0x0
	s_or_b32 exec_lo, exec_lo, s17
	scratch_load_b64 v[72:73], off, off offset:184
	v_cmp_lt_u32_e64 s1, 23, v0
	s_wait_loadcnt 0x0
	ds_store_b64 v1, v[72:73]
	s_wait_storecnt_dscnt 0x0
	s_barrier_signal -1
	s_barrier_wait -1
	s_wait_xcnt 0x0
	s_and_saveexec_b32 s17, s1
	s_cbranch_execz .LBB33_105
; %bb.96:
	s_and_not1_b32 vcc_lo, exec_lo, s3
	s_cbranch_vccnz .LBB33_98
; %bb.97:
	scratch_load_b64 v[72:73], v37, off
	ds_load_b64 v[74:75], v1
	s_wait_loadcnt_dscnt 0x0
	v_pk_mul_f32 v[76:77], v[74:75], v[72:73] op_sel:[1,1] op_sel_hi:[0,1]
	s_delay_alu instid0(VALU_DEP_1) | instskip(SKIP_1) | instid1(VALU_DEP_2)
	v_pk_fma_f32 v[78:79], v[74:75], v[72:73], v[76:77] op_sel_hi:[1,0,1]
	v_pk_fma_f32 v[72:73], v[74:75], v[72:73], v[76:77] neg_lo:[0,0,1] neg_hi:[0,0,1]
	v_mov_b32_e32 v73, v79
	s_cbranch_execz .LBB33_99
	s_branch .LBB33_100
.LBB33_98:
                                        ; implicit-def: $vgpr72_vgpr73
.LBB33_99:
	ds_load_b64 v[72:73], v1
.LBB33_100:
	s_and_saveexec_b32 s18, s0
	s_cbranch_execz .LBB33_104
; %bb.101:
	v_subrev_nc_u32_e32 v74, 24, v0
	s_movk_i32 s19, 0x1d0
	s_mov_b32 s0, 0
.LBB33_102:                             ; =>This Inner Loop Header: Depth=1
	scratch_load_b64 v[76:77], off, s16
	v_dual_mov_b32 v75, s19 :: v_dual_add_nc_u32 v74, -1, v74
	s_add_co_i32 s19, s19, 8
	s_wait_xcnt 0x0
	s_add_co_i32 s16, s16, 8
	ds_load_b64 v[78:79], v75
	v_cmp_eq_u32_e32 vcc_lo, 0, v74
	s_or_b32 s0, vcc_lo, s0
	s_wait_loadcnt_dscnt 0x0
	v_pk_mul_f32 v[80:81], v[78:79], v[76:77] op_sel:[1,1] op_sel_hi:[0,1]
	s_delay_alu instid0(VALU_DEP_1) | instskip(SKIP_1) | instid1(VALU_DEP_2)
	v_pk_fma_f32 v[82:83], v[78:79], v[76:77], v[80:81] op_sel_hi:[1,0,1]
	v_pk_fma_f32 v[76:77], v[78:79], v[76:77], v[80:81] neg_lo:[0,0,1] neg_hi:[0,0,1]
	v_mov_b32_e32 v77, v83
	s_delay_alu instid0(VALU_DEP_1)
	v_pk_add_f32 v[72:73], v[72:73], v[76:77]
	s_and_not1_b32 exec_lo, exec_lo, s0
	s_cbranch_execnz .LBB33_102
; %bb.103:
	s_or_b32 exec_lo, exec_lo, s0
.LBB33_104:
	s_delay_alu instid0(SALU_CYCLE_1) | instskip(SKIP_4) | instid1(VALU_DEP_1)
	s_or_b32 exec_lo, exec_lo, s18
	v_mov_b32_e32 v74, 0
	ds_load_b64 v[74:75], v74 offset:184
	s_wait_dscnt 0x0
	v_pk_mul_f32 v[76:77], v[72:73], v[74:75] op_sel:[1,1] op_sel_hi:[0,1]
	v_pk_fma_f32 v[78:79], v[72:73], v[74:75], v[76:77] op_sel_hi:[1,0,1]
	v_pk_fma_f32 v[72:73], v[72:73], v[74:75], v[76:77] neg_lo:[0,0,1] neg_hi:[0,0,1]
	s_delay_alu instid0(VALU_DEP_2)
	v_mov_b32_e32 v73, v79
	scratch_store_b64 off, v[72:73], off offset:184
.LBB33_105:
	s_wait_xcnt 0x0
	s_or_b32 exec_lo, exec_lo, s17
	scratch_load_b64 v[72:73], off, off offset:176
	v_cmp_lt_u32_e64 s0, 22, v0
	s_wait_loadcnt 0x0
	ds_store_b64 v1, v[72:73]
	s_wait_storecnt_dscnt 0x0
	s_barrier_signal -1
	s_barrier_wait -1
	s_wait_xcnt 0x0
	s_and_saveexec_b32 s16, s0
	s_cbranch_execz .LBB33_115
; %bb.106:
	s_and_not1_b32 vcc_lo, exec_lo, s3
	s_cbranch_vccnz .LBB33_108
; %bb.107:
	scratch_load_b64 v[72:73], v37, off
	ds_load_b64 v[74:75], v1
	s_wait_loadcnt_dscnt 0x0
	v_pk_mul_f32 v[76:77], v[74:75], v[72:73] op_sel:[1,1] op_sel_hi:[0,1]
	s_delay_alu instid0(VALU_DEP_1) | instskip(SKIP_1) | instid1(VALU_DEP_2)
	v_pk_fma_f32 v[78:79], v[74:75], v[72:73], v[76:77] op_sel_hi:[1,0,1]
	v_pk_fma_f32 v[72:73], v[74:75], v[72:73], v[76:77] neg_lo:[0,0,1] neg_hi:[0,0,1]
	v_mov_b32_e32 v73, v79
	s_cbranch_execz .LBB33_109
	s_branch .LBB33_110
.LBB33_108:
                                        ; implicit-def: $vgpr72_vgpr73
.LBB33_109:
	ds_load_b64 v[72:73], v1
.LBB33_110:
	s_and_saveexec_b32 s17, s1
	s_cbranch_execz .LBB33_114
; %bb.111:
	v_subrev_nc_u32_e32 v74, 23, v0
	s_movk_i32 s1, 0xb8
	s_movk_i32 s19, 0x1c8
	s_mov_b32 s18, 0
.LBB33_112:                             ; =>This Inner Loop Header: Depth=1
	scratch_load_b64 v[76:77], off, s1
	v_dual_mov_b32 v75, s19 :: v_dual_add_nc_u32 v74, -1, v74
	s_add_co_i32 s19, s19, 8
	s_wait_xcnt 0x0
	s_add_co_i32 s1, s1, 8
	ds_load_b64 v[78:79], v75
	v_cmp_eq_u32_e32 vcc_lo, 0, v74
	s_or_b32 s18, vcc_lo, s18
	s_wait_loadcnt_dscnt 0x0
	v_pk_mul_f32 v[80:81], v[78:79], v[76:77] op_sel:[1,1] op_sel_hi:[0,1]
	s_delay_alu instid0(VALU_DEP_1) | instskip(SKIP_1) | instid1(VALU_DEP_2)
	v_pk_fma_f32 v[82:83], v[78:79], v[76:77], v[80:81] op_sel_hi:[1,0,1]
	v_pk_fma_f32 v[76:77], v[78:79], v[76:77], v[80:81] neg_lo:[0,0,1] neg_hi:[0,0,1]
	v_mov_b32_e32 v77, v83
	s_delay_alu instid0(VALU_DEP_1)
	v_pk_add_f32 v[72:73], v[72:73], v[76:77]
	s_and_not1_b32 exec_lo, exec_lo, s18
	s_cbranch_execnz .LBB33_112
; %bb.113:
	s_or_b32 exec_lo, exec_lo, s18
.LBB33_114:
	s_delay_alu instid0(SALU_CYCLE_1) | instskip(SKIP_4) | instid1(VALU_DEP_1)
	s_or_b32 exec_lo, exec_lo, s17
	v_mov_b32_e32 v74, 0
	ds_load_b64 v[74:75], v74 offset:176
	s_wait_dscnt 0x0
	v_pk_mul_f32 v[76:77], v[72:73], v[74:75] op_sel:[1,1] op_sel_hi:[0,1]
	v_pk_fma_f32 v[78:79], v[72:73], v[74:75], v[76:77] op_sel_hi:[1,0,1]
	v_pk_fma_f32 v[72:73], v[72:73], v[74:75], v[76:77] neg_lo:[0,0,1] neg_hi:[0,0,1]
	s_delay_alu instid0(VALU_DEP_2)
	v_mov_b32_e32 v73, v79
	scratch_store_b64 off, v[72:73], off offset:176
.LBB33_115:
	s_wait_xcnt 0x0
	s_or_b32 exec_lo, exec_lo, s16
	scratch_load_b64 v[72:73], off, off offset:168
	v_cmp_lt_u32_e64 s1, 21, v0
	s_wait_loadcnt 0x0
	ds_store_b64 v1, v[72:73]
	s_wait_storecnt_dscnt 0x0
	s_barrier_signal -1
	s_barrier_wait -1
	s_wait_xcnt 0x0
	s_and_saveexec_b32 s16, s1
	s_cbranch_execz .LBB33_125
; %bb.116:
	s_and_not1_b32 vcc_lo, exec_lo, s3
	s_cbranch_vccnz .LBB33_118
; %bb.117:
	scratch_load_b64 v[72:73], v37, off
	ds_load_b64 v[74:75], v1
	s_wait_loadcnt_dscnt 0x0
	v_pk_mul_f32 v[76:77], v[74:75], v[72:73] op_sel:[1,1] op_sel_hi:[0,1]
	s_delay_alu instid0(VALU_DEP_1) | instskip(SKIP_1) | instid1(VALU_DEP_2)
	v_pk_fma_f32 v[78:79], v[74:75], v[72:73], v[76:77] op_sel_hi:[1,0,1]
	v_pk_fma_f32 v[72:73], v[74:75], v[72:73], v[76:77] neg_lo:[0,0,1] neg_hi:[0,0,1]
	v_mov_b32_e32 v73, v79
	s_cbranch_execz .LBB33_119
	s_branch .LBB33_120
.LBB33_118:
                                        ; implicit-def: $vgpr72_vgpr73
.LBB33_119:
	ds_load_b64 v[72:73], v1
.LBB33_120:
	s_and_saveexec_b32 s17, s0
	s_cbranch_execz .LBB33_124
; %bb.121:
	v_subrev_nc_u32_e32 v74, 22, v0
	s_movk_i32 s18, 0x1c0
	s_mov_b32 s0, 0
.LBB33_122:                             ; =>This Inner Loop Header: Depth=1
	scratch_load_b64 v[76:77], off, s15
	v_dual_mov_b32 v75, s18 :: v_dual_add_nc_u32 v74, -1, v74
	s_add_co_i32 s18, s18, 8
	s_wait_xcnt 0x0
	s_add_co_i32 s15, s15, 8
	ds_load_b64 v[78:79], v75
	v_cmp_eq_u32_e32 vcc_lo, 0, v74
	s_or_b32 s0, vcc_lo, s0
	s_wait_loadcnt_dscnt 0x0
	v_pk_mul_f32 v[80:81], v[78:79], v[76:77] op_sel:[1,1] op_sel_hi:[0,1]
	s_delay_alu instid0(VALU_DEP_1) | instskip(SKIP_1) | instid1(VALU_DEP_2)
	v_pk_fma_f32 v[82:83], v[78:79], v[76:77], v[80:81] op_sel_hi:[1,0,1]
	v_pk_fma_f32 v[76:77], v[78:79], v[76:77], v[80:81] neg_lo:[0,0,1] neg_hi:[0,0,1]
	v_mov_b32_e32 v77, v83
	s_delay_alu instid0(VALU_DEP_1)
	v_pk_add_f32 v[72:73], v[72:73], v[76:77]
	s_and_not1_b32 exec_lo, exec_lo, s0
	s_cbranch_execnz .LBB33_122
; %bb.123:
	s_or_b32 exec_lo, exec_lo, s0
.LBB33_124:
	s_delay_alu instid0(SALU_CYCLE_1) | instskip(SKIP_4) | instid1(VALU_DEP_1)
	s_or_b32 exec_lo, exec_lo, s17
	v_mov_b32_e32 v74, 0
	ds_load_b64 v[74:75], v74 offset:168
	s_wait_dscnt 0x0
	v_pk_mul_f32 v[76:77], v[72:73], v[74:75] op_sel:[1,1] op_sel_hi:[0,1]
	v_pk_fma_f32 v[78:79], v[72:73], v[74:75], v[76:77] op_sel_hi:[1,0,1]
	v_pk_fma_f32 v[72:73], v[72:73], v[74:75], v[76:77] neg_lo:[0,0,1] neg_hi:[0,0,1]
	s_delay_alu instid0(VALU_DEP_2)
	v_mov_b32_e32 v73, v79
	scratch_store_b64 off, v[72:73], off offset:168
.LBB33_125:
	s_wait_xcnt 0x0
	s_or_b32 exec_lo, exec_lo, s16
	scratch_load_b64 v[72:73], off, off offset:160
	v_cmp_lt_u32_e64 s0, 20, v0
	s_wait_loadcnt 0x0
	ds_store_b64 v1, v[72:73]
	s_wait_storecnt_dscnt 0x0
	s_barrier_signal -1
	s_barrier_wait -1
	s_wait_xcnt 0x0
	s_and_saveexec_b32 s15, s0
	s_cbranch_execz .LBB33_135
; %bb.126:
	s_and_not1_b32 vcc_lo, exec_lo, s3
	s_cbranch_vccnz .LBB33_128
; %bb.127:
	scratch_load_b64 v[72:73], v37, off
	ds_load_b64 v[74:75], v1
	s_wait_loadcnt_dscnt 0x0
	v_pk_mul_f32 v[76:77], v[74:75], v[72:73] op_sel:[1,1] op_sel_hi:[0,1]
	s_delay_alu instid0(VALU_DEP_1) | instskip(SKIP_1) | instid1(VALU_DEP_2)
	v_pk_fma_f32 v[78:79], v[74:75], v[72:73], v[76:77] op_sel_hi:[1,0,1]
	v_pk_fma_f32 v[72:73], v[74:75], v[72:73], v[76:77] neg_lo:[0,0,1] neg_hi:[0,0,1]
	v_mov_b32_e32 v73, v79
	s_cbranch_execz .LBB33_129
	s_branch .LBB33_130
.LBB33_128:
                                        ; implicit-def: $vgpr72_vgpr73
.LBB33_129:
	ds_load_b64 v[72:73], v1
.LBB33_130:
	s_and_saveexec_b32 s16, s1
	s_cbranch_execz .LBB33_134
; %bb.131:
	v_subrev_nc_u32_e32 v74, 21, v0
	s_movk_i32 s1, 0xa8
	s_movk_i32 s18, 0x1b8
	s_mov_b32 s17, 0
.LBB33_132:                             ; =>This Inner Loop Header: Depth=1
	scratch_load_b64 v[76:77], off, s1
	v_dual_mov_b32 v75, s18 :: v_dual_add_nc_u32 v74, -1, v74
	s_add_co_i32 s18, s18, 8
	s_wait_xcnt 0x0
	s_add_co_i32 s1, s1, 8
	ds_load_b64 v[78:79], v75
	v_cmp_eq_u32_e32 vcc_lo, 0, v74
	s_or_b32 s17, vcc_lo, s17
	s_wait_loadcnt_dscnt 0x0
	v_pk_mul_f32 v[80:81], v[78:79], v[76:77] op_sel:[1,1] op_sel_hi:[0,1]
	s_delay_alu instid0(VALU_DEP_1) | instskip(SKIP_1) | instid1(VALU_DEP_2)
	v_pk_fma_f32 v[82:83], v[78:79], v[76:77], v[80:81] op_sel_hi:[1,0,1]
	v_pk_fma_f32 v[76:77], v[78:79], v[76:77], v[80:81] neg_lo:[0,0,1] neg_hi:[0,0,1]
	v_mov_b32_e32 v77, v83
	s_delay_alu instid0(VALU_DEP_1)
	v_pk_add_f32 v[72:73], v[72:73], v[76:77]
	s_and_not1_b32 exec_lo, exec_lo, s17
	s_cbranch_execnz .LBB33_132
; %bb.133:
	s_or_b32 exec_lo, exec_lo, s17
.LBB33_134:
	s_delay_alu instid0(SALU_CYCLE_1) | instskip(SKIP_4) | instid1(VALU_DEP_1)
	s_or_b32 exec_lo, exec_lo, s16
	v_mov_b32_e32 v74, 0
	ds_load_b64 v[74:75], v74 offset:160
	s_wait_dscnt 0x0
	v_pk_mul_f32 v[76:77], v[72:73], v[74:75] op_sel:[1,1] op_sel_hi:[0,1]
	v_pk_fma_f32 v[78:79], v[72:73], v[74:75], v[76:77] op_sel_hi:[1,0,1]
	v_pk_fma_f32 v[72:73], v[72:73], v[74:75], v[76:77] neg_lo:[0,0,1] neg_hi:[0,0,1]
	s_delay_alu instid0(VALU_DEP_2)
	v_mov_b32_e32 v73, v79
	scratch_store_b64 off, v[72:73], off offset:160
.LBB33_135:
	s_wait_xcnt 0x0
	s_or_b32 exec_lo, exec_lo, s15
	scratch_load_b64 v[72:73], off, off offset:152
	v_cmp_lt_u32_e64 s1, 19, v0
	s_wait_loadcnt 0x0
	ds_store_b64 v1, v[72:73]
	s_wait_storecnt_dscnt 0x0
	s_barrier_signal -1
	s_barrier_wait -1
	s_wait_xcnt 0x0
	s_and_saveexec_b32 s15, s1
	s_cbranch_execz .LBB33_145
; %bb.136:
	s_and_not1_b32 vcc_lo, exec_lo, s3
	s_cbranch_vccnz .LBB33_138
; %bb.137:
	scratch_load_b64 v[72:73], v37, off
	ds_load_b64 v[74:75], v1
	s_wait_loadcnt_dscnt 0x0
	v_pk_mul_f32 v[76:77], v[74:75], v[72:73] op_sel:[1,1] op_sel_hi:[0,1]
	s_delay_alu instid0(VALU_DEP_1) | instskip(SKIP_1) | instid1(VALU_DEP_2)
	v_pk_fma_f32 v[78:79], v[74:75], v[72:73], v[76:77] op_sel_hi:[1,0,1]
	v_pk_fma_f32 v[72:73], v[74:75], v[72:73], v[76:77] neg_lo:[0,0,1] neg_hi:[0,0,1]
	v_mov_b32_e32 v73, v79
	s_cbranch_execz .LBB33_139
	s_branch .LBB33_140
.LBB33_138:
                                        ; implicit-def: $vgpr72_vgpr73
.LBB33_139:
	ds_load_b64 v[72:73], v1
.LBB33_140:
	s_and_saveexec_b32 s16, s0
	s_cbranch_execz .LBB33_144
; %bb.141:
	v_subrev_nc_u32_e32 v74, 20, v0
	s_movk_i32 s17, 0x1b0
	s_mov_b32 s0, 0
.LBB33_142:                             ; =>This Inner Loop Header: Depth=1
	scratch_load_b64 v[76:77], off, s14
	v_dual_mov_b32 v75, s17 :: v_dual_add_nc_u32 v74, -1, v74
	s_add_co_i32 s17, s17, 8
	s_wait_xcnt 0x0
	s_add_co_i32 s14, s14, 8
	ds_load_b64 v[78:79], v75
	v_cmp_eq_u32_e32 vcc_lo, 0, v74
	s_or_b32 s0, vcc_lo, s0
	s_wait_loadcnt_dscnt 0x0
	v_pk_mul_f32 v[80:81], v[78:79], v[76:77] op_sel:[1,1] op_sel_hi:[0,1]
	s_delay_alu instid0(VALU_DEP_1) | instskip(SKIP_1) | instid1(VALU_DEP_2)
	v_pk_fma_f32 v[82:83], v[78:79], v[76:77], v[80:81] op_sel_hi:[1,0,1]
	v_pk_fma_f32 v[76:77], v[78:79], v[76:77], v[80:81] neg_lo:[0,0,1] neg_hi:[0,0,1]
	v_mov_b32_e32 v77, v83
	s_delay_alu instid0(VALU_DEP_1)
	v_pk_add_f32 v[72:73], v[72:73], v[76:77]
	s_and_not1_b32 exec_lo, exec_lo, s0
	s_cbranch_execnz .LBB33_142
; %bb.143:
	s_or_b32 exec_lo, exec_lo, s0
.LBB33_144:
	s_delay_alu instid0(SALU_CYCLE_1) | instskip(SKIP_4) | instid1(VALU_DEP_1)
	s_or_b32 exec_lo, exec_lo, s16
	v_mov_b32_e32 v74, 0
	ds_load_b64 v[74:75], v74 offset:152
	s_wait_dscnt 0x0
	v_pk_mul_f32 v[76:77], v[72:73], v[74:75] op_sel:[1,1] op_sel_hi:[0,1]
	v_pk_fma_f32 v[78:79], v[72:73], v[74:75], v[76:77] op_sel_hi:[1,0,1]
	v_pk_fma_f32 v[72:73], v[72:73], v[74:75], v[76:77] neg_lo:[0,0,1] neg_hi:[0,0,1]
	s_delay_alu instid0(VALU_DEP_2)
	v_mov_b32_e32 v73, v79
	scratch_store_b64 off, v[72:73], off offset:152
.LBB33_145:
	s_wait_xcnt 0x0
	s_or_b32 exec_lo, exec_lo, s15
	scratch_load_b64 v[72:73], off, off offset:144
	v_cmp_lt_u32_e64 s0, 18, v0
	s_wait_loadcnt 0x0
	ds_store_b64 v1, v[72:73]
	s_wait_storecnt_dscnt 0x0
	s_barrier_signal -1
	s_barrier_wait -1
	s_wait_xcnt 0x0
	s_and_saveexec_b32 s14, s0
	s_cbranch_execz .LBB33_155
; %bb.146:
	s_and_not1_b32 vcc_lo, exec_lo, s3
	s_cbranch_vccnz .LBB33_148
; %bb.147:
	scratch_load_b64 v[72:73], v37, off
	ds_load_b64 v[74:75], v1
	s_wait_loadcnt_dscnt 0x0
	v_pk_mul_f32 v[76:77], v[74:75], v[72:73] op_sel:[1,1] op_sel_hi:[0,1]
	s_delay_alu instid0(VALU_DEP_1) | instskip(SKIP_1) | instid1(VALU_DEP_2)
	v_pk_fma_f32 v[78:79], v[74:75], v[72:73], v[76:77] op_sel_hi:[1,0,1]
	v_pk_fma_f32 v[72:73], v[74:75], v[72:73], v[76:77] neg_lo:[0,0,1] neg_hi:[0,0,1]
	v_mov_b32_e32 v73, v79
	s_cbranch_execz .LBB33_149
	s_branch .LBB33_150
.LBB33_148:
                                        ; implicit-def: $vgpr72_vgpr73
.LBB33_149:
	ds_load_b64 v[72:73], v1
.LBB33_150:
	s_and_saveexec_b32 s15, s1
	s_cbranch_execz .LBB33_154
; %bb.151:
	v_subrev_nc_u32_e32 v74, 19, v0
	s_movk_i32 s1, 0x98
	s_movk_i32 s17, 0x1a8
	s_mov_b32 s16, 0
.LBB33_152:                             ; =>This Inner Loop Header: Depth=1
	scratch_load_b64 v[76:77], off, s1
	v_dual_mov_b32 v75, s17 :: v_dual_add_nc_u32 v74, -1, v74
	s_add_co_i32 s17, s17, 8
	s_wait_xcnt 0x0
	s_add_co_i32 s1, s1, 8
	ds_load_b64 v[78:79], v75
	v_cmp_eq_u32_e32 vcc_lo, 0, v74
	s_or_b32 s16, vcc_lo, s16
	s_wait_loadcnt_dscnt 0x0
	v_pk_mul_f32 v[80:81], v[78:79], v[76:77] op_sel:[1,1] op_sel_hi:[0,1]
	s_delay_alu instid0(VALU_DEP_1) | instskip(SKIP_1) | instid1(VALU_DEP_2)
	v_pk_fma_f32 v[82:83], v[78:79], v[76:77], v[80:81] op_sel_hi:[1,0,1]
	v_pk_fma_f32 v[76:77], v[78:79], v[76:77], v[80:81] neg_lo:[0,0,1] neg_hi:[0,0,1]
	v_mov_b32_e32 v77, v83
	s_delay_alu instid0(VALU_DEP_1)
	v_pk_add_f32 v[72:73], v[72:73], v[76:77]
	s_and_not1_b32 exec_lo, exec_lo, s16
	s_cbranch_execnz .LBB33_152
; %bb.153:
	s_or_b32 exec_lo, exec_lo, s16
.LBB33_154:
	s_delay_alu instid0(SALU_CYCLE_1) | instskip(SKIP_4) | instid1(VALU_DEP_1)
	s_or_b32 exec_lo, exec_lo, s15
	v_mov_b32_e32 v74, 0
	ds_load_b64 v[74:75], v74 offset:144
	s_wait_dscnt 0x0
	v_pk_mul_f32 v[76:77], v[72:73], v[74:75] op_sel:[1,1] op_sel_hi:[0,1]
	v_pk_fma_f32 v[78:79], v[72:73], v[74:75], v[76:77] op_sel_hi:[1,0,1]
	v_pk_fma_f32 v[72:73], v[72:73], v[74:75], v[76:77] neg_lo:[0,0,1] neg_hi:[0,0,1]
	s_delay_alu instid0(VALU_DEP_2)
	v_mov_b32_e32 v73, v79
	scratch_store_b64 off, v[72:73], off offset:144
.LBB33_155:
	s_wait_xcnt 0x0
	s_or_b32 exec_lo, exec_lo, s14
	scratch_load_b64 v[72:73], off, off offset:136
	v_cmp_lt_u32_e64 s1, 17, v0
	s_wait_loadcnt 0x0
	ds_store_b64 v1, v[72:73]
	s_wait_storecnt_dscnt 0x0
	s_barrier_signal -1
	s_barrier_wait -1
	s_wait_xcnt 0x0
	s_and_saveexec_b32 s14, s1
	s_cbranch_execz .LBB33_165
; %bb.156:
	s_and_not1_b32 vcc_lo, exec_lo, s3
	s_cbranch_vccnz .LBB33_158
; %bb.157:
	scratch_load_b64 v[72:73], v37, off
	ds_load_b64 v[74:75], v1
	s_wait_loadcnt_dscnt 0x0
	v_pk_mul_f32 v[76:77], v[74:75], v[72:73] op_sel:[1,1] op_sel_hi:[0,1]
	s_delay_alu instid0(VALU_DEP_1) | instskip(SKIP_1) | instid1(VALU_DEP_2)
	v_pk_fma_f32 v[78:79], v[74:75], v[72:73], v[76:77] op_sel_hi:[1,0,1]
	v_pk_fma_f32 v[72:73], v[74:75], v[72:73], v[76:77] neg_lo:[0,0,1] neg_hi:[0,0,1]
	v_mov_b32_e32 v73, v79
	s_cbranch_execz .LBB33_159
	s_branch .LBB33_160
.LBB33_158:
                                        ; implicit-def: $vgpr72_vgpr73
.LBB33_159:
	ds_load_b64 v[72:73], v1
.LBB33_160:
	s_and_saveexec_b32 s15, s0
	s_cbranch_execz .LBB33_164
; %bb.161:
	v_subrev_nc_u32_e32 v74, 18, v0
	s_movk_i32 s16, 0x1a0
	s_mov_b32 s0, 0
.LBB33_162:                             ; =>This Inner Loop Header: Depth=1
	scratch_load_b64 v[76:77], off, s13
	v_dual_mov_b32 v75, s16 :: v_dual_add_nc_u32 v74, -1, v74
	s_add_co_i32 s16, s16, 8
	s_wait_xcnt 0x0
	s_add_co_i32 s13, s13, 8
	ds_load_b64 v[78:79], v75
	v_cmp_eq_u32_e32 vcc_lo, 0, v74
	s_or_b32 s0, vcc_lo, s0
	s_wait_loadcnt_dscnt 0x0
	v_pk_mul_f32 v[80:81], v[78:79], v[76:77] op_sel:[1,1] op_sel_hi:[0,1]
	s_delay_alu instid0(VALU_DEP_1) | instskip(SKIP_1) | instid1(VALU_DEP_2)
	v_pk_fma_f32 v[82:83], v[78:79], v[76:77], v[80:81] op_sel_hi:[1,0,1]
	v_pk_fma_f32 v[76:77], v[78:79], v[76:77], v[80:81] neg_lo:[0,0,1] neg_hi:[0,0,1]
	v_mov_b32_e32 v77, v83
	s_delay_alu instid0(VALU_DEP_1)
	v_pk_add_f32 v[72:73], v[72:73], v[76:77]
	s_and_not1_b32 exec_lo, exec_lo, s0
	s_cbranch_execnz .LBB33_162
; %bb.163:
	s_or_b32 exec_lo, exec_lo, s0
.LBB33_164:
	s_delay_alu instid0(SALU_CYCLE_1) | instskip(SKIP_4) | instid1(VALU_DEP_1)
	s_or_b32 exec_lo, exec_lo, s15
	v_mov_b32_e32 v74, 0
	ds_load_b64 v[74:75], v74 offset:136
	s_wait_dscnt 0x0
	v_pk_mul_f32 v[76:77], v[72:73], v[74:75] op_sel:[1,1] op_sel_hi:[0,1]
	v_pk_fma_f32 v[78:79], v[72:73], v[74:75], v[76:77] op_sel_hi:[1,0,1]
	v_pk_fma_f32 v[72:73], v[72:73], v[74:75], v[76:77] neg_lo:[0,0,1] neg_hi:[0,0,1]
	s_delay_alu instid0(VALU_DEP_2)
	v_mov_b32_e32 v73, v79
	scratch_store_b64 off, v[72:73], off offset:136
.LBB33_165:
	s_wait_xcnt 0x0
	s_or_b32 exec_lo, exec_lo, s14
	scratch_load_b64 v[72:73], off, off offset:128
	v_cmp_lt_u32_e64 s0, 16, v0
	s_wait_loadcnt 0x0
	ds_store_b64 v1, v[72:73]
	s_wait_storecnt_dscnt 0x0
	s_barrier_signal -1
	s_barrier_wait -1
	s_wait_xcnt 0x0
	s_and_saveexec_b32 s13, s0
	s_cbranch_execz .LBB33_175
; %bb.166:
	s_and_not1_b32 vcc_lo, exec_lo, s3
	s_cbranch_vccnz .LBB33_168
; %bb.167:
	scratch_load_b64 v[72:73], v37, off
	ds_load_b64 v[74:75], v1
	s_wait_loadcnt_dscnt 0x0
	v_pk_mul_f32 v[76:77], v[74:75], v[72:73] op_sel:[1,1] op_sel_hi:[0,1]
	s_delay_alu instid0(VALU_DEP_1) | instskip(SKIP_1) | instid1(VALU_DEP_2)
	v_pk_fma_f32 v[78:79], v[74:75], v[72:73], v[76:77] op_sel_hi:[1,0,1]
	v_pk_fma_f32 v[72:73], v[74:75], v[72:73], v[76:77] neg_lo:[0,0,1] neg_hi:[0,0,1]
	v_mov_b32_e32 v73, v79
	s_cbranch_execz .LBB33_169
	s_branch .LBB33_170
.LBB33_168:
                                        ; implicit-def: $vgpr72_vgpr73
.LBB33_169:
	ds_load_b64 v[72:73], v1
.LBB33_170:
	s_and_saveexec_b32 s14, s1
	s_cbranch_execz .LBB33_174
; %bb.171:
	v_subrev_nc_u32_e32 v74, 17, v0
	s_movk_i32 s1, 0x88
	s_movk_i32 s16, 0x198
	s_mov_b32 s15, 0
.LBB33_172:                             ; =>This Inner Loop Header: Depth=1
	scratch_load_b64 v[76:77], off, s1
	v_dual_mov_b32 v75, s16 :: v_dual_add_nc_u32 v74, -1, v74
	s_add_co_i32 s16, s16, 8
	s_wait_xcnt 0x0
	s_add_co_i32 s1, s1, 8
	ds_load_b64 v[78:79], v75
	v_cmp_eq_u32_e32 vcc_lo, 0, v74
	s_or_b32 s15, vcc_lo, s15
	s_wait_loadcnt_dscnt 0x0
	v_pk_mul_f32 v[80:81], v[78:79], v[76:77] op_sel:[1,1] op_sel_hi:[0,1]
	s_delay_alu instid0(VALU_DEP_1) | instskip(SKIP_1) | instid1(VALU_DEP_2)
	v_pk_fma_f32 v[82:83], v[78:79], v[76:77], v[80:81] op_sel_hi:[1,0,1]
	v_pk_fma_f32 v[76:77], v[78:79], v[76:77], v[80:81] neg_lo:[0,0,1] neg_hi:[0,0,1]
	v_mov_b32_e32 v77, v83
	s_delay_alu instid0(VALU_DEP_1)
	v_pk_add_f32 v[72:73], v[72:73], v[76:77]
	s_and_not1_b32 exec_lo, exec_lo, s15
	s_cbranch_execnz .LBB33_172
; %bb.173:
	s_or_b32 exec_lo, exec_lo, s15
.LBB33_174:
	s_delay_alu instid0(SALU_CYCLE_1) | instskip(SKIP_4) | instid1(VALU_DEP_1)
	s_or_b32 exec_lo, exec_lo, s14
	v_mov_b32_e32 v74, 0
	ds_load_b64 v[74:75], v74 offset:128
	s_wait_dscnt 0x0
	v_pk_mul_f32 v[76:77], v[72:73], v[74:75] op_sel:[1,1] op_sel_hi:[0,1]
	v_pk_fma_f32 v[78:79], v[72:73], v[74:75], v[76:77] op_sel_hi:[1,0,1]
	v_pk_fma_f32 v[72:73], v[72:73], v[74:75], v[76:77] neg_lo:[0,0,1] neg_hi:[0,0,1]
	s_delay_alu instid0(VALU_DEP_2)
	v_mov_b32_e32 v73, v79
	scratch_store_b64 off, v[72:73], off offset:128
.LBB33_175:
	s_wait_xcnt 0x0
	s_or_b32 exec_lo, exec_lo, s13
	scratch_load_b64 v[72:73], off, off offset:120
	v_cmp_lt_u32_e64 s1, 15, v0
	s_wait_loadcnt 0x0
	ds_store_b64 v1, v[72:73]
	s_wait_storecnt_dscnt 0x0
	s_barrier_signal -1
	s_barrier_wait -1
	s_wait_xcnt 0x0
	s_and_saveexec_b32 s13, s1
	s_cbranch_execz .LBB33_185
; %bb.176:
	s_and_not1_b32 vcc_lo, exec_lo, s3
	s_cbranch_vccnz .LBB33_178
; %bb.177:
	scratch_load_b64 v[72:73], v37, off
	ds_load_b64 v[74:75], v1
	s_wait_loadcnt_dscnt 0x0
	v_pk_mul_f32 v[76:77], v[74:75], v[72:73] op_sel:[1,1] op_sel_hi:[0,1]
	s_delay_alu instid0(VALU_DEP_1) | instskip(SKIP_1) | instid1(VALU_DEP_2)
	v_pk_fma_f32 v[78:79], v[74:75], v[72:73], v[76:77] op_sel_hi:[1,0,1]
	v_pk_fma_f32 v[72:73], v[74:75], v[72:73], v[76:77] neg_lo:[0,0,1] neg_hi:[0,0,1]
	v_mov_b32_e32 v73, v79
	s_cbranch_execz .LBB33_179
	s_branch .LBB33_180
.LBB33_178:
                                        ; implicit-def: $vgpr72_vgpr73
.LBB33_179:
	ds_load_b64 v[72:73], v1
.LBB33_180:
	s_and_saveexec_b32 s14, s0
	s_cbranch_execz .LBB33_184
; %bb.181:
	v_add_nc_u32_e32 v74, -16, v0
	s_movk_i32 s15, 0x190
	s_mov_b32 s0, 0
.LBB33_182:                             ; =>This Inner Loop Header: Depth=1
	scratch_load_b64 v[76:77], off, s12
	v_dual_mov_b32 v75, s15 :: v_dual_add_nc_u32 v74, -1, v74
	s_add_co_i32 s15, s15, 8
	s_wait_xcnt 0x0
	s_add_co_i32 s12, s12, 8
	ds_load_b64 v[78:79], v75
	v_cmp_eq_u32_e32 vcc_lo, 0, v74
	s_or_b32 s0, vcc_lo, s0
	s_wait_loadcnt_dscnt 0x0
	v_pk_mul_f32 v[80:81], v[78:79], v[76:77] op_sel:[1,1] op_sel_hi:[0,1]
	s_delay_alu instid0(VALU_DEP_1) | instskip(SKIP_1) | instid1(VALU_DEP_2)
	v_pk_fma_f32 v[82:83], v[78:79], v[76:77], v[80:81] op_sel_hi:[1,0,1]
	v_pk_fma_f32 v[76:77], v[78:79], v[76:77], v[80:81] neg_lo:[0,0,1] neg_hi:[0,0,1]
	v_mov_b32_e32 v77, v83
	s_delay_alu instid0(VALU_DEP_1)
	v_pk_add_f32 v[72:73], v[72:73], v[76:77]
	s_and_not1_b32 exec_lo, exec_lo, s0
	s_cbranch_execnz .LBB33_182
; %bb.183:
	s_or_b32 exec_lo, exec_lo, s0
.LBB33_184:
	s_delay_alu instid0(SALU_CYCLE_1) | instskip(SKIP_4) | instid1(VALU_DEP_1)
	s_or_b32 exec_lo, exec_lo, s14
	v_mov_b32_e32 v74, 0
	ds_load_b64 v[74:75], v74 offset:120
	s_wait_dscnt 0x0
	v_pk_mul_f32 v[76:77], v[72:73], v[74:75] op_sel:[1,1] op_sel_hi:[0,1]
	v_pk_fma_f32 v[78:79], v[72:73], v[74:75], v[76:77] op_sel_hi:[1,0,1]
	v_pk_fma_f32 v[72:73], v[72:73], v[74:75], v[76:77] neg_lo:[0,0,1] neg_hi:[0,0,1]
	s_delay_alu instid0(VALU_DEP_2)
	v_mov_b32_e32 v73, v79
	scratch_store_b64 off, v[72:73], off offset:120
.LBB33_185:
	s_wait_xcnt 0x0
	s_or_b32 exec_lo, exec_lo, s13
	scratch_load_b64 v[72:73], off, off offset:112
	v_cmp_lt_u32_e64 s0, 14, v0
	s_wait_loadcnt 0x0
	ds_store_b64 v1, v[72:73]
	s_wait_storecnt_dscnt 0x0
	s_barrier_signal -1
	s_barrier_wait -1
	s_wait_xcnt 0x0
	s_and_saveexec_b32 s12, s0
	s_cbranch_execz .LBB33_195
; %bb.186:
	s_and_not1_b32 vcc_lo, exec_lo, s3
	s_cbranch_vccnz .LBB33_188
; %bb.187:
	scratch_load_b64 v[72:73], v37, off
	ds_load_b64 v[74:75], v1
	s_wait_loadcnt_dscnt 0x0
	v_pk_mul_f32 v[76:77], v[74:75], v[72:73] op_sel:[1,1] op_sel_hi:[0,1]
	s_delay_alu instid0(VALU_DEP_1) | instskip(SKIP_1) | instid1(VALU_DEP_2)
	v_pk_fma_f32 v[78:79], v[74:75], v[72:73], v[76:77] op_sel_hi:[1,0,1]
	v_pk_fma_f32 v[72:73], v[74:75], v[72:73], v[76:77] neg_lo:[0,0,1] neg_hi:[0,0,1]
	v_mov_b32_e32 v73, v79
	s_cbranch_execz .LBB33_189
	s_branch .LBB33_190
.LBB33_188:
                                        ; implicit-def: $vgpr72_vgpr73
.LBB33_189:
	ds_load_b64 v[72:73], v1
.LBB33_190:
	s_and_saveexec_b32 s13, s1
	s_cbranch_execz .LBB33_194
; %bb.191:
	v_add_nc_u32_e32 v74, -15, v0
	s_movk_i32 s1, 0x78
	s_movk_i32 s15, 0x188
	s_mov_b32 s14, 0
.LBB33_192:                             ; =>This Inner Loop Header: Depth=1
	scratch_load_b64 v[76:77], off, s1
	v_dual_mov_b32 v75, s15 :: v_dual_add_nc_u32 v74, -1, v74
	s_add_co_i32 s15, s15, 8
	s_wait_xcnt 0x0
	s_add_co_i32 s1, s1, 8
	ds_load_b64 v[78:79], v75
	v_cmp_eq_u32_e32 vcc_lo, 0, v74
	s_or_b32 s14, vcc_lo, s14
	s_wait_loadcnt_dscnt 0x0
	v_pk_mul_f32 v[80:81], v[78:79], v[76:77] op_sel:[1,1] op_sel_hi:[0,1]
	s_delay_alu instid0(VALU_DEP_1) | instskip(SKIP_1) | instid1(VALU_DEP_2)
	v_pk_fma_f32 v[82:83], v[78:79], v[76:77], v[80:81] op_sel_hi:[1,0,1]
	v_pk_fma_f32 v[76:77], v[78:79], v[76:77], v[80:81] neg_lo:[0,0,1] neg_hi:[0,0,1]
	v_mov_b32_e32 v77, v83
	s_delay_alu instid0(VALU_DEP_1)
	v_pk_add_f32 v[72:73], v[72:73], v[76:77]
	s_and_not1_b32 exec_lo, exec_lo, s14
	s_cbranch_execnz .LBB33_192
; %bb.193:
	s_or_b32 exec_lo, exec_lo, s14
.LBB33_194:
	s_delay_alu instid0(SALU_CYCLE_1) | instskip(SKIP_4) | instid1(VALU_DEP_1)
	s_or_b32 exec_lo, exec_lo, s13
	v_mov_b32_e32 v74, 0
	ds_load_b64 v[74:75], v74 offset:112
	s_wait_dscnt 0x0
	v_pk_mul_f32 v[76:77], v[72:73], v[74:75] op_sel:[1,1] op_sel_hi:[0,1]
	v_pk_fma_f32 v[78:79], v[72:73], v[74:75], v[76:77] op_sel_hi:[1,0,1]
	v_pk_fma_f32 v[72:73], v[72:73], v[74:75], v[76:77] neg_lo:[0,0,1] neg_hi:[0,0,1]
	s_delay_alu instid0(VALU_DEP_2)
	v_mov_b32_e32 v73, v79
	scratch_store_b64 off, v[72:73], off offset:112
.LBB33_195:
	s_wait_xcnt 0x0
	s_or_b32 exec_lo, exec_lo, s12
	scratch_load_b64 v[72:73], off, off offset:104
	v_cmp_lt_u32_e64 s1, 13, v0
	s_wait_loadcnt 0x0
	ds_store_b64 v1, v[72:73]
	s_wait_storecnt_dscnt 0x0
	s_barrier_signal -1
	s_barrier_wait -1
	s_wait_xcnt 0x0
	s_and_saveexec_b32 s12, s1
	s_cbranch_execz .LBB33_205
; %bb.196:
	s_and_not1_b32 vcc_lo, exec_lo, s3
	s_cbranch_vccnz .LBB33_198
; %bb.197:
	scratch_load_b64 v[72:73], v37, off
	ds_load_b64 v[74:75], v1
	s_wait_loadcnt_dscnt 0x0
	v_pk_mul_f32 v[76:77], v[74:75], v[72:73] op_sel:[1,1] op_sel_hi:[0,1]
	s_delay_alu instid0(VALU_DEP_1) | instskip(SKIP_1) | instid1(VALU_DEP_2)
	v_pk_fma_f32 v[78:79], v[74:75], v[72:73], v[76:77] op_sel_hi:[1,0,1]
	v_pk_fma_f32 v[72:73], v[74:75], v[72:73], v[76:77] neg_lo:[0,0,1] neg_hi:[0,0,1]
	v_mov_b32_e32 v73, v79
	s_cbranch_execz .LBB33_199
	s_branch .LBB33_200
.LBB33_198:
                                        ; implicit-def: $vgpr72_vgpr73
.LBB33_199:
	ds_load_b64 v[72:73], v1
.LBB33_200:
	s_and_saveexec_b32 s13, s0
	s_cbranch_execz .LBB33_204
; %bb.201:
	v_add_nc_u32_e32 v74, -14, v0
	s_movk_i32 s14, 0x180
	s_mov_b32 s0, 0
.LBB33_202:                             ; =>This Inner Loop Header: Depth=1
	scratch_load_b64 v[76:77], off, s11
	v_dual_mov_b32 v75, s14 :: v_dual_add_nc_u32 v74, -1, v74
	s_add_co_i32 s14, s14, 8
	s_wait_xcnt 0x0
	s_add_co_i32 s11, s11, 8
	ds_load_b64 v[78:79], v75
	v_cmp_eq_u32_e32 vcc_lo, 0, v74
	s_or_b32 s0, vcc_lo, s0
	s_wait_loadcnt_dscnt 0x0
	v_pk_mul_f32 v[80:81], v[78:79], v[76:77] op_sel:[1,1] op_sel_hi:[0,1]
	s_delay_alu instid0(VALU_DEP_1) | instskip(SKIP_1) | instid1(VALU_DEP_2)
	v_pk_fma_f32 v[82:83], v[78:79], v[76:77], v[80:81] op_sel_hi:[1,0,1]
	v_pk_fma_f32 v[76:77], v[78:79], v[76:77], v[80:81] neg_lo:[0,0,1] neg_hi:[0,0,1]
	v_mov_b32_e32 v77, v83
	s_delay_alu instid0(VALU_DEP_1)
	v_pk_add_f32 v[72:73], v[72:73], v[76:77]
	s_and_not1_b32 exec_lo, exec_lo, s0
	s_cbranch_execnz .LBB33_202
; %bb.203:
	s_or_b32 exec_lo, exec_lo, s0
.LBB33_204:
	s_delay_alu instid0(SALU_CYCLE_1) | instskip(SKIP_4) | instid1(VALU_DEP_1)
	s_or_b32 exec_lo, exec_lo, s13
	v_mov_b32_e32 v74, 0
	ds_load_b64 v[74:75], v74 offset:104
	s_wait_dscnt 0x0
	v_pk_mul_f32 v[76:77], v[72:73], v[74:75] op_sel:[1,1] op_sel_hi:[0,1]
	v_pk_fma_f32 v[78:79], v[72:73], v[74:75], v[76:77] op_sel_hi:[1,0,1]
	v_pk_fma_f32 v[72:73], v[72:73], v[74:75], v[76:77] neg_lo:[0,0,1] neg_hi:[0,0,1]
	s_delay_alu instid0(VALU_DEP_2)
	v_mov_b32_e32 v73, v79
	scratch_store_b64 off, v[72:73], off offset:104
.LBB33_205:
	s_wait_xcnt 0x0
	s_or_b32 exec_lo, exec_lo, s12
	scratch_load_b64 v[72:73], off, off offset:96
	v_cmp_lt_u32_e64 s0, 12, v0
	s_wait_loadcnt 0x0
	ds_store_b64 v1, v[72:73]
	s_wait_storecnt_dscnt 0x0
	s_barrier_signal -1
	s_barrier_wait -1
	s_wait_xcnt 0x0
	s_and_saveexec_b32 s11, s0
	s_cbranch_execz .LBB33_215
; %bb.206:
	s_and_not1_b32 vcc_lo, exec_lo, s3
	s_cbranch_vccnz .LBB33_208
; %bb.207:
	scratch_load_b64 v[72:73], v37, off
	ds_load_b64 v[74:75], v1
	s_wait_loadcnt_dscnt 0x0
	v_pk_mul_f32 v[76:77], v[74:75], v[72:73] op_sel:[1,1] op_sel_hi:[0,1]
	s_delay_alu instid0(VALU_DEP_1) | instskip(SKIP_1) | instid1(VALU_DEP_2)
	v_pk_fma_f32 v[78:79], v[74:75], v[72:73], v[76:77] op_sel_hi:[1,0,1]
	v_pk_fma_f32 v[72:73], v[74:75], v[72:73], v[76:77] neg_lo:[0,0,1] neg_hi:[0,0,1]
	v_mov_b32_e32 v73, v79
	s_cbranch_execz .LBB33_209
	s_branch .LBB33_210
.LBB33_208:
                                        ; implicit-def: $vgpr72_vgpr73
.LBB33_209:
	ds_load_b64 v[72:73], v1
.LBB33_210:
	s_and_saveexec_b32 s12, s1
	s_cbranch_execz .LBB33_214
; %bb.211:
	v_add_nc_u32_e32 v74, -13, v0
	s_movk_i32 s1, 0x68
	s_movk_i32 s14, 0x178
	s_mov_b32 s13, 0
.LBB33_212:                             ; =>This Inner Loop Header: Depth=1
	scratch_load_b64 v[76:77], off, s1
	v_dual_mov_b32 v75, s14 :: v_dual_add_nc_u32 v74, -1, v74
	s_add_co_i32 s14, s14, 8
	s_wait_xcnt 0x0
	s_add_co_i32 s1, s1, 8
	ds_load_b64 v[78:79], v75
	v_cmp_eq_u32_e32 vcc_lo, 0, v74
	s_or_b32 s13, vcc_lo, s13
	s_wait_loadcnt_dscnt 0x0
	v_pk_mul_f32 v[80:81], v[78:79], v[76:77] op_sel:[1,1] op_sel_hi:[0,1]
	s_delay_alu instid0(VALU_DEP_1) | instskip(SKIP_1) | instid1(VALU_DEP_2)
	v_pk_fma_f32 v[82:83], v[78:79], v[76:77], v[80:81] op_sel_hi:[1,0,1]
	v_pk_fma_f32 v[76:77], v[78:79], v[76:77], v[80:81] neg_lo:[0,0,1] neg_hi:[0,0,1]
	v_mov_b32_e32 v77, v83
	s_delay_alu instid0(VALU_DEP_1)
	v_pk_add_f32 v[72:73], v[72:73], v[76:77]
	s_and_not1_b32 exec_lo, exec_lo, s13
	s_cbranch_execnz .LBB33_212
; %bb.213:
	s_or_b32 exec_lo, exec_lo, s13
.LBB33_214:
	s_delay_alu instid0(SALU_CYCLE_1) | instskip(SKIP_4) | instid1(VALU_DEP_1)
	s_or_b32 exec_lo, exec_lo, s12
	v_mov_b32_e32 v74, 0
	ds_load_b64 v[74:75], v74 offset:96
	s_wait_dscnt 0x0
	v_pk_mul_f32 v[76:77], v[72:73], v[74:75] op_sel:[1,1] op_sel_hi:[0,1]
	v_pk_fma_f32 v[78:79], v[72:73], v[74:75], v[76:77] op_sel_hi:[1,0,1]
	v_pk_fma_f32 v[72:73], v[72:73], v[74:75], v[76:77] neg_lo:[0,0,1] neg_hi:[0,0,1]
	s_delay_alu instid0(VALU_DEP_2)
	v_mov_b32_e32 v73, v79
	scratch_store_b64 off, v[72:73], off offset:96
.LBB33_215:
	s_wait_xcnt 0x0
	s_or_b32 exec_lo, exec_lo, s11
	scratch_load_b64 v[72:73], off, off offset:88
	v_cmp_lt_u32_e64 s1, 11, v0
	s_wait_loadcnt 0x0
	ds_store_b64 v1, v[72:73]
	s_wait_storecnt_dscnt 0x0
	s_barrier_signal -1
	s_barrier_wait -1
	s_wait_xcnt 0x0
	s_and_saveexec_b32 s11, s1
	s_cbranch_execz .LBB33_225
; %bb.216:
	s_and_not1_b32 vcc_lo, exec_lo, s3
	s_cbranch_vccnz .LBB33_218
; %bb.217:
	scratch_load_b64 v[72:73], v37, off
	ds_load_b64 v[74:75], v1
	s_wait_loadcnt_dscnt 0x0
	v_pk_mul_f32 v[76:77], v[74:75], v[72:73] op_sel:[1,1] op_sel_hi:[0,1]
	s_delay_alu instid0(VALU_DEP_1) | instskip(SKIP_1) | instid1(VALU_DEP_2)
	v_pk_fma_f32 v[78:79], v[74:75], v[72:73], v[76:77] op_sel_hi:[1,0,1]
	v_pk_fma_f32 v[72:73], v[74:75], v[72:73], v[76:77] neg_lo:[0,0,1] neg_hi:[0,0,1]
	v_mov_b32_e32 v73, v79
	s_cbranch_execz .LBB33_219
	s_branch .LBB33_220
.LBB33_218:
                                        ; implicit-def: $vgpr72_vgpr73
.LBB33_219:
	ds_load_b64 v[72:73], v1
.LBB33_220:
	s_and_saveexec_b32 s12, s0
	s_cbranch_execz .LBB33_224
; %bb.221:
	v_add_nc_u32_e32 v74, -12, v0
	s_movk_i32 s13, 0x170
	s_mov_b32 s0, 0
.LBB33_222:                             ; =>This Inner Loop Header: Depth=1
	scratch_load_b64 v[76:77], off, s10
	v_dual_mov_b32 v75, s13 :: v_dual_add_nc_u32 v74, -1, v74
	s_add_co_i32 s13, s13, 8
	s_wait_xcnt 0x0
	s_add_co_i32 s10, s10, 8
	ds_load_b64 v[78:79], v75
	v_cmp_eq_u32_e32 vcc_lo, 0, v74
	s_or_b32 s0, vcc_lo, s0
	s_wait_loadcnt_dscnt 0x0
	v_pk_mul_f32 v[80:81], v[78:79], v[76:77] op_sel:[1,1] op_sel_hi:[0,1]
	s_delay_alu instid0(VALU_DEP_1) | instskip(SKIP_1) | instid1(VALU_DEP_2)
	v_pk_fma_f32 v[82:83], v[78:79], v[76:77], v[80:81] op_sel_hi:[1,0,1]
	v_pk_fma_f32 v[76:77], v[78:79], v[76:77], v[80:81] neg_lo:[0,0,1] neg_hi:[0,0,1]
	v_mov_b32_e32 v77, v83
	s_delay_alu instid0(VALU_DEP_1)
	v_pk_add_f32 v[72:73], v[72:73], v[76:77]
	s_and_not1_b32 exec_lo, exec_lo, s0
	s_cbranch_execnz .LBB33_222
; %bb.223:
	s_or_b32 exec_lo, exec_lo, s0
.LBB33_224:
	s_delay_alu instid0(SALU_CYCLE_1) | instskip(SKIP_4) | instid1(VALU_DEP_1)
	s_or_b32 exec_lo, exec_lo, s12
	v_mov_b32_e32 v74, 0
	ds_load_b64 v[74:75], v74 offset:88
	s_wait_dscnt 0x0
	v_pk_mul_f32 v[76:77], v[72:73], v[74:75] op_sel:[1,1] op_sel_hi:[0,1]
	v_pk_fma_f32 v[78:79], v[72:73], v[74:75], v[76:77] op_sel_hi:[1,0,1]
	v_pk_fma_f32 v[72:73], v[72:73], v[74:75], v[76:77] neg_lo:[0,0,1] neg_hi:[0,0,1]
	s_delay_alu instid0(VALU_DEP_2)
	v_mov_b32_e32 v73, v79
	scratch_store_b64 off, v[72:73], off offset:88
.LBB33_225:
	s_wait_xcnt 0x0
	s_or_b32 exec_lo, exec_lo, s11
	scratch_load_b64 v[72:73], off, off offset:80
	v_cmp_lt_u32_e64 s0, 10, v0
	s_wait_loadcnt 0x0
	ds_store_b64 v1, v[72:73]
	s_wait_storecnt_dscnt 0x0
	s_barrier_signal -1
	s_barrier_wait -1
	s_wait_xcnt 0x0
	s_and_saveexec_b32 s10, s0
	s_cbranch_execz .LBB33_235
; %bb.226:
	s_and_not1_b32 vcc_lo, exec_lo, s3
	s_cbranch_vccnz .LBB33_228
; %bb.227:
	scratch_load_b64 v[72:73], v37, off
	ds_load_b64 v[74:75], v1
	s_wait_loadcnt_dscnt 0x0
	v_pk_mul_f32 v[76:77], v[74:75], v[72:73] op_sel:[1,1] op_sel_hi:[0,1]
	s_delay_alu instid0(VALU_DEP_1) | instskip(SKIP_1) | instid1(VALU_DEP_2)
	v_pk_fma_f32 v[78:79], v[74:75], v[72:73], v[76:77] op_sel_hi:[1,0,1]
	v_pk_fma_f32 v[72:73], v[74:75], v[72:73], v[76:77] neg_lo:[0,0,1] neg_hi:[0,0,1]
	v_mov_b32_e32 v73, v79
	s_cbranch_execz .LBB33_229
	s_branch .LBB33_230
.LBB33_228:
                                        ; implicit-def: $vgpr72_vgpr73
.LBB33_229:
	ds_load_b64 v[72:73], v1
.LBB33_230:
	s_and_saveexec_b32 s11, s1
	s_cbranch_execz .LBB33_234
; %bb.231:
	v_add_nc_u32_e32 v74, -11, v0
	s_movk_i32 s1, 0x58
	s_movk_i32 s13, 0x168
	s_mov_b32 s12, 0
.LBB33_232:                             ; =>This Inner Loop Header: Depth=1
	scratch_load_b64 v[76:77], off, s1
	v_dual_mov_b32 v75, s13 :: v_dual_add_nc_u32 v74, -1, v74
	s_add_co_i32 s13, s13, 8
	s_wait_xcnt 0x0
	s_add_co_i32 s1, s1, 8
	ds_load_b64 v[78:79], v75
	v_cmp_eq_u32_e32 vcc_lo, 0, v74
	s_or_b32 s12, vcc_lo, s12
	s_wait_loadcnt_dscnt 0x0
	v_pk_mul_f32 v[80:81], v[78:79], v[76:77] op_sel:[1,1] op_sel_hi:[0,1]
	s_delay_alu instid0(VALU_DEP_1) | instskip(SKIP_1) | instid1(VALU_DEP_2)
	v_pk_fma_f32 v[82:83], v[78:79], v[76:77], v[80:81] op_sel_hi:[1,0,1]
	v_pk_fma_f32 v[76:77], v[78:79], v[76:77], v[80:81] neg_lo:[0,0,1] neg_hi:[0,0,1]
	v_mov_b32_e32 v77, v83
	s_delay_alu instid0(VALU_DEP_1)
	v_pk_add_f32 v[72:73], v[72:73], v[76:77]
	s_and_not1_b32 exec_lo, exec_lo, s12
	s_cbranch_execnz .LBB33_232
; %bb.233:
	s_or_b32 exec_lo, exec_lo, s12
.LBB33_234:
	s_delay_alu instid0(SALU_CYCLE_1) | instskip(SKIP_4) | instid1(VALU_DEP_1)
	s_or_b32 exec_lo, exec_lo, s11
	v_mov_b32_e32 v74, 0
	ds_load_b64 v[74:75], v74 offset:80
	s_wait_dscnt 0x0
	v_pk_mul_f32 v[76:77], v[72:73], v[74:75] op_sel:[1,1] op_sel_hi:[0,1]
	v_pk_fma_f32 v[78:79], v[72:73], v[74:75], v[76:77] op_sel_hi:[1,0,1]
	v_pk_fma_f32 v[72:73], v[72:73], v[74:75], v[76:77] neg_lo:[0,0,1] neg_hi:[0,0,1]
	s_delay_alu instid0(VALU_DEP_2)
	v_mov_b32_e32 v73, v79
	scratch_store_b64 off, v[72:73], off offset:80
.LBB33_235:
	s_wait_xcnt 0x0
	s_or_b32 exec_lo, exec_lo, s10
	scratch_load_b64 v[72:73], off, off offset:72
	v_cmp_lt_u32_e64 s1, 9, v0
	s_wait_loadcnt 0x0
	ds_store_b64 v1, v[72:73]
	s_wait_storecnt_dscnt 0x0
	s_barrier_signal -1
	s_barrier_wait -1
	s_wait_xcnt 0x0
	s_and_saveexec_b32 s10, s1
	s_cbranch_execz .LBB33_245
; %bb.236:
	s_and_not1_b32 vcc_lo, exec_lo, s3
	s_cbranch_vccnz .LBB33_238
; %bb.237:
	scratch_load_b64 v[72:73], v37, off
	ds_load_b64 v[74:75], v1
	s_wait_loadcnt_dscnt 0x0
	v_pk_mul_f32 v[76:77], v[74:75], v[72:73] op_sel:[1,1] op_sel_hi:[0,1]
	s_delay_alu instid0(VALU_DEP_1) | instskip(SKIP_1) | instid1(VALU_DEP_2)
	v_pk_fma_f32 v[78:79], v[74:75], v[72:73], v[76:77] op_sel_hi:[1,0,1]
	v_pk_fma_f32 v[72:73], v[74:75], v[72:73], v[76:77] neg_lo:[0,0,1] neg_hi:[0,0,1]
	v_mov_b32_e32 v73, v79
	s_cbranch_execz .LBB33_239
	s_branch .LBB33_240
.LBB33_238:
                                        ; implicit-def: $vgpr72_vgpr73
.LBB33_239:
	ds_load_b64 v[72:73], v1
.LBB33_240:
	s_and_saveexec_b32 s11, s0
	s_cbranch_execz .LBB33_244
; %bb.241:
	v_add_nc_u32_e32 v74, -10, v0
	s_movk_i32 s12, 0x160
	s_mov_b32 s0, 0
.LBB33_242:                             ; =>This Inner Loop Header: Depth=1
	scratch_load_b64 v[76:77], off, s9
	v_dual_mov_b32 v75, s12 :: v_dual_add_nc_u32 v74, -1, v74
	s_add_co_i32 s12, s12, 8
	s_wait_xcnt 0x0
	s_add_co_i32 s9, s9, 8
	ds_load_b64 v[78:79], v75
	v_cmp_eq_u32_e32 vcc_lo, 0, v74
	s_or_b32 s0, vcc_lo, s0
	s_wait_loadcnt_dscnt 0x0
	v_pk_mul_f32 v[80:81], v[78:79], v[76:77] op_sel:[1,1] op_sel_hi:[0,1]
	s_delay_alu instid0(VALU_DEP_1) | instskip(SKIP_1) | instid1(VALU_DEP_2)
	v_pk_fma_f32 v[82:83], v[78:79], v[76:77], v[80:81] op_sel_hi:[1,0,1]
	v_pk_fma_f32 v[76:77], v[78:79], v[76:77], v[80:81] neg_lo:[0,0,1] neg_hi:[0,0,1]
	v_mov_b32_e32 v77, v83
	s_delay_alu instid0(VALU_DEP_1)
	v_pk_add_f32 v[72:73], v[72:73], v[76:77]
	s_and_not1_b32 exec_lo, exec_lo, s0
	s_cbranch_execnz .LBB33_242
; %bb.243:
	s_or_b32 exec_lo, exec_lo, s0
.LBB33_244:
	s_delay_alu instid0(SALU_CYCLE_1) | instskip(SKIP_4) | instid1(VALU_DEP_1)
	s_or_b32 exec_lo, exec_lo, s11
	v_mov_b32_e32 v74, 0
	ds_load_b64 v[74:75], v74 offset:72
	s_wait_dscnt 0x0
	v_pk_mul_f32 v[76:77], v[72:73], v[74:75] op_sel:[1,1] op_sel_hi:[0,1]
	v_pk_fma_f32 v[78:79], v[72:73], v[74:75], v[76:77] op_sel_hi:[1,0,1]
	v_pk_fma_f32 v[72:73], v[72:73], v[74:75], v[76:77] neg_lo:[0,0,1] neg_hi:[0,0,1]
	s_delay_alu instid0(VALU_DEP_2)
	v_mov_b32_e32 v73, v79
	scratch_store_b64 off, v[72:73], off offset:72
.LBB33_245:
	s_wait_xcnt 0x0
	s_or_b32 exec_lo, exec_lo, s10
	scratch_load_b64 v[72:73], off, off offset:64
	v_cmp_lt_u32_e64 s0, 8, v0
	s_wait_loadcnt 0x0
	ds_store_b64 v1, v[72:73]
	s_wait_storecnt_dscnt 0x0
	s_barrier_signal -1
	s_barrier_wait -1
	s_wait_xcnt 0x0
	s_and_saveexec_b32 s9, s0
	s_cbranch_execz .LBB33_255
; %bb.246:
	s_and_not1_b32 vcc_lo, exec_lo, s3
	s_cbranch_vccnz .LBB33_248
; %bb.247:
	scratch_load_b64 v[72:73], v37, off
	ds_load_b64 v[74:75], v1
	s_wait_loadcnt_dscnt 0x0
	v_pk_mul_f32 v[76:77], v[74:75], v[72:73] op_sel:[1,1] op_sel_hi:[0,1]
	s_delay_alu instid0(VALU_DEP_1) | instskip(SKIP_1) | instid1(VALU_DEP_2)
	v_pk_fma_f32 v[78:79], v[74:75], v[72:73], v[76:77] op_sel_hi:[1,0,1]
	v_pk_fma_f32 v[72:73], v[74:75], v[72:73], v[76:77] neg_lo:[0,0,1] neg_hi:[0,0,1]
	v_mov_b32_e32 v73, v79
	s_cbranch_execz .LBB33_249
	s_branch .LBB33_250
.LBB33_248:
                                        ; implicit-def: $vgpr72_vgpr73
.LBB33_249:
	ds_load_b64 v[72:73], v1
.LBB33_250:
	s_and_saveexec_b32 s10, s1
	s_cbranch_execz .LBB33_254
; %bb.251:
	v_add_nc_u32_e32 v74, -9, v0
	s_movk_i32 s1, 0x48
	s_movk_i32 s12, 0x158
	s_mov_b32 s11, 0
.LBB33_252:                             ; =>This Inner Loop Header: Depth=1
	scratch_load_b64 v[76:77], off, s1
	v_dual_mov_b32 v75, s12 :: v_dual_add_nc_u32 v74, -1, v74
	s_add_co_i32 s12, s12, 8
	s_wait_xcnt 0x0
	s_add_co_i32 s1, s1, 8
	ds_load_b64 v[78:79], v75
	v_cmp_eq_u32_e32 vcc_lo, 0, v74
	s_or_b32 s11, vcc_lo, s11
	s_wait_loadcnt_dscnt 0x0
	v_pk_mul_f32 v[80:81], v[78:79], v[76:77] op_sel:[1,1] op_sel_hi:[0,1]
	s_delay_alu instid0(VALU_DEP_1) | instskip(SKIP_1) | instid1(VALU_DEP_2)
	v_pk_fma_f32 v[82:83], v[78:79], v[76:77], v[80:81] op_sel_hi:[1,0,1]
	v_pk_fma_f32 v[76:77], v[78:79], v[76:77], v[80:81] neg_lo:[0,0,1] neg_hi:[0,0,1]
	v_mov_b32_e32 v77, v83
	s_delay_alu instid0(VALU_DEP_1)
	v_pk_add_f32 v[72:73], v[72:73], v[76:77]
	s_and_not1_b32 exec_lo, exec_lo, s11
	s_cbranch_execnz .LBB33_252
; %bb.253:
	s_or_b32 exec_lo, exec_lo, s11
.LBB33_254:
	s_delay_alu instid0(SALU_CYCLE_1) | instskip(SKIP_4) | instid1(VALU_DEP_1)
	s_or_b32 exec_lo, exec_lo, s10
	v_mov_b32_e32 v74, 0
	ds_load_b64 v[74:75], v74 offset:64
	s_wait_dscnt 0x0
	v_pk_mul_f32 v[76:77], v[72:73], v[74:75] op_sel:[1,1] op_sel_hi:[0,1]
	v_pk_fma_f32 v[78:79], v[72:73], v[74:75], v[76:77] op_sel_hi:[1,0,1]
	v_pk_fma_f32 v[72:73], v[72:73], v[74:75], v[76:77] neg_lo:[0,0,1] neg_hi:[0,0,1]
	s_delay_alu instid0(VALU_DEP_2)
	v_mov_b32_e32 v73, v79
	scratch_store_b64 off, v[72:73], off offset:64
.LBB33_255:
	s_wait_xcnt 0x0
	s_or_b32 exec_lo, exec_lo, s9
	scratch_load_b64 v[72:73], off, off offset:56
	v_cmp_lt_u32_e64 s1, 7, v0
	s_wait_loadcnt 0x0
	ds_store_b64 v1, v[72:73]
	s_wait_storecnt_dscnt 0x0
	s_barrier_signal -1
	s_barrier_wait -1
	s_wait_xcnt 0x0
	s_and_saveexec_b32 s9, s1
	s_cbranch_execz .LBB33_265
; %bb.256:
	s_and_not1_b32 vcc_lo, exec_lo, s3
	s_cbranch_vccnz .LBB33_258
; %bb.257:
	scratch_load_b64 v[72:73], v37, off
	ds_load_b64 v[74:75], v1
	s_wait_loadcnt_dscnt 0x0
	v_pk_mul_f32 v[76:77], v[74:75], v[72:73] op_sel:[1,1] op_sel_hi:[0,1]
	s_delay_alu instid0(VALU_DEP_1) | instskip(SKIP_1) | instid1(VALU_DEP_2)
	v_pk_fma_f32 v[78:79], v[74:75], v[72:73], v[76:77] op_sel_hi:[1,0,1]
	v_pk_fma_f32 v[72:73], v[74:75], v[72:73], v[76:77] neg_lo:[0,0,1] neg_hi:[0,0,1]
	v_mov_b32_e32 v73, v79
	s_cbranch_execz .LBB33_259
	s_branch .LBB33_260
.LBB33_258:
                                        ; implicit-def: $vgpr72_vgpr73
.LBB33_259:
	ds_load_b64 v[72:73], v1
.LBB33_260:
	s_and_saveexec_b32 s10, s0
	s_cbranch_execz .LBB33_264
; %bb.261:
	v_add_nc_u32_e32 v74, -8, v0
	s_movk_i32 s11, 0x150
	s_mov_b32 s0, 0
.LBB33_262:                             ; =>This Inner Loop Header: Depth=1
	scratch_load_b64 v[76:77], off, s8
	v_dual_mov_b32 v75, s11 :: v_dual_add_nc_u32 v74, -1, v74
	s_add_co_i32 s11, s11, 8
	s_wait_xcnt 0x0
	s_add_co_i32 s8, s8, 8
	ds_load_b64 v[78:79], v75
	v_cmp_eq_u32_e32 vcc_lo, 0, v74
	s_or_b32 s0, vcc_lo, s0
	s_wait_loadcnt_dscnt 0x0
	v_pk_mul_f32 v[80:81], v[78:79], v[76:77] op_sel:[1,1] op_sel_hi:[0,1]
	s_delay_alu instid0(VALU_DEP_1) | instskip(SKIP_1) | instid1(VALU_DEP_2)
	v_pk_fma_f32 v[82:83], v[78:79], v[76:77], v[80:81] op_sel_hi:[1,0,1]
	v_pk_fma_f32 v[76:77], v[78:79], v[76:77], v[80:81] neg_lo:[0,0,1] neg_hi:[0,0,1]
	v_mov_b32_e32 v77, v83
	s_delay_alu instid0(VALU_DEP_1)
	v_pk_add_f32 v[72:73], v[72:73], v[76:77]
	s_and_not1_b32 exec_lo, exec_lo, s0
	s_cbranch_execnz .LBB33_262
; %bb.263:
	s_or_b32 exec_lo, exec_lo, s0
.LBB33_264:
	s_delay_alu instid0(SALU_CYCLE_1) | instskip(SKIP_4) | instid1(VALU_DEP_1)
	s_or_b32 exec_lo, exec_lo, s10
	v_mov_b32_e32 v74, 0
	ds_load_b64 v[74:75], v74 offset:56
	s_wait_dscnt 0x0
	v_pk_mul_f32 v[76:77], v[72:73], v[74:75] op_sel:[1,1] op_sel_hi:[0,1]
	v_pk_fma_f32 v[78:79], v[72:73], v[74:75], v[76:77] op_sel_hi:[1,0,1]
	v_pk_fma_f32 v[72:73], v[72:73], v[74:75], v[76:77] neg_lo:[0,0,1] neg_hi:[0,0,1]
	s_delay_alu instid0(VALU_DEP_2)
	v_mov_b32_e32 v73, v79
	scratch_store_b64 off, v[72:73], off offset:56
.LBB33_265:
	s_wait_xcnt 0x0
	s_or_b32 exec_lo, exec_lo, s9
	scratch_load_b64 v[72:73], off, off offset:48
	v_cmp_lt_u32_e64 s0, 6, v0
	s_wait_loadcnt 0x0
	ds_store_b64 v1, v[72:73]
	s_wait_storecnt_dscnt 0x0
	s_barrier_signal -1
	s_barrier_wait -1
	s_wait_xcnt 0x0
	s_and_saveexec_b32 s8, s0
	s_cbranch_execz .LBB33_275
; %bb.266:
	s_and_not1_b32 vcc_lo, exec_lo, s3
	s_cbranch_vccnz .LBB33_268
; %bb.267:
	scratch_load_b64 v[72:73], v37, off
	ds_load_b64 v[74:75], v1
	s_wait_loadcnt_dscnt 0x0
	v_pk_mul_f32 v[76:77], v[74:75], v[72:73] op_sel:[1,1] op_sel_hi:[0,1]
	s_delay_alu instid0(VALU_DEP_1) | instskip(SKIP_1) | instid1(VALU_DEP_2)
	v_pk_fma_f32 v[78:79], v[74:75], v[72:73], v[76:77] op_sel_hi:[1,0,1]
	v_pk_fma_f32 v[72:73], v[74:75], v[72:73], v[76:77] neg_lo:[0,0,1] neg_hi:[0,0,1]
	v_mov_b32_e32 v73, v79
	s_cbranch_execz .LBB33_269
	s_branch .LBB33_270
.LBB33_268:
                                        ; implicit-def: $vgpr72_vgpr73
.LBB33_269:
	ds_load_b64 v[72:73], v1
.LBB33_270:
	s_and_saveexec_b32 s9, s1
	s_cbranch_execz .LBB33_274
; %bb.271:
	v_add_nc_u32_e32 v74, -7, v0
	s_mov_b32 s1, 56
	s_movk_i32 s11, 0x148
	s_mov_b32 s10, 0
.LBB33_272:                             ; =>This Inner Loop Header: Depth=1
	scratch_load_b64 v[76:77], off, s1
	v_dual_mov_b32 v75, s11 :: v_dual_add_nc_u32 v74, -1, v74
	s_add_co_i32 s11, s11, 8
	s_wait_xcnt 0x0
	s_add_co_i32 s1, s1, 8
	ds_load_b64 v[78:79], v75
	v_cmp_eq_u32_e32 vcc_lo, 0, v74
	s_or_b32 s10, vcc_lo, s10
	s_wait_loadcnt_dscnt 0x0
	v_pk_mul_f32 v[80:81], v[78:79], v[76:77] op_sel:[1,1] op_sel_hi:[0,1]
	s_delay_alu instid0(VALU_DEP_1) | instskip(SKIP_1) | instid1(VALU_DEP_2)
	v_pk_fma_f32 v[82:83], v[78:79], v[76:77], v[80:81] op_sel_hi:[1,0,1]
	v_pk_fma_f32 v[76:77], v[78:79], v[76:77], v[80:81] neg_lo:[0,0,1] neg_hi:[0,0,1]
	v_mov_b32_e32 v77, v83
	s_delay_alu instid0(VALU_DEP_1)
	v_pk_add_f32 v[72:73], v[72:73], v[76:77]
	s_and_not1_b32 exec_lo, exec_lo, s10
	s_cbranch_execnz .LBB33_272
; %bb.273:
	s_or_b32 exec_lo, exec_lo, s10
.LBB33_274:
	s_delay_alu instid0(SALU_CYCLE_1) | instskip(SKIP_4) | instid1(VALU_DEP_1)
	s_or_b32 exec_lo, exec_lo, s9
	v_mov_b32_e32 v74, 0
	ds_load_b64 v[74:75], v74 offset:48
	s_wait_dscnt 0x0
	v_pk_mul_f32 v[76:77], v[72:73], v[74:75] op_sel:[1,1] op_sel_hi:[0,1]
	v_pk_fma_f32 v[78:79], v[72:73], v[74:75], v[76:77] op_sel_hi:[1,0,1]
	v_pk_fma_f32 v[72:73], v[72:73], v[74:75], v[76:77] neg_lo:[0,0,1] neg_hi:[0,0,1]
	s_delay_alu instid0(VALU_DEP_2)
	v_mov_b32_e32 v73, v79
	scratch_store_b64 off, v[72:73], off offset:48
.LBB33_275:
	s_wait_xcnt 0x0
	s_or_b32 exec_lo, exec_lo, s8
	scratch_load_b64 v[72:73], off, off offset:40
	v_cmp_lt_u32_e64 s1, 5, v0
	s_wait_loadcnt 0x0
	ds_store_b64 v1, v[72:73]
	s_wait_storecnt_dscnt 0x0
	s_barrier_signal -1
	s_barrier_wait -1
	s_wait_xcnt 0x0
	s_and_saveexec_b32 s8, s1
	s_cbranch_execz .LBB33_285
; %bb.276:
	s_and_not1_b32 vcc_lo, exec_lo, s3
	s_cbranch_vccnz .LBB33_278
; %bb.277:
	scratch_load_b64 v[72:73], v37, off
	ds_load_b64 v[74:75], v1
	s_wait_loadcnt_dscnt 0x0
	v_pk_mul_f32 v[76:77], v[74:75], v[72:73] op_sel:[1,1] op_sel_hi:[0,1]
	s_delay_alu instid0(VALU_DEP_1) | instskip(SKIP_1) | instid1(VALU_DEP_2)
	v_pk_fma_f32 v[78:79], v[74:75], v[72:73], v[76:77] op_sel_hi:[1,0,1]
	v_pk_fma_f32 v[72:73], v[74:75], v[72:73], v[76:77] neg_lo:[0,0,1] neg_hi:[0,0,1]
	v_mov_b32_e32 v73, v79
	s_cbranch_execz .LBB33_279
	s_branch .LBB33_280
.LBB33_278:
                                        ; implicit-def: $vgpr72_vgpr73
.LBB33_279:
	ds_load_b64 v[72:73], v1
.LBB33_280:
	s_and_saveexec_b32 s9, s0
	s_cbranch_execz .LBB33_284
; %bb.281:
	v_add_nc_u32_e32 v74, -6, v0
	s_movk_i32 s10, 0x140
	s_mov_b32 s0, 0
.LBB33_282:                             ; =>This Inner Loop Header: Depth=1
	scratch_load_b64 v[76:77], off, s2
	v_dual_mov_b32 v75, s10 :: v_dual_add_nc_u32 v74, -1, v74
	s_add_co_i32 s10, s10, 8
	s_wait_xcnt 0x0
	s_add_co_i32 s2, s2, 8
	ds_load_b64 v[78:79], v75
	v_cmp_eq_u32_e32 vcc_lo, 0, v74
	s_or_b32 s0, vcc_lo, s0
	s_wait_loadcnt_dscnt 0x0
	v_pk_mul_f32 v[80:81], v[78:79], v[76:77] op_sel:[1,1] op_sel_hi:[0,1]
	s_delay_alu instid0(VALU_DEP_1) | instskip(SKIP_1) | instid1(VALU_DEP_2)
	v_pk_fma_f32 v[82:83], v[78:79], v[76:77], v[80:81] op_sel_hi:[1,0,1]
	v_pk_fma_f32 v[76:77], v[78:79], v[76:77], v[80:81] neg_lo:[0,0,1] neg_hi:[0,0,1]
	v_mov_b32_e32 v77, v83
	s_delay_alu instid0(VALU_DEP_1)
	v_pk_add_f32 v[72:73], v[72:73], v[76:77]
	s_and_not1_b32 exec_lo, exec_lo, s0
	s_cbranch_execnz .LBB33_282
; %bb.283:
	s_or_b32 exec_lo, exec_lo, s0
.LBB33_284:
	s_delay_alu instid0(SALU_CYCLE_1) | instskip(SKIP_4) | instid1(VALU_DEP_1)
	s_or_b32 exec_lo, exec_lo, s9
	v_mov_b32_e32 v74, 0
	ds_load_b64 v[74:75], v74 offset:40
	s_wait_dscnt 0x0
	v_pk_mul_f32 v[76:77], v[72:73], v[74:75] op_sel:[1,1] op_sel_hi:[0,1]
	v_pk_fma_f32 v[78:79], v[72:73], v[74:75], v[76:77] op_sel_hi:[1,0,1]
	v_pk_fma_f32 v[72:73], v[72:73], v[74:75], v[76:77] neg_lo:[0,0,1] neg_hi:[0,0,1]
	s_delay_alu instid0(VALU_DEP_2)
	v_mov_b32_e32 v73, v79
	scratch_store_b64 off, v[72:73], off offset:40
.LBB33_285:
	s_wait_xcnt 0x0
	s_or_b32 exec_lo, exec_lo, s8
	scratch_load_b64 v[72:73], off, off offset:32
	v_cmp_lt_u32_e64 s0, 4, v0
	s_wait_loadcnt 0x0
	ds_store_b64 v1, v[72:73]
	s_wait_storecnt_dscnt 0x0
	s_barrier_signal -1
	s_barrier_wait -1
	s_wait_xcnt 0x0
	s_and_saveexec_b32 s2, s0
	s_cbranch_execz .LBB33_295
; %bb.286:
	s_and_not1_b32 vcc_lo, exec_lo, s3
	s_cbranch_vccnz .LBB33_288
; %bb.287:
	scratch_load_b64 v[72:73], v37, off
	ds_load_b64 v[74:75], v1
	s_wait_loadcnt_dscnt 0x0
	v_pk_mul_f32 v[76:77], v[74:75], v[72:73] op_sel:[1,1] op_sel_hi:[0,1]
	s_delay_alu instid0(VALU_DEP_1) | instskip(SKIP_1) | instid1(VALU_DEP_2)
	v_pk_fma_f32 v[78:79], v[74:75], v[72:73], v[76:77] op_sel_hi:[1,0,1]
	v_pk_fma_f32 v[72:73], v[74:75], v[72:73], v[76:77] neg_lo:[0,0,1] neg_hi:[0,0,1]
	v_mov_b32_e32 v73, v79
	s_cbranch_execz .LBB33_289
	s_branch .LBB33_290
.LBB33_288:
                                        ; implicit-def: $vgpr72_vgpr73
.LBB33_289:
	ds_load_b64 v[72:73], v1
.LBB33_290:
	s_and_saveexec_b32 s8, s1
	s_cbranch_execz .LBB33_294
; %bb.291:
	v_add_nc_u32_e32 v74, -5, v0
	s_mov_b32 s1, 40
	s_movk_i32 s10, 0x138
	s_mov_b32 s9, 0
.LBB33_292:                             ; =>This Inner Loop Header: Depth=1
	scratch_load_b64 v[76:77], off, s1
	v_dual_mov_b32 v75, s10 :: v_dual_add_nc_u32 v74, -1, v74
	s_add_co_i32 s10, s10, 8
	s_wait_xcnt 0x0
	s_add_co_i32 s1, s1, 8
	ds_load_b64 v[78:79], v75
	v_cmp_eq_u32_e32 vcc_lo, 0, v74
	s_or_b32 s9, vcc_lo, s9
	s_wait_loadcnt_dscnt 0x0
	v_pk_mul_f32 v[80:81], v[78:79], v[76:77] op_sel:[1,1] op_sel_hi:[0,1]
	s_delay_alu instid0(VALU_DEP_1) | instskip(SKIP_1) | instid1(VALU_DEP_2)
	v_pk_fma_f32 v[82:83], v[78:79], v[76:77], v[80:81] op_sel_hi:[1,0,1]
	v_pk_fma_f32 v[76:77], v[78:79], v[76:77], v[80:81] neg_lo:[0,0,1] neg_hi:[0,0,1]
	v_mov_b32_e32 v77, v83
	s_delay_alu instid0(VALU_DEP_1)
	v_pk_add_f32 v[72:73], v[72:73], v[76:77]
	s_and_not1_b32 exec_lo, exec_lo, s9
	s_cbranch_execnz .LBB33_292
; %bb.293:
	s_or_b32 exec_lo, exec_lo, s9
.LBB33_294:
	s_delay_alu instid0(SALU_CYCLE_1) | instskip(SKIP_4) | instid1(VALU_DEP_1)
	s_or_b32 exec_lo, exec_lo, s8
	v_mov_b32_e32 v74, 0
	ds_load_b64 v[74:75], v74 offset:32
	s_wait_dscnt 0x0
	v_pk_mul_f32 v[76:77], v[72:73], v[74:75] op_sel:[1,1] op_sel_hi:[0,1]
	v_pk_fma_f32 v[78:79], v[72:73], v[74:75], v[76:77] op_sel_hi:[1,0,1]
	v_pk_fma_f32 v[72:73], v[72:73], v[74:75], v[76:77] neg_lo:[0,0,1] neg_hi:[0,0,1]
	s_delay_alu instid0(VALU_DEP_2)
	v_mov_b32_e32 v73, v79
	scratch_store_b64 off, v[72:73], off offset:32
.LBB33_295:
	s_wait_xcnt 0x0
	s_or_b32 exec_lo, exec_lo, s2
	scratch_load_b64 v[72:73], off, off offset:24
	v_cmp_lt_u32_e64 s2, 3, v0
	s_wait_loadcnt 0x0
	ds_store_b64 v1, v[72:73]
	s_wait_storecnt_dscnt 0x0
	s_barrier_signal -1
	s_barrier_wait -1
	s_wait_xcnt 0x0
	s_and_saveexec_b32 s1, s2
	s_cbranch_execz .LBB33_305
; %bb.296:
	s_and_not1_b32 vcc_lo, exec_lo, s3
	s_cbranch_vccnz .LBB33_298
; %bb.297:
	scratch_load_b64 v[72:73], v37, off
	ds_load_b64 v[74:75], v1
	s_wait_loadcnt_dscnt 0x0
	v_pk_mul_f32 v[76:77], v[74:75], v[72:73] op_sel:[1,1] op_sel_hi:[0,1]
	s_delay_alu instid0(VALU_DEP_1) | instskip(SKIP_1) | instid1(VALU_DEP_2)
	v_pk_fma_f32 v[78:79], v[74:75], v[72:73], v[76:77] op_sel_hi:[1,0,1]
	v_pk_fma_f32 v[72:73], v[74:75], v[72:73], v[76:77] neg_lo:[0,0,1] neg_hi:[0,0,1]
	v_mov_b32_e32 v73, v79
	s_cbranch_execz .LBB33_299
	s_branch .LBB33_300
.LBB33_298:
                                        ; implicit-def: $vgpr72_vgpr73
.LBB33_299:
	ds_load_b64 v[72:73], v1
.LBB33_300:
	s_and_saveexec_b32 s8, s0
	s_cbranch_execz .LBB33_304
; %bb.301:
	v_add_nc_u32_e32 v74, -4, v0
	s_movk_i32 s9, 0x130
	s_mov_b32 s0, 0
.LBB33_302:                             ; =>This Inner Loop Header: Depth=1
	scratch_load_b64 v[76:77], off, s5
	v_dual_mov_b32 v75, s9 :: v_dual_add_nc_u32 v74, -1, v74
	s_add_co_i32 s9, s9, 8
	s_wait_xcnt 0x0
	s_add_co_i32 s5, s5, 8
	ds_load_b64 v[78:79], v75
	v_cmp_eq_u32_e32 vcc_lo, 0, v74
	s_or_b32 s0, vcc_lo, s0
	s_wait_loadcnt_dscnt 0x0
	v_pk_mul_f32 v[80:81], v[78:79], v[76:77] op_sel:[1,1] op_sel_hi:[0,1]
	s_delay_alu instid0(VALU_DEP_1) | instskip(SKIP_1) | instid1(VALU_DEP_2)
	v_pk_fma_f32 v[82:83], v[78:79], v[76:77], v[80:81] op_sel_hi:[1,0,1]
	v_pk_fma_f32 v[76:77], v[78:79], v[76:77], v[80:81] neg_lo:[0,0,1] neg_hi:[0,0,1]
	v_mov_b32_e32 v77, v83
	s_delay_alu instid0(VALU_DEP_1)
	v_pk_add_f32 v[72:73], v[72:73], v[76:77]
	s_and_not1_b32 exec_lo, exec_lo, s0
	s_cbranch_execnz .LBB33_302
; %bb.303:
	s_or_b32 exec_lo, exec_lo, s0
.LBB33_304:
	s_delay_alu instid0(SALU_CYCLE_1) | instskip(SKIP_4) | instid1(VALU_DEP_1)
	s_or_b32 exec_lo, exec_lo, s8
	v_mov_b32_e32 v74, 0
	ds_load_b64 v[74:75], v74 offset:24
	s_wait_dscnt 0x0
	v_pk_mul_f32 v[76:77], v[72:73], v[74:75] op_sel:[1,1] op_sel_hi:[0,1]
	v_pk_fma_f32 v[78:79], v[72:73], v[74:75], v[76:77] op_sel_hi:[1,0,1]
	v_pk_fma_f32 v[72:73], v[72:73], v[74:75], v[76:77] neg_lo:[0,0,1] neg_hi:[0,0,1]
	s_delay_alu instid0(VALU_DEP_2)
	v_mov_b32_e32 v73, v79
	scratch_store_b64 off, v[72:73], off offset:24
.LBB33_305:
	s_wait_xcnt 0x0
	s_or_b32 exec_lo, exec_lo, s1
	scratch_load_b64 v[72:73], off, off offset:16
	v_cmp_lt_u32_e64 s1, 2, v0
	s_wait_loadcnt 0x0
	ds_store_b64 v1, v[72:73]
	s_wait_storecnt_dscnt 0x0
	s_barrier_signal -1
	s_barrier_wait -1
	s_wait_xcnt 0x0
	s_and_saveexec_b32 s0, s1
	s_cbranch_execz .LBB33_315
; %bb.306:
	s_and_not1_b32 vcc_lo, exec_lo, s3
	s_cbranch_vccnz .LBB33_308
; %bb.307:
	scratch_load_b64 v[72:73], v37, off
	ds_load_b64 v[74:75], v1
	s_wait_loadcnt_dscnt 0x0
	v_pk_mul_f32 v[76:77], v[74:75], v[72:73] op_sel:[1,1] op_sel_hi:[0,1]
	s_delay_alu instid0(VALU_DEP_1) | instskip(SKIP_1) | instid1(VALU_DEP_2)
	v_pk_fma_f32 v[78:79], v[74:75], v[72:73], v[76:77] op_sel_hi:[1,0,1]
	v_pk_fma_f32 v[72:73], v[74:75], v[72:73], v[76:77] neg_lo:[0,0,1] neg_hi:[0,0,1]
	v_mov_b32_e32 v73, v79
	s_cbranch_execz .LBB33_309
	s_branch .LBB33_310
.LBB33_308:
                                        ; implicit-def: $vgpr72_vgpr73
.LBB33_309:
	ds_load_b64 v[72:73], v1
.LBB33_310:
	s_and_saveexec_b32 s5, s2
	s_cbranch_execz .LBB33_314
; %bb.311:
	v_add_nc_u32_e32 v74, -3, v0
	s_mov_b32 s2, 24
	s_movk_i32 s9, 0x128
	s_mov_b32 s8, 0
.LBB33_312:                             ; =>This Inner Loop Header: Depth=1
	scratch_load_b64 v[76:77], off, s2
	v_dual_mov_b32 v75, s9 :: v_dual_add_nc_u32 v74, -1, v74
	s_add_co_i32 s9, s9, 8
	s_wait_xcnt 0x0
	s_add_co_i32 s2, s2, 8
	ds_load_b64 v[78:79], v75
	v_cmp_eq_u32_e32 vcc_lo, 0, v74
	s_or_b32 s8, vcc_lo, s8
	s_wait_loadcnt_dscnt 0x0
	v_pk_mul_f32 v[80:81], v[78:79], v[76:77] op_sel:[1,1] op_sel_hi:[0,1]
	s_delay_alu instid0(VALU_DEP_1) | instskip(SKIP_1) | instid1(VALU_DEP_2)
	v_pk_fma_f32 v[82:83], v[78:79], v[76:77], v[80:81] op_sel_hi:[1,0,1]
	v_pk_fma_f32 v[76:77], v[78:79], v[76:77], v[80:81] neg_lo:[0,0,1] neg_hi:[0,0,1]
	v_mov_b32_e32 v77, v83
	s_delay_alu instid0(VALU_DEP_1)
	v_pk_add_f32 v[72:73], v[72:73], v[76:77]
	s_and_not1_b32 exec_lo, exec_lo, s8
	s_cbranch_execnz .LBB33_312
; %bb.313:
	s_or_b32 exec_lo, exec_lo, s8
.LBB33_314:
	s_delay_alu instid0(SALU_CYCLE_1) | instskip(SKIP_4) | instid1(VALU_DEP_1)
	s_or_b32 exec_lo, exec_lo, s5
	v_mov_b32_e32 v74, 0
	ds_load_b64 v[74:75], v74 offset:16
	s_wait_dscnt 0x0
	v_pk_mul_f32 v[76:77], v[72:73], v[74:75] op_sel:[1,1] op_sel_hi:[0,1]
	v_pk_fma_f32 v[78:79], v[72:73], v[74:75], v[76:77] op_sel_hi:[1,0,1]
	v_pk_fma_f32 v[72:73], v[72:73], v[74:75], v[76:77] neg_lo:[0,0,1] neg_hi:[0,0,1]
	s_delay_alu instid0(VALU_DEP_2)
	v_mov_b32_e32 v73, v79
	scratch_store_b64 off, v[72:73], off offset:16
.LBB33_315:
	s_wait_xcnt 0x0
	s_or_b32 exec_lo, exec_lo, s0
	scratch_load_b64 v[72:73], off, off offset:8
	v_cmp_lt_u32_e64 s0, 1, v0
	s_wait_loadcnt 0x0
	ds_store_b64 v1, v[72:73]
	s_wait_storecnt_dscnt 0x0
	s_barrier_signal -1
	s_barrier_wait -1
	s_wait_xcnt 0x0
	s_and_saveexec_b32 s2, s0
	s_cbranch_execz .LBB33_325
; %bb.316:
	s_and_not1_b32 vcc_lo, exec_lo, s3
	s_cbranch_vccnz .LBB33_318
; %bb.317:
	scratch_load_b64 v[72:73], v37, off
	ds_load_b64 v[74:75], v1
	s_wait_loadcnt_dscnt 0x0
	v_pk_mul_f32 v[76:77], v[74:75], v[72:73] op_sel:[1,1] op_sel_hi:[0,1]
	s_delay_alu instid0(VALU_DEP_1) | instskip(SKIP_1) | instid1(VALU_DEP_2)
	v_pk_fma_f32 v[78:79], v[74:75], v[72:73], v[76:77] op_sel_hi:[1,0,1]
	v_pk_fma_f32 v[72:73], v[74:75], v[72:73], v[76:77] neg_lo:[0,0,1] neg_hi:[0,0,1]
	v_mov_b32_e32 v73, v79
	s_cbranch_execz .LBB33_319
	s_branch .LBB33_320
.LBB33_318:
                                        ; implicit-def: $vgpr72_vgpr73
.LBB33_319:
	ds_load_b64 v[72:73], v1
.LBB33_320:
	s_and_saveexec_b32 s5, s1
	s_cbranch_execz .LBB33_324
; %bb.321:
	v_add_nc_u32_e32 v74, -2, v0
	s_movk_i32 s8, 0x120
	s_mov_b32 s1, 0
.LBB33_322:                             ; =>This Inner Loop Header: Depth=1
	scratch_load_b64 v[76:77], off, s4
	v_dual_mov_b32 v75, s8 :: v_dual_add_nc_u32 v74, -1, v74
	s_add_co_i32 s8, s8, 8
	s_wait_xcnt 0x0
	s_add_co_i32 s4, s4, 8
	ds_load_b64 v[78:79], v75
	v_cmp_eq_u32_e32 vcc_lo, 0, v74
	s_or_b32 s1, vcc_lo, s1
	s_wait_loadcnt_dscnt 0x0
	v_pk_mul_f32 v[80:81], v[78:79], v[76:77] op_sel:[1,1] op_sel_hi:[0,1]
	s_delay_alu instid0(VALU_DEP_1) | instskip(SKIP_1) | instid1(VALU_DEP_2)
	v_pk_fma_f32 v[82:83], v[78:79], v[76:77], v[80:81] op_sel_hi:[1,0,1]
	v_pk_fma_f32 v[76:77], v[78:79], v[76:77], v[80:81] neg_lo:[0,0,1] neg_hi:[0,0,1]
	v_mov_b32_e32 v77, v83
	s_delay_alu instid0(VALU_DEP_1)
	v_pk_add_f32 v[72:73], v[72:73], v[76:77]
	s_and_not1_b32 exec_lo, exec_lo, s1
	s_cbranch_execnz .LBB33_322
; %bb.323:
	s_or_b32 exec_lo, exec_lo, s1
.LBB33_324:
	s_delay_alu instid0(SALU_CYCLE_1) | instskip(SKIP_4) | instid1(VALU_DEP_1)
	s_or_b32 exec_lo, exec_lo, s5
	v_mov_b32_e32 v74, 0
	ds_load_b64 v[74:75], v74 offset:8
	s_wait_dscnt 0x0
	v_pk_mul_f32 v[76:77], v[72:73], v[74:75] op_sel:[1,1] op_sel_hi:[0,1]
	v_pk_fma_f32 v[78:79], v[72:73], v[74:75], v[76:77] op_sel_hi:[1,0,1]
	v_pk_fma_f32 v[72:73], v[72:73], v[74:75], v[76:77] neg_lo:[0,0,1] neg_hi:[0,0,1]
	s_delay_alu instid0(VALU_DEP_2)
	v_mov_b32_e32 v73, v79
	scratch_store_b64 off, v[72:73], off offset:8
.LBB33_325:
	s_wait_xcnt 0x0
	s_or_b32 exec_lo, exec_lo, s2
	scratch_load_b64 v[72:73], off, off
	s_mov_b32 s2, 0
	s_mov_b32 s1, 0
	s_mov_b32 s5, exec_lo
                                        ; implicit-def: $vgpr92
                                        ; implicit-def: $sgpr4
	s_wait_loadcnt 0x0
	ds_store_b64 v1, v[72:73]
	s_wait_storecnt_dscnt 0x0
	s_barrier_signal -1
	s_barrier_wait -1
	s_wait_xcnt 0x0
	v_cmpx_ne_u32_e32 0, v0
	s_cbranch_execz .LBB33_335
; %bb.326:
	s_and_not1_b32 vcc_lo, exec_lo, s3
	s_cbranch_vccnz .LBB33_328
; %bb.327:
	scratch_load_b64 v[74:75], v37, off
	ds_load_b64 v[76:77], v1
	s_wait_loadcnt_dscnt 0x0
	v_dual_mul_f32 v72, v77, v75 :: v_dual_mul_f32 v73, v76, v75
	s_delay_alu instid0(VALU_DEP_1)
	v_dual_fma_f32 v72, v76, v74, -v72 :: v_dual_fmac_f32 v73, v77, v74
	s_and_not1_b32 vcc_lo, exec_lo, s1
	s_cbranch_vccz .LBB33_329
	s_branch .LBB33_330
.LBB33_328:
                                        ; implicit-def: $vgpr72
.LBB33_329:
	ds_load_b64 v[72:73], v1
.LBB33_330:
	s_and_saveexec_b32 s1, s0
	s_cbranch_execz .LBB33_334
; %bb.331:
	v_add_nc_u32_e32 v74, -1, v0
	s_or_b32 s0, 0, 8
	s_movk_i32 s8, 0x118
	s_mov_b32 s4, 0
.LBB33_332:                             ; =>This Inner Loop Header: Depth=1
	scratch_load_b64 v[76:77], off, s0
	v_mov_b32_e32 v75, s8
	s_add_co_i32 s8, s8, 8
	s_wait_xcnt 0x0
	s_add_co_i32 s0, s0, 8
	v_add_nc_u32_e32 v74, -1, v74
	ds_load_b64 v[78:79], v75
	v_cmp_eq_u32_e32 vcc_lo, 0, v74
	s_or_b32 s4, vcc_lo, s4
	s_wait_loadcnt_dscnt 0x0
	v_dual_mul_f32 v75, v79, v77 :: v_dual_mul_f32 v77, v78, v77
	s_delay_alu instid0(VALU_DEP_1) | instskip(NEXT) | instid1(VALU_DEP_1)
	v_dual_fma_f32 v75, v78, v76, -v75 :: v_dual_fmac_f32 v77, v79, v76
	v_dual_add_f32 v72, v72, v75 :: v_dual_add_f32 v73, v73, v77
	s_and_not1_b32 exec_lo, exec_lo, s4
	s_cbranch_execnz .LBB33_332
; %bb.333:
	s_or_b32 exec_lo, exec_lo, s4
.LBB33_334:
	s_delay_alu instid0(SALU_CYCLE_1)
	s_or_b32 exec_lo, exec_lo, s1
	v_mov_b32_e32 v74, 0
	s_mov_b32 s1, exec_lo
	s_or_b32 s4, 0, 4
	ds_load_b64 v[74:75], v74
	s_wait_dscnt 0x0
	v_dual_mul_f32 v76, v73, v75 :: v_dual_mul_f32 v92, v72, v75
	s_delay_alu instid0(VALU_DEP_1) | instskip(NEXT) | instid1(VALU_DEP_2)
	v_fma_f32 v72, v72, v74, -v76
	v_fmac_f32_e32 v92, v73, v74
	scratch_store_b32 off, v72, off
.LBB33_335:
	s_wait_xcnt 0x0
	s_or_b32 exec_lo, exec_lo, s5
	s_delay_alu instid0(SALU_CYCLE_1)
	s_and_b32 vcc_lo, exec_lo, s2
	s_cbranch_vccz .LBB33_661
.LBB33_336:
	scratch_load_b64 v[72:73], off, off offset:8
	v_cmp_eq_u32_e64 s0, 0, v0
	s_wait_loadcnt 0x0
	ds_store_b64 v1, v[72:73]
	s_wait_storecnt_dscnt 0x0
	s_barrier_signal -1
	s_barrier_wait -1
	s_wait_xcnt 0x0
	s_and_saveexec_b32 s2, s0
	s_cbranch_execz .LBB33_342
; %bb.337:
	s_and_b32 vcc_lo, exec_lo, s3
	s_cbranch_vccz .LBB33_339
; %bb.338:
	scratch_load_b64 v[72:73], v37, off
	ds_load_b64 v[74:75], v1
	s_wait_loadcnt_dscnt 0x0
	v_pk_mul_f32 v[76:77], v[74:75], v[72:73] op_sel:[1,1] op_sel_hi:[0,1]
	v_pk_mul_f32 v[78:79], v[74:75], v[72:73] op_sel_hi:[1,0]
	s_delay_alu instid0(VALU_DEP_2) | instskip(NEXT) | instid1(VALU_DEP_2)
	v_pk_fma_f32 v[72:73], v[74:75], v[72:73], v[76:77] op_sel_hi:[1,0,1]
	v_sub_f32_e32 v72, v78, v76
	s_cbranch_execz .LBB33_340
	s_branch .LBB33_341
.LBB33_339:
                                        ; implicit-def: $vgpr73
.LBB33_340:
	ds_load_b64 v[72:73], v1
.LBB33_341:
	s_wait_dscnt 0x0
	v_dual_mov_b32 v74, 0 :: v_dual_mov_b32 v76, v73
	v_mov_b32_e32 v77, v72
	ds_load_b64 v[74:75], v74 offset:8
	s_wait_dscnt 0x0
	v_pk_mul_f32 v[76:77], v[76:77], v[74:75] op_sel:[0,1]
	s_delay_alu instid0(VALU_DEP_1) | instskip(SKIP_1) | instid1(VALU_DEP_2)
	v_pk_fma_f32 v[78:79], v[72:73], v[74:75], v[76:77] op_sel_hi:[1,0,1]
	v_pk_fma_f32 v[72:73], v[72:73], v[74:75], v[76:77] neg_lo:[0,0,1] neg_hi:[0,0,1]
	v_mov_b32_e32 v73, v79
	scratch_store_b64 off, v[72:73], off offset:8
.LBB33_342:
	s_wait_xcnt 0x0
	s_or_b32 exec_lo, exec_lo, s2
	scratch_load_b64 v[72:73], off, off offset:16
	v_cndmask_b32_e64 v74, 0, 1, s3
	s_mov_b32 s2, exec_lo
	s_wait_loadcnt 0x0
	ds_store_b64 v1, v[72:73]
	s_wait_storecnt_dscnt 0x0
	s_barrier_signal -1
	s_barrier_wait -1
	s_wait_xcnt 0x0
	v_cmpx_gt_u32_e32 2, v0
	s_cbranch_execz .LBB33_350
; %bb.343:
	s_and_not1_b32 vcc_lo, exec_lo, s3
	s_cbranch_vccnz .LBB33_345
; %bb.344:
	scratch_load_b64 v[72:73], v37, off
	ds_load_b64 v[76:77], v1
	s_wait_loadcnt_dscnt 0x0
	v_pk_mul_f32 v[78:79], v[76:77], v[72:73] op_sel:[1,1] op_sel_hi:[0,1]
	s_delay_alu instid0(VALU_DEP_1) | instskip(SKIP_1) | instid1(VALU_DEP_2)
	v_pk_fma_f32 v[80:81], v[76:77], v[72:73], v[78:79] op_sel_hi:[1,0,1]
	v_pk_fma_f32 v[72:73], v[76:77], v[72:73], v[78:79] neg_lo:[0,0,1] neg_hi:[0,0,1]
	v_mov_b32_e32 v73, v81
	s_cbranch_execz .LBB33_346
	s_branch .LBB33_347
.LBB33_345:
                                        ; implicit-def: $vgpr72_vgpr73
.LBB33_346:
	ds_load_b64 v[72:73], v1
.LBB33_347:
	s_and_saveexec_b32 s3, s0
	s_cbranch_execz .LBB33_349
; %bb.348:
	scratch_load_b64 v[76:77], off, off offset:8
	v_mov_b32_e32 v75, 0
	ds_load_b64 v[78:79], v75 offset:280
	s_wait_loadcnt_dscnt 0x0
	v_pk_mul_f32 v[80:81], v[78:79], v[76:77] op_sel:[1,1] op_sel_hi:[0,1]
	s_delay_alu instid0(VALU_DEP_1) | instskip(SKIP_1) | instid1(VALU_DEP_2)
	v_pk_fma_f32 v[82:83], v[78:79], v[76:77], v[80:81] op_sel_hi:[1,0,1]
	v_pk_fma_f32 v[76:77], v[78:79], v[76:77], v[80:81] neg_lo:[0,0,1] neg_hi:[0,0,1]
	v_mov_b32_e32 v77, v83
	s_delay_alu instid0(VALU_DEP_1)
	v_pk_add_f32 v[72:73], v[72:73], v[76:77]
.LBB33_349:
	s_or_b32 exec_lo, exec_lo, s3
	v_mov_b32_e32 v75, 0
	ds_load_b64 v[76:77], v75 offset:16
	s_wait_dscnt 0x0
	v_pk_mul_f32 v[78:79], v[72:73], v[76:77] op_sel:[1,1] op_sel_hi:[0,1]
	s_delay_alu instid0(VALU_DEP_1) | instskip(SKIP_1) | instid1(VALU_DEP_2)
	v_pk_fma_f32 v[80:81], v[72:73], v[76:77], v[78:79] op_sel_hi:[1,0,1]
	v_pk_fma_f32 v[72:73], v[72:73], v[76:77], v[78:79] neg_lo:[0,0,1] neg_hi:[0,0,1]
	v_mov_b32_e32 v73, v81
	scratch_store_b64 off, v[72:73], off offset:16
.LBB33_350:
	s_wait_xcnt 0x0
	s_or_b32 exec_lo, exec_lo, s2
	scratch_load_b64 v[72:73], off, off offset:24
	s_mov_b32 s2, exec_lo
	s_wait_loadcnt 0x0
	ds_store_b64 v1, v[72:73]
	s_wait_storecnt_dscnt 0x0
	s_barrier_signal -1
	s_barrier_wait -1
	s_wait_xcnt 0x0
	v_cmpx_gt_u32_e32 3, v0
	s_cbranch_execz .LBB33_360
; %bb.351:
	v_cmp_ne_u32_e32 vcc_lo, 1, v74
	s_cbranch_vccnz .LBB33_353
; %bb.352:
	scratch_load_b64 v[72:73], v37, off
	ds_load_b64 v[76:77], v1
	s_wait_loadcnt_dscnt 0x0
	v_pk_mul_f32 v[78:79], v[76:77], v[72:73] op_sel:[1,1] op_sel_hi:[0,1]
	s_delay_alu instid0(VALU_DEP_1) | instskip(SKIP_1) | instid1(VALU_DEP_2)
	v_pk_fma_f32 v[80:81], v[76:77], v[72:73], v[78:79] op_sel_hi:[1,0,1]
	v_pk_fma_f32 v[72:73], v[76:77], v[72:73], v[78:79] neg_lo:[0,0,1] neg_hi:[0,0,1]
	v_mov_b32_e32 v73, v81
	s_cbranch_execz .LBB33_354
	s_branch .LBB33_355
.LBB33_353:
                                        ; implicit-def: $vgpr72_vgpr73
.LBB33_354:
	ds_load_b64 v[72:73], v1
.LBB33_355:
	s_mov_b32 s3, exec_lo
	v_cmpx_ne_u32_e32 2, v0
	s_cbranch_execz .LBB33_359
; %bb.356:
	scratch_load_b64 v[76:77], v37, off offset:8
	ds_load_b64 v[78:79], v1 offset:8
	s_wait_loadcnt_dscnt 0x0
	v_pk_mul_f32 v[80:81], v[78:79], v[76:77] op_sel:[1,1] op_sel_hi:[0,1]
	s_delay_alu instid0(VALU_DEP_1) | instskip(SKIP_1) | instid1(VALU_DEP_2)
	v_pk_fma_f32 v[82:83], v[78:79], v[76:77], v[80:81] op_sel_hi:[1,0,1]
	v_pk_fma_f32 v[76:77], v[78:79], v[76:77], v[80:81] neg_lo:[0,0,1] neg_hi:[0,0,1]
	v_mov_b32_e32 v77, v83
	s_delay_alu instid0(VALU_DEP_1)
	v_pk_add_f32 v[72:73], v[72:73], v[76:77]
	s_and_saveexec_b32 s4, s0
	s_cbranch_execz .LBB33_358
; %bb.357:
	scratch_load_b64 v[76:77], off, off offset:16
	v_mov_b32_e32 v75, 0
	ds_load_b64 v[78:79], v75 offset:288
	s_wait_loadcnt_dscnt 0x0
	v_pk_mul_f32 v[80:81], v[78:79], v[76:77] op_sel:[1,1] op_sel_hi:[0,1]
	s_delay_alu instid0(VALU_DEP_1) | instskip(SKIP_1) | instid1(VALU_DEP_2)
	v_pk_fma_f32 v[82:83], v[78:79], v[76:77], v[80:81] op_sel_hi:[1,0,1]
	v_pk_fma_f32 v[76:77], v[78:79], v[76:77], v[80:81] neg_lo:[0,0,1] neg_hi:[0,0,1]
	v_mov_b32_e32 v77, v83
	s_delay_alu instid0(VALU_DEP_1)
	v_pk_add_f32 v[72:73], v[72:73], v[76:77]
.LBB33_358:
	s_or_b32 exec_lo, exec_lo, s4
.LBB33_359:
	s_delay_alu instid0(SALU_CYCLE_1) | instskip(SKIP_4) | instid1(VALU_DEP_1)
	s_or_b32 exec_lo, exec_lo, s3
	v_mov_b32_e32 v75, 0
	ds_load_b64 v[76:77], v75 offset:24
	s_wait_dscnt 0x0
	v_pk_mul_f32 v[78:79], v[72:73], v[76:77] op_sel:[1,1] op_sel_hi:[0,1]
	v_pk_fma_f32 v[80:81], v[72:73], v[76:77], v[78:79] op_sel_hi:[1,0,1]
	v_pk_fma_f32 v[72:73], v[72:73], v[76:77], v[78:79] neg_lo:[0,0,1] neg_hi:[0,0,1]
	s_delay_alu instid0(VALU_DEP_2)
	v_mov_b32_e32 v73, v81
	scratch_store_b64 off, v[72:73], off offset:24
.LBB33_360:
	s_wait_xcnt 0x0
	s_or_b32 exec_lo, exec_lo, s2
	scratch_load_b64 v[72:73], off, off offset:32
	s_mov_b32 s0, exec_lo
	s_wait_loadcnt 0x0
	ds_store_b64 v1, v[72:73]
	s_wait_storecnt_dscnt 0x0
	s_barrier_signal -1
	s_barrier_wait -1
	s_wait_xcnt 0x0
	v_cmpx_gt_u32_e32 4, v0
	s_cbranch_execz .LBB33_370
; %bb.361:
	v_cmp_ne_u32_e32 vcc_lo, 1, v74
	s_cbranch_vccnz .LBB33_363
; %bb.362:
	scratch_load_b64 v[72:73], v37, off
	ds_load_b64 v[76:77], v1
	s_wait_loadcnt_dscnt 0x0
	v_pk_mul_f32 v[78:79], v[76:77], v[72:73] op_sel:[1,1] op_sel_hi:[0,1]
	s_delay_alu instid0(VALU_DEP_1) | instskip(SKIP_1) | instid1(VALU_DEP_2)
	v_pk_fma_f32 v[80:81], v[76:77], v[72:73], v[78:79] op_sel_hi:[1,0,1]
	v_pk_fma_f32 v[72:73], v[76:77], v[72:73], v[78:79] neg_lo:[0,0,1] neg_hi:[0,0,1]
	v_mov_b32_e32 v73, v81
	s_cbranch_execz .LBB33_364
	s_branch .LBB33_365
.LBB33_363:
                                        ; implicit-def: $vgpr72_vgpr73
.LBB33_364:
	ds_load_b64 v[72:73], v1
.LBB33_365:
	s_mov_b32 s2, exec_lo
	v_cmpx_ne_u32_e32 3, v0
	s_cbranch_execz .LBB33_369
; %bb.366:
	v_add_nc_u32_e32 v75, 0x118, v36
	v_add3_u32 v76, 0, v36, 8
	v_mov_b32_e32 v77, v0
	s_mov_b32 s3, 0
.LBB33_367:                             ; =>This Inner Loop Header: Depth=1
	scratch_load_b64 v[78:79], v76, off
	ds_load_b64 v[80:81], v75
	s_wait_xcnt 0x0
	v_dual_add_nc_u32 v75, 8, v75 :: v_dual_add_nc_u32 v76, 8, v76
	s_wait_loadcnt_dscnt 0x0
	v_pk_mul_f32 v[82:83], v[80:81], v[78:79] op_sel:[1,1] op_sel_hi:[0,1]
	s_delay_alu instid0(VALU_DEP_1) | instskip(SKIP_2) | instid1(VALU_DEP_3)
	v_pk_fma_f32 v[84:85], v[80:81], v[78:79], v[82:83] op_sel_hi:[1,0,1]
	v_add_nc_u32_e32 v77, 1, v77
	v_pk_fma_f32 v[78:79], v[80:81], v[78:79], v[82:83] neg_lo:[0,0,1] neg_hi:[0,0,1]
	v_mov_b32_e32 v79, v85
	s_delay_alu instid0(VALU_DEP_3) | instskip(NEXT) | instid1(VALU_DEP_2)
	v_cmp_lt_u32_e32 vcc_lo, 2, v77
	v_pk_add_f32 v[72:73], v[72:73], v[78:79]
	s_or_b32 s3, vcc_lo, s3
	s_delay_alu instid0(SALU_CYCLE_1)
	s_and_not1_b32 exec_lo, exec_lo, s3
	s_cbranch_execnz .LBB33_367
; %bb.368:
	s_or_b32 exec_lo, exec_lo, s3
.LBB33_369:
	s_delay_alu instid0(SALU_CYCLE_1) | instskip(SKIP_4) | instid1(VALU_DEP_1)
	s_or_b32 exec_lo, exec_lo, s2
	v_mov_b32_e32 v75, 0
	ds_load_b64 v[76:77], v75 offset:32
	s_wait_dscnt 0x0
	v_pk_mul_f32 v[78:79], v[72:73], v[76:77] op_sel:[1,1] op_sel_hi:[0,1]
	v_pk_fma_f32 v[80:81], v[72:73], v[76:77], v[78:79] op_sel_hi:[1,0,1]
	v_pk_fma_f32 v[72:73], v[72:73], v[76:77], v[78:79] neg_lo:[0,0,1] neg_hi:[0,0,1]
	s_delay_alu instid0(VALU_DEP_2)
	v_mov_b32_e32 v73, v81
	scratch_store_b64 off, v[72:73], off offset:32
.LBB33_370:
	s_wait_xcnt 0x0
	s_or_b32 exec_lo, exec_lo, s0
	scratch_load_b64 v[72:73], off, off offset:40
	s_mov_b32 s0, exec_lo
	s_wait_loadcnt 0x0
	ds_store_b64 v1, v[72:73]
	s_wait_storecnt_dscnt 0x0
	s_barrier_signal -1
	s_barrier_wait -1
	s_wait_xcnt 0x0
	v_cmpx_gt_u32_e32 5, v0
	s_cbranch_execz .LBB33_380
; %bb.371:
	v_cmp_ne_u32_e32 vcc_lo, 1, v74
	s_cbranch_vccnz .LBB33_373
; %bb.372:
	scratch_load_b64 v[72:73], v37, off
	ds_load_b64 v[76:77], v1
	s_wait_loadcnt_dscnt 0x0
	v_pk_mul_f32 v[78:79], v[76:77], v[72:73] op_sel:[1,1] op_sel_hi:[0,1]
	s_delay_alu instid0(VALU_DEP_1) | instskip(SKIP_1) | instid1(VALU_DEP_2)
	v_pk_fma_f32 v[80:81], v[76:77], v[72:73], v[78:79] op_sel_hi:[1,0,1]
	v_pk_fma_f32 v[72:73], v[76:77], v[72:73], v[78:79] neg_lo:[0,0,1] neg_hi:[0,0,1]
	v_mov_b32_e32 v73, v81
	s_cbranch_execz .LBB33_374
	s_branch .LBB33_375
.LBB33_373:
                                        ; implicit-def: $vgpr72_vgpr73
.LBB33_374:
	ds_load_b64 v[72:73], v1
.LBB33_375:
	s_mov_b32 s2, exec_lo
	v_cmpx_ne_u32_e32 4, v0
	s_cbranch_execz .LBB33_379
; %bb.376:
	v_add_nc_u32_e32 v75, 0x118, v36
	v_add3_u32 v76, 0, v36, 8
	v_mov_b32_e32 v77, v0
	s_mov_b32 s3, 0
.LBB33_377:                             ; =>This Inner Loop Header: Depth=1
	scratch_load_b64 v[78:79], v76, off
	ds_load_b64 v[80:81], v75
	s_wait_xcnt 0x0
	v_dual_add_nc_u32 v75, 8, v75 :: v_dual_add_nc_u32 v76, 8, v76
	s_wait_loadcnt_dscnt 0x0
	v_pk_mul_f32 v[82:83], v[80:81], v[78:79] op_sel:[1,1] op_sel_hi:[0,1]
	s_delay_alu instid0(VALU_DEP_1) | instskip(SKIP_2) | instid1(VALU_DEP_3)
	v_pk_fma_f32 v[84:85], v[80:81], v[78:79], v[82:83] op_sel_hi:[1,0,1]
	v_add_nc_u32_e32 v77, 1, v77
	v_pk_fma_f32 v[78:79], v[80:81], v[78:79], v[82:83] neg_lo:[0,0,1] neg_hi:[0,0,1]
	v_mov_b32_e32 v79, v85
	s_delay_alu instid0(VALU_DEP_3) | instskip(NEXT) | instid1(VALU_DEP_2)
	v_cmp_lt_u32_e32 vcc_lo, 3, v77
	v_pk_add_f32 v[72:73], v[72:73], v[78:79]
	s_or_b32 s3, vcc_lo, s3
	s_delay_alu instid0(SALU_CYCLE_1)
	s_and_not1_b32 exec_lo, exec_lo, s3
	s_cbranch_execnz .LBB33_377
; %bb.378:
	s_or_b32 exec_lo, exec_lo, s3
.LBB33_379:
	s_delay_alu instid0(SALU_CYCLE_1) | instskip(SKIP_4) | instid1(VALU_DEP_1)
	s_or_b32 exec_lo, exec_lo, s2
	v_mov_b32_e32 v75, 0
	ds_load_b64 v[76:77], v75 offset:40
	s_wait_dscnt 0x0
	v_pk_mul_f32 v[78:79], v[72:73], v[76:77] op_sel:[1,1] op_sel_hi:[0,1]
	v_pk_fma_f32 v[80:81], v[72:73], v[76:77], v[78:79] op_sel_hi:[1,0,1]
	v_pk_fma_f32 v[72:73], v[72:73], v[76:77], v[78:79] neg_lo:[0,0,1] neg_hi:[0,0,1]
	s_delay_alu instid0(VALU_DEP_2)
	v_mov_b32_e32 v73, v81
	scratch_store_b64 off, v[72:73], off offset:40
.LBB33_380:
	s_wait_xcnt 0x0
	s_or_b32 exec_lo, exec_lo, s0
	scratch_load_b64 v[72:73], off, off offset:48
	s_mov_b32 s0, exec_lo
	s_wait_loadcnt 0x0
	ds_store_b64 v1, v[72:73]
	s_wait_storecnt_dscnt 0x0
	s_barrier_signal -1
	s_barrier_wait -1
	s_wait_xcnt 0x0
	v_cmpx_gt_u32_e32 6, v0
	s_cbranch_execz .LBB33_390
; %bb.381:
	v_cmp_ne_u32_e32 vcc_lo, 1, v74
	s_cbranch_vccnz .LBB33_383
; %bb.382:
	scratch_load_b64 v[72:73], v37, off
	ds_load_b64 v[76:77], v1
	s_wait_loadcnt_dscnt 0x0
	v_pk_mul_f32 v[78:79], v[76:77], v[72:73] op_sel:[1,1] op_sel_hi:[0,1]
	s_delay_alu instid0(VALU_DEP_1) | instskip(SKIP_1) | instid1(VALU_DEP_2)
	v_pk_fma_f32 v[80:81], v[76:77], v[72:73], v[78:79] op_sel_hi:[1,0,1]
	v_pk_fma_f32 v[72:73], v[76:77], v[72:73], v[78:79] neg_lo:[0,0,1] neg_hi:[0,0,1]
	v_mov_b32_e32 v73, v81
	s_cbranch_execz .LBB33_384
	s_branch .LBB33_385
.LBB33_383:
                                        ; implicit-def: $vgpr72_vgpr73
.LBB33_384:
	ds_load_b64 v[72:73], v1
.LBB33_385:
	s_mov_b32 s2, exec_lo
	v_cmpx_ne_u32_e32 5, v0
	s_cbranch_execz .LBB33_389
; %bb.386:
	v_add_nc_u32_e32 v75, 0x118, v36
	v_add3_u32 v76, 0, v36, 8
	v_mov_b32_e32 v77, v0
	s_mov_b32 s3, 0
.LBB33_387:                             ; =>This Inner Loop Header: Depth=1
	scratch_load_b64 v[78:79], v76, off
	ds_load_b64 v[80:81], v75
	s_wait_xcnt 0x0
	v_dual_add_nc_u32 v75, 8, v75 :: v_dual_add_nc_u32 v76, 8, v76
	s_wait_loadcnt_dscnt 0x0
	v_pk_mul_f32 v[82:83], v[80:81], v[78:79] op_sel:[1,1] op_sel_hi:[0,1]
	s_delay_alu instid0(VALU_DEP_1) | instskip(SKIP_2) | instid1(VALU_DEP_3)
	v_pk_fma_f32 v[84:85], v[80:81], v[78:79], v[82:83] op_sel_hi:[1,0,1]
	v_add_nc_u32_e32 v77, 1, v77
	v_pk_fma_f32 v[78:79], v[80:81], v[78:79], v[82:83] neg_lo:[0,0,1] neg_hi:[0,0,1]
	v_mov_b32_e32 v79, v85
	s_delay_alu instid0(VALU_DEP_3) | instskip(NEXT) | instid1(VALU_DEP_2)
	v_cmp_lt_u32_e32 vcc_lo, 4, v77
	v_pk_add_f32 v[72:73], v[72:73], v[78:79]
	s_or_b32 s3, vcc_lo, s3
	s_delay_alu instid0(SALU_CYCLE_1)
	s_and_not1_b32 exec_lo, exec_lo, s3
	s_cbranch_execnz .LBB33_387
; %bb.388:
	s_or_b32 exec_lo, exec_lo, s3
.LBB33_389:
	s_delay_alu instid0(SALU_CYCLE_1) | instskip(SKIP_4) | instid1(VALU_DEP_1)
	s_or_b32 exec_lo, exec_lo, s2
	v_mov_b32_e32 v75, 0
	ds_load_b64 v[76:77], v75 offset:48
	s_wait_dscnt 0x0
	v_pk_mul_f32 v[78:79], v[72:73], v[76:77] op_sel:[1,1] op_sel_hi:[0,1]
	v_pk_fma_f32 v[80:81], v[72:73], v[76:77], v[78:79] op_sel_hi:[1,0,1]
	v_pk_fma_f32 v[72:73], v[72:73], v[76:77], v[78:79] neg_lo:[0,0,1] neg_hi:[0,0,1]
	s_delay_alu instid0(VALU_DEP_2)
	v_mov_b32_e32 v73, v81
	scratch_store_b64 off, v[72:73], off offset:48
.LBB33_390:
	s_wait_xcnt 0x0
	s_or_b32 exec_lo, exec_lo, s0
	scratch_load_b64 v[72:73], off, off offset:56
	s_mov_b32 s0, exec_lo
	s_wait_loadcnt 0x0
	ds_store_b64 v1, v[72:73]
	s_wait_storecnt_dscnt 0x0
	s_barrier_signal -1
	s_barrier_wait -1
	s_wait_xcnt 0x0
	v_cmpx_gt_u32_e32 7, v0
	s_cbranch_execz .LBB33_400
; %bb.391:
	v_cmp_ne_u32_e32 vcc_lo, 1, v74
	s_cbranch_vccnz .LBB33_393
; %bb.392:
	scratch_load_b64 v[72:73], v37, off
	ds_load_b64 v[76:77], v1
	s_wait_loadcnt_dscnt 0x0
	v_pk_mul_f32 v[78:79], v[76:77], v[72:73] op_sel:[1,1] op_sel_hi:[0,1]
	s_delay_alu instid0(VALU_DEP_1) | instskip(SKIP_1) | instid1(VALU_DEP_2)
	v_pk_fma_f32 v[80:81], v[76:77], v[72:73], v[78:79] op_sel_hi:[1,0,1]
	v_pk_fma_f32 v[72:73], v[76:77], v[72:73], v[78:79] neg_lo:[0,0,1] neg_hi:[0,0,1]
	v_mov_b32_e32 v73, v81
	s_cbranch_execz .LBB33_394
	s_branch .LBB33_395
.LBB33_393:
                                        ; implicit-def: $vgpr72_vgpr73
.LBB33_394:
	ds_load_b64 v[72:73], v1
.LBB33_395:
	s_mov_b32 s2, exec_lo
	v_cmpx_ne_u32_e32 6, v0
	s_cbranch_execz .LBB33_399
; %bb.396:
	v_add_nc_u32_e32 v75, 0x118, v36
	v_add3_u32 v76, 0, v36, 8
	v_mov_b32_e32 v77, v0
	s_mov_b32 s3, 0
.LBB33_397:                             ; =>This Inner Loop Header: Depth=1
	scratch_load_b64 v[78:79], v76, off
	ds_load_b64 v[80:81], v75
	s_wait_xcnt 0x0
	v_dual_add_nc_u32 v75, 8, v75 :: v_dual_add_nc_u32 v76, 8, v76
	s_wait_loadcnt_dscnt 0x0
	v_pk_mul_f32 v[82:83], v[80:81], v[78:79] op_sel:[1,1] op_sel_hi:[0,1]
	s_delay_alu instid0(VALU_DEP_1) | instskip(SKIP_2) | instid1(VALU_DEP_3)
	v_pk_fma_f32 v[84:85], v[80:81], v[78:79], v[82:83] op_sel_hi:[1,0,1]
	v_add_nc_u32_e32 v77, 1, v77
	v_pk_fma_f32 v[78:79], v[80:81], v[78:79], v[82:83] neg_lo:[0,0,1] neg_hi:[0,0,1]
	v_mov_b32_e32 v79, v85
	s_delay_alu instid0(VALU_DEP_3) | instskip(NEXT) | instid1(VALU_DEP_2)
	v_cmp_lt_u32_e32 vcc_lo, 5, v77
	v_pk_add_f32 v[72:73], v[72:73], v[78:79]
	s_or_b32 s3, vcc_lo, s3
	s_delay_alu instid0(SALU_CYCLE_1)
	s_and_not1_b32 exec_lo, exec_lo, s3
	s_cbranch_execnz .LBB33_397
; %bb.398:
	s_or_b32 exec_lo, exec_lo, s3
.LBB33_399:
	s_delay_alu instid0(SALU_CYCLE_1) | instskip(SKIP_4) | instid1(VALU_DEP_1)
	s_or_b32 exec_lo, exec_lo, s2
	v_mov_b32_e32 v75, 0
	ds_load_b64 v[76:77], v75 offset:56
	s_wait_dscnt 0x0
	v_pk_mul_f32 v[78:79], v[72:73], v[76:77] op_sel:[1,1] op_sel_hi:[0,1]
	v_pk_fma_f32 v[80:81], v[72:73], v[76:77], v[78:79] op_sel_hi:[1,0,1]
	v_pk_fma_f32 v[72:73], v[72:73], v[76:77], v[78:79] neg_lo:[0,0,1] neg_hi:[0,0,1]
	s_delay_alu instid0(VALU_DEP_2)
	v_mov_b32_e32 v73, v81
	scratch_store_b64 off, v[72:73], off offset:56
.LBB33_400:
	s_wait_xcnt 0x0
	s_or_b32 exec_lo, exec_lo, s0
	scratch_load_b64 v[72:73], off, off offset:64
	s_mov_b32 s0, exec_lo
	s_wait_loadcnt 0x0
	ds_store_b64 v1, v[72:73]
	s_wait_storecnt_dscnt 0x0
	s_barrier_signal -1
	s_barrier_wait -1
	s_wait_xcnt 0x0
	v_cmpx_gt_u32_e32 8, v0
	s_cbranch_execz .LBB33_410
; %bb.401:
	v_cmp_ne_u32_e32 vcc_lo, 1, v74
	s_cbranch_vccnz .LBB33_403
; %bb.402:
	scratch_load_b64 v[72:73], v37, off
	ds_load_b64 v[76:77], v1
	s_wait_loadcnt_dscnt 0x0
	v_pk_mul_f32 v[78:79], v[76:77], v[72:73] op_sel:[1,1] op_sel_hi:[0,1]
	s_delay_alu instid0(VALU_DEP_1) | instskip(SKIP_1) | instid1(VALU_DEP_2)
	v_pk_fma_f32 v[80:81], v[76:77], v[72:73], v[78:79] op_sel_hi:[1,0,1]
	v_pk_fma_f32 v[72:73], v[76:77], v[72:73], v[78:79] neg_lo:[0,0,1] neg_hi:[0,0,1]
	v_mov_b32_e32 v73, v81
	s_cbranch_execz .LBB33_404
	s_branch .LBB33_405
.LBB33_403:
                                        ; implicit-def: $vgpr72_vgpr73
.LBB33_404:
	ds_load_b64 v[72:73], v1
.LBB33_405:
	s_mov_b32 s2, exec_lo
	v_cmpx_ne_u32_e32 7, v0
	s_cbranch_execz .LBB33_409
; %bb.406:
	v_add_nc_u32_e32 v75, 0x118, v36
	v_add3_u32 v76, 0, v36, 8
	v_mov_b32_e32 v77, v0
	s_mov_b32 s3, 0
.LBB33_407:                             ; =>This Inner Loop Header: Depth=1
	scratch_load_b64 v[78:79], v76, off
	ds_load_b64 v[80:81], v75
	s_wait_xcnt 0x0
	v_dual_add_nc_u32 v75, 8, v75 :: v_dual_add_nc_u32 v76, 8, v76
	s_wait_loadcnt_dscnt 0x0
	v_pk_mul_f32 v[82:83], v[80:81], v[78:79] op_sel:[1,1] op_sel_hi:[0,1]
	s_delay_alu instid0(VALU_DEP_1) | instskip(SKIP_2) | instid1(VALU_DEP_3)
	v_pk_fma_f32 v[84:85], v[80:81], v[78:79], v[82:83] op_sel_hi:[1,0,1]
	v_add_nc_u32_e32 v77, 1, v77
	v_pk_fma_f32 v[78:79], v[80:81], v[78:79], v[82:83] neg_lo:[0,0,1] neg_hi:[0,0,1]
	v_mov_b32_e32 v79, v85
	s_delay_alu instid0(VALU_DEP_3) | instskip(NEXT) | instid1(VALU_DEP_2)
	v_cmp_lt_u32_e32 vcc_lo, 6, v77
	v_pk_add_f32 v[72:73], v[72:73], v[78:79]
	s_or_b32 s3, vcc_lo, s3
	s_delay_alu instid0(SALU_CYCLE_1)
	s_and_not1_b32 exec_lo, exec_lo, s3
	s_cbranch_execnz .LBB33_407
; %bb.408:
	s_or_b32 exec_lo, exec_lo, s3
.LBB33_409:
	s_delay_alu instid0(SALU_CYCLE_1) | instskip(SKIP_4) | instid1(VALU_DEP_1)
	s_or_b32 exec_lo, exec_lo, s2
	v_mov_b32_e32 v75, 0
	ds_load_b64 v[76:77], v75 offset:64
	s_wait_dscnt 0x0
	v_pk_mul_f32 v[78:79], v[72:73], v[76:77] op_sel:[1,1] op_sel_hi:[0,1]
	v_pk_fma_f32 v[80:81], v[72:73], v[76:77], v[78:79] op_sel_hi:[1,0,1]
	v_pk_fma_f32 v[72:73], v[72:73], v[76:77], v[78:79] neg_lo:[0,0,1] neg_hi:[0,0,1]
	s_delay_alu instid0(VALU_DEP_2)
	v_mov_b32_e32 v73, v81
	scratch_store_b64 off, v[72:73], off offset:64
.LBB33_410:
	s_wait_xcnt 0x0
	s_or_b32 exec_lo, exec_lo, s0
	scratch_load_b64 v[72:73], off, off offset:72
	s_mov_b32 s0, exec_lo
	s_wait_loadcnt 0x0
	ds_store_b64 v1, v[72:73]
	s_wait_storecnt_dscnt 0x0
	s_barrier_signal -1
	s_barrier_wait -1
	s_wait_xcnt 0x0
	v_cmpx_gt_u32_e32 9, v0
	s_cbranch_execz .LBB33_420
; %bb.411:
	v_cmp_ne_u32_e32 vcc_lo, 1, v74
	s_cbranch_vccnz .LBB33_413
; %bb.412:
	scratch_load_b64 v[72:73], v37, off
	ds_load_b64 v[76:77], v1
	s_wait_loadcnt_dscnt 0x0
	v_pk_mul_f32 v[78:79], v[76:77], v[72:73] op_sel:[1,1] op_sel_hi:[0,1]
	s_delay_alu instid0(VALU_DEP_1) | instskip(SKIP_1) | instid1(VALU_DEP_2)
	v_pk_fma_f32 v[80:81], v[76:77], v[72:73], v[78:79] op_sel_hi:[1,0,1]
	v_pk_fma_f32 v[72:73], v[76:77], v[72:73], v[78:79] neg_lo:[0,0,1] neg_hi:[0,0,1]
	v_mov_b32_e32 v73, v81
	s_cbranch_execz .LBB33_414
	s_branch .LBB33_415
.LBB33_413:
                                        ; implicit-def: $vgpr72_vgpr73
.LBB33_414:
	ds_load_b64 v[72:73], v1
.LBB33_415:
	s_mov_b32 s2, exec_lo
	v_cmpx_ne_u32_e32 8, v0
	s_cbranch_execz .LBB33_419
; %bb.416:
	v_add_nc_u32_e32 v75, 0x118, v36
	v_add3_u32 v76, 0, v36, 8
	v_mov_b32_e32 v77, v0
	s_mov_b32 s3, 0
.LBB33_417:                             ; =>This Inner Loop Header: Depth=1
	scratch_load_b64 v[78:79], v76, off
	ds_load_b64 v[80:81], v75
	s_wait_xcnt 0x0
	v_dual_add_nc_u32 v75, 8, v75 :: v_dual_add_nc_u32 v76, 8, v76
	s_wait_loadcnt_dscnt 0x0
	v_pk_mul_f32 v[82:83], v[80:81], v[78:79] op_sel:[1,1] op_sel_hi:[0,1]
	s_delay_alu instid0(VALU_DEP_1) | instskip(SKIP_2) | instid1(VALU_DEP_3)
	v_pk_fma_f32 v[84:85], v[80:81], v[78:79], v[82:83] op_sel_hi:[1,0,1]
	v_add_nc_u32_e32 v77, 1, v77
	v_pk_fma_f32 v[78:79], v[80:81], v[78:79], v[82:83] neg_lo:[0,0,1] neg_hi:[0,0,1]
	v_mov_b32_e32 v79, v85
	s_delay_alu instid0(VALU_DEP_3) | instskip(NEXT) | instid1(VALU_DEP_2)
	v_cmp_lt_u32_e32 vcc_lo, 7, v77
	v_pk_add_f32 v[72:73], v[72:73], v[78:79]
	s_or_b32 s3, vcc_lo, s3
	s_delay_alu instid0(SALU_CYCLE_1)
	s_and_not1_b32 exec_lo, exec_lo, s3
	s_cbranch_execnz .LBB33_417
; %bb.418:
	s_or_b32 exec_lo, exec_lo, s3
.LBB33_419:
	s_delay_alu instid0(SALU_CYCLE_1) | instskip(SKIP_4) | instid1(VALU_DEP_1)
	s_or_b32 exec_lo, exec_lo, s2
	v_mov_b32_e32 v75, 0
	ds_load_b64 v[76:77], v75 offset:72
	s_wait_dscnt 0x0
	v_pk_mul_f32 v[78:79], v[72:73], v[76:77] op_sel:[1,1] op_sel_hi:[0,1]
	v_pk_fma_f32 v[80:81], v[72:73], v[76:77], v[78:79] op_sel_hi:[1,0,1]
	v_pk_fma_f32 v[72:73], v[72:73], v[76:77], v[78:79] neg_lo:[0,0,1] neg_hi:[0,0,1]
	s_delay_alu instid0(VALU_DEP_2)
	v_mov_b32_e32 v73, v81
	scratch_store_b64 off, v[72:73], off offset:72
.LBB33_420:
	s_wait_xcnt 0x0
	s_or_b32 exec_lo, exec_lo, s0
	scratch_load_b64 v[72:73], off, off offset:80
	s_mov_b32 s0, exec_lo
	s_wait_loadcnt 0x0
	ds_store_b64 v1, v[72:73]
	s_wait_storecnt_dscnt 0x0
	s_barrier_signal -1
	s_barrier_wait -1
	s_wait_xcnt 0x0
	v_cmpx_gt_u32_e32 10, v0
	s_cbranch_execz .LBB33_430
; %bb.421:
	v_cmp_ne_u32_e32 vcc_lo, 1, v74
	s_cbranch_vccnz .LBB33_423
; %bb.422:
	scratch_load_b64 v[72:73], v37, off
	ds_load_b64 v[76:77], v1
	s_wait_loadcnt_dscnt 0x0
	v_pk_mul_f32 v[78:79], v[76:77], v[72:73] op_sel:[1,1] op_sel_hi:[0,1]
	s_delay_alu instid0(VALU_DEP_1) | instskip(SKIP_1) | instid1(VALU_DEP_2)
	v_pk_fma_f32 v[80:81], v[76:77], v[72:73], v[78:79] op_sel_hi:[1,0,1]
	v_pk_fma_f32 v[72:73], v[76:77], v[72:73], v[78:79] neg_lo:[0,0,1] neg_hi:[0,0,1]
	v_mov_b32_e32 v73, v81
	s_cbranch_execz .LBB33_424
	s_branch .LBB33_425
.LBB33_423:
                                        ; implicit-def: $vgpr72_vgpr73
.LBB33_424:
	ds_load_b64 v[72:73], v1
.LBB33_425:
	s_mov_b32 s2, exec_lo
	v_cmpx_ne_u32_e32 9, v0
	s_cbranch_execz .LBB33_429
; %bb.426:
	v_add_nc_u32_e32 v75, 0x118, v36
	v_add3_u32 v76, 0, v36, 8
	v_mov_b32_e32 v77, v0
	s_mov_b32 s3, 0
.LBB33_427:                             ; =>This Inner Loop Header: Depth=1
	scratch_load_b64 v[78:79], v76, off
	ds_load_b64 v[80:81], v75
	s_wait_xcnt 0x0
	v_dual_add_nc_u32 v75, 8, v75 :: v_dual_add_nc_u32 v76, 8, v76
	s_wait_loadcnt_dscnt 0x0
	v_pk_mul_f32 v[82:83], v[80:81], v[78:79] op_sel:[1,1] op_sel_hi:[0,1]
	s_delay_alu instid0(VALU_DEP_1) | instskip(SKIP_2) | instid1(VALU_DEP_3)
	v_pk_fma_f32 v[84:85], v[80:81], v[78:79], v[82:83] op_sel_hi:[1,0,1]
	v_add_nc_u32_e32 v77, 1, v77
	v_pk_fma_f32 v[78:79], v[80:81], v[78:79], v[82:83] neg_lo:[0,0,1] neg_hi:[0,0,1]
	v_mov_b32_e32 v79, v85
	s_delay_alu instid0(VALU_DEP_3) | instskip(NEXT) | instid1(VALU_DEP_2)
	v_cmp_lt_u32_e32 vcc_lo, 8, v77
	v_pk_add_f32 v[72:73], v[72:73], v[78:79]
	s_or_b32 s3, vcc_lo, s3
	s_delay_alu instid0(SALU_CYCLE_1)
	s_and_not1_b32 exec_lo, exec_lo, s3
	s_cbranch_execnz .LBB33_427
; %bb.428:
	s_or_b32 exec_lo, exec_lo, s3
.LBB33_429:
	s_delay_alu instid0(SALU_CYCLE_1) | instskip(SKIP_4) | instid1(VALU_DEP_1)
	s_or_b32 exec_lo, exec_lo, s2
	v_mov_b32_e32 v75, 0
	ds_load_b64 v[76:77], v75 offset:80
	s_wait_dscnt 0x0
	v_pk_mul_f32 v[78:79], v[72:73], v[76:77] op_sel:[1,1] op_sel_hi:[0,1]
	v_pk_fma_f32 v[80:81], v[72:73], v[76:77], v[78:79] op_sel_hi:[1,0,1]
	v_pk_fma_f32 v[72:73], v[72:73], v[76:77], v[78:79] neg_lo:[0,0,1] neg_hi:[0,0,1]
	s_delay_alu instid0(VALU_DEP_2)
	v_mov_b32_e32 v73, v81
	scratch_store_b64 off, v[72:73], off offset:80
.LBB33_430:
	s_wait_xcnt 0x0
	s_or_b32 exec_lo, exec_lo, s0
	scratch_load_b64 v[72:73], off, off offset:88
	s_mov_b32 s0, exec_lo
	s_wait_loadcnt 0x0
	ds_store_b64 v1, v[72:73]
	s_wait_storecnt_dscnt 0x0
	s_barrier_signal -1
	s_barrier_wait -1
	s_wait_xcnt 0x0
	v_cmpx_gt_u32_e32 11, v0
	s_cbranch_execz .LBB33_440
; %bb.431:
	v_cmp_ne_u32_e32 vcc_lo, 1, v74
	s_cbranch_vccnz .LBB33_433
; %bb.432:
	scratch_load_b64 v[72:73], v37, off
	ds_load_b64 v[76:77], v1
	s_wait_loadcnt_dscnt 0x0
	v_pk_mul_f32 v[78:79], v[76:77], v[72:73] op_sel:[1,1] op_sel_hi:[0,1]
	s_delay_alu instid0(VALU_DEP_1) | instskip(SKIP_1) | instid1(VALU_DEP_2)
	v_pk_fma_f32 v[80:81], v[76:77], v[72:73], v[78:79] op_sel_hi:[1,0,1]
	v_pk_fma_f32 v[72:73], v[76:77], v[72:73], v[78:79] neg_lo:[0,0,1] neg_hi:[0,0,1]
	v_mov_b32_e32 v73, v81
	s_cbranch_execz .LBB33_434
	s_branch .LBB33_435
.LBB33_433:
                                        ; implicit-def: $vgpr72_vgpr73
.LBB33_434:
	ds_load_b64 v[72:73], v1
.LBB33_435:
	s_mov_b32 s2, exec_lo
	v_cmpx_ne_u32_e32 10, v0
	s_cbranch_execz .LBB33_439
; %bb.436:
	v_add_nc_u32_e32 v75, 0x118, v36
	v_add3_u32 v76, 0, v36, 8
	v_mov_b32_e32 v77, v0
	s_mov_b32 s3, 0
.LBB33_437:                             ; =>This Inner Loop Header: Depth=1
	scratch_load_b64 v[78:79], v76, off
	ds_load_b64 v[80:81], v75
	s_wait_xcnt 0x0
	v_dual_add_nc_u32 v75, 8, v75 :: v_dual_add_nc_u32 v76, 8, v76
	s_wait_loadcnt_dscnt 0x0
	v_pk_mul_f32 v[82:83], v[80:81], v[78:79] op_sel:[1,1] op_sel_hi:[0,1]
	s_delay_alu instid0(VALU_DEP_1) | instskip(SKIP_2) | instid1(VALU_DEP_3)
	v_pk_fma_f32 v[84:85], v[80:81], v[78:79], v[82:83] op_sel_hi:[1,0,1]
	v_add_nc_u32_e32 v77, 1, v77
	v_pk_fma_f32 v[78:79], v[80:81], v[78:79], v[82:83] neg_lo:[0,0,1] neg_hi:[0,0,1]
	v_mov_b32_e32 v79, v85
	s_delay_alu instid0(VALU_DEP_3) | instskip(NEXT) | instid1(VALU_DEP_2)
	v_cmp_lt_u32_e32 vcc_lo, 9, v77
	v_pk_add_f32 v[72:73], v[72:73], v[78:79]
	s_or_b32 s3, vcc_lo, s3
	s_delay_alu instid0(SALU_CYCLE_1)
	s_and_not1_b32 exec_lo, exec_lo, s3
	s_cbranch_execnz .LBB33_437
; %bb.438:
	s_or_b32 exec_lo, exec_lo, s3
.LBB33_439:
	s_delay_alu instid0(SALU_CYCLE_1) | instskip(SKIP_4) | instid1(VALU_DEP_1)
	s_or_b32 exec_lo, exec_lo, s2
	v_mov_b32_e32 v75, 0
	ds_load_b64 v[76:77], v75 offset:88
	s_wait_dscnt 0x0
	v_pk_mul_f32 v[78:79], v[72:73], v[76:77] op_sel:[1,1] op_sel_hi:[0,1]
	v_pk_fma_f32 v[80:81], v[72:73], v[76:77], v[78:79] op_sel_hi:[1,0,1]
	v_pk_fma_f32 v[72:73], v[72:73], v[76:77], v[78:79] neg_lo:[0,0,1] neg_hi:[0,0,1]
	s_delay_alu instid0(VALU_DEP_2)
	v_mov_b32_e32 v73, v81
	scratch_store_b64 off, v[72:73], off offset:88
.LBB33_440:
	s_wait_xcnt 0x0
	s_or_b32 exec_lo, exec_lo, s0
	scratch_load_b64 v[72:73], off, off offset:96
	s_mov_b32 s0, exec_lo
	s_wait_loadcnt 0x0
	ds_store_b64 v1, v[72:73]
	s_wait_storecnt_dscnt 0x0
	s_barrier_signal -1
	s_barrier_wait -1
	s_wait_xcnt 0x0
	v_cmpx_gt_u32_e32 12, v0
	s_cbranch_execz .LBB33_450
; %bb.441:
	v_cmp_ne_u32_e32 vcc_lo, 1, v74
	s_cbranch_vccnz .LBB33_443
; %bb.442:
	scratch_load_b64 v[72:73], v37, off
	ds_load_b64 v[76:77], v1
	s_wait_loadcnt_dscnt 0x0
	v_pk_mul_f32 v[78:79], v[76:77], v[72:73] op_sel:[1,1] op_sel_hi:[0,1]
	s_delay_alu instid0(VALU_DEP_1) | instskip(SKIP_1) | instid1(VALU_DEP_2)
	v_pk_fma_f32 v[80:81], v[76:77], v[72:73], v[78:79] op_sel_hi:[1,0,1]
	v_pk_fma_f32 v[72:73], v[76:77], v[72:73], v[78:79] neg_lo:[0,0,1] neg_hi:[0,0,1]
	v_mov_b32_e32 v73, v81
	s_cbranch_execz .LBB33_444
	s_branch .LBB33_445
.LBB33_443:
                                        ; implicit-def: $vgpr72_vgpr73
.LBB33_444:
	ds_load_b64 v[72:73], v1
.LBB33_445:
	s_mov_b32 s2, exec_lo
	v_cmpx_ne_u32_e32 11, v0
	s_cbranch_execz .LBB33_449
; %bb.446:
	v_add_nc_u32_e32 v75, 0x118, v36
	v_add3_u32 v76, 0, v36, 8
	v_mov_b32_e32 v77, v0
	s_mov_b32 s3, 0
.LBB33_447:                             ; =>This Inner Loop Header: Depth=1
	scratch_load_b64 v[78:79], v76, off
	ds_load_b64 v[80:81], v75
	s_wait_xcnt 0x0
	v_dual_add_nc_u32 v75, 8, v75 :: v_dual_add_nc_u32 v76, 8, v76
	s_wait_loadcnt_dscnt 0x0
	v_pk_mul_f32 v[82:83], v[80:81], v[78:79] op_sel:[1,1] op_sel_hi:[0,1]
	s_delay_alu instid0(VALU_DEP_1) | instskip(SKIP_2) | instid1(VALU_DEP_3)
	v_pk_fma_f32 v[84:85], v[80:81], v[78:79], v[82:83] op_sel_hi:[1,0,1]
	v_add_nc_u32_e32 v77, 1, v77
	v_pk_fma_f32 v[78:79], v[80:81], v[78:79], v[82:83] neg_lo:[0,0,1] neg_hi:[0,0,1]
	v_mov_b32_e32 v79, v85
	s_delay_alu instid0(VALU_DEP_3) | instskip(NEXT) | instid1(VALU_DEP_2)
	v_cmp_lt_u32_e32 vcc_lo, 10, v77
	v_pk_add_f32 v[72:73], v[72:73], v[78:79]
	s_or_b32 s3, vcc_lo, s3
	s_delay_alu instid0(SALU_CYCLE_1)
	s_and_not1_b32 exec_lo, exec_lo, s3
	s_cbranch_execnz .LBB33_447
; %bb.448:
	s_or_b32 exec_lo, exec_lo, s3
.LBB33_449:
	s_delay_alu instid0(SALU_CYCLE_1) | instskip(SKIP_4) | instid1(VALU_DEP_1)
	s_or_b32 exec_lo, exec_lo, s2
	v_mov_b32_e32 v75, 0
	ds_load_b64 v[76:77], v75 offset:96
	s_wait_dscnt 0x0
	v_pk_mul_f32 v[78:79], v[72:73], v[76:77] op_sel:[1,1] op_sel_hi:[0,1]
	v_pk_fma_f32 v[80:81], v[72:73], v[76:77], v[78:79] op_sel_hi:[1,0,1]
	v_pk_fma_f32 v[72:73], v[72:73], v[76:77], v[78:79] neg_lo:[0,0,1] neg_hi:[0,0,1]
	s_delay_alu instid0(VALU_DEP_2)
	v_mov_b32_e32 v73, v81
	scratch_store_b64 off, v[72:73], off offset:96
.LBB33_450:
	s_wait_xcnt 0x0
	s_or_b32 exec_lo, exec_lo, s0
	scratch_load_b64 v[72:73], off, off offset:104
	s_mov_b32 s0, exec_lo
	s_wait_loadcnt 0x0
	ds_store_b64 v1, v[72:73]
	s_wait_storecnt_dscnt 0x0
	s_barrier_signal -1
	s_barrier_wait -1
	s_wait_xcnt 0x0
	v_cmpx_gt_u32_e32 13, v0
	s_cbranch_execz .LBB33_460
; %bb.451:
	v_cmp_ne_u32_e32 vcc_lo, 1, v74
	s_cbranch_vccnz .LBB33_453
; %bb.452:
	scratch_load_b64 v[72:73], v37, off
	ds_load_b64 v[76:77], v1
	s_wait_loadcnt_dscnt 0x0
	v_pk_mul_f32 v[78:79], v[76:77], v[72:73] op_sel:[1,1] op_sel_hi:[0,1]
	s_delay_alu instid0(VALU_DEP_1) | instskip(SKIP_1) | instid1(VALU_DEP_2)
	v_pk_fma_f32 v[80:81], v[76:77], v[72:73], v[78:79] op_sel_hi:[1,0,1]
	v_pk_fma_f32 v[72:73], v[76:77], v[72:73], v[78:79] neg_lo:[0,0,1] neg_hi:[0,0,1]
	v_mov_b32_e32 v73, v81
	s_cbranch_execz .LBB33_454
	s_branch .LBB33_455
.LBB33_453:
                                        ; implicit-def: $vgpr72_vgpr73
.LBB33_454:
	ds_load_b64 v[72:73], v1
.LBB33_455:
	s_mov_b32 s2, exec_lo
	v_cmpx_ne_u32_e32 12, v0
	s_cbranch_execz .LBB33_459
; %bb.456:
	v_add_nc_u32_e32 v75, 0x118, v36
	v_add3_u32 v76, 0, v36, 8
	v_mov_b32_e32 v77, v0
	s_mov_b32 s3, 0
.LBB33_457:                             ; =>This Inner Loop Header: Depth=1
	scratch_load_b64 v[78:79], v76, off
	ds_load_b64 v[80:81], v75
	s_wait_xcnt 0x0
	v_dual_add_nc_u32 v75, 8, v75 :: v_dual_add_nc_u32 v76, 8, v76
	s_wait_loadcnt_dscnt 0x0
	v_pk_mul_f32 v[82:83], v[80:81], v[78:79] op_sel:[1,1] op_sel_hi:[0,1]
	s_delay_alu instid0(VALU_DEP_1) | instskip(SKIP_2) | instid1(VALU_DEP_3)
	v_pk_fma_f32 v[84:85], v[80:81], v[78:79], v[82:83] op_sel_hi:[1,0,1]
	v_add_nc_u32_e32 v77, 1, v77
	v_pk_fma_f32 v[78:79], v[80:81], v[78:79], v[82:83] neg_lo:[0,0,1] neg_hi:[0,0,1]
	v_mov_b32_e32 v79, v85
	s_delay_alu instid0(VALU_DEP_3) | instskip(NEXT) | instid1(VALU_DEP_2)
	v_cmp_lt_u32_e32 vcc_lo, 11, v77
	v_pk_add_f32 v[72:73], v[72:73], v[78:79]
	s_or_b32 s3, vcc_lo, s3
	s_delay_alu instid0(SALU_CYCLE_1)
	s_and_not1_b32 exec_lo, exec_lo, s3
	s_cbranch_execnz .LBB33_457
; %bb.458:
	s_or_b32 exec_lo, exec_lo, s3
.LBB33_459:
	s_delay_alu instid0(SALU_CYCLE_1) | instskip(SKIP_4) | instid1(VALU_DEP_1)
	s_or_b32 exec_lo, exec_lo, s2
	v_mov_b32_e32 v75, 0
	ds_load_b64 v[76:77], v75 offset:104
	s_wait_dscnt 0x0
	v_pk_mul_f32 v[78:79], v[72:73], v[76:77] op_sel:[1,1] op_sel_hi:[0,1]
	v_pk_fma_f32 v[80:81], v[72:73], v[76:77], v[78:79] op_sel_hi:[1,0,1]
	v_pk_fma_f32 v[72:73], v[72:73], v[76:77], v[78:79] neg_lo:[0,0,1] neg_hi:[0,0,1]
	s_delay_alu instid0(VALU_DEP_2)
	v_mov_b32_e32 v73, v81
	scratch_store_b64 off, v[72:73], off offset:104
.LBB33_460:
	s_wait_xcnt 0x0
	s_or_b32 exec_lo, exec_lo, s0
	scratch_load_b64 v[72:73], off, off offset:112
	s_mov_b32 s0, exec_lo
	s_wait_loadcnt 0x0
	ds_store_b64 v1, v[72:73]
	s_wait_storecnt_dscnt 0x0
	s_barrier_signal -1
	s_barrier_wait -1
	s_wait_xcnt 0x0
	v_cmpx_gt_u32_e32 14, v0
	s_cbranch_execz .LBB33_470
; %bb.461:
	v_cmp_ne_u32_e32 vcc_lo, 1, v74
	s_cbranch_vccnz .LBB33_463
; %bb.462:
	scratch_load_b64 v[72:73], v37, off
	ds_load_b64 v[76:77], v1
	s_wait_loadcnt_dscnt 0x0
	v_pk_mul_f32 v[78:79], v[76:77], v[72:73] op_sel:[1,1] op_sel_hi:[0,1]
	s_delay_alu instid0(VALU_DEP_1) | instskip(SKIP_1) | instid1(VALU_DEP_2)
	v_pk_fma_f32 v[80:81], v[76:77], v[72:73], v[78:79] op_sel_hi:[1,0,1]
	v_pk_fma_f32 v[72:73], v[76:77], v[72:73], v[78:79] neg_lo:[0,0,1] neg_hi:[0,0,1]
	v_mov_b32_e32 v73, v81
	s_cbranch_execz .LBB33_464
	s_branch .LBB33_465
.LBB33_463:
                                        ; implicit-def: $vgpr72_vgpr73
.LBB33_464:
	ds_load_b64 v[72:73], v1
.LBB33_465:
	s_mov_b32 s2, exec_lo
	v_cmpx_ne_u32_e32 13, v0
	s_cbranch_execz .LBB33_469
; %bb.466:
	v_add_nc_u32_e32 v75, 0x118, v36
	v_add3_u32 v76, 0, v36, 8
	v_mov_b32_e32 v77, v0
	s_mov_b32 s3, 0
.LBB33_467:                             ; =>This Inner Loop Header: Depth=1
	scratch_load_b64 v[78:79], v76, off
	ds_load_b64 v[80:81], v75
	s_wait_xcnt 0x0
	v_dual_add_nc_u32 v75, 8, v75 :: v_dual_add_nc_u32 v76, 8, v76
	s_wait_loadcnt_dscnt 0x0
	v_pk_mul_f32 v[82:83], v[80:81], v[78:79] op_sel:[1,1] op_sel_hi:[0,1]
	s_delay_alu instid0(VALU_DEP_1) | instskip(SKIP_2) | instid1(VALU_DEP_3)
	v_pk_fma_f32 v[84:85], v[80:81], v[78:79], v[82:83] op_sel_hi:[1,0,1]
	v_add_nc_u32_e32 v77, 1, v77
	v_pk_fma_f32 v[78:79], v[80:81], v[78:79], v[82:83] neg_lo:[0,0,1] neg_hi:[0,0,1]
	v_mov_b32_e32 v79, v85
	s_delay_alu instid0(VALU_DEP_3) | instskip(NEXT) | instid1(VALU_DEP_2)
	v_cmp_lt_u32_e32 vcc_lo, 12, v77
	v_pk_add_f32 v[72:73], v[72:73], v[78:79]
	s_or_b32 s3, vcc_lo, s3
	s_delay_alu instid0(SALU_CYCLE_1)
	s_and_not1_b32 exec_lo, exec_lo, s3
	s_cbranch_execnz .LBB33_467
; %bb.468:
	s_or_b32 exec_lo, exec_lo, s3
.LBB33_469:
	s_delay_alu instid0(SALU_CYCLE_1) | instskip(SKIP_4) | instid1(VALU_DEP_1)
	s_or_b32 exec_lo, exec_lo, s2
	v_mov_b32_e32 v75, 0
	ds_load_b64 v[76:77], v75 offset:112
	s_wait_dscnt 0x0
	v_pk_mul_f32 v[78:79], v[72:73], v[76:77] op_sel:[1,1] op_sel_hi:[0,1]
	v_pk_fma_f32 v[80:81], v[72:73], v[76:77], v[78:79] op_sel_hi:[1,0,1]
	v_pk_fma_f32 v[72:73], v[72:73], v[76:77], v[78:79] neg_lo:[0,0,1] neg_hi:[0,0,1]
	s_delay_alu instid0(VALU_DEP_2)
	v_mov_b32_e32 v73, v81
	scratch_store_b64 off, v[72:73], off offset:112
.LBB33_470:
	s_wait_xcnt 0x0
	s_or_b32 exec_lo, exec_lo, s0
	scratch_load_b64 v[72:73], off, off offset:120
	s_mov_b32 s0, exec_lo
	s_wait_loadcnt 0x0
	ds_store_b64 v1, v[72:73]
	s_wait_storecnt_dscnt 0x0
	s_barrier_signal -1
	s_barrier_wait -1
	s_wait_xcnt 0x0
	v_cmpx_gt_u32_e32 15, v0
	s_cbranch_execz .LBB33_480
; %bb.471:
	v_cmp_ne_u32_e32 vcc_lo, 1, v74
	s_cbranch_vccnz .LBB33_473
; %bb.472:
	scratch_load_b64 v[72:73], v37, off
	ds_load_b64 v[76:77], v1
	s_wait_loadcnt_dscnt 0x0
	v_pk_mul_f32 v[78:79], v[76:77], v[72:73] op_sel:[1,1] op_sel_hi:[0,1]
	s_delay_alu instid0(VALU_DEP_1) | instskip(SKIP_1) | instid1(VALU_DEP_2)
	v_pk_fma_f32 v[80:81], v[76:77], v[72:73], v[78:79] op_sel_hi:[1,0,1]
	v_pk_fma_f32 v[72:73], v[76:77], v[72:73], v[78:79] neg_lo:[0,0,1] neg_hi:[0,0,1]
	v_mov_b32_e32 v73, v81
	s_cbranch_execz .LBB33_474
	s_branch .LBB33_475
.LBB33_473:
                                        ; implicit-def: $vgpr72_vgpr73
.LBB33_474:
	ds_load_b64 v[72:73], v1
.LBB33_475:
	s_mov_b32 s2, exec_lo
	v_cmpx_ne_u32_e32 14, v0
	s_cbranch_execz .LBB33_479
; %bb.476:
	v_add_nc_u32_e32 v75, 0x118, v36
	v_add3_u32 v76, 0, v36, 8
	v_mov_b32_e32 v77, v0
	s_mov_b32 s3, 0
.LBB33_477:                             ; =>This Inner Loop Header: Depth=1
	scratch_load_b64 v[78:79], v76, off
	ds_load_b64 v[80:81], v75
	s_wait_xcnt 0x0
	v_dual_add_nc_u32 v75, 8, v75 :: v_dual_add_nc_u32 v76, 8, v76
	s_wait_loadcnt_dscnt 0x0
	v_pk_mul_f32 v[82:83], v[80:81], v[78:79] op_sel:[1,1] op_sel_hi:[0,1]
	s_delay_alu instid0(VALU_DEP_1) | instskip(SKIP_2) | instid1(VALU_DEP_3)
	v_pk_fma_f32 v[84:85], v[80:81], v[78:79], v[82:83] op_sel_hi:[1,0,1]
	v_add_nc_u32_e32 v77, 1, v77
	v_pk_fma_f32 v[78:79], v[80:81], v[78:79], v[82:83] neg_lo:[0,0,1] neg_hi:[0,0,1]
	v_mov_b32_e32 v79, v85
	s_delay_alu instid0(VALU_DEP_3) | instskip(NEXT) | instid1(VALU_DEP_2)
	v_cmp_lt_u32_e32 vcc_lo, 13, v77
	v_pk_add_f32 v[72:73], v[72:73], v[78:79]
	s_or_b32 s3, vcc_lo, s3
	s_delay_alu instid0(SALU_CYCLE_1)
	s_and_not1_b32 exec_lo, exec_lo, s3
	s_cbranch_execnz .LBB33_477
; %bb.478:
	s_or_b32 exec_lo, exec_lo, s3
.LBB33_479:
	s_delay_alu instid0(SALU_CYCLE_1) | instskip(SKIP_4) | instid1(VALU_DEP_1)
	s_or_b32 exec_lo, exec_lo, s2
	v_mov_b32_e32 v75, 0
	ds_load_b64 v[76:77], v75 offset:120
	s_wait_dscnt 0x0
	v_pk_mul_f32 v[78:79], v[72:73], v[76:77] op_sel:[1,1] op_sel_hi:[0,1]
	v_pk_fma_f32 v[80:81], v[72:73], v[76:77], v[78:79] op_sel_hi:[1,0,1]
	v_pk_fma_f32 v[72:73], v[72:73], v[76:77], v[78:79] neg_lo:[0,0,1] neg_hi:[0,0,1]
	s_delay_alu instid0(VALU_DEP_2)
	v_mov_b32_e32 v73, v81
	scratch_store_b64 off, v[72:73], off offset:120
.LBB33_480:
	s_wait_xcnt 0x0
	s_or_b32 exec_lo, exec_lo, s0
	scratch_load_b64 v[72:73], off, off offset:128
	s_mov_b32 s0, exec_lo
	s_wait_loadcnt 0x0
	ds_store_b64 v1, v[72:73]
	s_wait_storecnt_dscnt 0x0
	s_barrier_signal -1
	s_barrier_wait -1
	s_wait_xcnt 0x0
	v_cmpx_gt_u32_e32 16, v0
	s_cbranch_execz .LBB33_490
; %bb.481:
	v_cmp_ne_u32_e32 vcc_lo, 1, v74
	s_cbranch_vccnz .LBB33_483
; %bb.482:
	scratch_load_b64 v[72:73], v37, off
	ds_load_b64 v[76:77], v1
	s_wait_loadcnt_dscnt 0x0
	v_pk_mul_f32 v[78:79], v[76:77], v[72:73] op_sel:[1,1] op_sel_hi:[0,1]
	s_delay_alu instid0(VALU_DEP_1) | instskip(SKIP_1) | instid1(VALU_DEP_2)
	v_pk_fma_f32 v[80:81], v[76:77], v[72:73], v[78:79] op_sel_hi:[1,0,1]
	v_pk_fma_f32 v[72:73], v[76:77], v[72:73], v[78:79] neg_lo:[0,0,1] neg_hi:[0,0,1]
	v_mov_b32_e32 v73, v81
	s_cbranch_execz .LBB33_484
	s_branch .LBB33_485
.LBB33_483:
                                        ; implicit-def: $vgpr72_vgpr73
.LBB33_484:
	ds_load_b64 v[72:73], v1
.LBB33_485:
	s_mov_b32 s2, exec_lo
	v_cmpx_ne_u32_e32 15, v0
	s_cbranch_execz .LBB33_489
; %bb.486:
	v_add_nc_u32_e32 v75, 0x118, v36
	v_add3_u32 v76, 0, v36, 8
	v_mov_b32_e32 v77, v0
	s_mov_b32 s3, 0
.LBB33_487:                             ; =>This Inner Loop Header: Depth=1
	scratch_load_b64 v[78:79], v76, off
	ds_load_b64 v[80:81], v75
	s_wait_xcnt 0x0
	v_dual_add_nc_u32 v75, 8, v75 :: v_dual_add_nc_u32 v76, 8, v76
	s_wait_loadcnt_dscnt 0x0
	v_pk_mul_f32 v[82:83], v[80:81], v[78:79] op_sel:[1,1] op_sel_hi:[0,1]
	s_delay_alu instid0(VALU_DEP_1) | instskip(SKIP_2) | instid1(VALU_DEP_3)
	v_pk_fma_f32 v[84:85], v[80:81], v[78:79], v[82:83] op_sel_hi:[1,0,1]
	v_add_nc_u32_e32 v77, 1, v77
	v_pk_fma_f32 v[78:79], v[80:81], v[78:79], v[82:83] neg_lo:[0,0,1] neg_hi:[0,0,1]
	v_mov_b32_e32 v79, v85
	s_delay_alu instid0(VALU_DEP_3) | instskip(NEXT) | instid1(VALU_DEP_2)
	v_cmp_lt_u32_e32 vcc_lo, 14, v77
	v_pk_add_f32 v[72:73], v[72:73], v[78:79]
	s_or_b32 s3, vcc_lo, s3
	s_delay_alu instid0(SALU_CYCLE_1)
	s_and_not1_b32 exec_lo, exec_lo, s3
	s_cbranch_execnz .LBB33_487
; %bb.488:
	s_or_b32 exec_lo, exec_lo, s3
.LBB33_489:
	s_delay_alu instid0(SALU_CYCLE_1) | instskip(SKIP_4) | instid1(VALU_DEP_1)
	s_or_b32 exec_lo, exec_lo, s2
	v_mov_b32_e32 v75, 0
	ds_load_b64 v[76:77], v75 offset:128
	s_wait_dscnt 0x0
	v_pk_mul_f32 v[78:79], v[72:73], v[76:77] op_sel:[1,1] op_sel_hi:[0,1]
	v_pk_fma_f32 v[80:81], v[72:73], v[76:77], v[78:79] op_sel_hi:[1,0,1]
	v_pk_fma_f32 v[72:73], v[72:73], v[76:77], v[78:79] neg_lo:[0,0,1] neg_hi:[0,0,1]
	s_delay_alu instid0(VALU_DEP_2)
	v_mov_b32_e32 v73, v81
	scratch_store_b64 off, v[72:73], off offset:128
.LBB33_490:
	s_wait_xcnt 0x0
	s_or_b32 exec_lo, exec_lo, s0
	scratch_load_b64 v[72:73], off, off offset:136
	s_mov_b32 s0, exec_lo
	s_wait_loadcnt 0x0
	ds_store_b64 v1, v[72:73]
	s_wait_storecnt_dscnt 0x0
	s_barrier_signal -1
	s_barrier_wait -1
	s_wait_xcnt 0x0
	v_cmpx_gt_u32_e32 17, v0
	s_cbranch_execz .LBB33_500
; %bb.491:
	v_cmp_ne_u32_e32 vcc_lo, 1, v74
	s_cbranch_vccnz .LBB33_493
; %bb.492:
	scratch_load_b64 v[72:73], v37, off
	ds_load_b64 v[76:77], v1
	s_wait_loadcnt_dscnt 0x0
	v_pk_mul_f32 v[78:79], v[76:77], v[72:73] op_sel:[1,1] op_sel_hi:[0,1]
	s_delay_alu instid0(VALU_DEP_1) | instskip(SKIP_1) | instid1(VALU_DEP_2)
	v_pk_fma_f32 v[80:81], v[76:77], v[72:73], v[78:79] op_sel_hi:[1,0,1]
	v_pk_fma_f32 v[72:73], v[76:77], v[72:73], v[78:79] neg_lo:[0,0,1] neg_hi:[0,0,1]
	v_mov_b32_e32 v73, v81
	s_cbranch_execz .LBB33_494
	s_branch .LBB33_495
.LBB33_493:
                                        ; implicit-def: $vgpr72_vgpr73
.LBB33_494:
	ds_load_b64 v[72:73], v1
.LBB33_495:
	s_mov_b32 s2, exec_lo
	v_cmpx_ne_u32_e32 16, v0
	s_cbranch_execz .LBB33_499
; %bb.496:
	v_add_nc_u32_e32 v75, 0x118, v36
	v_add3_u32 v76, 0, v36, 8
	v_mov_b32_e32 v77, v0
	s_mov_b32 s3, 0
.LBB33_497:                             ; =>This Inner Loop Header: Depth=1
	scratch_load_b64 v[78:79], v76, off
	ds_load_b64 v[80:81], v75
	s_wait_xcnt 0x0
	v_dual_add_nc_u32 v75, 8, v75 :: v_dual_add_nc_u32 v76, 8, v76
	s_wait_loadcnt_dscnt 0x0
	v_pk_mul_f32 v[82:83], v[80:81], v[78:79] op_sel:[1,1] op_sel_hi:[0,1]
	s_delay_alu instid0(VALU_DEP_1) | instskip(SKIP_2) | instid1(VALU_DEP_3)
	v_pk_fma_f32 v[84:85], v[80:81], v[78:79], v[82:83] op_sel_hi:[1,0,1]
	v_add_nc_u32_e32 v77, 1, v77
	v_pk_fma_f32 v[78:79], v[80:81], v[78:79], v[82:83] neg_lo:[0,0,1] neg_hi:[0,0,1]
	v_mov_b32_e32 v79, v85
	s_delay_alu instid0(VALU_DEP_3) | instskip(NEXT) | instid1(VALU_DEP_2)
	v_cmp_lt_u32_e32 vcc_lo, 15, v77
	v_pk_add_f32 v[72:73], v[72:73], v[78:79]
	s_or_b32 s3, vcc_lo, s3
	s_delay_alu instid0(SALU_CYCLE_1)
	s_and_not1_b32 exec_lo, exec_lo, s3
	s_cbranch_execnz .LBB33_497
; %bb.498:
	s_or_b32 exec_lo, exec_lo, s3
.LBB33_499:
	s_delay_alu instid0(SALU_CYCLE_1) | instskip(SKIP_4) | instid1(VALU_DEP_1)
	s_or_b32 exec_lo, exec_lo, s2
	v_mov_b32_e32 v75, 0
	ds_load_b64 v[76:77], v75 offset:136
	s_wait_dscnt 0x0
	v_pk_mul_f32 v[78:79], v[72:73], v[76:77] op_sel:[1,1] op_sel_hi:[0,1]
	v_pk_fma_f32 v[80:81], v[72:73], v[76:77], v[78:79] op_sel_hi:[1,0,1]
	v_pk_fma_f32 v[72:73], v[72:73], v[76:77], v[78:79] neg_lo:[0,0,1] neg_hi:[0,0,1]
	s_delay_alu instid0(VALU_DEP_2)
	v_mov_b32_e32 v73, v81
	scratch_store_b64 off, v[72:73], off offset:136
.LBB33_500:
	s_wait_xcnt 0x0
	s_or_b32 exec_lo, exec_lo, s0
	scratch_load_b64 v[72:73], off, off offset:144
	s_mov_b32 s0, exec_lo
	s_wait_loadcnt 0x0
	ds_store_b64 v1, v[72:73]
	s_wait_storecnt_dscnt 0x0
	s_barrier_signal -1
	s_barrier_wait -1
	s_wait_xcnt 0x0
	v_cmpx_gt_u32_e32 18, v0
	s_cbranch_execz .LBB33_510
; %bb.501:
	v_cmp_ne_u32_e32 vcc_lo, 1, v74
	s_cbranch_vccnz .LBB33_503
; %bb.502:
	scratch_load_b64 v[72:73], v37, off
	ds_load_b64 v[76:77], v1
	s_wait_loadcnt_dscnt 0x0
	v_pk_mul_f32 v[78:79], v[76:77], v[72:73] op_sel:[1,1] op_sel_hi:[0,1]
	s_delay_alu instid0(VALU_DEP_1) | instskip(SKIP_1) | instid1(VALU_DEP_2)
	v_pk_fma_f32 v[80:81], v[76:77], v[72:73], v[78:79] op_sel_hi:[1,0,1]
	v_pk_fma_f32 v[72:73], v[76:77], v[72:73], v[78:79] neg_lo:[0,0,1] neg_hi:[0,0,1]
	v_mov_b32_e32 v73, v81
	s_cbranch_execz .LBB33_504
	s_branch .LBB33_505
.LBB33_503:
                                        ; implicit-def: $vgpr72_vgpr73
.LBB33_504:
	ds_load_b64 v[72:73], v1
.LBB33_505:
	s_mov_b32 s2, exec_lo
	v_cmpx_ne_u32_e32 17, v0
	s_cbranch_execz .LBB33_509
; %bb.506:
	v_add_nc_u32_e32 v75, 0x118, v36
	v_add3_u32 v76, 0, v36, 8
	v_mov_b32_e32 v77, v0
	s_mov_b32 s3, 0
.LBB33_507:                             ; =>This Inner Loop Header: Depth=1
	scratch_load_b64 v[78:79], v76, off
	ds_load_b64 v[80:81], v75
	s_wait_xcnt 0x0
	v_dual_add_nc_u32 v75, 8, v75 :: v_dual_add_nc_u32 v76, 8, v76
	s_wait_loadcnt_dscnt 0x0
	v_pk_mul_f32 v[82:83], v[80:81], v[78:79] op_sel:[1,1] op_sel_hi:[0,1]
	s_delay_alu instid0(VALU_DEP_1) | instskip(SKIP_2) | instid1(VALU_DEP_3)
	v_pk_fma_f32 v[84:85], v[80:81], v[78:79], v[82:83] op_sel_hi:[1,0,1]
	v_add_nc_u32_e32 v77, 1, v77
	v_pk_fma_f32 v[78:79], v[80:81], v[78:79], v[82:83] neg_lo:[0,0,1] neg_hi:[0,0,1]
	v_mov_b32_e32 v79, v85
	s_delay_alu instid0(VALU_DEP_3) | instskip(NEXT) | instid1(VALU_DEP_2)
	v_cmp_lt_u32_e32 vcc_lo, 16, v77
	v_pk_add_f32 v[72:73], v[72:73], v[78:79]
	s_or_b32 s3, vcc_lo, s3
	s_delay_alu instid0(SALU_CYCLE_1)
	s_and_not1_b32 exec_lo, exec_lo, s3
	s_cbranch_execnz .LBB33_507
; %bb.508:
	s_or_b32 exec_lo, exec_lo, s3
.LBB33_509:
	s_delay_alu instid0(SALU_CYCLE_1) | instskip(SKIP_4) | instid1(VALU_DEP_1)
	s_or_b32 exec_lo, exec_lo, s2
	v_mov_b32_e32 v75, 0
	ds_load_b64 v[76:77], v75 offset:144
	s_wait_dscnt 0x0
	v_pk_mul_f32 v[78:79], v[72:73], v[76:77] op_sel:[1,1] op_sel_hi:[0,1]
	v_pk_fma_f32 v[80:81], v[72:73], v[76:77], v[78:79] op_sel_hi:[1,0,1]
	v_pk_fma_f32 v[72:73], v[72:73], v[76:77], v[78:79] neg_lo:[0,0,1] neg_hi:[0,0,1]
	s_delay_alu instid0(VALU_DEP_2)
	v_mov_b32_e32 v73, v81
	scratch_store_b64 off, v[72:73], off offset:144
.LBB33_510:
	s_wait_xcnt 0x0
	s_or_b32 exec_lo, exec_lo, s0
	scratch_load_b64 v[72:73], off, off offset:152
	s_mov_b32 s0, exec_lo
	s_wait_loadcnt 0x0
	ds_store_b64 v1, v[72:73]
	s_wait_storecnt_dscnt 0x0
	s_barrier_signal -1
	s_barrier_wait -1
	s_wait_xcnt 0x0
	v_cmpx_gt_u32_e32 19, v0
	s_cbranch_execz .LBB33_520
; %bb.511:
	v_cmp_ne_u32_e32 vcc_lo, 1, v74
	s_cbranch_vccnz .LBB33_513
; %bb.512:
	scratch_load_b64 v[72:73], v37, off
	ds_load_b64 v[76:77], v1
	s_wait_loadcnt_dscnt 0x0
	v_pk_mul_f32 v[78:79], v[76:77], v[72:73] op_sel:[1,1] op_sel_hi:[0,1]
	s_delay_alu instid0(VALU_DEP_1) | instskip(SKIP_1) | instid1(VALU_DEP_2)
	v_pk_fma_f32 v[80:81], v[76:77], v[72:73], v[78:79] op_sel_hi:[1,0,1]
	v_pk_fma_f32 v[72:73], v[76:77], v[72:73], v[78:79] neg_lo:[0,0,1] neg_hi:[0,0,1]
	v_mov_b32_e32 v73, v81
	s_cbranch_execz .LBB33_514
	s_branch .LBB33_515
.LBB33_513:
                                        ; implicit-def: $vgpr72_vgpr73
.LBB33_514:
	ds_load_b64 v[72:73], v1
.LBB33_515:
	s_mov_b32 s2, exec_lo
	v_cmpx_ne_u32_e32 18, v0
	s_cbranch_execz .LBB33_519
; %bb.516:
	v_add_nc_u32_e32 v75, 0x118, v36
	v_add3_u32 v76, 0, v36, 8
	v_mov_b32_e32 v77, v0
	s_mov_b32 s3, 0
.LBB33_517:                             ; =>This Inner Loop Header: Depth=1
	scratch_load_b64 v[78:79], v76, off
	ds_load_b64 v[80:81], v75
	s_wait_xcnt 0x0
	v_dual_add_nc_u32 v75, 8, v75 :: v_dual_add_nc_u32 v76, 8, v76
	s_wait_loadcnt_dscnt 0x0
	v_pk_mul_f32 v[82:83], v[80:81], v[78:79] op_sel:[1,1] op_sel_hi:[0,1]
	s_delay_alu instid0(VALU_DEP_1) | instskip(SKIP_2) | instid1(VALU_DEP_3)
	v_pk_fma_f32 v[84:85], v[80:81], v[78:79], v[82:83] op_sel_hi:[1,0,1]
	v_add_nc_u32_e32 v77, 1, v77
	v_pk_fma_f32 v[78:79], v[80:81], v[78:79], v[82:83] neg_lo:[0,0,1] neg_hi:[0,0,1]
	v_mov_b32_e32 v79, v85
	s_delay_alu instid0(VALU_DEP_3) | instskip(NEXT) | instid1(VALU_DEP_2)
	v_cmp_lt_u32_e32 vcc_lo, 17, v77
	v_pk_add_f32 v[72:73], v[72:73], v[78:79]
	s_or_b32 s3, vcc_lo, s3
	s_delay_alu instid0(SALU_CYCLE_1)
	s_and_not1_b32 exec_lo, exec_lo, s3
	s_cbranch_execnz .LBB33_517
; %bb.518:
	s_or_b32 exec_lo, exec_lo, s3
.LBB33_519:
	s_delay_alu instid0(SALU_CYCLE_1) | instskip(SKIP_4) | instid1(VALU_DEP_1)
	s_or_b32 exec_lo, exec_lo, s2
	v_mov_b32_e32 v75, 0
	ds_load_b64 v[76:77], v75 offset:152
	s_wait_dscnt 0x0
	v_pk_mul_f32 v[78:79], v[72:73], v[76:77] op_sel:[1,1] op_sel_hi:[0,1]
	v_pk_fma_f32 v[80:81], v[72:73], v[76:77], v[78:79] op_sel_hi:[1,0,1]
	v_pk_fma_f32 v[72:73], v[72:73], v[76:77], v[78:79] neg_lo:[0,0,1] neg_hi:[0,0,1]
	s_delay_alu instid0(VALU_DEP_2)
	v_mov_b32_e32 v73, v81
	scratch_store_b64 off, v[72:73], off offset:152
.LBB33_520:
	s_wait_xcnt 0x0
	s_or_b32 exec_lo, exec_lo, s0
	scratch_load_b64 v[72:73], off, off offset:160
	s_mov_b32 s0, exec_lo
	s_wait_loadcnt 0x0
	ds_store_b64 v1, v[72:73]
	s_wait_storecnt_dscnt 0x0
	s_barrier_signal -1
	s_barrier_wait -1
	s_wait_xcnt 0x0
	v_cmpx_gt_u32_e32 20, v0
	s_cbranch_execz .LBB33_530
; %bb.521:
	v_cmp_ne_u32_e32 vcc_lo, 1, v74
	s_cbranch_vccnz .LBB33_523
; %bb.522:
	scratch_load_b64 v[72:73], v37, off
	ds_load_b64 v[76:77], v1
	s_wait_loadcnt_dscnt 0x0
	v_pk_mul_f32 v[78:79], v[76:77], v[72:73] op_sel:[1,1] op_sel_hi:[0,1]
	s_delay_alu instid0(VALU_DEP_1) | instskip(SKIP_1) | instid1(VALU_DEP_2)
	v_pk_fma_f32 v[80:81], v[76:77], v[72:73], v[78:79] op_sel_hi:[1,0,1]
	v_pk_fma_f32 v[72:73], v[76:77], v[72:73], v[78:79] neg_lo:[0,0,1] neg_hi:[0,0,1]
	v_mov_b32_e32 v73, v81
	s_cbranch_execz .LBB33_524
	s_branch .LBB33_525
.LBB33_523:
                                        ; implicit-def: $vgpr72_vgpr73
.LBB33_524:
	ds_load_b64 v[72:73], v1
.LBB33_525:
	s_mov_b32 s2, exec_lo
	v_cmpx_ne_u32_e32 19, v0
	s_cbranch_execz .LBB33_529
; %bb.526:
	v_add_nc_u32_e32 v75, 0x118, v36
	v_add3_u32 v76, 0, v36, 8
	v_mov_b32_e32 v77, v0
	s_mov_b32 s3, 0
.LBB33_527:                             ; =>This Inner Loop Header: Depth=1
	scratch_load_b64 v[78:79], v76, off
	ds_load_b64 v[80:81], v75
	s_wait_xcnt 0x0
	v_dual_add_nc_u32 v75, 8, v75 :: v_dual_add_nc_u32 v76, 8, v76
	s_wait_loadcnt_dscnt 0x0
	v_pk_mul_f32 v[82:83], v[80:81], v[78:79] op_sel:[1,1] op_sel_hi:[0,1]
	s_delay_alu instid0(VALU_DEP_1) | instskip(SKIP_2) | instid1(VALU_DEP_3)
	v_pk_fma_f32 v[84:85], v[80:81], v[78:79], v[82:83] op_sel_hi:[1,0,1]
	v_add_nc_u32_e32 v77, 1, v77
	v_pk_fma_f32 v[78:79], v[80:81], v[78:79], v[82:83] neg_lo:[0,0,1] neg_hi:[0,0,1]
	v_mov_b32_e32 v79, v85
	s_delay_alu instid0(VALU_DEP_3) | instskip(NEXT) | instid1(VALU_DEP_2)
	v_cmp_lt_u32_e32 vcc_lo, 18, v77
	v_pk_add_f32 v[72:73], v[72:73], v[78:79]
	s_or_b32 s3, vcc_lo, s3
	s_delay_alu instid0(SALU_CYCLE_1)
	s_and_not1_b32 exec_lo, exec_lo, s3
	s_cbranch_execnz .LBB33_527
; %bb.528:
	s_or_b32 exec_lo, exec_lo, s3
.LBB33_529:
	s_delay_alu instid0(SALU_CYCLE_1) | instskip(SKIP_4) | instid1(VALU_DEP_1)
	s_or_b32 exec_lo, exec_lo, s2
	v_mov_b32_e32 v75, 0
	ds_load_b64 v[76:77], v75 offset:160
	s_wait_dscnt 0x0
	v_pk_mul_f32 v[78:79], v[72:73], v[76:77] op_sel:[1,1] op_sel_hi:[0,1]
	v_pk_fma_f32 v[80:81], v[72:73], v[76:77], v[78:79] op_sel_hi:[1,0,1]
	v_pk_fma_f32 v[72:73], v[72:73], v[76:77], v[78:79] neg_lo:[0,0,1] neg_hi:[0,0,1]
	s_delay_alu instid0(VALU_DEP_2)
	v_mov_b32_e32 v73, v81
	scratch_store_b64 off, v[72:73], off offset:160
.LBB33_530:
	s_wait_xcnt 0x0
	s_or_b32 exec_lo, exec_lo, s0
	scratch_load_b64 v[72:73], off, off offset:168
	s_mov_b32 s0, exec_lo
	s_wait_loadcnt 0x0
	ds_store_b64 v1, v[72:73]
	s_wait_storecnt_dscnt 0x0
	s_barrier_signal -1
	s_barrier_wait -1
	s_wait_xcnt 0x0
	v_cmpx_gt_u32_e32 21, v0
	s_cbranch_execz .LBB33_540
; %bb.531:
	v_cmp_ne_u32_e32 vcc_lo, 1, v74
	s_cbranch_vccnz .LBB33_533
; %bb.532:
	scratch_load_b64 v[72:73], v37, off
	ds_load_b64 v[76:77], v1
	s_wait_loadcnt_dscnt 0x0
	v_pk_mul_f32 v[78:79], v[76:77], v[72:73] op_sel:[1,1] op_sel_hi:[0,1]
	s_delay_alu instid0(VALU_DEP_1) | instskip(SKIP_1) | instid1(VALU_DEP_2)
	v_pk_fma_f32 v[80:81], v[76:77], v[72:73], v[78:79] op_sel_hi:[1,0,1]
	v_pk_fma_f32 v[72:73], v[76:77], v[72:73], v[78:79] neg_lo:[0,0,1] neg_hi:[0,0,1]
	v_mov_b32_e32 v73, v81
	s_cbranch_execz .LBB33_534
	s_branch .LBB33_535
.LBB33_533:
                                        ; implicit-def: $vgpr72_vgpr73
.LBB33_534:
	ds_load_b64 v[72:73], v1
.LBB33_535:
	s_mov_b32 s2, exec_lo
	v_cmpx_ne_u32_e32 20, v0
	s_cbranch_execz .LBB33_539
; %bb.536:
	v_add_nc_u32_e32 v75, 0x118, v36
	v_add3_u32 v76, 0, v36, 8
	v_mov_b32_e32 v77, v0
	s_mov_b32 s3, 0
.LBB33_537:                             ; =>This Inner Loop Header: Depth=1
	scratch_load_b64 v[78:79], v76, off
	ds_load_b64 v[80:81], v75
	s_wait_xcnt 0x0
	v_dual_add_nc_u32 v75, 8, v75 :: v_dual_add_nc_u32 v76, 8, v76
	s_wait_loadcnt_dscnt 0x0
	v_pk_mul_f32 v[82:83], v[80:81], v[78:79] op_sel:[1,1] op_sel_hi:[0,1]
	s_delay_alu instid0(VALU_DEP_1) | instskip(SKIP_2) | instid1(VALU_DEP_3)
	v_pk_fma_f32 v[84:85], v[80:81], v[78:79], v[82:83] op_sel_hi:[1,0,1]
	v_add_nc_u32_e32 v77, 1, v77
	v_pk_fma_f32 v[78:79], v[80:81], v[78:79], v[82:83] neg_lo:[0,0,1] neg_hi:[0,0,1]
	v_mov_b32_e32 v79, v85
	s_delay_alu instid0(VALU_DEP_3) | instskip(NEXT) | instid1(VALU_DEP_2)
	v_cmp_lt_u32_e32 vcc_lo, 19, v77
	v_pk_add_f32 v[72:73], v[72:73], v[78:79]
	s_or_b32 s3, vcc_lo, s3
	s_delay_alu instid0(SALU_CYCLE_1)
	s_and_not1_b32 exec_lo, exec_lo, s3
	s_cbranch_execnz .LBB33_537
; %bb.538:
	s_or_b32 exec_lo, exec_lo, s3
.LBB33_539:
	s_delay_alu instid0(SALU_CYCLE_1) | instskip(SKIP_4) | instid1(VALU_DEP_1)
	s_or_b32 exec_lo, exec_lo, s2
	v_mov_b32_e32 v75, 0
	ds_load_b64 v[76:77], v75 offset:168
	s_wait_dscnt 0x0
	v_pk_mul_f32 v[78:79], v[72:73], v[76:77] op_sel:[1,1] op_sel_hi:[0,1]
	v_pk_fma_f32 v[80:81], v[72:73], v[76:77], v[78:79] op_sel_hi:[1,0,1]
	v_pk_fma_f32 v[72:73], v[72:73], v[76:77], v[78:79] neg_lo:[0,0,1] neg_hi:[0,0,1]
	s_delay_alu instid0(VALU_DEP_2)
	v_mov_b32_e32 v73, v81
	scratch_store_b64 off, v[72:73], off offset:168
.LBB33_540:
	s_wait_xcnt 0x0
	s_or_b32 exec_lo, exec_lo, s0
	scratch_load_b64 v[72:73], off, off offset:176
	s_mov_b32 s0, exec_lo
	s_wait_loadcnt 0x0
	ds_store_b64 v1, v[72:73]
	s_wait_storecnt_dscnt 0x0
	s_barrier_signal -1
	s_barrier_wait -1
	s_wait_xcnt 0x0
	v_cmpx_gt_u32_e32 22, v0
	s_cbranch_execz .LBB33_550
; %bb.541:
	v_cmp_ne_u32_e32 vcc_lo, 1, v74
	s_cbranch_vccnz .LBB33_543
; %bb.542:
	scratch_load_b64 v[72:73], v37, off
	ds_load_b64 v[76:77], v1
	s_wait_loadcnt_dscnt 0x0
	v_pk_mul_f32 v[78:79], v[76:77], v[72:73] op_sel:[1,1] op_sel_hi:[0,1]
	s_delay_alu instid0(VALU_DEP_1) | instskip(SKIP_1) | instid1(VALU_DEP_2)
	v_pk_fma_f32 v[80:81], v[76:77], v[72:73], v[78:79] op_sel_hi:[1,0,1]
	v_pk_fma_f32 v[72:73], v[76:77], v[72:73], v[78:79] neg_lo:[0,0,1] neg_hi:[0,0,1]
	v_mov_b32_e32 v73, v81
	s_cbranch_execz .LBB33_544
	s_branch .LBB33_545
.LBB33_543:
                                        ; implicit-def: $vgpr72_vgpr73
.LBB33_544:
	ds_load_b64 v[72:73], v1
.LBB33_545:
	s_mov_b32 s2, exec_lo
	v_cmpx_ne_u32_e32 21, v0
	s_cbranch_execz .LBB33_549
; %bb.546:
	v_add_nc_u32_e32 v75, 0x118, v36
	v_add3_u32 v76, 0, v36, 8
	v_mov_b32_e32 v77, v0
	s_mov_b32 s3, 0
.LBB33_547:                             ; =>This Inner Loop Header: Depth=1
	scratch_load_b64 v[78:79], v76, off
	ds_load_b64 v[80:81], v75
	s_wait_xcnt 0x0
	v_dual_add_nc_u32 v75, 8, v75 :: v_dual_add_nc_u32 v76, 8, v76
	s_wait_loadcnt_dscnt 0x0
	v_pk_mul_f32 v[82:83], v[80:81], v[78:79] op_sel:[1,1] op_sel_hi:[0,1]
	s_delay_alu instid0(VALU_DEP_1) | instskip(SKIP_2) | instid1(VALU_DEP_3)
	v_pk_fma_f32 v[84:85], v[80:81], v[78:79], v[82:83] op_sel_hi:[1,0,1]
	v_add_nc_u32_e32 v77, 1, v77
	v_pk_fma_f32 v[78:79], v[80:81], v[78:79], v[82:83] neg_lo:[0,0,1] neg_hi:[0,0,1]
	v_mov_b32_e32 v79, v85
	s_delay_alu instid0(VALU_DEP_3) | instskip(NEXT) | instid1(VALU_DEP_2)
	v_cmp_lt_u32_e32 vcc_lo, 20, v77
	v_pk_add_f32 v[72:73], v[72:73], v[78:79]
	s_or_b32 s3, vcc_lo, s3
	s_delay_alu instid0(SALU_CYCLE_1)
	s_and_not1_b32 exec_lo, exec_lo, s3
	s_cbranch_execnz .LBB33_547
; %bb.548:
	s_or_b32 exec_lo, exec_lo, s3
.LBB33_549:
	s_delay_alu instid0(SALU_CYCLE_1) | instskip(SKIP_4) | instid1(VALU_DEP_1)
	s_or_b32 exec_lo, exec_lo, s2
	v_mov_b32_e32 v75, 0
	ds_load_b64 v[76:77], v75 offset:176
	s_wait_dscnt 0x0
	v_pk_mul_f32 v[78:79], v[72:73], v[76:77] op_sel:[1,1] op_sel_hi:[0,1]
	v_pk_fma_f32 v[80:81], v[72:73], v[76:77], v[78:79] op_sel_hi:[1,0,1]
	v_pk_fma_f32 v[72:73], v[72:73], v[76:77], v[78:79] neg_lo:[0,0,1] neg_hi:[0,0,1]
	s_delay_alu instid0(VALU_DEP_2)
	v_mov_b32_e32 v73, v81
	scratch_store_b64 off, v[72:73], off offset:176
.LBB33_550:
	s_wait_xcnt 0x0
	s_or_b32 exec_lo, exec_lo, s0
	scratch_load_b64 v[72:73], off, off offset:184
	s_mov_b32 s0, exec_lo
	s_wait_loadcnt 0x0
	ds_store_b64 v1, v[72:73]
	s_wait_storecnt_dscnt 0x0
	s_barrier_signal -1
	s_barrier_wait -1
	s_wait_xcnt 0x0
	v_cmpx_gt_u32_e32 23, v0
	s_cbranch_execz .LBB33_560
; %bb.551:
	v_cmp_ne_u32_e32 vcc_lo, 1, v74
	s_cbranch_vccnz .LBB33_553
; %bb.552:
	scratch_load_b64 v[72:73], v37, off
	ds_load_b64 v[76:77], v1
	s_wait_loadcnt_dscnt 0x0
	v_pk_mul_f32 v[78:79], v[76:77], v[72:73] op_sel:[1,1] op_sel_hi:[0,1]
	s_delay_alu instid0(VALU_DEP_1) | instskip(SKIP_1) | instid1(VALU_DEP_2)
	v_pk_fma_f32 v[80:81], v[76:77], v[72:73], v[78:79] op_sel_hi:[1,0,1]
	v_pk_fma_f32 v[72:73], v[76:77], v[72:73], v[78:79] neg_lo:[0,0,1] neg_hi:[0,0,1]
	v_mov_b32_e32 v73, v81
	s_cbranch_execz .LBB33_554
	s_branch .LBB33_555
.LBB33_553:
                                        ; implicit-def: $vgpr72_vgpr73
.LBB33_554:
	ds_load_b64 v[72:73], v1
.LBB33_555:
	s_mov_b32 s2, exec_lo
	v_cmpx_ne_u32_e32 22, v0
	s_cbranch_execz .LBB33_559
; %bb.556:
	v_add_nc_u32_e32 v75, 0x118, v36
	v_add3_u32 v76, 0, v36, 8
	v_mov_b32_e32 v77, v0
	s_mov_b32 s3, 0
.LBB33_557:                             ; =>This Inner Loop Header: Depth=1
	scratch_load_b64 v[78:79], v76, off
	ds_load_b64 v[80:81], v75
	s_wait_xcnt 0x0
	v_dual_add_nc_u32 v75, 8, v75 :: v_dual_add_nc_u32 v76, 8, v76
	s_wait_loadcnt_dscnt 0x0
	v_pk_mul_f32 v[82:83], v[80:81], v[78:79] op_sel:[1,1] op_sel_hi:[0,1]
	s_delay_alu instid0(VALU_DEP_1) | instskip(SKIP_2) | instid1(VALU_DEP_3)
	v_pk_fma_f32 v[84:85], v[80:81], v[78:79], v[82:83] op_sel_hi:[1,0,1]
	v_add_nc_u32_e32 v77, 1, v77
	v_pk_fma_f32 v[78:79], v[80:81], v[78:79], v[82:83] neg_lo:[0,0,1] neg_hi:[0,0,1]
	v_mov_b32_e32 v79, v85
	s_delay_alu instid0(VALU_DEP_3) | instskip(NEXT) | instid1(VALU_DEP_2)
	v_cmp_lt_u32_e32 vcc_lo, 21, v77
	v_pk_add_f32 v[72:73], v[72:73], v[78:79]
	s_or_b32 s3, vcc_lo, s3
	s_delay_alu instid0(SALU_CYCLE_1)
	s_and_not1_b32 exec_lo, exec_lo, s3
	s_cbranch_execnz .LBB33_557
; %bb.558:
	s_or_b32 exec_lo, exec_lo, s3
.LBB33_559:
	s_delay_alu instid0(SALU_CYCLE_1) | instskip(SKIP_4) | instid1(VALU_DEP_1)
	s_or_b32 exec_lo, exec_lo, s2
	v_mov_b32_e32 v75, 0
	ds_load_b64 v[76:77], v75 offset:184
	s_wait_dscnt 0x0
	v_pk_mul_f32 v[78:79], v[72:73], v[76:77] op_sel:[1,1] op_sel_hi:[0,1]
	v_pk_fma_f32 v[80:81], v[72:73], v[76:77], v[78:79] op_sel_hi:[1,0,1]
	v_pk_fma_f32 v[72:73], v[72:73], v[76:77], v[78:79] neg_lo:[0,0,1] neg_hi:[0,0,1]
	s_delay_alu instid0(VALU_DEP_2)
	v_mov_b32_e32 v73, v81
	scratch_store_b64 off, v[72:73], off offset:184
.LBB33_560:
	s_wait_xcnt 0x0
	s_or_b32 exec_lo, exec_lo, s0
	scratch_load_b64 v[72:73], off, off offset:192
	s_mov_b32 s0, exec_lo
	s_wait_loadcnt 0x0
	ds_store_b64 v1, v[72:73]
	s_wait_storecnt_dscnt 0x0
	s_barrier_signal -1
	s_barrier_wait -1
	s_wait_xcnt 0x0
	v_cmpx_gt_u32_e32 24, v0
	s_cbranch_execz .LBB33_570
; %bb.561:
	v_cmp_ne_u32_e32 vcc_lo, 1, v74
	s_cbranch_vccnz .LBB33_563
; %bb.562:
	scratch_load_b64 v[72:73], v37, off
	ds_load_b64 v[76:77], v1
	s_wait_loadcnt_dscnt 0x0
	v_pk_mul_f32 v[78:79], v[76:77], v[72:73] op_sel:[1,1] op_sel_hi:[0,1]
	s_delay_alu instid0(VALU_DEP_1) | instskip(SKIP_1) | instid1(VALU_DEP_2)
	v_pk_fma_f32 v[80:81], v[76:77], v[72:73], v[78:79] op_sel_hi:[1,0,1]
	v_pk_fma_f32 v[72:73], v[76:77], v[72:73], v[78:79] neg_lo:[0,0,1] neg_hi:[0,0,1]
	v_mov_b32_e32 v73, v81
	s_cbranch_execz .LBB33_564
	s_branch .LBB33_565
.LBB33_563:
                                        ; implicit-def: $vgpr72_vgpr73
.LBB33_564:
	ds_load_b64 v[72:73], v1
.LBB33_565:
	s_mov_b32 s2, exec_lo
	v_cmpx_ne_u32_e32 23, v0
	s_cbranch_execz .LBB33_569
; %bb.566:
	v_add_nc_u32_e32 v75, 0x118, v36
	v_add3_u32 v76, 0, v36, 8
	v_mov_b32_e32 v77, v0
	s_mov_b32 s3, 0
.LBB33_567:                             ; =>This Inner Loop Header: Depth=1
	scratch_load_b64 v[78:79], v76, off
	ds_load_b64 v[80:81], v75
	s_wait_xcnt 0x0
	v_dual_add_nc_u32 v75, 8, v75 :: v_dual_add_nc_u32 v76, 8, v76
	s_wait_loadcnt_dscnt 0x0
	v_pk_mul_f32 v[82:83], v[80:81], v[78:79] op_sel:[1,1] op_sel_hi:[0,1]
	s_delay_alu instid0(VALU_DEP_1) | instskip(SKIP_2) | instid1(VALU_DEP_3)
	v_pk_fma_f32 v[84:85], v[80:81], v[78:79], v[82:83] op_sel_hi:[1,0,1]
	v_add_nc_u32_e32 v77, 1, v77
	v_pk_fma_f32 v[78:79], v[80:81], v[78:79], v[82:83] neg_lo:[0,0,1] neg_hi:[0,0,1]
	v_mov_b32_e32 v79, v85
	s_delay_alu instid0(VALU_DEP_3) | instskip(NEXT) | instid1(VALU_DEP_2)
	v_cmp_lt_u32_e32 vcc_lo, 22, v77
	v_pk_add_f32 v[72:73], v[72:73], v[78:79]
	s_or_b32 s3, vcc_lo, s3
	s_delay_alu instid0(SALU_CYCLE_1)
	s_and_not1_b32 exec_lo, exec_lo, s3
	s_cbranch_execnz .LBB33_567
; %bb.568:
	s_or_b32 exec_lo, exec_lo, s3
.LBB33_569:
	s_delay_alu instid0(SALU_CYCLE_1) | instskip(SKIP_4) | instid1(VALU_DEP_1)
	s_or_b32 exec_lo, exec_lo, s2
	v_mov_b32_e32 v75, 0
	ds_load_b64 v[76:77], v75 offset:192
	s_wait_dscnt 0x0
	v_pk_mul_f32 v[78:79], v[72:73], v[76:77] op_sel:[1,1] op_sel_hi:[0,1]
	v_pk_fma_f32 v[80:81], v[72:73], v[76:77], v[78:79] op_sel_hi:[1,0,1]
	v_pk_fma_f32 v[72:73], v[72:73], v[76:77], v[78:79] neg_lo:[0,0,1] neg_hi:[0,0,1]
	s_delay_alu instid0(VALU_DEP_2)
	v_mov_b32_e32 v73, v81
	scratch_store_b64 off, v[72:73], off offset:192
.LBB33_570:
	s_wait_xcnt 0x0
	s_or_b32 exec_lo, exec_lo, s0
	scratch_load_b64 v[72:73], off, off offset:200
	s_mov_b32 s0, exec_lo
	s_wait_loadcnt 0x0
	ds_store_b64 v1, v[72:73]
	s_wait_storecnt_dscnt 0x0
	s_barrier_signal -1
	s_barrier_wait -1
	s_wait_xcnt 0x0
	v_cmpx_gt_u32_e32 25, v0
	s_cbranch_execz .LBB33_580
; %bb.571:
	v_cmp_ne_u32_e32 vcc_lo, 1, v74
	s_cbranch_vccnz .LBB33_573
; %bb.572:
	scratch_load_b64 v[72:73], v37, off
	ds_load_b64 v[76:77], v1
	s_wait_loadcnt_dscnt 0x0
	v_pk_mul_f32 v[78:79], v[76:77], v[72:73] op_sel:[1,1] op_sel_hi:[0,1]
	s_delay_alu instid0(VALU_DEP_1) | instskip(SKIP_1) | instid1(VALU_DEP_2)
	v_pk_fma_f32 v[80:81], v[76:77], v[72:73], v[78:79] op_sel_hi:[1,0,1]
	v_pk_fma_f32 v[72:73], v[76:77], v[72:73], v[78:79] neg_lo:[0,0,1] neg_hi:[0,0,1]
	v_mov_b32_e32 v73, v81
	s_cbranch_execz .LBB33_574
	s_branch .LBB33_575
.LBB33_573:
                                        ; implicit-def: $vgpr72_vgpr73
.LBB33_574:
	ds_load_b64 v[72:73], v1
.LBB33_575:
	s_mov_b32 s2, exec_lo
	v_cmpx_ne_u32_e32 24, v0
	s_cbranch_execz .LBB33_579
; %bb.576:
	v_add_nc_u32_e32 v75, 0x118, v36
	v_add3_u32 v76, 0, v36, 8
	v_mov_b32_e32 v77, v0
	s_mov_b32 s3, 0
.LBB33_577:                             ; =>This Inner Loop Header: Depth=1
	scratch_load_b64 v[78:79], v76, off
	ds_load_b64 v[80:81], v75
	s_wait_xcnt 0x0
	v_dual_add_nc_u32 v75, 8, v75 :: v_dual_add_nc_u32 v76, 8, v76
	s_wait_loadcnt_dscnt 0x0
	v_pk_mul_f32 v[82:83], v[80:81], v[78:79] op_sel:[1,1] op_sel_hi:[0,1]
	s_delay_alu instid0(VALU_DEP_1) | instskip(SKIP_2) | instid1(VALU_DEP_3)
	v_pk_fma_f32 v[84:85], v[80:81], v[78:79], v[82:83] op_sel_hi:[1,0,1]
	v_add_nc_u32_e32 v77, 1, v77
	v_pk_fma_f32 v[78:79], v[80:81], v[78:79], v[82:83] neg_lo:[0,0,1] neg_hi:[0,0,1]
	v_mov_b32_e32 v79, v85
	s_delay_alu instid0(VALU_DEP_3) | instskip(NEXT) | instid1(VALU_DEP_2)
	v_cmp_lt_u32_e32 vcc_lo, 23, v77
	v_pk_add_f32 v[72:73], v[72:73], v[78:79]
	s_or_b32 s3, vcc_lo, s3
	s_delay_alu instid0(SALU_CYCLE_1)
	s_and_not1_b32 exec_lo, exec_lo, s3
	s_cbranch_execnz .LBB33_577
; %bb.578:
	s_or_b32 exec_lo, exec_lo, s3
.LBB33_579:
	s_delay_alu instid0(SALU_CYCLE_1) | instskip(SKIP_4) | instid1(VALU_DEP_1)
	s_or_b32 exec_lo, exec_lo, s2
	v_mov_b32_e32 v75, 0
	ds_load_b64 v[76:77], v75 offset:200
	s_wait_dscnt 0x0
	v_pk_mul_f32 v[78:79], v[72:73], v[76:77] op_sel:[1,1] op_sel_hi:[0,1]
	v_pk_fma_f32 v[80:81], v[72:73], v[76:77], v[78:79] op_sel_hi:[1,0,1]
	v_pk_fma_f32 v[72:73], v[72:73], v[76:77], v[78:79] neg_lo:[0,0,1] neg_hi:[0,0,1]
	s_delay_alu instid0(VALU_DEP_2)
	v_mov_b32_e32 v73, v81
	scratch_store_b64 off, v[72:73], off offset:200
.LBB33_580:
	s_wait_xcnt 0x0
	s_or_b32 exec_lo, exec_lo, s0
	scratch_load_b64 v[72:73], off, off offset:208
	s_mov_b32 s0, exec_lo
	s_wait_loadcnt 0x0
	ds_store_b64 v1, v[72:73]
	s_wait_storecnt_dscnt 0x0
	s_barrier_signal -1
	s_barrier_wait -1
	s_wait_xcnt 0x0
	v_cmpx_gt_u32_e32 26, v0
	s_cbranch_execz .LBB33_590
; %bb.581:
	v_cmp_ne_u32_e32 vcc_lo, 1, v74
	s_cbranch_vccnz .LBB33_583
; %bb.582:
	scratch_load_b64 v[72:73], v37, off
	ds_load_b64 v[76:77], v1
	s_wait_loadcnt_dscnt 0x0
	v_pk_mul_f32 v[78:79], v[76:77], v[72:73] op_sel:[1,1] op_sel_hi:[0,1]
	s_delay_alu instid0(VALU_DEP_1) | instskip(SKIP_1) | instid1(VALU_DEP_2)
	v_pk_fma_f32 v[80:81], v[76:77], v[72:73], v[78:79] op_sel_hi:[1,0,1]
	v_pk_fma_f32 v[72:73], v[76:77], v[72:73], v[78:79] neg_lo:[0,0,1] neg_hi:[0,0,1]
	v_mov_b32_e32 v73, v81
	s_cbranch_execz .LBB33_584
	s_branch .LBB33_585
.LBB33_583:
                                        ; implicit-def: $vgpr72_vgpr73
.LBB33_584:
	ds_load_b64 v[72:73], v1
.LBB33_585:
	s_mov_b32 s2, exec_lo
	v_cmpx_ne_u32_e32 25, v0
	s_cbranch_execz .LBB33_589
; %bb.586:
	v_add_nc_u32_e32 v75, 0x118, v36
	v_add3_u32 v76, 0, v36, 8
	v_mov_b32_e32 v77, v0
	s_mov_b32 s3, 0
.LBB33_587:                             ; =>This Inner Loop Header: Depth=1
	scratch_load_b64 v[78:79], v76, off
	ds_load_b64 v[80:81], v75
	s_wait_xcnt 0x0
	v_dual_add_nc_u32 v75, 8, v75 :: v_dual_add_nc_u32 v76, 8, v76
	s_wait_loadcnt_dscnt 0x0
	v_pk_mul_f32 v[82:83], v[80:81], v[78:79] op_sel:[1,1] op_sel_hi:[0,1]
	s_delay_alu instid0(VALU_DEP_1) | instskip(SKIP_2) | instid1(VALU_DEP_3)
	v_pk_fma_f32 v[84:85], v[80:81], v[78:79], v[82:83] op_sel_hi:[1,0,1]
	v_add_nc_u32_e32 v77, 1, v77
	v_pk_fma_f32 v[78:79], v[80:81], v[78:79], v[82:83] neg_lo:[0,0,1] neg_hi:[0,0,1]
	v_mov_b32_e32 v79, v85
	s_delay_alu instid0(VALU_DEP_3) | instskip(NEXT) | instid1(VALU_DEP_2)
	v_cmp_lt_u32_e32 vcc_lo, 24, v77
	v_pk_add_f32 v[72:73], v[72:73], v[78:79]
	s_or_b32 s3, vcc_lo, s3
	s_delay_alu instid0(SALU_CYCLE_1)
	s_and_not1_b32 exec_lo, exec_lo, s3
	s_cbranch_execnz .LBB33_587
; %bb.588:
	s_or_b32 exec_lo, exec_lo, s3
.LBB33_589:
	s_delay_alu instid0(SALU_CYCLE_1) | instskip(SKIP_4) | instid1(VALU_DEP_1)
	s_or_b32 exec_lo, exec_lo, s2
	v_mov_b32_e32 v75, 0
	ds_load_b64 v[76:77], v75 offset:208
	s_wait_dscnt 0x0
	v_pk_mul_f32 v[78:79], v[72:73], v[76:77] op_sel:[1,1] op_sel_hi:[0,1]
	v_pk_fma_f32 v[80:81], v[72:73], v[76:77], v[78:79] op_sel_hi:[1,0,1]
	v_pk_fma_f32 v[72:73], v[72:73], v[76:77], v[78:79] neg_lo:[0,0,1] neg_hi:[0,0,1]
	s_delay_alu instid0(VALU_DEP_2)
	v_mov_b32_e32 v73, v81
	scratch_store_b64 off, v[72:73], off offset:208
.LBB33_590:
	s_wait_xcnt 0x0
	s_or_b32 exec_lo, exec_lo, s0
	scratch_load_b64 v[72:73], off, off offset:216
	s_mov_b32 s0, exec_lo
	s_wait_loadcnt 0x0
	ds_store_b64 v1, v[72:73]
	s_wait_storecnt_dscnt 0x0
	s_barrier_signal -1
	s_barrier_wait -1
	s_wait_xcnt 0x0
	v_cmpx_gt_u32_e32 27, v0
	s_cbranch_execz .LBB33_600
; %bb.591:
	v_cmp_ne_u32_e32 vcc_lo, 1, v74
	s_cbranch_vccnz .LBB33_593
; %bb.592:
	scratch_load_b64 v[72:73], v37, off
	ds_load_b64 v[76:77], v1
	s_wait_loadcnt_dscnt 0x0
	v_pk_mul_f32 v[78:79], v[76:77], v[72:73] op_sel:[1,1] op_sel_hi:[0,1]
	s_delay_alu instid0(VALU_DEP_1) | instskip(SKIP_1) | instid1(VALU_DEP_2)
	v_pk_fma_f32 v[80:81], v[76:77], v[72:73], v[78:79] op_sel_hi:[1,0,1]
	v_pk_fma_f32 v[72:73], v[76:77], v[72:73], v[78:79] neg_lo:[0,0,1] neg_hi:[0,0,1]
	v_mov_b32_e32 v73, v81
	s_cbranch_execz .LBB33_594
	s_branch .LBB33_595
.LBB33_593:
                                        ; implicit-def: $vgpr72_vgpr73
.LBB33_594:
	ds_load_b64 v[72:73], v1
.LBB33_595:
	s_mov_b32 s2, exec_lo
	v_cmpx_ne_u32_e32 26, v0
	s_cbranch_execz .LBB33_599
; %bb.596:
	v_add_nc_u32_e32 v75, 0x118, v36
	v_add3_u32 v76, 0, v36, 8
	v_mov_b32_e32 v77, v0
	s_mov_b32 s3, 0
.LBB33_597:                             ; =>This Inner Loop Header: Depth=1
	scratch_load_b64 v[78:79], v76, off
	ds_load_b64 v[80:81], v75
	s_wait_xcnt 0x0
	v_dual_add_nc_u32 v75, 8, v75 :: v_dual_add_nc_u32 v76, 8, v76
	s_wait_loadcnt_dscnt 0x0
	v_pk_mul_f32 v[82:83], v[80:81], v[78:79] op_sel:[1,1] op_sel_hi:[0,1]
	s_delay_alu instid0(VALU_DEP_1) | instskip(SKIP_2) | instid1(VALU_DEP_3)
	v_pk_fma_f32 v[84:85], v[80:81], v[78:79], v[82:83] op_sel_hi:[1,0,1]
	v_add_nc_u32_e32 v77, 1, v77
	v_pk_fma_f32 v[78:79], v[80:81], v[78:79], v[82:83] neg_lo:[0,0,1] neg_hi:[0,0,1]
	v_mov_b32_e32 v79, v85
	s_delay_alu instid0(VALU_DEP_3) | instskip(NEXT) | instid1(VALU_DEP_2)
	v_cmp_lt_u32_e32 vcc_lo, 25, v77
	v_pk_add_f32 v[72:73], v[72:73], v[78:79]
	s_or_b32 s3, vcc_lo, s3
	s_delay_alu instid0(SALU_CYCLE_1)
	s_and_not1_b32 exec_lo, exec_lo, s3
	s_cbranch_execnz .LBB33_597
; %bb.598:
	s_or_b32 exec_lo, exec_lo, s3
.LBB33_599:
	s_delay_alu instid0(SALU_CYCLE_1) | instskip(SKIP_4) | instid1(VALU_DEP_1)
	s_or_b32 exec_lo, exec_lo, s2
	v_mov_b32_e32 v75, 0
	ds_load_b64 v[76:77], v75 offset:216
	s_wait_dscnt 0x0
	v_pk_mul_f32 v[78:79], v[72:73], v[76:77] op_sel:[1,1] op_sel_hi:[0,1]
	v_pk_fma_f32 v[80:81], v[72:73], v[76:77], v[78:79] op_sel_hi:[1,0,1]
	v_pk_fma_f32 v[72:73], v[72:73], v[76:77], v[78:79] neg_lo:[0,0,1] neg_hi:[0,0,1]
	s_delay_alu instid0(VALU_DEP_2)
	v_mov_b32_e32 v73, v81
	scratch_store_b64 off, v[72:73], off offset:216
.LBB33_600:
	s_wait_xcnt 0x0
	s_or_b32 exec_lo, exec_lo, s0
	scratch_load_b64 v[72:73], off, off offset:224
	s_mov_b32 s0, exec_lo
	s_wait_loadcnt 0x0
	ds_store_b64 v1, v[72:73]
	s_wait_storecnt_dscnt 0x0
	s_barrier_signal -1
	s_barrier_wait -1
	s_wait_xcnt 0x0
	v_cmpx_gt_u32_e32 28, v0
	s_cbranch_execz .LBB33_610
; %bb.601:
	v_cmp_ne_u32_e32 vcc_lo, 1, v74
	s_cbranch_vccnz .LBB33_603
; %bb.602:
	scratch_load_b64 v[72:73], v37, off
	ds_load_b64 v[76:77], v1
	s_wait_loadcnt_dscnt 0x0
	v_pk_mul_f32 v[78:79], v[76:77], v[72:73] op_sel:[1,1] op_sel_hi:[0,1]
	s_delay_alu instid0(VALU_DEP_1) | instskip(SKIP_1) | instid1(VALU_DEP_2)
	v_pk_fma_f32 v[80:81], v[76:77], v[72:73], v[78:79] op_sel_hi:[1,0,1]
	v_pk_fma_f32 v[72:73], v[76:77], v[72:73], v[78:79] neg_lo:[0,0,1] neg_hi:[0,0,1]
	v_mov_b32_e32 v73, v81
	s_cbranch_execz .LBB33_604
	s_branch .LBB33_605
.LBB33_603:
                                        ; implicit-def: $vgpr72_vgpr73
.LBB33_604:
	ds_load_b64 v[72:73], v1
.LBB33_605:
	s_mov_b32 s2, exec_lo
	v_cmpx_ne_u32_e32 27, v0
	s_cbranch_execz .LBB33_609
; %bb.606:
	v_add_nc_u32_e32 v75, 0x118, v36
	v_add3_u32 v76, 0, v36, 8
	v_mov_b32_e32 v77, v0
	s_mov_b32 s3, 0
.LBB33_607:                             ; =>This Inner Loop Header: Depth=1
	scratch_load_b64 v[78:79], v76, off
	ds_load_b64 v[80:81], v75
	s_wait_xcnt 0x0
	v_dual_add_nc_u32 v75, 8, v75 :: v_dual_add_nc_u32 v76, 8, v76
	s_wait_loadcnt_dscnt 0x0
	v_pk_mul_f32 v[82:83], v[80:81], v[78:79] op_sel:[1,1] op_sel_hi:[0,1]
	s_delay_alu instid0(VALU_DEP_1) | instskip(SKIP_2) | instid1(VALU_DEP_3)
	v_pk_fma_f32 v[84:85], v[80:81], v[78:79], v[82:83] op_sel_hi:[1,0,1]
	v_add_nc_u32_e32 v77, 1, v77
	v_pk_fma_f32 v[78:79], v[80:81], v[78:79], v[82:83] neg_lo:[0,0,1] neg_hi:[0,0,1]
	v_mov_b32_e32 v79, v85
	s_delay_alu instid0(VALU_DEP_3) | instskip(NEXT) | instid1(VALU_DEP_2)
	v_cmp_lt_u32_e32 vcc_lo, 26, v77
	v_pk_add_f32 v[72:73], v[72:73], v[78:79]
	s_or_b32 s3, vcc_lo, s3
	s_delay_alu instid0(SALU_CYCLE_1)
	s_and_not1_b32 exec_lo, exec_lo, s3
	s_cbranch_execnz .LBB33_607
; %bb.608:
	s_or_b32 exec_lo, exec_lo, s3
.LBB33_609:
	s_delay_alu instid0(SALU_CYCLE_1) | instskip(SKIP_4) | instid1(VALU_DEP_1)
	s_or_b32 exec_lo, exec_lo, s2
	v_mov_b32_e32 v75, 0
	ds_load_b64 v[76:77], v75 offset:224
	s_wait_dscnt 0x0
	v_pk_mul_f32 v[78:79], v[72:73], v[76:77] op_sel:[1,1] op_sel_hi:[0,1]
	v_pk_fma_f32 v[80:81], v[72:73], v[76:77], v[78:79] op_sel_hi:[1,0,1]
	v_pk_fma_f32 v[72:73], v[72:73], v[76:77], v[78:79] neg_lo:[0,0,1] neg_hi:[0,0,1]
	s_delay_alu instid0(VALU_DEP_2)
	v_mov_b32_e32 v73, v81
	scratch_store_b64 off, v[72:73], off offset:224
.LBB33_610:
	s_wait_xcnt 0x0
	s_or_b32 exec_lo, exec_lo, s0
	scratch_load_b64 v[72:73], off, off offset:232
	s_mov_b32 s0, exec_lo
	s_wait_loadcnt 0x0
	ds_store_b64 v1, v[72:73]
	s_wait_storecnt_dscnt 0x0
	s_barrier_signal -1
	s_barrier_wait -1
	s_wait_xcnt 0x0
	v_cmpx_gt_u32_e32 29, v0
	s_cbranch_execz .LBB33_620
; %bb.611:
	v_cmp_ne_u32_e32 vcc_lo, 1, v74
	s_cbranch_vccnz .LBB33_613
; %bb.612:
	scratch_load_b64 v[72:73], v37, off
	ds_load_b64 v[76:77], v1
	s_wait_loadcnt_dscnt 0x0
	v_pk_mul_f32 v[78:79], v[76:77], v[72:73] op_sel:[1,1] op_sel_hi:[0,1]
	s_delay_alu instid0(VALU_DEP_1) | instskip(SKIP_1) | instid1(VALU_DEP_2)
	v_pk_fma_f32 v[80:81], v[76:77], v[72:73], v[78:79] op_sel_hi:[1,0,1]
	v_pk_fma_f32 v[72:73], v[76:77], v[72:73], v[78:79] neg_lo:[0,0,1] neg_hi:[0,0,1]
	v_mov_b32_e32 v73, v81
	s_cbranch_execz .LBB33_614
	s_branch .LBB33_615
.LBB33_613:
                                        ; implicit-def: $vgpr72_vgpr73
.LBB33_614:
	ds_load_b64 v[72:73], v1
.LBB33_615:
	s_mov_b32 s2, exec_lo
	v_cmpx_ne_u32_e32 28, v0
	s_cbranch_execz .LBB33_619
; %bb.616:
	v_add_nc_u32_e32 v75, 0x118, v36
	v_add3_u32 v76, 0, v36, 8
	v_mov_b32_e32 v77, v0
	s_mov_b32 s3, 0
.LBB33_617:                             ; =>This Inner Loop Header: Depth=1
	scratch_load_b64 v[78:79], v76, off
	ds_load_b64 v[80:81], v75
	s_wait_xcnt 0x0
	v_dual_add_nc_u32 v75, 8, v75 :: v_dual_add_nc_u32 v76, 8, v76
	s_wait_loadcnt_dscnt 0x0
	v_pk_mul_f32 v[82:83], v[80:81], v[78:79] op_sel:[1,1] op_sel_hi:[0,1]
	s_delay_alu instid0(VALU_DEP_1) | instskip(SKIP_2) | instid1(VALU_DEP_3)
	v_pk_fma_f32 v[84:85], v[80:81], v[78:79], v[82:83] op_sel_hi:[1,0,1]
	v_add_nc_u32_e32 v77, 1, v77
	v_pk_fma_f32 v[78:79], v[80:81], v[78:79], v[82:83] neg_lo:[0,0,1] neg_hi:[0,0,1]
	v_mov_b32_e32 v79, v85
	s_delay_alu instid0(VALU_DEP_3) | instskip(NEXT) | instid1(VALU_DEP_2)
	v_cmp_lt_u32_e32 vcc_lo, 27, v77
	v_pk_add_f32 v[72:73], v[72:73], v[78:79]
	s_or_b32 s3, vcc_lo, s3
	s_delay_alu instid0(SALU_CYCLE_1)
	s_and_not1_b32 exec_lo, exec_lo, s3
	s_cbranch_execnz .LBB33_617
; %bb.618:
	s_or_b32 exec_lo, exec_lo, s3
.LBB33_619:
	s_delay_alu instid0(SALU_CYCLE_1) | instskip(SKIP_4) | instid1(VALU_DEP_1)
	s_or_b32 exec_lo, exec_lo, s2
	v_mov_b32_e32 v75, 0
	ds_load_b64 v[76:77], v75 offset:232
	s_wait_dscnt 0x0
	v_pk_mul_f32 v[78:79], v[72:73], v[76:77] op_sel:[1,1] op_sel_hi:[0,1]
	v_pk_fma_f32 v[80:81], v[72:73], v[76:77], v[78:79] op_sel_hi:[1,0,1]
	v_pk_fma_f32 v[72:73], v[72:73], v[76:77], v[78:79] neg_lo:[0,0,1] neg_hi:[0,0,1]
	s_delay_alu instid0(VALU_DEP_2)
	v_mov_b32_e32 v73, v81
	scratch_store_b64 off, v[72:73], off offset:232
.LBB33_620:
	s_wait_xcnt 0x0
	s_or_b32 exec_lo, exec_lo, s0
	scratch_load_b64 v[72:73], off, off offset:240
	s_mov_b32 s0, exec_lo
	s_wait_loadcnt 0x0
	ds_store_b64 v1, v[72:73]
	s_wait_storecnt_dscnt 0x0
	s_barrier_signal -1
	s_barrier_wait -1
	s_wait_xcnt 0x0
	v_cmpx_gt_u32_e32 30, v0
	s_cbranch_execz .LBB33_630
; %bb.621:
	v_cmp_ne_u32_e32 vcc_lo, 1, v74
	s_cbranch_vccnz .LBB33_623
; %bb.622:
	scratch_load_b64 v[72:73], v37, off
	ds_load_b64 v[76:77], v1
	s_wait_loadcnt_dscnt 0x0
	v_pk_mul_f32 v[78:79], v[76:77], v[72:73] op_sel:[1,1] op_sel_hi:[0,1]
	s_delay_alu instid0(VALU_DEP_1) | instskip(SKIP_1) | instid1(VALU_DEP_2)
	v_pk_fma_f32 v[80:81], v[76:77], v[72:73], v[78:79] op_sel_hi:[1,0,1]
	v_pk_fma_f32 v[72:73], v[76:77], v[72:73], v[78:79] neg_lo:[0,0,1] neg_hi:[0,0,1]
	v_mov_b32_e32 v73, v81
	s_cbranch_execz .LBB33_624
	s_branch .LBB33_625
.LBB33_623:
                                        ; implicit-def: $vgpr72_vgpr73
.LBB33_624:
	ds_load_b64 v[72:73], v1
.LBB33_625:
	s_mov_b32 s2, exec_lo
	v_cmpx_ne_u32_e32 29, v0
	s_cbranch_execz .LBB33_629
; %bb.626:
	v_add_nc_u32_e32 v75, 0x118, v36
	v_add3_u32 v76, 0, v36, 8
	v_mov_b32_e32 v77, v0
	s_mov_b32 s3, 0
.LBB33_627:                             ; =>This Inner Loop Header: Depth=1
	scratch_load_b64 v[78:79], v76, off
	ds_load_b64 v[80:81], v75
	s_wait_xcnt 0x0
	v_dual_add_nc_u32 v75, 8, v75 :: v_dual_add_nc_u32 v76, 8, v76
	s_wait_loadcnt_dscnt 0x0
	v_pk_mul_f32 v[82:83], v[80:81], v[78:79] op_sel:[1,1] op_sel_hi:[0,1]
	s_delay_alu instid0(VALU_DEP_1) | instskip(SKIP_2) | instid1(VALU_DEP_3)
	v_pk_fma_f32 v[84:85], v[80:81], v[78:79], v[82:83] op_sel_hi:[1,0,1]
	v_add_nc_u32_e32 v77, 1, v77
	v_pk_fma_f32 v[78:79], v[80:81], v[78:79], v[82:83] neg_lo:[0,0,1] neg_hi:[0,0,1]
	v_mov_b32_e32 v79, v85
	s_delay_alu instid0(VALU_DEP_3) | instskip(NEXT) | instid1(VALU_DEP_2)
	v_cmp_lt_u32_e32 vcc_lo, 28, v77
	v_pk_add_f32 v[72:73], v[72:73], v[78:79]
	s_or_b32 s3, vcc_lo, s3
	s_delay_alu instid0(SALU_CYCLE_1)
	s_and_not1_b32 exec_lo, exec_lo, s3
	s_cbranch_execnz .LBB33_627
; %bb.628:
	s_or_b32 exec_lo, exec_lo, s3
.LBB33_629:
	s_delay_alu instid0(SALU_CYCLE_1) | instskip(SKIP_4) | instid1(VALU_DEP_1)
	s_or_b32 exec_lo, exec_lo, s2
	v_mov_b32_e32 v75, 0
	ds_load_b64 v[76:77], v75 offset:240
	s_wait_dscnt 0x0
	v_pk_mul_f32 v[78:79], v[72:73], v[76:77] op_sel:[1,1] op_sel_hi:[0,1]
	v_pk_fma_f32 v[80:81], v[72:73], v[76:77], v[78:79] op_sel_hi:[1,0,1]
	v_pk_fma_f32 v[72:73], v[72:73], v[76:77], v[78:79] neg_lo:[0,0,1] neg_hi:[0,0,1]
	s_delay_alu instid0(VALU_DEP_2)
	v_mov_b32_e32 v73, v81
	scratch_store_b64 off, v[72:73], off offset:240
.LBB33_630:
	s_wait_xcnt 0x0
	s_or_b32 exec_lo, exec_lo, s0
	scratch_load_b64 v[72:73], off, off offset:248
	s_mov_b32 s0, exec_lo
	s_wait_loadcnt 0x0
	ds_store_b64 v1, v[72:73]
	s_wait_storecnt_dscnt 0x0
	s_barrier_signal -1
	s_barrier_wait -1
	s_wait_xcnt 0x0
	v_cmpx_gt_u32_e32 31, v0
	s_cbranch_execz .LBB33_640
; %bb.631:
	v_cmp_ne_u32_e32 vcc_lo, 1, v74
	s_cbranch_vccnz .LBB33_633
; %bb.632:
	scratch_load_b64 v[72:73], v37, off
	ds_load_b64 v[76:77], v1
	s_wait_loadcnt_dscnt 0x0
	v_pk_mul_f32 v[78:79], v[76:77], v[72:73] op_sel:[1,1] op_sel_hi:[0,1]
	s_delay_alu instid0(VALU_DEP_1) | instskip(SKIP_1) | instid1(VALU_DEP_2)
	v_pk_fma_f32 v[80:81], v[76:77], v[72:73], v[78:79] op_sel_hi:[1,0,1]
	v_pk_fma_f32 v[72:73], v[76:77], v[72:73], v[78:79] neg_lo:[0,0,1] neg_hi:[0,0,1]
	v_mov_b32_e32 v73, v81
	s_cbranch_execz .LBB33_634
	s_branch .LBB33_635
.LBB33_633:
                                        ; implicit-def: $vgpr72_vgpr73
.LBB33_634:
	ds_load_b64 v[72:73], v1
.LBB33_635:
	s_mov_b32 s2, exec_lo
	v_cmpx_ne_u32_e32 30, v0
	s_cbranch_execz .LBB33_639
; %bb.636:
	v_add_nc_u32_e32 v75, 0x118, v36
	v_add3_u32 v76, 0, v36, 8
	v_mov_b32_e32 v77, v0
	s_mov_b32 s3, 0
.LBB33_637:                             ; =>This Inner Loop Header: Depth=1
	scratch_load_b64 v[78:79], v76, off
	ds_load_b64 v[80:81], v75
	s_wait_xcnt 0x0
	v_dual_add_nc_u32 v75, 8, v75 :: v_dual_add_nc_u32 v76, 8, v76
	s_wait_loadcnt_dscnt 0x0
	v_pk_mul_f32 v[82:83], v[80:81], v[78:79] op_sel:[1,1] op_sel_hi:[0,1]
	s_delay_alu instid0(VALU_DEP_1) | instskip(SKIP_2) | instid1(VALU_DEP_3)
	v_pk_fma_f32 v[84:85], v[80:81], v[78:79], v[82:83] op_sel_hi:[1,0,1]
	v_add_nc_u32_e32 v77, 1, v77
	v_pk_fma_f32 v[78:79], v[80:81], v[78:79], v[82:83] neg_lo:[0,0,1] neg_hi:[0,0,1]
	v_mov_b32_e32 v79, v85
	s_delay_alu instid0(VALU_DEP_3) | instskip(NEXT) | instid1(VALU_DEP_2)
	v_cmp_lt_u32_e32 vcc_lo, 29, v77
	v_pk_add_f32 v[72:73], v[72:73], v[78:79]
	s_or_b32 s3, vcc_lo, s3
	s_delay_alu instid0(SALU_CYCLE_1)
	s_and_not1_b32 exec_lo, exec_lo, s3
	s_cbranch_execnz .LBB33_637
; %bb.638:
	s_or_b32 exec_lo, exec_lo, s3
.LBB33_639:
	s_delay_alu instid0(SALU_CYCLE_1) | instskip(SKIP_4) | instid1(VALU_DEP_1)
	s_or_b32 exec_lo, exec_lo, s2
	v_mov_b32_e32 v75, 0
	ds_load_b64 v[76:77], v75 offset:248
	s_wait_dscnt 0x0
	v_pk_mul_f32 v[78:79], v[72:73], v[76:77] op_sel:[1,1] op_sel_hi:[0,1]
	v_pk_fma_f32 v[80:81], v[72:73], v[76:77], v[78:79] op_sel_hi:[1,0,1]
	v_pk_fma_f32 v[72:73], v[72:73], v[76:77], v[78:79] neg_lo:[0,0,1] neg_hi:[0,0,1]
	s_delay_alu instid0(VALU_DEP_2)
	v_mov_b32_e32 v73, v81
	scratch_store_b64 off, v[72:73], off offset:248
.LBB33_640:
	s_wait_xcnt 0x0
	s_or_b32 exec_lo, exec_lo, s0
	scratch_load_b64 v[72:73], off, off offset:256
	v_cmp_gt_u32_e64 s0, 32, v0
	s_wait_loadcnt 0x0
	ds_store_b64 v1, v[72:73]
	s_wait_storecnt_dscnt 0x0
	s_barrier_signal -1
	s_barrier_wait -1
	s_wait_xcnt 0x0
	s_and_saveexec_b32 s2, s0
	s_cbranch_execz .LBB33_650
; %bb.641:
	v_cmp_ne_u32_e32 vcc_lo, 1, v74
	s_cbranch_vccnz .LBB33_643
; %bb.642:
	scratch_load_b64 v[72:73], v37, off
	ds_load_b64 v[76:77], v1
	s_wait_loadcnt_dscnt 0x0
	v_pk_mul_f32 v[78:79], v[76:77], v[72:73] op_sel:[1,1] op_sel_hi:[0,1]
	s_delay_alu instid0(VALU_DEP_1) | instskip(SKIP_1) | instid1(VALU_DEP_2)
	v_pk_fma_f32 v[80:81], v[76:77], v[72:73], v[78:79] op_sel_hi:[1,0,1]
	v_pk_fma_f32 v[72:73], v[76:77], v[72:73], v[78:79] neg_lo:[0,0,1] neg_hi:[0,0,1]
	v_mov_b32_e32 v73, v81
	s_cbranch_execz .LBB33_644
	s_branch .LBB33_645
.LBB33_643:
                                        ; implicit-def: $vgpr72_vgpr73
.LBB33_644:
	ds_load_b64 v[72:73], v1
.LBB33_645:
	s_mov_b32 s3, exec_lo
	v_cmpx_ne_u32_e32 31, v0
	s_cbranch_execz .LBB33_649
; %bb.646:
	v_add_nc_u32_e32 v75, 0x118, v36
	v_add3_u32 v76, 0, v36, 8
	v_mov_b32_e32 v77, v0
	s_mov_b32 s4, 0
.LBB33_647:                             ; =>This Inner Loop Header: Depth=1
	scratch_load_b64 v[78:79], v76, off
	ds_load_b64 v[80:81], v75
	s_wait_xcnt 0x0
	v_dual_add_nc_u32 v75, 8, v75 :: v_dual_add_nc_u32 v76, 8, v76
	s_wait_loadcnt_dscnt 0x0
	v_pk_mul_f32 v[82:83], v[80:81], v[78:79] op_sel:[1,1] op_sel_hi:[0,1]
	s_delay_alu instid0(VALU_DEP_1) | instskip(SKIP_2) | instid1(VALU_DEP_3)
	v_pk_fma_f32 v[84:85], v[80:81], v[78:79], v[82:83] op_sel_hi:[1,0,1]
	v_add_nc_u32_e32 v77, 1, v77
	v_pk_fma_f32 v[78:79], v[80:81], v[78:79], v[82:83] neg_lo:[0,0,1] neg_hi:[0,0,1]
	v_mov_b32_e32 v79, v85
	s_delay_alu instid0(VALU_DEP_3) | instskip(NEXT) | instid1(VALU_DEP_2)
	v_cmp_lt_u32_e32 vcc_lo, 30, v77
	v_pk_add_f32 v[72:73], v[72:73], v[78:79]
	s_or_b32 s4, vcc_lo, s4
	s_delay_alu instid0(SALU_CYCLE_1)
	s_and_not1_b32 exec_lo, exec_lo, s4
	s_cbranch_execnz .LBB33_647
; %bb.648:
	s_or_b32 exec_lo, exec_lo, s4
.LBB33_649:
	s_delay_alu instid0(SALU_CYCLE_1) | instskip(SKIP_4) | instid1(VALU_DEP_1)
	s_or_b32 exec_lo, exec_lo, s3
	v_mov_b32_e32 v75, 0
	ds_load_b64 v[76:77], v75 offset:256
	s_wait_dscnt 0x0
	v_pk_mul_f32 v[78:79], v[72:73], v[76:77] op_sel:[1,1] op_sel_hi:[0,1]
	v_pk_fma_f32 v[80:81], v[72:73], v[76:77], v[78:79] op_sel_hi:[1,0,1]
	v_pk_fma_f32 v[72:73], v[72:73], v[76:77], v[78:79] neg_lo:[0,0,1] neg_hi:[0,0,1]
	s_delay_alu instid0(VALU_DEP_2)
	v_mov_b32_e32 v73, v81
	scratch_store_b64 off, v[72:73], off offset:256
.LBB33_650:
	s_wait_xcnt 0x0
	s_or_b32 exec_lo, exec_lo, s2
	scratch_load_b64 v[72:73], off, off offset:264
	s_mov_b32 s2, exec_lo
                                        ; implicit-def: $vgpr92
                                        ; implicit-def: $sgpr4
	s_wait_loadcnt 0x0
	ds_store_b64 v1, v[72:73]
	s_wait_storecnt_dscnt 0x0
	s_barrier_signal -1
	s_barrier_wait -1
	s_wait_xcnt 0x0
	v_cmpx_ne_u32_e32 33, v0
	s_cbranch_execz .LBB33_660
; %bb.651:
	v_cmp_ne_u32_e32 vcc_lo, 1, v74
	s_cbranch_vccnz .LBB33_653
; %bb.652:
	scratch_load_b64 v[74:75], v37, off
	ds_load_b64 v[76:77], v1
	s_wait_loadcnt_dscnt 0x0
	v_dual_mul_f32 v37, v77, v75 :: v_dual_mul_f32 v73, v76, v75
	s_delay_alu instid0(VALU_DEP_1) | instskip(NEXT) | instid1(VALU_DEP_2)
	v_fma_f32 v72, v76, v74, -v37
	v_fmac_f32_e32 v73, v77, v74
	s_cbranch_execz .LBB33_654
	s_branch .LBB33_655
.LBB33_653:
                                        ; implicit-def: $vgpr73
.LBB33_654:
	ds_load_b64 v[72:73], v1
.LBB33_655:
	s_and_saveexec_b32 s3, s0
	s_cbranch_execz .LBB33_659
; %bb.656:
	v_add_nc_u32_e32 v1, 0x118, v36
	v_add3_u32 v36, 0, v36, 8
	s_mov_b32 s0, 0
.LBB33_657:                             ; =>This Inner Loop Header: Depth=1
	scratch_load_b64 v[74:75], v36, off
	ds_load_b64 v[76:77], v1
	s_wait_loadcnt_dscnt 0x0
	v_dual_add_nc_u32 v1, 8, v1 :: v_dual_mul_f32 v37, v77, v75
	v_dual_mul_f32 v75, v76, v75 :: v_dual_add_nc_u32 v0, 1, v0
	s_delay_alu instid0(VALU_DEP_1) | instskip(NEXT) | instid1(VALU_DEP_2)
	v_dual_fma_f32 v37, v76, v74, -v37 :: v_dual_fmac_f32 v75, v77, v74
	v_cmp_lt_u32_e32 vcc_lo, 31, v0
	s_delay_alu instid0(VALU_DEP_2) | instskip(NEXT) | instid1(VALU_DEP_3)
	v_dual_add_nc_u32 v36, 8, v36 :: v_dual_add_f32 v72, v72, v37
	v_add_f32_e32 v73, v73, v75
	s_or_b32 s0, vcc_lo, s0
	s_delay_alu instid0(SALU_CYCLE_1)
	s_and_not1_b32 exec_lo, exec_lo, s0
	s_cbranch_execnz .LBB33_657
; %bb.658:
	s_or_b32 exec_lo, exec_lo, s0
.LBB33_659:
	s_delay_alu instid0(SALU_CYCLE_1)
	s_or_b32 exec_lo, exec_lo, s3
	v_mov_b32_e32 v0, 0
	s_movk_i32 s4, 0x10c
	s_or_b32 s1, s1, exec_lo
	ds_load_b64 v[0:1], v0 offset:264
	s_wait_dscnt 0x0
	v_dual_mul_f32 v36, v73, v1 :: v_dual_mul_f32 v92, v72, v1
	s_delay_alu instid0(VALU_DEP_1) | instskip(NEXT) | instid1(VALU_DEP_2)
	v_fma_f32 v1, v72, v0, -v36
	v_fmac_f32_e32 v92, v73, v0
	scratch_store_b32 off, v1, off offset:264
.LBB33_660:
	s_wait_xcnt 0x0
	s_or_b32 exec_lo, exec_lo, s2
.LBB33_661:
	v_lshl_add_u64 v[88:89], v[6:7], 3, s[6:7]
	v_lshl_add_u64 v[90:91], v[8:9], 3, s[6:7]
	;; [unrolled: 1-line block ×32, first 2 shown]
	s_and_saveexec_b32 s0, s1
	s_cbranch_execz .LBB33_663
; %bb.662:
	scratch_store_b32 off, v92, s4
.LBB33_663:
	s_wait_xcnt 0x0
	s_or_b32 exec_lo, exec_lo, s0
	s_clause 0x5
	scratch_load_b128 v[48:51], off, off
	scratch_load_b128 v[52:55], off, off offset:16
	scratch_load_b128 v[56:59], off, off offset:32
	;; [unrolled: 1-line block ×5, first 2 shown]
	s_wait_loadcnt 0x5
	s_clause 0x1
	global_store_b64 v[2:3], v[48:49], off
	global_store_b64 v[4:5], v[50:51], off
	s_clause 0x1
	scratch_load_b128 v[2:5], off, off offset:96
	scratch_load_b128 v[48:51], off, off offset:112
	s_wait_loadcnt 0x6
	s_clause 0x1
	global_store_b64 v[88:89], v[52:53], off
	global_store_b64 v[90:91], v[54:55], off
	s_clause 0x1
	scratch_load_b128 v[52:55], off, off offset:128
	scratch_load_b128 v[88:91], off, off offset:144
	s_wait_loadcnt 0x7
	s_clause 0x1
	global_store_b64 v[84:85], v[56:57], off
	global_store_b64 v[86:87], v[58:59], off
	s_clause 0x1
	scratch_load_b128 v[56:59], off, off offset:160
	scratch_load_b128 v[84:87], off, off offset:176
	s_wait_loadcnt 0x8
	s_clause 0x1
	global_store_b64 v[80:81], v[60:61], off
	global_store_b64 v[82:83], v[62:63], off
	s_clause 0x1
	scratch_load_b128 v[60:63], off, off offset:192
	scratch_load_b128 v[80:83], off, off offset:208
	s_wait_loadcnt 0x9
	s_clause 0x1
	global_store_b64 v[76:77], v[64:65], off
	global_store_b64 v[78:79], v[66:67], off
	s_clause 0x1
	scratch_load_b128 v[64:67], off, off offset:224
	scratch_load_b128 v[76:79], off, off offset:240
	s_wait_loadcnt 0xa
	s_clause 0x1
	global_store_b64 v[72:73], v[68:69], off
	global_store_b64 v[74:75], v[70:71], off
	scratch_load_b128 v[68:71], off, off offset:256
	s_wait_loadcnt 0xa
	s_clause 0x1
	global_store_b64 v[8:9], v[2:3], off
	global_store_b64 v[10:11], v[4:5], off
	s_wait_loadcnt 0x9
	s_clause 0x1
	global_store_b64 v[12:13], v[48:49], off
	global_store_b64 v[14:15], v[50:51], off
	;; [unrolled: 4-line block ×11, first 2 shown]
.LBB33_664:
	s_sendmsg sendmsg(MSG_DEALLOC_VGPRS)
	s_endpgm
	.section	.rodata,"a",@progbits
	.p2align	6, 0x0
	.amdhsa_kernel _ZN9rocsolver6v33100L18trti2_kernel_smallILi34E19rocblas_complex_numIfEPS3_EEv13rocblas_fill_17rocblas_diagonal_T1_iil
		.amdhsa_group_segment_fixed_size 544
		.amdhsa_private_segment_fixed_size 288
		.amdhsa_kernarg_size 32
		.amdhsa_user_sgpr_count 2
		.amdhsa_user_sgpr_dispatch_ptr 0
		.amdhsa_user_sgpr_queue_ptr 0
		.amdhsa_user_sgpr_kernarg_segment_ptr 1
		.amdhsa_user_sgpr_dispatch_id 0
		.amdhsa_user_sgpr_kernarg_preload_length 0
		.amdhsa_user_sgpr_kernarg_preload_offset 0
		.amdhsa_user_sgpr_private_segment_size 0
		.amdhsa_wavefront_size32 1
		.amdhsa_uses_dynamic_stack 0
		.amdhsa_enable_private_segment 1
		.amdhsa_system_sgpr_workgroup_id_x 1
		.amdhsa_system_sgpr_workgroup_id_y 0
		.amdhsa_system_sgpr_workgroup_id_z 0
		.amdhsa_system_sgpr_workgroup_info 0
		.amdhsa_system_vgpr_workitem_id 0
		.amdhsa_next_free_vgpr 98
		.amdhsa_next_free_sgpr 24
		.amdhsa_named_barrier_count 0
		.amdhsa_reserve_vcc 1
		.amdhsa_float_round_mode_32 0
		.amdhsa_float_round_mode_16_64 0
		.amdhsa_float_denorm_mode_32 3
		.amdhsa_float_denorm_mode_16_64 3
		.amdhsa_fp16_overflow 0
		.amdhsa_memory_ordered 1
		.amdhsa_forward_progress 1
		.amdhsa_inst_pref_size 201
		.amdhsa_round_robin_scheduling 0
		.amdhsa_exception_fp_ieee_invalid_op 0
		.amdhsa_exception_fp_denorm_src 0
		.amdhsa_exception_fp_ieee_div_zero 0
		.amdhsa_exception_fp_ieee_overflow 0
		.amdhsa_exception_fp_ieee_underflow 0
		.amdhsa_exception_fp_ieee_inexact 0
		.amdhsa_exception_int_div_zero 0
	.end_amdhsa_kernel
	.section	.text._ZN9rocsolver6v33100L18trti2_kernel_smallILi34E19rocblas_complex_numIfEPS3_EEv13rocblas_fill_17rocblas_diagonal_T1_iil,"axG",@progbits,_ZN9rocsolver6v33100L18trti2_kernel_smallILi34E19rocblas_complex_numIfEPS3_EEv13rocblas_fill_17rocblas_diagonal_T1_iil,comdat
.Lfunc_end33:
	.size	_ZN9rocsolver6v33100L18trti2_kernel_smallILi34E19rocblas_complex_numIfEPS3_EEv13rocblas_fill_17rocblas_diagonal_T1_iil, .Lfunc_end33-_ZN9rocsolver6v33100L18trti2_kernel_smallILi34E19rocblas_complex_numIfEPS3_EEv13rocblas_fill_17rocblas_diagonal_T1_iil
                                        ; -- End function
	.set _ZN9rocsolver6v33100L18trti2_kernel_smallILi34E19rocblas_complex_numIfEPS3_EEv13rocblas_fill_17rocblas_diagonal_T1_iil.num_vgpr, 98
	.set _ZN9rocsolver6v33100L18trti2_kernel_smallILi34E19rocblas_complex_numIfEPS3_EEv13rocblas_fill_17rocblas_diagonal_T1_iil.num_agpr, 0
	.set _ZN9rocsolver6v33100L18trti2_kernel_smallILi34E19rocblas_complex_numIfEPS3_EEv13rocblas_fill_17rocblas_diagonal_T1_iil.numbered_sgpr, 24
	.set _ZN9rocsolver6v33100L18trti2_kernel_smallILi34E19rocblas_complex_numIfEPS3_EEv13rocblas_fill_17rocblas_diagonal_T1_iil.num_named_barrier, 0
	.set _ZN9rocsolver6v33100L18trti2_kernel_smallILi34E19rocblas_complex_numIfEPS3_EEv13rocblas_fill_17rocblas_diagonal_T1_iil.private_seg_size, 288
	.set _ZN9rocsolver6v33100L18trti2_kernel_smallILi34E19rocblas_complex_numIfEPS3_EEv13rocblas_fill_17rocblas_diagonal_T1_iil.uses_vcc, 1
	.set _ZN9rocsolver6v33100L18trti2_kernel_smallILi34E19rocblas_complex_numIfEPS3_EEv13rocblas_fill_17rocblas_diagonal_T1_iil.uses_flat_scratch, 1
	.set _ZN9rocsolver6v33100L18trti2_kernel_smallILi34E19rocblas_complex_numIfEPS3_EEv13rocblas_fill_17rocblas_diagonal_T1_iil.has_dyn_sized_stack, 0
	.set _ZN9rocsolver6v33100L18trti2_kernel_smallILi34E19rocblas_complex_numIfEPS3_EEv13rocblas_fill_17rocblas_diagonal_T1_iil.has_recursion, 0
	.set _ZN9rocsolver6v33100L18trti2_kernel_smallILi34E19rocblas_complex_numIfEPS3_EEv13rocblas_fill_17rocblas_diagonal_T1_iil.has_indirect_call, 0
	.section	.AMDGPU.csdata,"",@progbits
; Kernel info:
; codeLenInByte = 25672
; TotalNumSgprs: 26
; NumVgprs: 98
; ScratchSize: 288
; MemoryBound: 0
; FloatMode: 240
; IeeeMode: 1
; LDSByteSize: 544 bytes/workgroup (compile time only)
; SGPRBlocks: 0
; VGPRBlocks: 6
; NumSGPRsForWavesPerEU: 26
; NumVGPRsForWavesPerEU: 98
; NamedBarCnt: 0
; Occupancy: 9
; WaveLimiterHint : 0
; COMPUTE_PGM_RSRC2:SCRATCH_EN: 1
; COMPUTE_PGM_RSRC2:USER_SGPR: 2
; COMPUTE_PGM_RSRC2:TRAP_HANDLER: 0
; COMPUTE_PGM_RSRC2:TGID_X_EN: 1
; COMPUTE_PGM_RSRC2:TGID_Y_EN: 0
; COMPUTE_PGM_RSRC2:TGID_Z_EN: 0
; COMPUTE_PGM_RSRC2:TIDIG_COMP_CNT: 0
	.section	.text._ZN9rocsolver6v33100L18trti2_kernel_smallILi35E19rocblas_complex_numIfEPS3_EEv13rocblas_fill_17rocblas_diagonal_T1_iil,"axG",@progbits,_ZN9rocsolver6v33100L18trti2_kernel_smallILi35E19rocblas_complex_numIfEPS3_EEv13rocblas_fill_17rocblas_diagonal_T1_iil,comdat
	.globl	_ZN9rocsolver6v33100L18trti2_kernel_smallILi35E19rocblas_complex_numIfEPS3_EEv13rocblas_fill_17rocblas_diagonal_T1_iil ; -- Begin function _ZN9rocsolver6v33100L18trti2_kernel_smallILi35E19rocblas_complex_numIfEPS3_EEv13rocblas_fill_17rocblas_diagonal_T1_iil
	.p2align	8
	.type	_ZN9rocsolver6v33100L18trti2_kernel_smallILi35E19rocblas_complex_numIfEPS3_EEv13rocblas_fill_17rocblas_diagonal_T1_iil,@function
_ZN9rocsolver6v33100L18trti2_kernel_smallILi35E19rocblas_complex_numIfEPS3_EEv13rocblas_fill_17rocblas_diagonal_T1_iil: ; @_ZN9rocsolver6v33100L18trti2_kernel_smallILi35E19rocblas_complex_numIfEPS3_EEv13rocblas_fill_17rocblas_diagonal_T1_iil
; %bb.0:
	s_mov_b32 s2, exec_lo
	v_cmpx_gt_u32_e32 35, v0
	s_cbranch_execz .LBB34_684
; %bb.1:
	s_load_b256 s[4:11], s[0:1], 0x0
	s_wait_xcnt 0x0
	s_bfe_u32 s0, ttmp6, 0x4000c
	s_and_b32 s1, ttmp6, 15
	s_add_co_i32 s0, s0, 1
	s_getreg_b32 s2, hwreg(HW_REG_IB_STS2, 6, 4)
	s_mul_i32 s0, ttmp9, s0
	v_dual_mov_b32 v39, 0 :: v_dual_lshlrev_b32 v38, 3, v0
	s_add_co_i32 s0, s1, s0
	s_wait_kmcnt 0x0
	v_add3_u32 v6, s9, s9, v0
	s_ashr_i32 s1, s8, 31
	s_cmp_eq_u32 s2, 0
	s_cselect_b32 s2, ttmp9, s0
	s_delay_alu instid0(VALU_DEP_1)
	v_add_nc_u32_e32 v8, s9, v6
	s_ashr_i32 s3, s2, 31
	s_mov_b32 s0, s8
	s_mul_u64 s[2:3], s[10:11], s[2:3]
	s_lshl_b64 s[0:1], s[0:1], 3
	v_add_nc_u32_e32 v10, s9, v8
	s_lshl_b64 s[2:3], s[2:3], 3
	s_delay_alu instid0(SALU_CYCLE_1) | instskip(NEXT) | instid1(SALU_CYCLE_1)
	s_add_nc_u64 s[2:3], s[6:7], s[2:3]
	s_add_nc_u64 s[6:7], s[2:3], s[0:1]
	s_delay_alu instid0(VALU_DEP_1)
	v_add_nc_u32_e32 v12, s9, v10
	v_add_nc_u64_e32 v[2:3], s[6:7], v[38:39]
	s_mov_b32 s0, s9
	s_ashr_i32 s1, s9, 31
	s_cmp_lg_u32 s5, 0x84
	v_add_nc_u32_e32 v14, s9, v12
	s_cselect_b32 s3, -1, 0
	s_delay_alu instid0(VALU_DEP_2) | instskip(SKIP_1) | instid1(VALU_DEP_2)
	v_lshl_add_u64 v[4:5], s[0:1], 3, v[2:3]
	s_mov_b32 s0, -1
	v_add_nc_u32_e32 v16, s9, v14
	s_and_b32 vcc_lo, exec_lo, s3
	s_delay_alu instid0(VALU_DEP_1)
	v_add_nc_u32_e32 v18, s9, v16
	s_clause 0x7
	global_load_b64 v[52:53], v10, s[6:7] scale_offset
	global_load_b64 v[54:55], v12, s[6:7] scale_offset
	;; [unrolled: 1-line block ×3, first 2 shown]
	global_load_b64 v[58:59], v[4:5], off
	global_load_b64 v[60:61], v6, s[6:7] scale_offset
	global_load_b64 v[62:63], v8, s[6:7] scale_offset
	;; [unrolled: 1-line block ×4, first 2 shown]
	v_add_nc_u32_e32 v20, s9, v18
	s_delay_alu instid0(VALU_DEP_1) | instskip(NEXT) | instid1(VALU_DEP_1)
	v_add_nc_u32_e32 v22, s9, v20
	v_add_nc_u32_e32 v24, s9, v22
	s_delay_alu instid0(VALU_DEP_1) | instskip(SKIP_4) | instid1(VALU_DEP_1)
	v_add_nc_u32_e32 v26, s9, v24
	s_clause 0x1
	global_load_b64 v[68:69], v18, s[6:7] scale_offset
	global_load_b64 v[70:71], v20, s[6:7] scale_offset
	v_add_nc_u32_e32 v28, s9, v26
	v_add_nc_u32_e32 v30, s9, v28
	s_clause 0x3
	global_load_b64 v[72:73], v22, s[6:7] scale_offset
	global_load_b64 v[74:75], v24, s[6:7] scale_offset
	;; [unrolled: 1-line block ×4, first 2 shown]
	v_add_nc_u32_e32 v32, s9, v30
	s_delay_alu instid0(VALU_DEP_1) | instskip(NEXT) | instid1(VALU_DEP_1)
	v_add_nc_u32_e32 v34, s9, v32
	v_add_nc_u32_e32 v36, s9, v34
	s_delay_alu instid0(VALU_DEP_1) | instskip(SKIP_4) | instid1(VALU_DEP_1)
	v_add_nc_u32_e32 v40, s9, v36
	s_clause 0x1
	global_load_b64 v[80:81], v30, s[6:7] scale_offset
	global_load_b64 v[82:83], v32, s[6:7] scale_offset
	v_add_nc_u32_e32 v42, s9, v40
	v_add_nc_u32_e32 v44, s9, v42
	s_clause 0x3
	global_load_b64 v[84:85], v34, s[6:7] scale_offset
	global_load_b64 v[86:87], v36, s[6:7] scale_offset
	;; [unrolled: 1-line block ×4, first 2 shown]
	v_add_nc_u32_e32 v46, s9, v44
	s_delay_alu instid0(VALU_DEP_1) | instskip(NEXT) | instid1(VALU_DEP_1)
	v_add_nc_u32_e32 v48, s9, v46
	v_add_nc_u32_e32 v50, s9, v48
	s_wait_loadcnt 0x12
	scratch_store_b128 off, v[52:55], off offset:32
	s_wait_xcnt 0x0
	v_add_nc_u32_e32 v52, s9, v50
	s_wait_loadcnt 0x10
	scratch_store_b128 off, v[56:59], off
	s_wait_loadcnt 0xe
	scratch_store_b128 off, v[60:63], off offset:16
	v_add_nc_u32_e32 v54, s9, v52
	s_wait_xcnt 0x1
	s_delay_alu instid0(VALU_DEP_1)
	v_add_nc_u32_e32 v56, s9, v54
	s_clause 0x3
	global_load_b64 v[92:93], v44, s[6:7] scale_offset
	global_load_b64 v[94:95], v46, s[6:7] scale_offset
	;; [unrolled: 1-line block ×4, first 2 shown]
	s_wait_loadcnt 0x10
	scratch_store_b128 off, v[64:67], off offset:48
	s_clause 0x1
	global_load_b64 v[100:101], v52, s[6:7] scale_offset
	global_load_b64 v[102:103], v54, s[6:7] scale_offset
	v_add_nc_u32_e32 v58, s9, v56
	s_wait_xcnt 0x7
	s_delay_alu instid0(VALU_DEP_1) | instskip(SKIP_4) | instid1(VALU_DEP_1)
	v_add_nc_u32_e32 v60, s9, v58
	s_wait_loadcnt 0x10
	scratch_store_b128 off, v[68:71], off offset:64
	v_add_nc_u32_e32 v62, s9, v60
	s_wait_xcnt 0x3
	v_add_nc_u32_e32 v64, s9, v62
	s_wait_loadcnt 0xe
	scratch_store_b128 off, v[72:75], off offset:80
	s_wait_loadcnt 0xc
	scratch_store_b128 off, v[76:79], off offset:96
	v_add_nc_u32_e32 v66, s9, v64
	s_wait_xcnt 0x2
	s_delay_alu instid0(VALU_DEP_1) | instskip(NEXT) | instid1(VALU_DEP_1)
	v_add_nc_u32_e32 v68, s9, v66
	v_add_nc_u32_e32 v70, s9, v68
	s_wait_xcnt 0x1
	s_delay_alu instid0(VALU_DEP_1)
	v_add_nc_u32_e32 v72, s9, v70
	s_wait_loadcnt 0xa
	scratch_store_b128 off, v[80:83], off offset:112
	s_wait_loadcnt 0x8
	scratch_store_b128 off, v[84:87], off offset:128
	s_clause 0x1
	global_load_b64 v[74:75], v56, s[6:7] scale_offset
	global_load_b64 v[76:77], v58, s[6:7] scale_offset
	s_wait_loadcnt 0x8
	scratch_store_b128 off, v[88:91], off offset:144
	s_wait_loadcnt 0x6
	scratch_store_b128 off, v[92:95], off offset:160
	;; [unrolled: 2-line block ×3, first 2 shown]
	s_clause 0x3
	global_load_b64 v[78:79], v60, s[6:7] scale_offset
	global_load_b64 v[80:81], v62, s[6:7] scale_offset
	;; [unrolled: 1-line block ×4, first 2 shown]
	s_wait_loadcnt 0x6
	scratch_store_b128 off, v[100:103], off offset:192
	s_clause 0x2
	global_load_b64 v[86:87], v68, s[6:7] scale_offset
	global_load_b64 v[88:89], v70, s[6:7] scale_offset
	;; [unrolled: 1-line block ×3, first 2 shown]
	s_wait_loadcnt 0x7
	scratch_store_b128 off, v[74:77], off offset:208
	s_wait_loadcnt 0x5
	scratch_store_b128 off, v[78:81], off offset:224
	;; [unrolled: 2-line block ×4, first 2 shown]
	s_wait_loadcnt 0x0
	scratch_store_b64 off, v[90:91], off offset:272
	s_cbranch_vccz .LBB34_7
; %bb.2:
	scratch_load_b64 v[74:75], v0, off scale_offset
                                        ; implicit-def: $vgpr79
                                        ; implicit-def: $vgpr76
	s_wait_loadcnt 0x0
	v_cmp_ngt_f32_e64 s0, |v74|, |v75|
	s_wait_xcnt 0x0
	s_and_saveexec_b32 s1, s0
	s_delay_alu instid0(SALU_CYCLE_1)
	s_xor_b32 s0, exec_lo, s1
	s_cbranch_execz .LBB34_4
; %bb.3:
	v_div_scale_f32 v1, null, v75, v75, v74
	v_div_scale_f32 v11, vcc_lo, v74, v75, v74
	s_delay_alu instid0(VALU_DEP_2) | instskip(SKIP_1) | instid1(TRANS32_DEP_1)
	v_rcp_f32_e32 v7, v1
	v_nop
	v_fma_f32 v9, -v1, v7, 1.0
	s_delay_alu instid0(VALU_DEP_1) | instskip(NEXT) | instid1(VALU_DEP_1)
	v_fmac_f32_e32 v7, v9, v7
	v_mul_f32_e32 v9, v11, v7
	s_delay_alu instid0(VALU_DEP_1) | instskip(NEXT) | instid1(VALU_DEP_1)
	v_fma_f32 v13, -v1, v9, v11
	v_fmac_f32_e32 v9, v13, v7
	s_delay_alu instid0(VALU_DEP_1) | instskip(NEXT) | instid1(VALU_DEP_1)
	v_fma_f32 v1, -v1, v9, v11
	v_div_fmas_f32 v1, v1, v7, v9
	s_delay_alu instid0(VALU_DEP_1) | instskip(NEXT) | instid1(VALU_DEP_1)
	v_div_fixup_f32 v1, v1, v75, v74
	v_fmac_f32_e32 v75, v74, v1
	s_delay_alu instid0(VALU_DEP_1) | instskip(NEXT) | instid1(VALU_DEP_1)
	v_div_scale_f32 v7, null, v75, v75, -1.0
	v_rcp_f32_e32 v9, v7
	v_nop
	s_delay_alu instid0(TRANS32_DEP_1) | instskip(NEXT) | instid1(VALU_DEP_1)
	v_fma_f32 v11, -v7, v9, 1.0
	v_fmac_f32_e32 v9, v11, v9
	v_div_scale_f32 v11, vcc_lo, -1.0, v75, -1.0
	s_delay_alu instid0(VALU_DEP_1) | instskip(NEXT) | instid1(VALU_DEP_1)
	v_mul_f32_e32 v13, v11, v9
	v_fma_f32 v15, -v7, v13, v11
	s_delay_alu instid0(VALU_DEP_1) | instskip(NEXT) | instid1(VALU_DEP_1)
	v_fmac_f32_e32 v13, v15, v9
	v_fma_f32 v7, -v7, v13, v11
	s_delay_alu instid0(VALU_DEP_1) | instskip(NEXT) | instid1(VALU_DEP_1)
	v_div_fmas_f32 v7, v7, v9, v13
	v_div_fixup_f32 v79, v7, v75, -1.0
                                        ; implicit-def: $vgpr74_vgpr75
	s_delay_alu instid0(VALU_DEP_1) | instskip(NEXT) | instid1(VALU_DEP_1)
	v_mul_f32_e32 v76, v1, v79
	v_xor_b32_e32 v78, 0x80000000, v76
.LBB34_4:
	s_or_saveexec_b32 s0, s0
	v_lshl_add_u32 v1, v0, 3, 0
	s_xor_b32 exec_lo, exec_lo, s0
	s_cbranch_execz .LBB34_6
; %bb.5:
	v_div_scale_f32 v7, null, v74, v74, v75
	v_div_scale_f32 v13, vcc_lo, v75, v74, v75
	s_delay_alu instid0(VALU_DEP_2) | instskip(SKIP_1) | instid1(TRANS32_DEP_1)
	v_rcp_f32_e32 v9, v7
	v_nop
	v_fma_f32 v11, -v7, v9, 1.0
	s_delay_alu instid0(VALU_DEP_1) | instskip(NEXT) | instid1(VALU_DEP_1)
	v_fmac_f32_e32 v9, v11, v9
	v_mul_f32_e32 v11, v13, v9
	s_delay_alu instid0(VALU_DEP_1) | instskip(NEXT) | instid1(VALU_DEP_1)
	v_fma_f32 v15, -v7, v11, v13
	v_fmac_f32_e32 v11, v15, v9
	s_delay_alu instid0(VALU_DEP_1) | instskip(NEXT) | instid1(VALU_DEP_1)
	v_fma_f32 v7, -v7, v11, v13
	v_div_fmas_f32 v7, v7, v9, v11
	s_delay_alu instid0(VALU_DEP_1) | instskip(NEXT) | instid1(VALU_DEP_1)
	v_div_fixup_f32 v7, v7, v74, v75
	v_fmac_f32_e32 v74, v75, v7
	s_delay_alu instid0(VALU_DEP_1) | instskip(SKIP_1) | instid1(VALU_DEP_2)
	v_div_scale_f32 v9, null, v74, v74, 1.0
	v_div_scale_f32 v15, vcc_lo, 1.0, v74, 1.0
	v_rcp_f32_e32 v11, v9
	v_nop
	s_delay_alu instid0(TRANS32_DEP_1) | instskip(NEXT) | instid1(VALU_DEP_1)
	v_fma_f32 v13, -v9, v11, 1.0
	v_fmac_f32_e32 v11, v13, v11
	s_delay_alu instid0(VALU_DEP_1) | instskip(NEXT) | instid1(VALU_DEP_1)
	v_mul_f32_e32 v13, v15, v11
	v_fma_f32 v17, -v9, v13, v15
	s_delay_alu instid0(VALU_DEP_1) | instskip(NEXT) | instid1(VALU_DEP_1)
	v_fmac_f32_e32 v13, v17, v11
	v_fma_f32 v9, -v9, v13, v15
	s_delay_alu instid0(VALU_DEP_1) | instskip(NEXT) | instid1(VALU_DEP_1)
	v_div_fmas_f32 v9, v9, v11, v13
	v_div_fixup_f32 v78, v9, v74, 1.0
	s_delay_alu instid0(VALU_DEP_1)
	v_xor_b32_e32 v76, 0x80000000, v78
	v_mul_f32_e64 v79, v7, -v78
.LBB34_6:
	s_or_b32 exec_lo, exec_lo, s0
	s_delay_alu instid0(VALU_DEP_1)
	v_xor_b32_e32 v77, 0x80000000, v79
	s_mov_b32 s0, 0
	scratch_store_b64 v1, v[78:79], off
	ds_store_b64 v38, v[76:77]
.LBB34_7:
	s_and_b32 vcc_lo, exec_lo, s0
	s_cbranch_vccz .LBB34_9
; %bb.8:
	s_mov_b64 s[0:1], 0xbf800000
	s_wait_xcnt 0x4
	v_mov_b64_e32 v[74:75], s[0:1]
	ds_store_b64 v38, v[74:75]
.LBB34_9:
	v_dual_ashrrev_i32 v7, 31, v6 :: v_dual_ashrrev_i32 v9, 31, v8
	v_dual_ashrrev_i32 v11, 31, v10 :: v_dual_ashrrev_i32 v13, 31, v12
	;; [unrolled: 1-line block ×16, first 2 shown]
	v_dual_ashrrev_i32 v73, 31, v72 :: v_dual_mov_b32 v39, v38
	s_wait_xcnt 0x0
	v_add_nc_u32_e32 v1, 0x120, v38
	s_cmp_eq_u32 s4, 0x79
	s_cbranch_scc1 .LBB34_13
; %bb.10:
	scratch_load_b64 v[74:75], off, off offset:264
	v_cmp_eq_u32_e64 s0, 34, v0
	s_movk_i32 s1, 0x50
	s_movk_i32 s2, 0x60
	;; [unrolled: 1-line block ×12, first 2 shown]
	s_wait_loadcnt 0x0
	ds_store_b64 v1, v[74:75]
	s_wait_storecnt_dscnt 0x0
	s_barrier_signal -1
	s_barrier_wait -1
	s_wait_xcnt 0x0
	s_and_saveexec_b32 s4, s0
	s_cbranch_execz .LBB34_17
; %bb.11:
	s_and_b32 vcc_lo, exec_lo, s3
	s_cbranch_vccz .LBB34_14
; %bb.12:
	scratch_load_b64 v[74:75], v39, off
	ds_load_b64 v[76:77], v1
	s_wait_loadcnt_dscnt 0x0
	v_pk_mul_f32 v[78:79], v[76:77], v[74:75] op_sel:[1,1] op_sel_hi:[0,1]
	v_pk_mul_f32 v[80:81], v[76:77], v[74:75] op_sel_hi:[1,0]
	s_delay_alu instid0(VALU_DEP_2) | instskip(NEXT) | instid1(VALU_DEP_2)
	v_pk_fma_f32 v[74:75], v[76:77], v[74:75], v[78:79] op_sel_hi:[1,0,1]
	v_sub_f32_e32 v74, v80, v78
	s_cbranch_execz .LBB34_15
	s_branch .LBB34_16
.LBB34_13:
	s_mov_b32 s1, 0
                                        ; implicit-def: $vgpr94
                                        ; implicit-def: $sgpr4
	s_cbranch_execnz .LBB34_346
	s_branch .LBB34_681
.LBB34_14:
                                        ; implicit-def: $vgpr75
.LBB34_15:
	ds_load_b64 v[74:75], v1
.LBB34_16:
	s_wait_dscnt 0x0
	v_dual_mov_b32 v76, 0 :: v_dual_mov_b32 v78, v75
	v_mov_b32_e32 v79, v74
	ds_load_b64 v[76:77], v76 offset:264
	s_wait_dscnt 0x0
	v_pk_mul_f32 v[78:79], v[78:79], v[76:77] op_sel:[0,1]
	s_delay_alu instid0(VALU_DEP_1) | instskip(SKIP_1) | instid1(VALU_DEP_2)
	v_pk_fma_f32 v[80:81], v[74:75], v[76:77], v[78:79] op_sel_hi:[1,0,1]
	v_pk_fma_f32 v[74:75], v[74:75], v[76:77], v[78:79] neg_lo:[0,0,1] neg_hi:[0,0,1]
	v_mov_b32_e32 v75, v81
	scratch_store_b64 off, v[74:75], off offset:264
.LBB34_17:
	s_wait_xcnt 0x0
	s_or_b32 exec_lo, exec_lo, s4
	scratch_load_b64 v[74:75], off, off offset:256
	s_mov_b32 s11, s2
	v_cmp_lt_u32_e64 s2, 32, v0
	s_mov_b32 s4, 16
	s_mov_b32 s5, 32
	;; [unrolled: 1-line block ×5, first 2 shown]
	s_wait_loadcnt 0x0
	ds_store_b64 v1, v[74:75]
	s_wait_storecnt_dscnt 0x0
	s_barrier_signal -1
	s_barrier_wait -1
	s_wait_xcnt 0x0
	s_and_saveexec_b32 s1, s2
	s_cbranch_execz .LBB34_25
; %bb.18:
	s_and_not1_b32 vcc_lo, exec_lo, s3
	s_cbranch_vccnz .LBB34_20
; %bb.19:
	scratch_load_b64 v[74:75], v39, off
	ds_load_b64 v[76:77], v1
	s_wait_loadcnt_dscnt 0x0
	v_pk_mul_f32 v[78:79], v[76:77], v[74:75] op_sel:[1,1] op_sel_hi:[0,1]
	s_delay_alu instid0(VALU_DEP_1) | instskip(SKIP_1) | instid1(VALU_DEP_2)
	v_pk_fma_f32 v[80:81], v[76:77], v[74:75], v[78:79] op_sel_hi:[1,0,1]
	v_pk_fma_f32 v[74:75], v[76:77], v[74:75], v[78:79] neg_lo:[0,0,1] neg_hi:[0,0,1]
	v_mov_b32_e32 v75, v81
	s_cbranch_execz .LBB34_21
	s_branch .LBB34_22
.LBB34_20:
                                        ; implicit-def: $vgpr74_vgpr75
.LBB34_21:
	ds_load_b64 v[74:75], v1
.LBB34_22:
	s_and_saveexec_b32 s22, s0
	s_cbranch_execz .LBB34_24
; %bb.23:
	scratch_load_b64 v[76:77], off, off offset:264
	v_mov_b32_e32 v78, 0
	ds_load_b64 v[78:79], v78 offset:552
	s_wait_loadcnt_dscnt 0x0
	v_pk_mul_f32 v[80:81], v[78:79], v[76:77] op_sel:[1,1] op_sel_hi:[0,1]
	s_delay_alu instid0(VALU_DEP_1) | instskip(SKIP_1) | instid1(VALU_DEP_2)
	v_pk_fma_f32 v[82:83], v[78:79], v[76:77], v[80:81] op_sel_hi:[1,0,1]
	v_pk_fma_f32 v[76:77], v[78:79], v[76:77], v[80:81] neg_lo:[0,0,1] neg_hi:[0,0,1]
	v_mov_b32_e32 v77, v83
	s_delay_alu instid0(VALU_DEP_1)
	v_pk_add_f32 v[74:75], v[74:75], v[76:77]
.LBB34_24:
	s_or_b32 exec_lo, exec_lo, s22
	v_mov_b32_e32 v76, 0
	ds_load_b64 v[76:77], v76 offset:256
	s_wait_dscnt 0x0
	v_pk_mul_f32 v[78:79], v[74:75], v[76:77] op_sel:[1,1] op_sel_hi:[0,1]
	s_delay_alu instid0(VALU_DEP_1) | instskip(SKIP_1) | instid1(VALU_DEP_2)
	v_pk_fma_f32 v[80:81], v[74:75], v[76:77], v[78:79] op_sel_hi:[1,0,1]
	v_pk_fma_f32 v[74:75], v[74:75], v[76:77], v[78:79] neg_lo:[0,0,1] neg_hi:[0,0,1]
	v_mov_b32_e32 v75, v81
	scratch_store_b64 off, v[74:75], off offset:256
.LBB34_25:
	s_wait_xcnt 0x0
	s_or_b32 exec_lo, exec_lo, s1
	scratch_load_b64 v[74:75], off, off offset:248
	v_cmp_lt_u32_e64 s1, 31, v0
	s_wait_loadcnt 0x0
	ds_store_b64 v1, v[74:75]
	s_wait_storecnt_dscnt 0x0
	s_barrier_signal -1
	s_barrier_wait -1
	s_wait_xcnt 0x0
	s_and_saveexec_b32 s0, s1
	s_cbranch_execz .LBB34_35
; %bb.26:
	s_and_not1_b32 vcc_lo, exec_lo, s3
	s_cbranch_vccnz .LBB34_28
; %bb.27:
	scratch_load_b64 v[74:75], v39, off
	ds_load_b64 v[76:77], v1
	s_wait_loadcnt_dscnt 0x0
	v_pk_mul_f32 v[78:79], v[76:77], v[74:75] op_sel:[1,1] op_sel_hi:[0,1]
	s_delay_alu instid0(VALU_DEP_1) | instskip(SKIP_1) | instid1(VALU_DEP_2)
	v_pk_fma_f32 v[80:81], v[76:77], v[74:75], v[78:79] op_sel_hi:[1,0,1]
	v_pk_fma_f32 v[74:75], v[76:77], v[74:75], v[78:79] neg_lo:[0,0,1] neg_hi:[0,0,1]
	v_mov_b32_e32 v75, v81
	s_cbranch_execz .LBB34_29
	s_branch .LBB34_30
.LBB34_28:
                                        ; implicit-def: $vgpr74_vgpr75
.LBB34_29:
	ds_load_b64 v[74:75], v1
.LBB34_30:
	s_and_saveexec_b32 s22, s2
	s_cbranch_execz .LBB34_34
; %bb.31:
	v_subrev_nc_u32_e32 v76, 32, v0
	s_movk_i32 s23, 0x220
	s_mov_b32 s2, 0
.LBB34_32:                              ; =>This Inner Loop Header: Depth=1
	scratch_load_b64 v[78:79], off, s21
	v_dual_mov_b32 v77, s23 :: v_dual_add_nc_u32 v76, -1, v76
	s_add_co_i32 s23, s23, 8
	s_wait_xcnt 0x0
	s_add_co_i32 s21, s21, 8
	ds_load_b64 v[80:81], v77
	v_cmp_eq_u32_e32 vcc_lo, 0, v76
	s_or_b32 s2, vcc_lo, s2
	s_wait_loadcnt_dscnt 0x0
	v_pk_mul_f32 v[82:83], v[80:81], v[78:79] op_sel:[1,1] op_sel_hi:[0,1]
	s_delay_alu instid0(VALU_DEP_1) | instskip(SKIP_1) | instid1(VALU_DEP_2)
	v_pk_fma_f32 v[84:85], v[80:81], v[78:79], v[82:83] op_sel_hi:[1,0,1]
	v_pk_fma_f32 v[78:79], v[80:81], v[78:79], v[82:83] neg_lo:[0,0,1] neg_hi:[0,0,1]
	v_mov_b32_e32 v79, v85
	s_delay_alu instid0(VALU_DEP_1)
	v_pk_add_f32 v[74:75], v[74:75], v[78:79]
	s_and_not1_b32 exec_lo, exec_lo, s2
	s_cbranch_execnz .LBB34_32
; %bb.33:
	s_or_b32 exec_lo, exec_lo, s2
.LBB34_34:
	s_delay_alu instid0(SALU_CYCLE_1) | instskip(SKIP_4) | instid1(VALU_DEP_1)
	s_or_b32 exec_lo, exec_lo, s22
	v_mov_b32_e32 v76, 0
	ds_load_b64 v[76:77], v76 offset:248
	s_wait_dscnt 0x0
	v_pk_mul_f32 v[78:79], v[74:75], v[76:77] op_sel:[1,1] op_sel_hi:[0,1]
	v_pk_fma_f32 v[80:81], v[74:75], v[76:77], v[78:79] op_sel_hi:[1,0,1]
	v_pk_fma_f32 v[74:75], v[74:75], v[76:77], v[78:79] neg_lo:[0,0,1] neg_hi:[0,0,1]
	s_delay_alu instid0(VALU_DEP_2)
	v_mov_b32_e32 v75, v81
	scratch_store_b64 off, v[74:75], off offset:248
.LBB34_35:
	s_wait_xcnt 0x0
	s_or_b32 exec_lo, exec_lo, s0
	scratch_load_b64 v[74:75], off, off offset:240
	v_cmp_lt_u32_e64 s0, 30, v0
	s_wait_loadcnt 0x0
	ds_store_b64 v1, v[74:75]
	s_wait_storecnt_dscnt 0x0
	s_barrier_signal -1
	s_barrier_wait -1
	s_wait_xcnt 0x0
	s_and_saveexec_b32 s2, s0
	s_cbranch_execz .LBB34_45
; %bb.36:
	s_and_not1_b32 vcc_lo, exec_lo, s3
	s_cbranch_vccnz .LBB34_38
; %bb.37:
	scratch_load_b64 v[74:75], v39, off
	ds_load_b64 v[76:77], v1
	s_wait_loadcnt_dscnt 0x0
	v_pk_mul_f32 v[78:79], v[76:77], v[74:75] op_sel:[1,1] op_sel_hi:[0,1]
	s_delay_alu instid0(VALU_DEP_1) | instskip(SKIP_1) | instid1(VALU_DEP_2)
	v_pk_fma_f32 v[80:81], v[76:77], v[74:75], v[78:79] op_sel_hi:[1,0,1]
	v_pk_fma_f32 v[74:75], v[76:77], v[74:75], v[78:79] neg_lo:[0,0,1] neg_hi:[0,0,1]
	v_mov_b32_e32 v75, v81
	s_cbranch_execz .LBB34_39
	s_branch .LBB34_40
.LBB34_38:
                                        ; implicit-def: $vgpr74_vgpr75
.LBB34_39:
	ds_load_b64 v[74:75], v1
.LBB34_40:
	s_and_saveexec_b32 s21, s1
	s_cbranch_execz .LBB34_44
; %bb.41:
	v_subrev_nc_u32_e32 v76, 31, v0
	s_movk_i32 s1, 0xf8
	s_movk_i32 s23, 0x218
	s_mov_b32 s22, 0
.LBB34_42:                              ; =>This Inner Loop Header: Depth=1
	scratch_load_b64 v[78:79], off, s1
	v_dual_mov_b32 v77, s23 :: v_dual_add_nc_u32 v76, -1, v76
	s_add_co_i32 s23, s23, 8
	s_wait_xcnt 0x0
	s_add_co_i32 s1, s1, 8
	ds_load_b64 v[80:81], v77
	v_cmp_eq_u32_e32 vcc_lo, 0, v76
	s_or_b32 s22, vcc_lo, s22
	s_wait_loadcnt_dscnt 0x0
	v_pk_mul_f32 v[82:83], v[80:81], v[78:79] op_sel:[1,1] op_sel_hi:[0,1]
	s_delay_alu instid0(VALU_DEP_1) | instskip(SKIP_1) | instid1(VALU_DEP_2)
	v_pk_fma_f32 v[84:85], v[80:81], v[78:79], v[82:83] op_sel_hi:[1,0,1]
	v_pk_fma_f32 v[78:79], v[80:81], v[78:79], v[82:83] neg_lo:[0,0,1] neg_hi:[0,0,1]
	v_mov_b32_e32 v79, v85
	s_delay_alu instid0(VALU_DEP_1)
	v_pk_add_f32 v[74:75], v[74:75], v[78:79]
	s_and_not1_b32 exec_lo, exec_lo, s22
	s_cbranch_execnz .LBB34_42
; %bb.43:
	s_or_b32 exec_lo, exec_lo, s22
.LBB34_44:
	s_delay_alu instid0(SALU_CYCLE_1) | instskip(SKIP_4) | instid1(VALU_DEP_1)
	s_or_b32 exec_lo, exec_lo, s21
	v_mov_b32_e32 v76, 0
	ds_load_b64 v[76:77], v76 offset:240
	s_wait_dscnt 0x0
	v_pk_mul_f32 v[78:79], v[74:75], v[76:77] op_sel:[1,1] op_sel_hi:[0,1]
	v_pk_fma_f32 v[80:81], v[74:75], v[76:77], v[78:79] op_sel_hi:[1,0,1]
	v_pk_fma_f32 v[74:75], v[74:75], v[76:77], v[78:79] neg_lo:[0,0,1] neg_hi:[0,0,1]
	s_delay_alu instid0(VALU_DEP_2)
	v_mov_b32_e32 v75, v81
	scratch_store_b64 off, v[74:75], off offset:240
.LBB34_45:
	s_wait_xcnt 0x0
	s_or_b32 exec_lo, exec_lo, s2
	scratch_load_b64 v[74:75], off, off offset:232
	v_cmp_lt_u32_e64 s1, 29, v0
	s_wait_loadcnt 0x0
	ds_store_b64 v1, v[74:75]
	s_wait_storecnt_dscnt 0x0
	s_barrier_signal -1
	s_barrier_wait -1
	s_wait_xcnt 0x0
	s_and_saveexec_b32 s2, s1
	s_cbranch_execz .LBB34_55
; %bb.46:
	s_and_not1_b32 vcc_lo, exec_lo, s3
	s_cbranch_vccnz .LBB34_48
; %bb.47:
	scratch_load_b64 v[74:75], v39, off
	ds_load_b64 v[76:77], v1
	s_wait_loadcnt_dscnt 0x0
	v_pk_mul_f32 v[78:79], v[76:77], v[74:75] op_sel:[1,1] op_sel_hi:[0,1]
	s_delay_alu instid0(VALU_DEP_1) | instskip(SKIP_1) | instid1(VALU_DEP_2)
	v_pk_fma_f32 v[80:81], v[76:77], v[74:75], v[78:79] op_sel_hi:[1,0,1]
	v_pk_fma_f32 v[74:75], v[76:77], v[74:75], v[78:79] neg_lo:[0,0,1] neg_hi:[0,0,1]
	v_mov_b32_e32 v75, v81
	s_cbranch_execz .LBB34_49
	s_branch .LBB34_50
.LBB34_48:
                                        ; implicit-def: $vgpr74_vgpr75
.LBB34_49:
	ds_load_b64 v[74:75], v1
.LBB34_50:
	s_and_saveexec_b32 s21, s0
	s_cbranch_execz .LBB34_54
; %bb.51:
	v_subrev_nc_u32_e32 v76, 30, v0
	s_movk_i32 s22, 0x210
	s_mov_b32 s0, 0
.LBB34_52:                              ; =>This Inner Loop Header: Depth=1
	scratch_load_b64 v[78:79], off, s20
	v_dual_mov_b32 v77, s22 :: v_dual_add_nc_u32 v76, -1, v76
	s_add_co_i32 s22, s22, 8
	s_wait_xcnt 0x0
	s_add_co_i32 s20, s20, 8
	ds_load_b64 v[80:81], v77
	v_cmp_eq_u32_e32 vcc_lo, 0, v76
	s_or_b32 s0, vcc_lo, s0
	s_wait_loadcnt_dscnt 0x0
	v_pk_mul_f32 v[82:83], v[80:81], v[78:79] op_sel:[1,1] op_sel_hi:[0,1]
	s_delay_alu instid0(VALU_DEP_1) | instskip(SKIP_1) | instid1(VALU_DEP_2)
	v_pk_fma_f32 v[84:85], v[80:81], v[78:79], v[82:83] op_sel_hi:[1,0,1]
	v_pk_fma_f32 v[78:79], v[80:81], v[78:79], v[82:83] neg_lo:[0,0,1] neg_hi:[0,0,1]
	v_mov_b32_e32 v79, v85
	s_delay_alu instid0(VALU_DEP_1)
	v_pk_add_f32 v[74:75], v[74:75], v[78:79]
	s_and_not1_b32 exec_lo, exec_lo, s0
	s_cbranch_execnz .LBB34_52
; %bb.53:
	s_or_b32 exec_lo, exec_lo, s0
.LBB34_54:
	s_delay_alu instid0(SALU_CYCLE_1) | instskip(SKIP_4) | instid1(VALU_DEP_1)
	s_or_b32 exec_lo, exec_lo, s21
	v_mov_b32_e32 v76, 0
	ds_load_b64 v[76:77], v76 offset:232
	s_wait_dscnt 0x0
	v_pk_mul_f32 v[78:79], v[74:75], v[76:77] op_sel:[1,1] op_sel_hi:[0,1]
	v_pk_fma_f32 v[80:81], v[74:75], v[76:77], v[78:79] op_sel_hi:[1,0,1]
	v_pk_fma_f32 v[74:75], v[74:75], v[76:77], v[78:79] neg_lo:[0,0,1] neg_hi:[0,0,1]
	s_delay_alu instid0(VALU_DEP_2)
	v_mov_b32_e32 v75, v81
	scratch_store_b64 off, v[74:75], off offset:232
.LBB34_55:
	s_wait_xcnt 0x0
	s_or_b32 exec_lo, exec_lo, s2
	scratch_load_b64 v[74:75], off, off offset:224
	v_cmp_lt_u32_e64 s0, 28, v0
	s_wait_loadcnt 0x0
	ds_store_b64 v1, v[74:75]
	s_wait_storecnt_dscnt 0x0
	s_barrier_signal -1
	s_barrier_wait -1
	s_wait_xcnt 0x0
	s_and_saveexec_b32 s2, s0
	s_cbranch_execz .LBB34_65
; %bb.56:
	s_and_not1_b32 vcc_lo, exec_lo, s3
	s_cbranch_vccnz .LBB34_58
; %bb.57:
	scratch_load_b64 v[74:75], v39, off
	ds_load_b64 v[76:77], v1
	s_wait_loadcnt_dscnt 0x0
	v_pk_mul_f32 v[78:79], v[76:77], v[74:75] op_sel:[1,1] op_sel_hi:[0,1]
	s_delay_alu instid0(VALU_DEP_1) | instskip(SKIP_1) | instid1(VALU_DEP_2)
	v_pk_fma_f32 v[80:81], v[76:77], v[74:75], v[78:79] op_sel_hi:[1,0,1]
	v_pk_fma_f32 v[74:75], v[76:77], v[74:75], v[78:79] neg_lo:[0,0,1] neg_hi:[0,0,1]
	v_mov_b32_e32 v75, v81
	s_cbranch_execz .LBB34_59
	s_branch .LBB34_60
.LBB34_58:
                                        ; implicit-def: $vgpr74_vgpr75
.LBB34_59:
	ds_load_b64 v[74:75], v1
.LBB34_60:
	s_and_saveexec_b32 s20, s1
	s_cbranch_execz .LBB34_64
; %bb.61:
	v_subrev_nc_u32_e32 v76, 29, v0
	s_movk_i32 s1, 0xe8
	s_movk_i32 s22, 0x208
	s_mov_b32 s21, 0
.LBB34_62:                              ; =>This Inner Loop Header: Depth=1
	scratch_load_b64 v[78:79], off, s1
	v_dual_mov_b32 v77, s22 :: v_dual_add_nc_u32 v76, -1, v76
	s_add_co_i32 s22, s22, 8
	s_wait_xcnt 0x0
	s_add_co_i32 s1, s1, 8
	ds_load_b64 v[80:81], v77
	v_cmp_eq_u32_e32 vcc_lo, 0, v76
	s_or_b32 s21, vcc_lo, s21
	s_wait_loadcnt_dscnt 0x0
	v_pk_mul_f32 v[82:83], v[80:81], v[78:79] op_sel:[1,1] op_sel_hi:[0,1]
	s_delay_alu instid0(VALU_DEP_1) | instskip(SKIP_1) | instid1(VALU_DEP_2)
	v_pk_fma_f32 v[84:85], v[80:81], v[78:79], v[82:83] op_sel_hi:[1,0,1]
	v_pk_fma_f32 v[78:79], v[80:81], v[78:79], v[82:83] neg_lo:[0,0,1] neg_hi:[0,0,1]
	v_mov_b32_e32 v79, v85
	s_delay_alu instid0(VALU_DEP_1)
	v_pk_add_f32 v[74:75], v[74:75], v[78:79]
	s_and_not1_b32 exec_lo, exec_lo, s21
	s_cbranch_execnz .LBB34_62
; %bb.63:
	s_or_b32 exec_lo, exec_lo, s21
.LBB34_64:
	s_delay_alu instid0(SALU_CYCLE_1) | instskip(SKIP_4) | instid1(VALU_DEP_1)
	s_or_b32 exec_lo, exec_lo, s20
	v_mov_b32_e32 v76, 0
	ds_load_b64 v[76:77], v76 offset:224
	s_wait_dscnt 0x0
	v_pk_mul_f32 v[78:79], v[74:75], v[76:77] op_sel:[1,1] op_sel_hi:[0,1]
	v_pk_fma_f32 v[80:81], v[74:75], v[76:77], v[78:79] op_sel_hi:[1,0,1]
	v_pk_fma_f32 v[74:75], v[74:75], v[76:77], v[78:79] neg_lo:[0,0,1] neg_hi:[0,0,1]
	s_delay_alu instid0(VALU_DEP_2)
	v_mov_b32_e32 v75, v81
	scratch_store_b64 off, v[74:75], off offset:224
.LBB34_65:
	s_wait_xcnt 0x0
	s_or_b32 exec_lo, exec_lo, s2
	scratch_load_b64 v[74:75], off, off offset:216
	v_cmp_lt_u32_e64 s1, 27, v0
	s_wait_loadcnt 0x0
	ds_store_b64 v1, v[74:75]
	s_wait_storecnt_dscnt 0x0
	s_barrier_signal -1
	s_barrier_wait -1
	s_wait_xcnt 0x0
	s_and_saveexec_b32 s2, s1
	s_cbranch_execz .LBB34_75
; %bb.66:
	s_and_not1_b32 vcc_lo, exec_lo, s3
	s_cbranch_vccnz .LBB34_68
; %bb.67:
	scratch_load_b64 v[74:75], v39, off
	ds_load_b64 v[76:77], v1
	s_wait_loadcnt_dscnt 0x0
	v_pk_mul_f32 v[78:79], v[76:77], v[74:75] op_sel:[1,1] op_sel_hi:[0,1]
	s_delay_alu instid0(VALU_DEP_1) | instskip(SKIP_1) | instid1(VALU_DEP_2)
	v_pk_fma_f32 v[80:81], v[76:77], v[74:75], v[78:79] op_sel_hi:[1,0,1]
	v_pk_fma_f32 v[74:75], v[76:77], v[74:75], v[78:79] neg_lo:[0,0,1] neg_hi:[0,0,1]
	v_mov_b32_e32 v75, v81
	s_cbranch_execz .LBB34_69
	s_branch .LBB34_70
.LBB34_68:
                                        ; implicit-def: $vgpr74_vgpr75
.LBB34_69:
	ds_load_b64 v[74:75], v1
.LBB34_70:
	s_and_saveexec_b32 s20, s0
	s_cbranch_execz .LBB34_74
; %bb.71:
	v_subrev_nc_u32_e32 v76, 28, v0
	s_movk_i32 s21, 0x200
	s_mov_b32 s0, 0
.LBB34_72:                              ; =>This Inner Loop Header: Depth=1
	scratch_load_b64 v[78:79], off, s19
	v_dual_mov_b32 v77, s21 :: v_dual_add_nc_u32 v76, -1, v76
	s_add_co_i32 s21, s21, 8
	s_wait_xcnt 0x0
	s_add_co_i32 s19, s19, 8
	ds_load_b64 v[80:81], v77
	v_cmp_eq_u32_e32 vcc_lo, 0, v76
	s_or_b32 s0, vcc_lo, s0
	s_wait_loadcnt_dscnt 0x0
	v_pk_mul_f32 v[82:83], v[80:81], v[78:79] op_sel:[1,1] op_sel_hi:[0,1]
	s_delay_alu instid0(VALU_DEP_1) | instskip(SKIP_1) | instid1(VALU_DEP_2)
	v_pk_fma_f32 v[84:85], v[80:81], v[78:79], v[82:83] op_sel_hi:[1,0,1]
	v_pk_fma_f32 v[78:79], v[80:81], v[78:79], v[82:83] neg_lo:[0,0,1] neg_hi:[0,0,1]
	v_mov_b32_e32 v79, v85
	s_delay_alu instid0(VALU_DEP_1)
	v_pk_add_f32 v[74:75], v[74:75], v[78:79]
	s_and_not1_b32 exec_lo, exec_lo, s0
	s_cbranch_execnz .LBB34_72
; %bb.73:
	s_or_b32 exec_lo, exec_lo, s0
.LBB34_74:
	s_delay_alu instid0(SALU_CYCLE_1) | instskip(SKIP_4) | instid1(VALU_DEP_1)
	s_or_b32 exec_lo, exec_lo, s20
	v_mov_b32_e32 v76, 0
	ds_load_b64 v[76:77], v76 offset:216
	s_wait_dscnt 0x0
	v_pk_mul_f32 v[78:79], v[74:75], v[76:77] op_sel:[1,1] op_sel_hi:[0,1]
	v_pk_fma_f32 v[80:81], v[74:75], v[76:77], v[78:79] op_sel_hi:[1,0,1]
	v_pk_fma_f32 v[74:75], v[74:75], v[76:77], v[78:79] neg_lo:[0,0,1] neg_hi:[0,0,1]
	s_delay_alu instid0(VALU_DEP_2)
	v_mov_b32_e32 v75, v81
	scratch_store_b64 off, v[74:75], off offset:216
.LBB34_75:
	s_wait_xcnt 0x0
	s_or_b32 exec_lo, exec_lo, s2
	scratch_load_b64 v[74:75], off, off offset:208
	v_cmp_lt_u32_e64 s0, 26, v0
	s_wait_loadcnt 0x0
	ds_store_b64 v1, v[74:75]
	s_wait_storecnt_dscnt 0x0
	s_barrier_signal -1
	s_barrier_wait -1
	s_wait_xcnt 0x0
	s_and_saveexec_b32 s2, s0
	s_cbranch_execz .LBB34_85
; %bb.76:
	s_and_not1_b32 vcc_lo, exec_lo, s3
	s_cbranch_vccnz .LBB34_78
; %bb.77:
	scratch_load_b64 v[74:75], v39, off
	ds_load_b64 v[76:77], v1
	s_wait_loadcnt_dscnt 0x0
	v_pk_mul_f32 v[78:79], v[76:77], v[74:75] op_sel:[1,1] op_sel_hi:[0,1]
	s_delay_alu instid0(VALU_DEP_1) | instskip(SKIP_1) | instid1(VALU_DEP_2)
	v_pk_fma_f32 v[80:81], v[76:77], v[74:75], v[78:79] op_sel_hi:[1,0,1]
	v_pk_fma_f32 v[74:75], v[76:77], v[74:75], v[78:79] neg_lo:[0,0,1] neg_hi:[0,0,1]
	v_mov_b32_e32 v75, v81
	s_cbranch_execz .LBB34_79
	s_branch .LBB34_80
.LBB34_78:
                                        ; implicit-def: $vgpr74_vgpr75
.LBB34_79:
	ds_load_b64 v[74:75], v1
.LBB34_80:
	s_and_saveexec_b32 s19, s1
	s_cbranch_execz .LBB34_84
; %bb.81:
	v_subrev_nc_u32_e32 v76, 27, v0
	s_movk_i32 s1, 0xd8
	s_movk_i32 s21, 0x1f8
	s_mov_b32 s20, 0
.LBB34_82:                              ; =>This Inner Loop Header: Depth=1
	scratch_load_b64 v[78:79], off, s1
	v_dual_mov_b32 v77, s21 :: v_dual_add_nc_u32 v76, -1, v76
	s_add_co_i32 s21, s21, 8
	s_wait_xcnt 0x0
	s_add_co_i32 s1, s1, 8
	ds_load_b64 v[80:81], v77
	v_cmp_eq_u32_e32 vcc_lo, 0, v76
	s_or_b32 s20, vcc_lo, s20
	s_wait_loadcnt_dscnt 0x0
	v_pk_mul_f32 v[82:83], v[80:81], v[78:79] op_sel:[1,1] op_sel_hi:[0,1]
	s_delay_alu instid0(VALU_DEP_1) | instskip(SKIP_1) | instid1(VALU_DEP_2)
	v_pk_fma_f32 v[84:85], v[80:81], v[78:79], v[82:83] op_sel_hi:[1,0,1]
	v_pk_fma_f32 v[78:79], v[80:81], v[78:79], v[82:83] neg_lo:[0,0,1] neg_hi:[0,0,1]
	v_mov_b32_e32 v79, v85
	s_delay_alu instid0(VALU_DEP_1)
	v_pk_add_f32 v[74:75], v[74:75], v[78:79]
	s_and_not1_b32 exec_lo, exec_lo, s20
	s_cbranch_execnz .LBB34_82
; %bb.83:
	s_or_b32 exec_lo, exec_lo, s20
.LBB34_84:
	s_delay_alu instid0(SALU_CYCLE_1) | instskip(SKIP_4) | instid1(VALU_DEP_1)
	s_or_b32 exec_lo, exec_lo, s19
	v_mov_b32_e32 v76, 0
	ds_load_b64 v[76:77], v76 offset:208
	s_wait_dscnt 0x0
	v_pk_mul_f32 v[78:79], v[74:75], v[76:77] op_sel:[1,1] op_sel_hi:[0,1]
	v_pk_fma_f32 v[80:81], v[74:75], v[76:77], v[78:79] op_sel_hi:[1,0,1]
	v_pk_fma_f32 v[74:75], v[74:75], v[76:77], v[78:79] neg_lo:[0,0,1] neg_hi:[0,0,1]
	s_delay_alu instid0(VALU_DEP_2)
	v_mov_b32_e32 v75, v81
	scratch_store_b64 off, v[74:75], off offset:208
.LBB34_85:
	s_wait_xcnt 0x0
	s_or_b32 exec_lo, exec_lo, s2
	scratch_load_b64 v[74:75], off, off offset:200
	v_cmp_lt_u32_e64 s1, 25, v0
	s_wait_loadcnt 0x0
	ds_store_b64 v1, v[74:75]
	s_wait_storecnt_dscnt 0x0
	s_barrier_signal -1
	s_barrier_wait -1
	s_wait_xcnt 0x0
	s_and_saveexec_b32 s2, s1
	s_cbranch_execz .LBB34_95
; %bb.86:
	s_and_not1_b32 vcc_lo, exec_lo, s3
	s_cbranch_vccnz .LBB34_88
; %bb.87:
	scratch_load_b64 v[74:75], v39, off
	ds_load_b64 v[76:77], v1
	s_wait_loadcnt_dscnt 0x0
	v_pk_mul_f32 v[78:79], v[76:77], v[74:75] op_sel:[1,1] op_sel_hi:[0,1]
	s_delay_alu instid0(VALU_DEP_1) | instskip(SKIP_1) | instid1(VALU_DEP_2)
	v_pk_fma_f32 v[80:81], v[76:77], v[74:75], v[78:79] op_sel_hi:[1,0,1]
	v_pk_fma_f32 v[74:75], v[76:77], v[74:75], v[78:79] neg_lo:[0,0,1] neg_hi:[0,0,1]
	v_mov_b32_e32 v75, v81
	s_cbranch_execz .LBB34_89
	s_branch .LBB34_90
.LBB34_88:
                                        ; implicit-def: $vgpr74_vgpr75
.LBB34_89:
	ds_load_b64 v[74:75], v1
.LBB34_90:
	s_and_saveexec_b32 s19, s0
	s_cbranch_execz .LBB34_94
; %bb.91:
	v_subrev_nc_u32_e32 v76, 26, v0
	s_movk_i32 s20, 0x1f0
	s_mov_b32 s0, 0
.LBB34_92:                              ; =>This Inner Loop Header: Depth=1
	scratch_load_b64 v[78:79], off, s18
	v_dual_mov_b32 v77, s20 :: v_dual_add_nc_u32 v76, -1, v76
	s_add_co_i32 s20, s20, 8
	s_wait_xcnt 0x0
	s_add_co_i32 s18, s18, 8
	ds_load_b64 v[80:81], v77
	v_cmp_eq_u32_e32 vcc_lo, 0, v76
	s_or_b32 s0, vcc_lo, s0
	s_wait_loadcnt_dscnt 0x0
	v_pk_mul_f32 v[82:83], v[80:81], v[78:79] op_sel:[1,1] op_sel_hi:[0,1]
	s_delay_alu instid0(VALU_DEP_1) | instskip(SKIP_1) | instid1(VALU_DEP_2)
	v_pk_fma_f32 v[84:85], v[80:81], v[78:79], v[82:83] op_sel_hi:[1,0,1]
	v_pk_fma_f32 v[78:79], v[80:81], v[78:79], v[82:83] neg_lo:[0,0,1] neg_hi:[0,0,1]
	v_mov_b32_e32 v79, v85
	s_delay_alu instid0(VALU_DEP_1)
	v_pk_add_f32 v[74:75], v[74:75], v[78:79]
	s_and_not1_b32 exec_lo, exec_lo, s0
	s_cbranch_execnz .LBB34_92
; %bb.93:
	s_or_b32 exec_lo, exec_lo, s0
.LBB34_94:
	s_delay_alu instid0(SALU_CYCLE_1) | instskip(SKIP_4) | instid1(VALU_DEP_1)
	s_or_b32 exec_lo, exec_lo, s19
	v_mov_b32_e32 v76, 0
	ds_load_b64 v[76:77], v76 offset:200
	s_wait_dscnt 0x0
	v_pk_mul_f32 v[78:79], v[74:75], v[76:77] op_sel:[1,1] op_sel_hi:[0,1]
	v_pk_fma_f32 v[80:81], v[74:75], v[76:77], v[78:79] op_sel_hi:[1,0,1]
	v_pk_fma_f32 v[74:75], v[74:75], v[76:77], v[78:79] neg_lo:[0,0,1] neg_hi:[0,0,1]
	s_delay_alu instid0(VALU_DEP_2)
	v_mov_b32_e32 v75, v81
	scratch_store_b64 off, v[74:75], off offset:200
.LBB34_95:
	s_wait_xcnt 0x0
	s_or_b32 exec_lo, exec_lo, s2
	scratch_load_b64 v[74:75], off, off offset:192
	v_cmp_lt_u32_e64 s0, 24, v0
	s_wait_loadcnt 0x0
	ds_store_b64 v1, v[74:75]
	s_wait_storecnt_dscnt 0x0
	s_barrier_signal -1
	s_barrier_wait -1
	s_wait_xcnt 0x0
	s_and_saveexec_b32 s2, s0
	s_cbranch_execz .LBB34_105
; %bb.96:
	s_and_not1_b32 vcc_lo, exec_lo, s3
	s_cbranch_vccnz .LBB34_98
; %bb.97:
	scratch_load_b64 v[74:75], v39, off
	ds_load_b64 v[76:77], v1
	s_wait_loadcnt_dscnt 0x0
	v_pk_mul_f32 v[78:79], v[76:77], v[74:75] op_sel:[1,1] op_sel_hi:[0,1]
	s_delay_alu instid0(VALU_DEP_1) | instskip(SKIP_1) | instid1(VALU_DEP_2)
	v_pk_fma_f32 v[80:81], v[76:77], v[74:75], v[78:79] op_sel_hi:[1,0,1]
	v_pk_fma_f32 v[74:75], v[76:77], v[74:75], v[78:79] neg_lo:[0,0,1] neg_hi:[0,0,1]
	v_mov_b32_e32 v75, v81
	s_cbranch_execz .LBB34_99
	s_branch .LBB34_100
.LBB34_98:
                                        ; implicit-def: $vgpr74_vgpr75
.LBB34_99:
	ds_load_b64 v[74:75], v1
.LBB34_100:
	s_and_saveexec_b32 s18, s1
	s_cbranch_execz .LBB34_104
; %bb.101:
	v_subrev_nc_u32_e32 v76, 25, v0
	s_movk_i32 s1, 0xc8
	s_movk_i32 s20, 0x1e8
	s_mov_b32 s19, 0
.LBB34_102:                             ; =>This Inner Loop Header: Depth=1
	scratch_load_b64 v[78:79], off, s1
	v_dual_mov_b32 v77, s20 :: v_dual_add_nc_u32 v76, -1, v76
	s_add_co_i32 s20, s20, 8
	s_wait_xcnt 0x0
	s_add_co_i32 s1, s1, 8
	ds_load_b64 v[80:81], v77
	v_cmp_eq_u32_e32 vcc_lo, 0, v76
	s_or_b32 s19, vcc_lo, s19
	s_wait_loadcnt_dscnt 0x0
	v_pk_mul_f32 v[82:83], v[80:81], v[78:79] op_sel:[1,1] op_sel_hi:[0,1]
	s_delay_alu instid0(VALU_DEP_1) | instskip(SKIP_1) | instid1(VALU_DEP_2)
	v_pk_fma_f32 v[84:85], v[80:81], v[78:79], v[82:83] op_sel_hi:[1,0,1]
	v_pk_fma_f32 v[78:79], v[80:81], v[78:79], v[82:83] neg_lo:[0,0,1] neg_hi:[0,0,1]
	v_mov_b32_e32 v79, v85
	s_delay_alu instid0(VALU_DEP_1)
	v_pk_add_f32 v[74:75], v[74:75], v[78:79]
	s_and_not1_b32 exec_lo, exec_lo, s19
	s_cbranch_execnz .LBB34_102
; %bb.103:
	s_or_b32 exec_lo, exec_lo, s19
.LBB34_104:
	s_delay_alu instid0(SALU_CYCLE_1) | instskip(SKIP_4) | instid1(VALU_DEP_1)
	s_or_b32 exec_lo, exec_lo, s18
	v_mov_b32_e32 v76, 0
	ds_load_b64 v[76:77], v76 offset:192
	s_wait_dscnt 0x0
	v_pk_mul_f32 v[78:79], v[74:75], v[76:77] op_sel:[1,1] op_sel_hi:[0,1]
	v_pk_fma_f32 v[80:81], v[74:75], v[76:77], v[78:79] op_sel_hi:[1,0,1]
	v_pk_fma_f32 v[74:75], v[74:75], v[76:77], v[78:79] neg_lo:[0,0,1] neg_hi:[0,0,1]
	s_delay_alu instid0(VALU_DEP_2)
	v_mov_b32_e32 v75, v81
	scratch_store_b64 off, v[74:75], off offset:192
.LBB34_105:
	s_wait_xcnt 0x0
	s_or_b32 exec_lo, exec_lo, s2
	scratch_load_b64 v[74:75], off, off offset:184
	v_cmp_lt_u32_e64 s1, 23, v0
	s_wait_loadcnt 0x0
	ds_store_b64 v1, v[74:75]
	s_wait_storecnt_dscnt 0x0
	s_barrier_signal -1
	s_barrier_wait -1
	s_wait_xcnt 0x0
	s_and_saveexec_b32 s2, s1
	s_cbranch_execz .LBB34_115
; %bb.106:
	s_and_not1_b32 vcc_lo, exec_lo, s3
	s_cbranch_vccnz .LBB34_108
; %bb.107:
	scratch_load_b64 v[74:75], v39, off
	ds_load_b64 v[76:77], v1
	s_wait_loadcnt_dscnt 0x0
	v_pk_mul_f32 v[78:79], v[76:77], v[74:75] op_sel:[1,1] op_sel_hi:[0,1]
	s_delay_alu instid0(VALU_DEP_1) | instskip(SKIP_1) | instid1(VALU_DEP_2)
	v_pk_fma_f32 v[80:81], v[76:77], v[74:75], v[78:79] op_sel_hi:[1,0,1]
	v_pk_fma_f32 v[74:75], v[76:77], v[74:75], v[78:79] neg_lo:[0,0,1] neg_hi:[0,0,1]
	v_mov_b32_e32 v75, v81
	s_cbranch_execz .LBB34_109
	s_branch .LBB34_110
.LBB34_108:
                                        ; implicit-def: $vgpr74_vgpr75
.LBB34_109:
	ds_load_b64 v[74:75], v1
.LBB34_110:
	s_and_saveexec_b32 s18, s0
	s_cbranch_execz .LBB34_114
; %bb.111:
	v_subrev_nc_u32_e32 v76, 24, v0
	s_movk_i32 s19, 0x1e0
	s_mov_b32 s0, 0
.LBB34_112:                             ; =>This Inner Loop Header: Depth=1
	scratch_load_b64 v[78:79], off, s17
	v_dual_mov_b32 v77, s19 :: v_dual_add_nc_u32 v76, -1, v76
	s_add_co_i32 s19, s19, 8
	s_wait_xcnt 0x0
	s_add_co_i32 s17, s17, 8
	ds_load_b64 v[80:81], v77
	v_cmp_eq_u32_e32 vcc_lo, 0, v76
	s_or_b32 s0, vcc_lo, s0
	s_wait_loadcnt_dscnt 0x0
	v_pk_mul_f32 v[82:83], v[80:81], v[78:79] op_sel:[1,1] op_sel_hi:[0,1]
	s_delay_alu instid0(VALU_DEP_1) | instskip(SKIP_1) | instid1(VALU_DEP_2)
	v_pk_fma_f32 v[84:85], v[80:81], v[78:79], v[82:83] op_sel_hi:[1,0,1]
	v_pk_fma_f32 v[78:79], v[80:81], v[78:79], v[82:83] neg_lo:[0,0,1] neg_hi:[0,0,1]
	v_mov_b32_e32 v79, v85
	s_delay_alu instid0(VALU_DEP_1)
	v_pk_add_f32 v[74:75], v[74:75], v[78:79]
	s_and_not1_b32 exec_lo, exec_lo, s0
	s_cbranch_execnz .LBB34_112
; %bb.113:
	s_or_b32 exec_lo, exec_lo, s0
.LBB34_114:
	s_delay_alu instid0(SALU_CYCLE_1) | instskip(SKIP_4) | instid1(VALU_DEP_1)
	s_or_b32 exec_lo, exec_lo, s18
	v_mov_b32_e32 v76, 0
	ds_load_b64 v[76:77], v76 offset:184
	s_wait_dscnt 0x0
	v_pk_mul_f32 v[78:79], v[74:75], v[76:77] op_sel:[1,1] op_sel_hi:[0,1]
	v_pk_fma_f32 v[80:81], v[74:75], v[76:77], v[78:79] op_sel_hi:[1,0,1]
	v_pk_fma_f32 v[74:75], v[74:75], v[76:77], v[78:79] neg_lo:[0,0,1] neg_hi:[0,0,1]
	s_delay_alu instid0(VALU_DEP_2)
	v_mov_b32_e32 v75, v81
	scratch_store_b64 off, v[74:75], off offset:184
.LBB34_115:
	s_wait_xcnt 0x0
	s_or_b32 exec_lo, exec_lo, s2
	scratch_load_b64 v[74:75], off, off offset:176
	v_cmp_lt_u32_e64 s0, 22, v0
	s_wait_loadcnt 0x0
	ds_store_b64 v1, v[74:75]
	s_wait_storecnt_dscnt 0x0
	s_barrier_signal -1
	s_barrier_wait -1
	s_wait_xcnt 0x0
	s_and_saveexec_b32 s2, s0
	s_cbranch_execz .LBB34_125
; %bb.116:
	s_and_not1_b32 vcc_lo, exec_lo, s3
	s_cbranch_vccnz .LBB34_118
; %bb.117:
	scratch_load_b64 v[74:75], v39, off
	ds_load_b64 v[76:77], v1
	s_wait_loadcnt_dscnt 0x0
	v_pk_mul_f32 v[78:79], v[76:77], v[74:75] op_sel:[1,1] op_sel_hi:[0,1]
	s_delay_alu instid0(VALU_DEP_1) | instskip(SKIP_1) | instid1(VALU_DEP_2)
	v_pk_fma_f32 v[80:81], v[76:77], v[74:75], v[78:79] op_sel_hi:[1,0,1]
	v_pk_fma_f32 v[74:75], v[76:77], v[74:75], v[78:79] neg_lo:[0,0,1] neg_hi:[0,0,1]
	v_mov_b32_e32 v75, v81
	s_cbranch_execz .LBB34_119
	s_branch .LBB34_120
.LBB34_118:
                                        ; implicit-def: $vgpr74_vgpr75
.LBB34_119:
	ds_load_b64 v[74:75], v1
.LBB34_120:
	s_and_saveexec_b32 s17, s1
	s_cbranch_execz .LBB34_124
; %bb.121:
	v_subrev_nc_u32_e32 v76, 23, v0
	s_movk_i32 s1, 0xb8
	s_movk_i32 s19, 0x1d8
	s_mov_b32 s18, 0
.LBB34_122:                             ; =>This Inner Loop Header: Depth=1
	scratch_load_b64 v[78:79], off, s1
	v_dual_mov_b32 v77, s19 :: v_dual_add_nc_u32 v76, -1, v76
	s_add_co_i32 s19, s19, 8
	s_wait_xcnt 0x0
	s_add_co_i32 s1, s1, 8
	ds_load_b64 v[80:81], v77
	v_cmp_eq_u32_e32 vcc_lo, 0, v76
	s_or_b32 s18, vcc_lo, s18
	s_wait_loadcnt_dscnt 0x0
	v_pk_mul_f32 v[82:83], v[80:81], v[78:79] op_sel:[1,1] op_sel_hi:[0,1]
	s_delay_alu instid0(VALU_DEP_1) | instskip(SKIP_1) | instid1(VALU_DEP_2)
	v_pk_fma_f32 v[84:85], v[80:81], v[78:79], v[82:83] op_sel_hi:[1,0,1]
	v_pk_fma_f32 v[78:79], v[80:81], v[78:79], v[82:83] neg_lo:[0,0,1] neg_hi:[0,0,1]
	v_mov_b32_e32 v79, v85
	s_delay_alu instid0(VALU_DEP_1)
	v_pk_add_f32 v[74:75], v[74:75], v[78:79]
	s_and_not1_b32 exec_lo, exec_lo, s18
	s_cbranch_execnz .LBB34_122
; %bb.123:
	s_or_b32 exec_lo, exec_lo, s18
.LBB34_124:
	s_delay_alu instid0(SALU_CYCLE_1) | instskip(SKIP_4) | instid1(VALU_DEP_1)
	s_or_b32 exec_lo, exec_lo, s17
	v_mov_b32_e32 v76, 0
	ds_load_b64 v[76:77], v76 offset:176
	s_wait_dscnt 0x0
	v_pk_mul_f32 v[78:79], v[74:75], v[76:77] op_sel:[1,1] op_sel_hi:[0,1]
	v_pk_fma_f32 v[80:81], v[74:75], v[76:77], v[78:79] op_sel_hi:[1,0,1]
	v_pk_fma_f32 v[74:75], v[74:75], v[76:77], v[78:79] neg_lo:[0,0,1] neg_hi:[0,0,1]
	s_delay_alu instid0(VALU_DEP_2)
	v_mov_b32_e32 v75, v81
	scratch_store_b64 off, v[74:75], off offset:176
.LBB34_125:
	s_wait_xcnt 0x0
	s_or_b32 exec_lo, exec_lo, s2
	scratch_load_b64 v[74:75], off, off offset:168
	v_cmp_lt_u32_e64 s1, 21, v0
	s_wait_loadcnt 0x0
	ds_store_b64 v1, v[74:75]
	s_wait_storecnt_dscnt 0x0
	s_barrier_signal -1
	s_barrier_wait -1
	s_wait_xcnt 0x0
	s_and_saveexec_b32 s2, s1
	s_cbranch_execz .LBB34_135
; %bb.126:
	s_and_not1_b32 vcc_lo, exec_lo, s3
	s_cbranch_vccnz .LBB34_128
; %bb.127:
	scratch_load_b64 v[74:75], v39, off
	ds_load_b64 v[76:77], v1
	s_wait_loadcnt_dscnt 0x0
	v_pk_mul_f32 v[78:79], v[76:77], v[74:75] op_sel:[1,1] op_sel_hi:[0,1]
	s_delay_alu instid0(VALU_DEP_1) | instskip(SKIP_1) | instid1(VALU_DEP_2)
	v_pk_fma_f32 v[80:81], v[76:77], v[74:75], v[78:79] op_sel_hi:[1,0,1]
	v_pk_fma_f32 v[74:75], v[76:77], v[74:75], v[78:79] neg_lo:[0,0,1] neg_hi:[0,0,1]
	v_mov_b32_e32 v75, v81
	s_cbranch_execz .LBB34_129
	s_branch .LBB34_130
.LBB34_128:
                                        ; implicit-def: $vgpr74_vgpr75
.LBB34_129:
	ds_load_b64 v[74:75], v1
.LBB34_130:
	s_and_saveexec_b32 s17, s0
	s_cbranch_execz .LBB34_134
; %bb.131:
	v_subrev_nc_u32_e32 v76, 22, v0
	s_movk_i32 s18, 0x1d0
	s_mov_b32 s0, 0
.LBB34_132:                             ; =>This Inner Loop Header: Depth=1
	scratch_load_b64 v[78:79], off, s16
	v_dual_mov_b32 v77, s18 :: v_dual_add_nc_u32 v76, -1, v76
	s_add_co_i32 s18, s18, 8
	s_wait_xcnt 0x0
	s_add_co_i32 s16, s16, 8
	ds_load_b64 v[80:81], v77
	v_cmp_eq_u32_e32 vcc_lo, 0, v76
	s_or_b32 s0, vcc_lo, s0
	s_wait_loadcnt_dscnt 0x0
	v_pk_mul_f32 v[82:83], v[80:81], v[78:79] op_sel:[1,1] op_sel_hi:[0,1]
	s_delay_alu instid0(VALU_DEP_1) | instskip(SKIP_1) | instid1(VALU_DEP_2)
	v_pk_fma_f32 v[84:85], v[80:81], v[78:79], v[82:83] op_sel_hi:[1,0,1]
	v_pk_fma_f32 v[78:79], v[80:81], v[78:79], v[82:83] neg_lo:[0,0,1] neg_hi:[0,0,1]
	v_mov_b32_e32 v79, v85
	s_delay_alu instid0(VALU_DEP_1)
	v_pk_add_f32 v[74:75], v[74:75], v[78:79]
	s_and_not1_b32 exec_lo, exec_lo, s0
	s_cbranch_execnz .LBB34_132
; %bb.133:
	s_or_b32 exec_lo, exec_lo, s0
.LBB34_134:
	s_delay_alu instid0(SALU_CYCLE_1) | instskip(SKIP_4) | instid1(VALU_DEP_1)
	s_or_b32 exec_lo, exec_lo, s17
	v_mov_b32_e32 v76, 0
	ds_load_b64 v[76:77], v76 offset:168
	s_wait_dscnt 0x0
	v_pk_mul_f32 v[78:79], v[74:75], v[76:77] op_sel:[1,1] op_sel_hi:[0,1]
	v_pk_fma_f32 v[80:81], v[74:75], v[76:77], v[78:79] op_sel_hi:[1,0,1]
	v_pk_fma_f32 v[74:75], v[74:75], v[76:77], v[78:79] neg_lo:[0,0,1] neg_hi:[0,0,1]
	s_delay_alu instid0(VALU_DEP_2)
	v_mov_b32_e32 v75, v81
	scratch_store_b64 off, v[74:75], off offset:168
.LBB34_135:
	s_wait_xcnt 0x0
	s_or_b32 exec_lo, exec_lo, s2
	scratch_load_b64 v[74:75], off, off offset:160
	v_cmp_lt_u32_e64 s0, 20, v0
	s_wait_loadcnt 0x0
	ds_store_b64 v1, v[74:75]
	s_wait_storecnt_dscnt 0x0
	s_barrier_signal -1
	s_barrier_wait -1
	s_wait_xcnt 0x0
	s_and_saveexec_b32 s2, s0
	s_cbranch_execz .LBB34_145
; %bb.136:
	s_and_not1_b32 vcc_lo, exec_lo, s3
	s_cbranch_vccnz .LBB34_138
; %bb.137:
	scratch_load_b64 v[74:75], v39, off
	ds_load_b64 v[76:77], v1
	s_wait_loadcnt_dscnt 0x0
	v_pk_mul_f32 v[78:79], v[76:77], v[74:75] op_sel:[1,1] op_sel_hi:[0,1]
	s_delay_alu instid0(VALU_DEP_1) | instskip(SKIP_1) | instid1(VALU_DEP_2)
	v_pk_fma_f32 v[80:81], v[76:77], v[74:75], v[78:79] op_sel_hi:[1,0,1]
	v_pk_fma_f32 v[74:75], v[76:77], v[74:75], v[78:79] neg_lo:[0,0,1] neg_hi:[0,0,1]
	v_mov_b32_e32 v75, v81
	s_cbranch_execz .LBB34_139
	s_branch .LBB34_140
.LBB34_138:
                                        ; implicit-def: $vgpr74_vgpr75
.LBB34_139:
	ds_load_b64 v[74:75], v1
.LBB34_140:
	s_and_saveexec_b32 s16, s1
	s_cbranch_execz .LBB34_144
; %bb.141:
	v_subrev_nc_u32_e32 v76, 21, v0
	s_movk_i32 s1, 0xa8
	s_movk_i32 s18, 0x1c8
	s_mov_b32 s17, 0
.LBB34_142:                             ; =>This Inner Loop Header: Depth=1
	scratch_load_b64 v[78:79], off, s1
	v_dual_mov_b32 v77, s18 :: v_dual_add_nc_u32 v76, -1, v76
	s_add_co_i32 s18, s18, 8
	s_wait_xcnt 0x0
	s_add_co_i32 s1, s1, 8
	ds_load_b64 v[80:81], v77
	v_cmp_eq_u32_e32 vcc_lo, 0, v76
	s_or_b32 s17, vcc_lo, s17
	s_wait_loadcnt_dscnt 0x0
	v_pk_mul_f32 v[82:83], v[80:81], v[78:79] op_sel:[1,1] op_sel_hi:[0,1]
	s_delay_alu instid0(VALU_DEP_1) | instskip(SKIP_1) | instid1(VALU_DEP_2)
	v_pk_fma_f32 v[84:85], v[80:81], v[78:79], v[82:83] op_sel_hi:[1,0,1]
	v_pk_fma_f32 v[78:79], v[80:81], v[78:79], v[82:83] neg_lo:[0,0,1] neg_hi:[0,0,1]
	v_mov_b32_e32 v79, v85
	s_delay_alu instid0(VALU_DEP_1)
	v_pk_add_f32 v[74:75], v[74:75], v[78:79]
	s_and_not1_b32 exec_lo, exec_lo, s17
	s_cbranch_execnz .LBB34_142
; %bb.143:
	s_or_b32 exec_lo, exec_lo, s17
.LBB34_144:
	s_delay_alu instid0(SALU_CYCLE_1) | instskip(SKIP_4) | instid1(VALU_DEP_1)
	s_or_b32 exec_lo, exec_lo, s16
	v_mov_b32_e32 v76, 0
	ds_load_b64 v[76:77], v76 offset:160
	s_wait_dscnt 0x0
	v_pk_mul_f32 v[78:79], v[74:75], v[76:77] op_sel:[1,1] op_sel_hi:[0,1]
	v_pk_fma_f32 v[80:81], v[74:75], v[76:77], v[78:79] op_sel_hi:[1,0,1]
	v_pk_fma_f32 v[74:75], v[74:75], v[76:77], v[78:79] neg_lo:[0,0,1] neg_hi:[0,0,1]
	s_delay_alu instid0(VALU_DEP_2)
	v_mov_b32_e32 v75, v81
	scratch_store_b64 off, v[74:75], off offset:160
.LBB34_145:
	s_wait_xcnt 0x0
	s_or_b32 exec_lo, exec_lo, s2
	scratch_load_b64 v[74:75], off, off offset:152
	v_cmp_lt_u32_e64 s1, 19, v0
	s_wait_loadcnt 0x0
	ds_store_b64 v1, v[74:75]
	s_wait_storecnt_dscnt 0x0
	s_barrier_signal -1
	s_barrier_wait -1
	s_wait_xcnt 0x0
	s_and_saveexec_b32 s2, s1
	s_cbranch_execz .LBB34_155
; %bb.146:
	s_and_not1_b32 vcc_lo, exec_lo, s3
	s_cbranch_vccnz .LBB34_148
; %bb.147:
	scratch_load_b64 v[74:75], v39, off
	ds_load_b64 v[76:77], v1
	s_wait_loadcnt_dscnt 0x0
	v_pk_mul_f32 v[78:79], v[76:77], v[74:75] op_sel:[1,1] op_sel_hi:[0,1]
	s_delay_alu instid0(VALU_DEP_1) | instskip(SKIP_1) | instid1(VALU_DEP_2)
	v_pk_fma_f32 v[80:81], v[76:77], v[74:75], v[78:79] op_sel_hi:[1,0,1]
	v_pk_fma_f32 v[74:75], v[76:77], v[74:75], v[78:79] neg_lo:[0,0,1] neg_hi:[0,0,1]
	v_mov_b32_e32 v75, v81
	s_cbranch_execz .LBB34_149
	s_branch .LBB34_150
.LBB34_148:
                                        ; implicit-def: $vgpr74_vgpr75
.LBB34_149:
	ds_load_b64 v[74:75], v1
.LBB34_150:
	s_and_saveexec_b32 s16, s0
	s_cbranch_execz .LBB34_154
; %bb.151:
	v_subrev_nc_u32_e32 v76, 20, v0
	s_movk_i32 s17, 0x1c0
	s_mov_b32 s0, 0
.LBB34_152:                             ; =>This Inner Loop Header: Depth=1
	scratch_load_b64 v[78:79], off, s15
	v_dual_mov_b32 v77, s17 :: v_dual_add_nc_u32 v76, -1, v76
	s_add_co_i32 s17, s17, 8
	s_wait_xcnt 0x0
	s_add_co_i32 s15, s15, 8
	ds_load_b64 v[80:81], v77
	v_cmp_eq_u32_e32 vcc_lo, 0, v76
	s_or_b32 s0, vcc_lo, s0
	s_wait_loadcnt_dscnt 0x0
	v_pk_mul_f32 v[82:83], v[80:81], v[78:79] op_sel:[1,1] op_sel_hi:[0,1]
	s_delay_alu instid0(VALU_DEP_1) | instskip(SKIP_1) | instid1(VALU_DEP_2)
	v_pk_fma_f32 v[84:85], v[80:81], v[78:79], v[82:83] op_sel_hi:[1,0,1]
	v_pk_fma_f32 v[78:79], v[80:81], v[78:79], v[82:83] neg_lo:[0,0,1] neg_hi:[0,0,1]
	v_mov_b32_e32 v79, v85
	s_delay_alu instid0(VALU_DEP_1)
	v_pk_add_f32 v[74:75], v[74:75], v[78:79]
	s_and_not1_b32 exec_lo, exec_lo, s0
	s_cbranch_execnz .LBB34_152
; %bb.153:
	s_or_b32 exec_lo, exec_lo, s0
.LBB34_154:
	s_delay_alu instid0(SALU_CYCLE_1) | instskip(SKIP_4) | instid1(VALU_DEP_1)
	s_or_b32 exec_lo, exec_lo, s16
	v_mov_b32_e32 v76, 0
	ds_load_b64 v[76:77], v76 offset:152
	s_wait_dscnt 0x0
	v_pk_mul_f32 v[78:79], v[74:75], v[76:77] op_sel:[1,1] op_sel_hi:[0,1]
	v_pk_fma_f32 v[80:81], v[74:75], v[76:77], v[78:79] op_sel_hi:[1,0,1]
	v_pk_fma_f32 v[74:75], v[74:75], v[76:77], v[78:79] neg_lo:[0,0,1] neg_hi:[0,0,1]
	s_delay_alu instid0(VALU_DEP_2)
	v_mov_b32_e32 v75, v81
	scratch_store_b64 off, v[74:75], off offset:152
.LBB34_155:
	s_wait_xcnt 0x0
	s_or_b32 exec_lo, exec_lo, s2
	scratch_load_b64 v[74:75], off, off offset:144
	v_cmp_lt_u32_e64 s0, 18, v0
	s_wait_loadcnt 0x0
	ds_store_b64 v1, v[74:75]
	s_wait_storecnt_dscnt 0x0
	s_barrier_signal -1
	s_barrier_wait -1
	s_wait_xcnt 0x0
	s_and_saveexec_b32 s2, s0
	s_cbranch_execz .LBB34_165
; %bb.156:
	s_and_not1_b32 vcc_lo, exec_lo, s3
	s_cbranch_vccnz .LBB34_158
; %bb.157:
	scratch_load_b64 v[74:75], v39, off
	ds_load_b64 v[76:77], v1
	s_wait_loadcnt_dscnt 0x0
	v_pk_mul_f32 v[78:79], v[76:77], v[74:75] op_sel:[1,1] op_sel_hi:[0,1]
	s_delay_alu instid0(VALU_DEP_1) | instskip(SKIP_1) | instid1(VALU_DEP_2)
	v_pk_fma_f32 v[80:81], v[76:77], v[74:75], v[78:79] op_sel_hi:[1,0,1]
	v_pk_fma_f32 v[74:75], v[76:77], v[74:75], v[78:79] neg_lo:[0,0,1] neg_hi:[0,0,1]
	v_mov_b32_e32 v75, v81
	s_cbranch_execz .LBB34_159
	s_branch .LBB34_160
.LBB34_158:
                                        ; implicit-def: $vgpr74_vgpr75
.LBB34_159:
	ds_load_b64 v[74:75], v1
.LBB34_160:
	s_and_saveexec_b32 s15, s1
	s_cbranch_execz .LBB34_164
; %bb.161:
	v_subrev_nc_u32_e32 v76, 19, v0
	s_movk_i32 s1, 0x98
	s_movk_i32 s17, 0x1b8
	s_mov_b32 s16, 0
.LBB34_162:                             ; =>This Inner Loop Header: Depth=1
	scratch_load_b64 v[78:79], off, s1
	v_dual_mov_b32 v77, s17 :: v_dual_add_nc_u32 v76, -1, v76
	s_add_co_i32 s17, s17, 8
	s_wait_xcnt 0x0
	s_add_co_i32 s1, s1, 8
	ds_load_b64 v[80:81], v77
	v_cmp_eq_u32_e32 vcc_lo, 0, v76
	s_or_b32 s16, vcc_lo, s16
	s_wait_loadcnt_dscnt 0x0
	v_pk_mul_f32 v[82:83], v[80:81], v[78:79] op_sel:[1,1] op_sel_hi:[0,1]
	s_delay_alu instid0(VALU_DEP_1) | instskip(SKIP_1) | instid1(VALU_DEP_2)
	v_pk_fma_f32 v[84:85], v[80:81], v[78:79], v[82:83] op_sel_hi:[1,0,1]
	v_pk_fma_f32 v[78:79], v[80:81], v[78:79], v[82:83] neg_lo:[0,0,1] neg_hi:[0,0,1]
	v_mov_b32_e32 v79, v85
	s_delay_alu instid0(VALU_DEP_1)
	v_pk_add_f32 v[74:75], v[74:75], v[78:79]
	s_and_not1_b32 exec_lo, exec_lo, s16
	s_cbranch_execnz .LBB34_162
; %bb.163:
	s_or_b32 exec_lo, exec_lo, s16
.LBB34_164:
	s_delay_alu instid0(SALU_CYCLE_1) | instskip(SKIP_4) | instid1(VALU_DEP_1)
	s_or_b32 exec_lo, exec_lo, s15
	v_mov_b32_e32 v76, 0
	ds_load_b64 v[76:77], v76 offset:144
	s_wait_dscnt 0x0
	v_pk_mul_f32 v[78:79], v[74:75], v[76:77] op_sel:[1,1] op_sel_hi:[0,1]
	v_pk_fma_f32 v[80:81], v[74:75], v[76:77], v[78:79] op_sel_hi:[1,0,1]
	v_pk_fma_f32 v[74:75], v[74:75], v[76:77], v[78:79] neg_lo:[0,0,1] neg_hi:[0,0,1]
	s_delay_alu instid0(VALU_DEP_2)
	v_mov_b32_e32 v75, v81
	scratch_store_b64 off, v[74:75], off offset:144
.LBB34_165:
	s_wait_xcnt 0x0
	s_or_b32 exec_lo, exec_lo, s2
	scratch_load_b64 v[74:75], off, off offset:136
	v_cmp_lt_u32_e64 s1, 17, v0
	s_wait_loadcnt 0x0
	ds_store_b64 v1, v[74:75]
	s_wait_storecnt_dscnt 0x0
	s_barrier_signal -1
	s_barrier_wait -1
	s_wait_xcnt 0x0
	s_and_saveexec_b32 s2, s1
	s_cbranch_execz .LBB34_175
; %bb.166:
	s_and_not1_b32 vcc_lo, exec_lo, s3
	s_cbranch_vccnz .LBB34_168
; %bb.167:
	scratch_load_b64 v[74:75], v39, off
	ds_load_b64 v[76:77], v1
	s_wait_loadcnt_dscnt 0x0
	v_pk_mul_f32 v[78:79], v[76:77], v[74:75] op_sel:[1,1] op_sel_hi:[0,1]
	s_delay_alu instid0(VALU_DEP_1) | instskip(SKIP_1) | instid1(VALU_DEP_2)
	v_pk_fma_f32 v[80:81], v[76:77], v[74:75], v[78:79] op_sel_hi:[1,0,1]
	v_pk_fma_f32 v[74:75], v[76:77], v[74:75], v[78:79] neg_lo:[0,0,1] neg_hi:[0,0,1]
	v_mov_b32_e32 v75, v81
	s_cbranch_execz .LBB34_169
	s_branch .LBB34_170
.LBB34_168:
                                        ; implicit-def: $vgpr74_vgpr75
.LBB34_169:
	ds_load_b64 v[74:75], v1
.LBB34_170:
	s_and_saveexec_b32 s15, s0
	s_cbranch_execz .LBB34_174
; %bb.171:
	v_subrev_nc_u32_e32 v76, 18, v0
	s_movk_i32 s16, 0x1b0
	s_mov_b32 s0, 0
.LBB34_172:                             ; =>This Inner Loop Header: Depth=1
	scratch_load_b64 v[78:79], off, s14
	v_dual_mov_b32 v77, s16 :: v_dual_add_nc_u32 v76, -1, v76
	s_add_co_i32 s16, s16, 8
	s_wait_xcnt 0x0
	s_add_co_i32 s14, s14, 8
	ds_load_b64 v[80:81], v77
	v_cmp_eq_u32_e32 vcc_lo, 0, v76
	s_or_b32 s0, vcc_lo, s0
	s_wait_loadcnt_dscnt 0x0
	v_pk_mul_f32 v[82:83], v[80:81], v[78:79] op_sel:[1,1] op_sel_hi:[0,1]
	s_delay_alu instid0(VALU_DEP_1) | instskip(SKIP_1) | instid1(VALU_DEP_2)
	v_pk_fma_f32 v[84:85], v[80:81], v[78:79], v[82:83] op_sel_hi:[1,0,1]
	v_pk_fma_f32 v[78:79], v[80:81], v[78:79], v[82:83] neg_lo:[0,0,1] neg_hi:[0,0,1]
	v_mov_b32_e32 v79, v85
	s_delay_alu instid0(VALU_DEP_1)
	v_pk_add_f32 v[74:75], v[74:75], v[78:79]
	s_and_not1_b32 exec_lo, exec_lo, s0
	s_cbranch_execnz .LBB34_172
; %bb.173:
	s_or_b32 exec_lo, exec_lo, s0
.LBB34_174:
	s_delay_alu instid0(SALU_CYCLE_1) | instskip(SKIP_4) | instid1(VALU_DEP_1)
	s_or_b32 exec_lo, exec_lo, s15
	v_mov_b32_e32 v76, 0
	ds_load_b64 v[76:77], v76 offset:136
	s_wait_dscnt 0x0
	v_pk_mul_f32 v[78:79], v[74:75], v[76:77] op_sel:[1,1] op_sel_hi:[0,1]
	v_pk_fma_f32 v[80:81], v[74:75], v[76:77], v[78:79] op_sel_hi:[1,0,1]
	v_pk_fma_f32 v[74:75], v[74:75], v[76:77], v[78:79] neg_lo:[0,0,1] neg_hi:[0,0,1]
	s_delay_alu instid0(VALU_DEP_2)
	v_mov_b32_e32 v75, v81
	scratch_store_b64 off, v[74:75], off offset:136
.LBB34_175:
	s_wait_xcnt 0x0
	s_or_b32 exec_lo, exec_lo, s2
	scratch_load_b64 v[74:75], off, off offset:128
	v_cmp_lt_u32_e64 s0, 16, v0
	s_wait_loadcnt 0x0
	ds_store_b64 v1, v[74:75]
	s_wait_storecnt_dscnt 0x0
	s_barrier_signal -1
	s_barrier_wait -1
	s_wait_xcnt 0x0
	s_and_saveexec_b32 s2, s0
	s_cbranch_execz .LBB34_185
; %bb.176:
	s_and_not1_b32 vcc_lo, exec_lo, s3
	s_cbranch_vccnz .LBB34_178
; %bb.177:
	scratch_load_b64 v[74:75], v39, off
	ds_load_b64 v[76:77], v1
	s_wait_loadcnt_dscnt 0x0
	v_pk_mul_f32 v[78:79], v[76:77], v[74:75] op_sel:[1,1] op_sel_hi:[0,1]
	s_delay_alu instid0(VALU_DEP_1) | instskip(SKIP_1) | instid1(VALU_DEP_2)
	v_pk_fma_f32 v[80:81], v[76:77], v[74:75], v[78:79] op_sel_hi:[1,0,1]
	v_pk_fma_f32 v[74:75], v[76:77], v[74:75], v[78:79] neg_lo:[0,0,1] neg_hi:[0,0,1]
	v_mov_b32_e32 v75, v81
	s_cbranch_execz .LBB34_179
	s_branch .LBB34_180
.LBB34_178:
                                        ; implicit-def: $vgpr74_vgpr75
.LBB34_179:
	ds_load_b64 v[74:75], v1
.LBB34_180:
	s_and_saveexec_b32 s14, s1
	s_cbranch_execz .LBB34_184
; %bb.181:
	v_subrev_nc_u32_e32 v76, 17, v0
	s_movk_i32 s1, 0x88
	s_movk_i32 s16, 0x1a8
	s_mov_b32 s15, 0
.LBB34_182:                             ; =>This Inner Loop Header: Depth=1
	scratch_load_b64 v[78:79], off, s1
	v_dual_mov_b32 v77, s16 :: v_dual_add_nc_u32 v76, -1, v76
	s_add_co_i32 s16, s16, 8
	s_wait_xcnt 0x0
	s_add_co_i32 s1, s1, 8
	ds_load_b64 v[80:81], v77
	v_cmp_eq_u32_e32 vcc_lo, 0, v76
	s_or_b32 s15, vcc_lo, s15
	s_wait_loadcnt_dscnt 0x0
	v_pk_mul_f32 v[82:83], v[80:81], v[78:79] op_sel:[1,1] op_sel_hi:[0,1]
	s_delay_alu instid0(VALU_DEP_1) | instskip(SKIP_1) | instid1(VALU_DEP_2)
	v_pk_fma_f32 v[84:85], v[80:81], v[78:79], v[82:83] op_sel_hi:[1,0,1]
	v_pk_fma_f32 v[78:79], v[80:81], v[78:79], v[82:83] neg_lo:[0,0,1] neg_hi:[0,0,1]
	v_mov_b32_e32 v79, v85
	s_delay_alu instid0(VALU_DEP_1)
	v_pk_add_f32 v[74:75], v[74:75], v[78:79]
	s_and_not1_b32 exec_lo, exec_lo, s15
	s_cbranch_execnz .LBB34_182
; %bb.183:
	s_or_b32 exec_lo, exec_lo, s15
.LBB34_184:
	s_delay_alu instid0(SALU_CYCLE_1) | instskip(SKIP_4) | instid1(VALU_DEP_1)
	s_or_b32 exec_lo, exec_lo, s14
	v_mov_b32_e32 v76, 0
	ds_load_b64 v[76:77], v76 offset:128
	s_wait_dscnt 0x0
	v_pk_mul_f32 v[78:79], v[74:75], v[76:77] op_sel:[1,1] op_sel_hi:[0,1]
	v_pk_fma_f32 v[80:81], v[74:75], v[76:77], v[78:79] op_sel_hi:[1,0,1]
	v_pk_fma_f32 v[74:75], v[74:75], v[76:77], v[78:79] neg_lo:[0,0,1] neg_hi:[0,0,1]
	s_delay_alu instid0(VALU_DEP_2)
	v_mov_b32_e32 v75, v81
	scratch_store_b64 off, v[74:75], off offset:128
.LBB34_185:
	s_wait_xcnt 0x0
	s_or_b32 exec_lo, exec_lo, s2
	scratch_load_b64 v[74:75], off, off offset:120
	v_cmp_lt_u32_e64 s1, 15, v0
	s_wait_loadcnt 0x0
	ds_store_b64 v1, v[74:75]
	s_wait_storecnt_dscnt 0x0
	s_barrier_signal -1
	s_barrier_wait -1
	s_wait_xcnt 0x0
	s_and_saveexec_b32 s2, s1
	s_cbranch_execz .LBB34_195
; %bb.186:
	s_and_not1_b32 vcc_lo, exec_lo, s3
	s_cbranch_vccnz .LBB34_188
; %bb.187:
	scratch_load_b64 v[74:75], v39, off
	ds_load_b64 v[76:77], v1
	s_wait_loadcnt_dscnt 0x0
	v_pk_mul_f32 v[78:79], v[76:77], v[74:75] op_sel:[1,1] op_sel_hi:[0,1]
	s_delay_alu instid0(VALU_DEP_1) | instskip(SKIP_1) | instid1(VALU_DEP_2)
	v_pk_fma_f32 v[80:81], v[76:77], v[74:75], v[78:79] op_sel_hi:[1,0,1]
	v_pk_fma_f32 v[74:75], v[76:77], v[74:75], v[78:79] neg_lo:[0,0,1] neg_hi:[0,0,1]
	v_mov_b32_e32 v75, v81
	s_cbranch_execz .LBB34_189
	s_branch .LBB34_190
.LBB34_188:
                                        ; implicit-def: $vgpr74_vgpr75
.LBB34_189:
	ds_load_b64 v[74:75], v1
.LBB34_190:
	s_and_saveexec_b32 s14, s0
	s_cbranch_execz .LBB34_194
; %bb.191:
	v_add_nc_u32_e32 v76, -16, v0
	s_movk_i32 s15, 0x1a0
	s_mov_b32 s0, 0
.LBB34_192:                             ; =>This Inner Loop Header: Depth=1
	scratch_load_b64 v[78:79], off, s13
	v_dual_mov_b32 v77, s15 :: v_dual_add_nc_u32 v76, -1, v76
	s_add_co_i32 s15, s15, 8
	s_wait_xcnt 0x0
	s_add_co_i32 s13, s13, 8
	ds_load_b64 v[80:81], v77
	v_cmp_eq_u32_e32 vcc_lo, 0, v76
	s_or_b32 s0, vcc_lo, s0
	s_wait_loadcnt_dscnt 0x0
	v_pk_mul_f32 v[82:83], v[80:81], v[78:79] op_sel:[1,1] op_sel_hi:[0,1]
	s_delay_alu instid0(VALU_DEP_1) | instskip(SKIP_1) | instid1(VALU_DEP_2)
	v_pk_fma_f32 v[84:85], v[80:81], v[78:79], v[82:83] op_sel_hi:[1,0,1]
	v_pk_fma_f32 v[78:79], v[80:81], v[78:79], v[82:83] neg_lo:[0,0,1] neg_hi:[0,0,1]
	v_mov_b32_e32 v79, v85
	s_delay_alu instid0(VALU_DEP_1)
	v_pk_add_f32 v[74:75], v[74:75], v[78:79]
	s_and_not1_b32 exec_lo, exec_lo, s0
	s_cbranch_execnz .LBB34_192
; %bb.193:
	s_or_b32 exec_lo, exec_lo, s0
.LBB34_194:
	s_delay_alu instid0(SALU_CYCLE_1) | instskip(SKIP_4) | instid1(VALU_DEP_1)
	s_or_b32 exec_lo, exec_lo, s14
	v_mov_b32_e32 v76, 0
	ds_load_b64 v[76:77], v76 offset:120
	s_wait_dscnt 0x0
	v_pk_mul_f32 v[78:79], v[74:75], v[76:77] op_sel:[1,1] op_sel_hi:[0,1]
	v_pk_fma_f32 v[80:81], v[74:75], v[76:77], v[78:79] op_sel_hi:[1,0,1]
	v_pk_fma_f32 v[74:75], v[74:75], v[76:77], v[78:79] neg_lo:[0,0,1] neg_hi:[0,0,1]
	s_delay_alu instid0(VALU_DEP_2)
	v_mov_b32_e32 v75, v81
	scratch_store_b64 off, v[74:75], off offset:120
.LBB34_195:
	s_wait_xcnt 0x0
	s_or_b32 exec_lo, exec_lo, s2
	scratch_load_b64 v[74:75], off, off offset:112
	v_cmp_lt_u32_e64 s0, 14, v0
	s_wait_loadcnt 0x0
	ds_store_b64 v1, v[74:75]
	s_wait_storecnt_dscnt 0x0
	s_barrier_signal -1
	s_barrier_wait -1
	s_wait_xcnt 0x0
	s_and_saveexec_b32 s2, s0
	s_cbranch_execz .LBB34_205
; %bb.196:
	s_and_not1_b32 vcc_lo, exec_lo, s3
	s_cbranch_vccnz .LBB34_198
; %bb.197:
	scratch_load_b64 v[74:75], v39, off
	ds_load_b64 v[76:77], v1
	s_wait_loadcnt_dscnt 0x0
	v_pk_mul_f32 v[78:79], v[76:77], v[74:75] op_sel:[1,1] op_sel_hi:[0,1]
	s_delay_alu instid0(VALU_DEP_1) | instskip(SKIP_1) | instid1(VALU_DEP_2)
	v_pk_fma_f32 v[80:81], v[76:77], v[74:75], v[78:79] op_sel_hi:[1,0,1]
	v_pk_fma_f32 v[74:75], v[76:77], v[74:75], v[78:79] neg_lo:[0,0,1] neg_hi:[0,0,1]
	v_mov_b32_e32 v75, v81
	s_cbranch_execz .LBB34_199
	s_branch .LBB34_200
.LBB34_198:
                                        ; implicit-def: $vgpr74_vgpr75
.LBB34_199:
	ds_load_b64 v[74:75], v1
.LBB34_200:
	s_and_saveexec_b32 s13, s1
	s_cbranch_execz .LBB34_204
; %bb.201:
	v_add_nc_u32_e32 v76, -15, v0
	s_movk_i32 s1, 0x78
	s_movk_i32 s15, 0x198
	s_mov_b32 s14, 0
.LBB34_202:                             ; =>This Inner Loop Header: Depth=1
	scratch_load_b64 v[78:79], off, s1
	v_dual_mov_b32 v77, s15 :: v_dual_add_nc_u32 v76, -1, v76
	s_add_co_i32 s15, s15, 8
	s_wait_xcnt 0x0
	s_add_co_i32 s1, s1, 8
	ds_load_b64 v[80:81], v77
	v_cmp_eq_u32_e32 vcc_lo, 0, v76
	s_or_b32 s14, vcc_lo, s14
	s_wait_loadcnt_dscnt 0x0
	v_pk_mul_f32 v[82:83], v[80:81], v[78:79] op_sel:[1,1] op_sel_hi:[0,1]
	s_delay_alu instid0(VALU_DEP_1) | instskip(SKIP_1) | instid1(VALU_DEP_2)
	v_pk_fma_f32 v[84:85], v[80:81], v[78:79], v[82:83] op_sel_hi:[1,0,1]
	v_pk_fma_f32 v[78:79], v[80:81], v[78:79], v[82:83] neg_lo:[0,0,1] neg_hi:[0,0,1]
	v_mov_b32_e32 v79, v85
	s_delay_alu instid0(VALU_DEP_1)
	v_pk_add_f32 v[74:75], v[74:75], v[78:79]
	s_and_not1_b32 exec_lo, exec_lo, s14
	s_cbranch_execnz .LBB34_202
; %bb.203:
	s_or_b32 exec_lo, exec_lo, s14
.LBB34_204:
	s_delay_alu instid0(SALU_CYCLE_1) | instskip(SKIP_4) | instid1(VALU_DEP_1)
	s_or_b32 exec_lo, exec_lo, s13
	v_mov_b32_e32 v76, 0
	ds_load_b64 v[76:77], v76 offset:112
	s_wait_dscnt 0x0
	v_pk_mul_f32 v[78:79], v[74:75], v[76:77] op_sel:[1,1] op_sel_hi:[0,1]
	v_pk_fma_f32 v[80:81], v[74:75], v[76:77], v[78:79] op_sel_hi:[1,0,1]
	v_pk_fma_f32 v[74:75], v[74:75], v[76:77], v[78:79] neg_lo:[0,0,1] neg_hi:[0,0,1]
	s_delay_alu instid0(VALU_DEP_2)
	v_mov_b32_e32 v75, v81
	scratch_store_b64 off, v[74:75], off offset:112
.LBB34_205:
	s_wait_xcnt 0x0
	s_or_b32 exec_lo, exec_lo, s2
	scratch_load_b64 v[74:75], off, off offset:104
	v_cmp_lt_u32_e64 s1, 13, v0
	s_wait_loadcnt 0x0
	ds_store_b64 v1, v[74:75]
	s_wait_storecnt_dscnt 0x0
	s_barrier_signal -1
	s_barrier_wait -1
	s_wait_xcnt 0x0
	s_and_saveexec_b32 s2, s1
	s_cbranch_execz .LBB34_215
; %bb.206:
	s_and_not1_b32 vcc_lo, exec_lo, s3
	s_cbranch_vccnz .LBB34_208
; %bb.207:
	scratch_load_b64 v[74:75], v39, off
	ds_load_b64 v[76:77], v1
	s_wait_loadcnt_dscnt 0x0
	v_pk_mul_f32 v[78:79], v[76:77], v[74:75] op_sel:[1,1] op_sel_hi:[0,1]
	s_delay_alu instid0(VALU_DEP_1) | instskip(SKIP_1) | instid1(VALU_DEP_2)
	v_pk_fma_f32 v[80:81], v[76:77], v[74:75], v[78:79] op_sel_hi:[1,0,1]
	v_pk_fma_f32 v[74:75], v[76:77], v[74:75], v[78:79] neg_lo:[0,0,1] neg_hi:[0,0,1]
	v_mov_b32_e32 v75, v81
	s_cbranch_execz .LBB34_209
	s_branch .LBB34_210
.LBB34_208:
                                        ; implicit-def: $vgpr74_vgpr75
.LBB34_209:
	ds_load_b64 v[74:75], v1
.LBB34_210:
	s_and_saveexec_b32 s13, s0
	s_cbranch_execz .LBB34_214
; %bb.211:
	v_add_nc_u32_e32 v76, -14, v0
	s_movk_i32 s14, 0x190
	s_mov_b32 s0, 0
.LBB34_212:                             ; =>This Inner Loop Header: Depth=1
	scratch_load_b64 v[78:79], off, s12
	v_dual_mov_b32 v77, s14 :: v_dual_add_nc_u32 v76, -1, v76
	s_add_co_i32 s14, s14, 8
	s_wait_xcnt 0x0
	s_add_co_i32 s12, s12, 8
	ds_load_b64 v[80:81], v77
	v_cmp_eq_u32_e32 vcc_lo, 0, v76
	s_or_b32 s0, vcc_lo, s0
	s_wait_loadcnt_dscnt 0x0
	v_pk_mul_f32 v[82:83], v[80:81], v[78:79] op_sel:[1,1] op_sel_hi:[0,1]
	s_delay_alu instid0(VALU_DEP_1) | instskip(SKIP_1) | instid1(VALU_DEP_2)
	v_pk_fma_f32 v[84:85], v[80:81], v[78:79], v[82:83] op_sel_hi:[1,0,1]
	v_pk_fma_f32 v[78:79], v[80:81], v[78:79], v[82:83] neg_lo:[0,0,1] neg_hi:[0,0,1]
	v_mov_b32_e32 v79, v85
	s_delay_alu instid0(VALU_DEP_1)
	v_pk_add_f32 v[74:75], v[74:75], v[78:79]
	s_and_not1_b32 exec_lo, exec_lo, s0
	s_cbranch_execnz .LBB34_212
; %bb.213:
	s_or_b32 exec_lo, exec_lo, s0
.LBB34_214:
	s_delay_alu instid0(SALU_CYCLE_1) | instskip(SKIP_4) | instid1(VALU_DEP_1)
	s_or_b32 exec_lo, exec_lo, s13
	v_mov_b32_e32 v76, 0
	ds_load_b64 v[76:77], v76 offset:104
	s_wait_dscnt 0x0
	v_pk_mul_f32 v[78:79], v[74:75], v[76:77] op_sel:[1,1] op_sel_hi:[0,1]
	v_pk_fma_f32 v[80:81], v[74:75], v[76:77], v[78:79] op_sel_hi:[1,0,1]
	v_pk_fma_f32 v[74:75], v[74:75], v[76:77], v[78:79] neg_lo:[0,0,1] neg_hi:[0,0,1]
	s_delay_alu instid0(VALU_DEP_2)
	v_mov_b32_e32 v75, v81
	scratch_store_b64 off, v[74:75], off offset:104
.LBB34_215:
	s_wait_xcnt 0x0
	s_or_b32 exec_lo, exec_lo, s2
	scratch_load_b64 v[74:75], off, off offset:96
	v_cmp_lt_u32_e64 s0, 12, v0
	s_wait_loadcnt 0x0
	ds_store_b64 v1, v[74:75]
	s_wait_storecnt_dscnt 0x0
	s_barrier_signal -1
	s_barrier_wait -1
	s_wait_xcnt 0x0
	s_and_saveexec_b32 s2, s0
	s_cbranch_execz .LBB34_225
; %bb.216:
	s_and_not1_b32 vcc_lo, exec_lo, s3
	s_cbranch_vccnz .LBB34_218
; %bb.217:
	scratch_load_b64 v[74:75], v39, off
	ds_load_b64 v[76:77], v1
	s_wait_loadcnt_dscnt 0x0
	v_pk_mul_f32 v[78:79], v[76:77], v[74:75] op_sel:[1,1] op_sel_hi:[0,1]
	s_delay_alu instid0(VALU_DEP_1) | instskip(SKIP_1) | instid1(VALU_DEP_2)
	v_pk_fma_f32 v[80:81], v[76:77], v[74:75], v[78:79] op_sel_hi:[1,0,1]
	v_pk_fma_f32 v[74:75], v[76:77], v[74:75], v[78:79] neg_lo:[0,0,1] neg_hi:[0,0,1]
	v_mov_b32_e32 v75, v81
	s_cbranch_execz .LBB34_219
	s_branch .LBB34_220
.LBB34_218:
                                        ; implicit-def: $vgpr74_vgpr75
.LBB34_219:
	ds_load_b64 v[74:75], v1
.LBB34_220:
	s_and_saveexec_b32 s12, s1
	s_cbranch_execz .LBB34_224
; %bb.221:
	v_add_nc_u32_e32 v76, -13, v0
	s_movk_i32 s1, 0x68
	s_movk_i32 s14, 0x188
	s_mov_b32 s13, 0
.LBB34_222:                             ; =>This Inner Loop Header: Depth=1
	scratch_load_b64 v[78:79], off, s1
	v_dual_mov_b32 v77, s14 :: v_dual_add_nc_u32 v76, -1, v76
	s_add_co_i32 s14, s14, 8
	s_wait_xcnt 0x0
	s_add_co_i32 s1, s1, 8
	ds_load_b64 v[80:81], v77
	v_cmp_eq_u32_e32 vcc_lo, 0, v76
	s_or_b32 s13, vcc_lo, s13
	s_wait_loadcnt_dscnt 0x0
	v_pk_mul_f32 v[82:83], v[80:81], v[78:79] op_sel:[1,1] op_sel_hi:[0,1]
	s_delay_alu instid0(VALU_DEP_1) | instskip(SKIP_1) | instid1(VALU_DEP_2)
	v_pk_fma_f32 v[84:85], v[80:81], v[78:79], v[82:83] op_sel_hi:[1,0,1]
	v_pk_fma_f32 v[78:79], v[80:81], v[78:79], v[82:83] neg_lo:[0,0,1] neg_hi:[0,0,1]
	v_mov_b32_e32 v79, v85
	s_delay_alu instid0(VALU_DEP_1)
	v_pk_add_f32 v[74:75], v[74:75], v[78:79]
	s_and_not1_b32 exec_lo, exec_lo, s13
	s_cbranch_execnz .LBB34_222
; %bb.223:
	s_or_b32 exec_lo, exec_lo, s13
.LBB34_224:
	s_delay_alu instid0(SALU_CYCLE_1) | instskip(SKIP_4) | instid1(VALU_DEP_1)
	s_or_b32 exec_lo, exec_lo, s12
	v_mov_b32_e32 v76, 0
	ds_load_b64 v[76:77], v76 offset:96
	s_wait_dscnt 0x0
	v_pk_mul_f32 v[78:79], v[74:75], v[76:77] op_sel:[1,1] op_sel_hi:[0,1]
	v_pk_fma_f32 v[80:81], v[74:75], v[76:77], v[78:79] op_sel_hi:[1,0,1]
	v_pk_fma_f32 v[74:75], v[74:75], v[76:77], v[78:79] neg_lo:[0,0,1] neg_hi:[0,0,1]
	s_delay_alu instid0(VALU_DEP_2)
	v_mov_b32_e32 v75, v81
	scratch_store_b64 off, v[74:75], off offset:96
.LBB34_225:
	s_wait_xcnt 0x0
	s_or_b32 exec_lo, exec_lo, s2
	scratch_load_b64 v[74:75], off, off offset:88
	v_cmp_lt_u32_e64 s1, 11, v0
	s_wait_loadcnt 0x0
	ds_store_b64 v1, v[74:75]
	s_wait_storecnt_dscnt 0x0
	s_barrier_signal -1
	s_barrier_wait -1
	s_wait_xcnt 0x0
	s_and_saveexec_b32 s2, s1
	s_cbranch_execz .LBB34_235
; %bb.226:
	s_and_not1_b32 vcc_lo, exec_lo, s3
	s_cbranch_vccnz .LBB34_228
; %bb.227:
	scratch_load_b64 v[74:75], v39, off
	ds_load_b64 v[76:77], v1
	s_wait_loadcnt_dscnt 0x0
	v_pk_mul_f32 v[78:79], v[76:77], v[74:75] op_sel:[1,1] op_sel_hi:[0,1]
	s_delay_alu instid0(VALU_DEP_1) | instskip(SKIP_1) | instid1(VALU_DEP_2)
	v_pk_fma_f32 v[80:81], v[76:77], v[74:75], v[78:79] op_sel_hi:[1,0,1]
	v_pk_fma_f32 v[74:75], v[76:77], v[74:75], v[78:79] neg_lo:[0,0,1] neg_hi:[0,0,1]
	v_mov_b32_e32 v75, v81
	s_cbranch_execz .LBB34_229
	s_branch .LBB34_230
.LBB34_228:
                                        ; implicit-def: $vgpr74_vgpr75
.LBB34_229:
	ds_load_b64 v[74:75], v1
.LBB34_230:
	s_and_saveexec_b32 s12, s0
	s_cbranch_execz .LBB34_234
; %bb.231:
	v_add_nc_u32_e32 v76, -12, v0
	s_movk_i32 s13, 0x180
	s_mov_b32 s0, 0
.LBB34_232:                             ; =>This Inner Loop Header: Depth=1
	scratch_load_b64 v[78:79], off, s11
	v_dual_mov_b32 v77, s13 :: v_dual_add_nc_u32 v76, -1, v76
	s_add_co_i32 s13, s13, 8
	s_wait_xcnt 0x0
	s_add_co_i32 s11, s11, 8
	ds_load_b64 v[80:81], v77
	v_cmp_eq_u32_e32 vcc_lo, 0, v76
	s_or_b32 s0, vcc_lo, s0
	s_wait_loadcnt_dscnt 0x0
	v_pk_mul_f32 v[82:83], v[80:81], v[78:79] op_sel:[1,1] op_sel_hi:[0,1]
	s_delay_alu instid0(VALU_DEP_1) | instskip(SKIP_1) | instid1(VALU_DEP_2)
	v_pk_fma_f32 v[84:85], v[80:81], v[78:79], v[82:83] op_sel_hi:[1,0,1]
	v_pk_fma_f32 v[78:79], v[80:81], v[78:79], v[82:83] neg_lo:[0,0,1] neg_hi:[0,0,1]
	v_mov_b32_e32 v79, v85
	s_delay_alu instid0(VALU_DEP_1)
	v_pk_add_f32 v[74:75], v[74:75], v[78:79]
	s_and_not1_b32 exec_lo, exec_lo, s0
	s_cbranch_execnz .LBB34_232
; %bb.233:
	s_or_b32 exec_lo, exec_lo, s0
.LBB34_234:
	s_delay_alu instid0(SALU_CYCLE_1) | instskip(SKIP_4) | instid1(VALU_DEP_1)
	s_or_b32 exec_lo, exec_lo, s12
	v_mov_b32_e32 v76, 0
	ds_load_b64 v[76:77], v76 offset:88
	s_wait_dscnt 0x0
	v_pk_mul_f32 v[78:79], v[74:75], v[76:77] op_sel:[1,1] op_sel_hi:[0,1]
	v_pk_fma_f32 v[80:81], v[74:75], v[76:77], v[78:79] op_sel_hi:[1,0,1]
	v_pk_fma_f32 v[74:75], v[74:75], v[76:77], v[78:79] neg_lo:[0,0,1] neg_hi:[0,0,1]
	s_delay_alu instid0(VALU_DEP_2)
	v_mov_b32_e32 v75, v81
	scratch_store_b64 off, v[74:75], off offset:88
.LBB34_235:
	s_wait_xcnt 0x0
	s_or_b32 exec_lo, exec_lo, s2
	scratch_load_b64 v[74:75], off, off offset:80
	v_cmp_lt_u32_e64 s0, 10, v0
	s_wait_loadcnt 0x0
	ds_store_b64 v1, v[74:75]
	s_wait_storecnt_dscnt 0x0
	s_barrier_signal -1
	s_barrier_wait -1
	s_wait_xcnt 0x0
	s_and_saveexec_b32 s2, s0
	s_cbranch_execz .LBB34_245
; %bb.236:
	s_and_not1_b32 vcc_lo, exec_lo, s3
	s_cbranch_vccnz .LBB34_238
; %bb.237:
	scratch_load_b64 v[74:75], v39, off
	ds_load_b64 v[76:77], v1
	s_wait_loadcnt_dscnt 0x0
	v_pk_mul_f32 v[78:79], v[76:77], v[74:75] op_sel:[1,1] op_sel_hi:[0,1]
	s_delay_alu instid0(VALU_DEP_1) | instskip(SKIP_1) | instid1(VALU_DEP_2)
	v_pk_fma_f32 v[80:81], v[76:77], v[74:75], v[78:79] op_sel_hi:[1,0,1]
	v_pk_fma_f32 v[74:75], v[76:77], v[74:75], v[78:79] neg_lo:[0,0,1] neg_hi:[0,0,1]
	v_mov_b32_e32 v75, v81
	s_cbranch_execz .LBB34_239
	s_branch .LBB34_240
.LBB34_238:
                                        ; implicit-def: $vgpr74_vgpr75
.LBB34_239:
	ds_load_b64 v[74:75], v1
.LBB34_240:
	s_and_saveexec_b32 s11, s1
	s_cbranch_execz .LBB34_244
; %bb.241:
	v_add_nc_u32_e32 v76, -11, v0
	s_movk_i32 s1, 0x58
	s_movk_i32 s13, 0x178
	s_mov_b32 s12, 0
.LBB34_242:                             ; =>This Inner Loop Header: Depth=1
	scratch_load_b64 v[78:79], off, s1
	v_dual_mov_b32 v77, s13 :: v_dual_add_nc_u32 v76, -1, v76
	s_add_co_i32 s13, s13, 8
	s_wait_xcnt 0x0
	s_add_co_i32 s1, s1, 8
	ds_load_b64 v[80:81], v77
	v_cmp_eq_u32_e32 vcc_lo, 0, v76
	s_or_b32 s12, vcc_lo, s12
	s_wait_loadcnt_dscnt 0x0
	v_pk_mul_f32 v[82:83], v[80:81], v[78:79] op_sel:[1,1] op_sel_hi:[0,1]
	s_delay_alu instid0(VALU_DEP_1) | instskip(SKIP_1) | instid1(VALU_DEP_2)
	v_pk_fma_f32 v[84:85], v[80:81], v[78:79], v[82:83] op_sel_hi:[1,0,1]
	v_pk_fma_f32 v[78:79], v[80:81], v[78:79], v[82:83] neg_lo:[0,0,1] neg_hi:[0,0,1]
	v_mov_b32_e32 v79, v85
	s_delay_alu instid0(VALU_DEP_1)
	v_pk_add_f32 v[74:75], v[74:75], v[78:79]
	s_and_not1_b32 exec_lo, exec_lo, s12
	s_cbranch_execnz .LBB34_242
; %bb.243:
	s_or_b32 exec_lo, exec_lo, s12
.LBB34_244:
	s_delay_alu instid0(SALU_CYCLE_1) | instskip(SKIP_4) | instid1(VALU_DEP_1)
	s_or_b32 exec_lo, exec_lo, s11
	v_mov_b32_e32 v76, 0
	ds_load_b64 v[76:77], v76 offset:80
	s_wait_dscnt 0x0
	v_pk_mul_f32 v[78:79], v[74:75], v[76:77] op_sel:[1,1] op_sel_hi:[0,1]
	v_pk_fma_f32 v[80:81], v[74:75], v[76:77], v[78:79] op_sel_hi:[1,0,1]
	v_pk_fma_f32 v[74:75], v[74:75], v[76:77], v[78:79] neg_lo:[0,0,1] neg_hi:[0,0,1]
	s_delay_alu instid0(VALU_DEP_2)
	v_mov_b32_e32 v75, v81
	scratch_store_b64 off, v[74:75], off offset:80
.LBB34_245:
	s_wait_xcnt 0x0
	s_or_b32 exec_lo, exec_lo, s2
	scratch_load_b64 v[74:75], off, off offset:72
	v_cmp_lt_u32_e64 s1, 9, v0
	s_wait_loadcnt 0x0
	ds_store_b64 v1, v[74:75]
	s_wait_storecnt_dscnt 0x0
	s_barrier_signal -1
	s_barrier_wait -1
	s_wait_xcnt 0x0
	s_and_saveexec_b32 s2, s1
	s_cbranch_execz .LBB34_255
; %bb.246:
	s_and_not1_b32 vcc_lo, exec_lo, s3
	s_cbranch_vccnz .LBB34_248
; %bb.247:
	scratch_load_b64 v[74:75], v39, off
	ds_load_b64 v[76:77], v1
	s_wait_loadcnt_dscnt 0x0
	v_pk_mul_f32 v[78:79], v[76:77], v[74:75] op_sel:[1,1] op_sel_hi:[0,1]
	s_delay_alu instid0(VALU_DEP_1) | instskip(SKIP_1) | instid1(VALU_DEP_2)
	v_pk_fma_f32 v[80:81], v[76:77], v[74:75], v[78:79] op_sel_hi:[1,0,1]
	v_pk_fma_f32 v[74:75], v[76:77], v[74:75], v[78:79] neg_lo:[0,0,1] neg_hi:[0,0,1]
	v_mov_b32_e32 v75, v81
	s_cbranch_execz .LBB34_249
	s_branch .LBB34_250
.LBB34_248:
                                        ; implicit-def: $vgpr74_vgpr75
.LBB34_249:
	ds_load_b64 v[74:75], v1
.LBB34_250:
	s_and_saveexec_b32 s11, s0
	s_cbranch_execz .LBB34_254
; %bb.251:
	v_add_nc_u32_e32 v76, -10, v0
	s_movk_i32 s12, 0x170
	s_mov_b32 s0, 0
.LBB34_252:                             ; =>This Inner Loop Header: Depth=1
	scratch_load_b64 v[78:79], off, s10
	v_dual_mov_b32 v77, s12 :: v_dual_add_nc_u32 v76, -1, v76
	s_add_co_i32 s12, s12, 8
	s_wait_xcnt 0x0
	s_add_co_i32 s10, s10, 8
	ds_load_b64 v[80:81], v77
	v_cmp_eq_u32_e32 vcc_lo, 0, v76
	s_or_b32 s0, vcc_lo, s0
	s_wait_loadcnt_dscnt 0x0
	v_pk_mul_f32 v[82:83], v[80:81], v[78:79] op_sel:[1,1] op_sel_hi:[0,1]
	s_delay_alu instid0(VALU_DEP_1) | instskip(SKIP_1) | instid1(VALU_DEP_2)
	v_pk_fma_f32 v[84:85], v[80:81], v[78:79], v[82:83] op_sel_hi:[1,0,1]
	v_pk_fma_f32 v[78:79], v[80:81], v[78:79], v[82:83] neg_lo:[0,0,1] neg_hi:[0,0,1]
	v_mov_b32_e32 v79, v85
	s_delay_alu instid0(VALU_DEP_1)
	v_pk_add_f32 v[74:75], v[74:75], v[78:79]
	s_and_not1_b32 exec_lo, exec_lo, s0
	s_cbranch_execnz .LBB34_252
; %bb.253:
	s_or_b32 exec_lo, exec_lo, s0
.LBB34_254:
	s_delay_alu instid0(SALU_CYCLE_1) | instskip(SKIP_4) | instid1(VALU_DEP_1)
	s_or_b32 exec_lo, exec_lo, s11
	v_mov_b32_e32 v76, 0
	ds_load_b64 v[76:77], v76 offset:72
	s_wait_dscnt 0x0
	v_pk_mul_f32 v[78:79], v[74:75], v[76:77] op_sel:[1,1] op_sel_hi:[0,1]
	v_pk_fma_f32 v[80:81], v[74:75], v[76:77], v[78:79] op_sel_hi:[1,0,1]
	v_pk_fma_f32 v[74:75], v[74:75], v[76:77], v[78:79] neg_lo:[0,0,1] neg_hi:[0,0,1]
	s_delay_alu instid0(VALU_DEP_2)
	v_mov_b32_e32 v75, v81
	scratch_store_b64 off, v[74:75], off offset:72
.LBB34_255:
	s_wait_xcnt 0x0
	s_or_b32 exec_lo, exec_lo, s2
	scratch_load_b64 v[74:75], off, off offset:64
	v_cmp_lt_u32_e64 s0, 8, v0
	s_wait_loadcnt 0x0
	ds_store_b64 v1, v[74:75]
	s_wait_storecnt_dscnt 0x0
	s_barrier_signal -1
	s_barrier_wait -1
	s_wait_xcnt 0x0
	s_and_saveexec_b32 s2, s0
	s_cbranch_execz .LBB34_265
; %bb.256:
	s_and_not1_b32 vcc_lo, exec_lo, s3
	s_cbranch_vccnz .LBB34_258
; %bb.257:
	scratch_load_b64 v[74:75], v39, off
	ds_load_b64 v[76:77], v1
	s_wait_loadcnt_dscnt 0x0
	v_pk_mul_f32 v[78:79], v[76:77], v[74:75] op_sel:[1,1] op_sel_hi:[0,1]
	s_delay_alu instid0(VALU_DEP_1) | instskip(SKIP_1) | instid1(VALU_DEP_2)
	v_pk_fma_f32 v[80:81], v[76:77], v[74:75], v[78:79] op_sel_hi:[1,0,1]
	v_pk_fma_f32 v[74:75], v[76:77], v[74:75], v[78:79] neg_lo:[0,0,1] neg_hi:[0,0,1]
	v_mov_b32_e32 v75, v81
	s_cbranch_execz .LBB34_259
	s_branch .LBB34_260
.LBB34_258:
                                        ; implicit-def: $vgpr74_vgpr75
.LBB34_259:
	ds_load_b64 v[74:75], v1
.LBB34_260:
	s_and_saveexec_b32 s10, s1
	s_cbranch_execz .LBB34_264
; %bb.261:
	v_add_nc_u32_e32 v76, -9, v0
	s_movk_i32 s1, 0x48
	s_movk_i32 s12, 0x168
	s_mov_b32 s11, 0
.LBB34_262:                             ; =>This Inner Loop Header: Depth=1
	scratch_load_b64 v[78:79], off, s1
	v_dual_mov_b32 v77, s12 :: v_dual_add_nc_u32 v76, -1, v76
	s_add_co_i32 s12, s12, 8
	s_wait_xcnt 0x0
	s_add_co_i32 s1, s1, 8
	ds_load_b64 v[80:81], v77
	v_cmp_eq_u32_e32 vcc_lo, 0, v76
	s_or_b32 s11, vcc_lo, s11
	s_wait_loadcnt_dscnt 0x0
	v_pk_mul_f32 v[82:83], v[80:81], v[78:79] op_sel:[1,1] op_sel_hi:[0,1]
	s_delay_alu instid0(VALU_DEP_1) | instskip(SKIP_1) | instid1(VALU_DEP_2)
	v_pk_fma_f32 v[84:85], v[80:81], v[78:79], v[82:83] op_sel_hi:[1,0,1]
	v_pk_fma_f32 v[78:79], v[80:81], v[78:79], v[82:83] neg_lo:[0,0,1] neg_hi:[0,0,1]
	v_mov_b32_e32 v79, v85
	s_delay_alu instid0(VALU_DEP_1)
	v_pk_add_f32 v[74:75], v[74:75], v[78:79]
	s_and_not1_b32 exec_lo, exec_lo, s11
	s_cbranch_execnz .LBB34_262
; %bb.263:
	s_or_b32 exec_lo, exec_lo, s11
.LBB34_264:
	s_delay_alu instid0(SALU_CYCLE_1) | instskip(SKIP_4) | instid1(VALU_DEP_1)
	s_or_b32 exec_lo, exec_lo, s10
	v_mov_b32_e32 v76, 0
	ds_load_b64 v[76:77], v76 offset:64
	s_wait_dscnt 0x0
	v_pk_mul_f32 v[78:79], v[74:75], v[76:77] op_sel:[1,1] op_sel_hi:[0,1]
	v_pk_fma_f32 v[80:81], v[74:75], v[76:77], v[78:79] op_sel_hi:[1,0,1]
	v_pk_fma_f32 v[74:75], v[74:75], v[76:77], v[78:79] neg_lo:[0,0,1] neg_hi:[0,0,1]
	s_delay_alu instid0(VALU_DEP_2)
	v_mov_b32_e32 v75, v81
	scratch_store_b64 off, v[74:75], off offset:64
.LBB34_265:
	s_wait_xcnt 0x0
	s_or_b32 exec_lo, exec_lo, s2
	scratch_load_b64 v[74:75], off, off offset:56
	v_cmp_lt_u32_e64 s1, 7, v0
	s_wait_loadcnt 0x0
	ds_store_b64 v1, v[74:75]
	s_wait_storecnt_dscnt 0x0
	s_barrier_signal -1
	s_barrier_wait -1
	s_wait_xcnt 0x0
	s_and_saveexec_b32 s2, s1
	s_cbranch_execz .LBB34_275
; %bb.266:
	s_and_not1_b32 vcc_lo, exec_lo, s3
	s_cbranch_vccnz .LBB34_268
; %bb.267:
	scratch_load_b64 v[74:75], v39, off
	ds_load_b64 v[76:77], v1
	s_wait_loadcnt_dscnt 0x0
	v_pk_mul_f32 v[78:79], v[76:77], v[74:75] op_sel:[1,1] op_sel_hi:[0,1]
	s_delay_alu instid0(VALU_DEP_1) | instskip(SKIP_1) | instid1(VALU_DEP_2)
	v_pk_fma_f32 v[80:81], v[76:77], v[74:75], v[78:79] op_sel_hi:[1,0,1]
	v_pk_fma_f32 v[74:75], v[76:77], v[74:75], v[78:79] neg_lo:[0,0,1] neg_hi:[0,0,1]
	v_mov_b32_e32 v75, v81
	s_cbranch_execz .LBB34_269
	s_branch .LBB34_270
.LBB34_268:
                                        ; implicit-def: $vgpr74_vgpr75
.LBB34_269:
	ds_load_b64 v[74:75], v1
.LBB34_270:
	s_and_saveexec_b32 s10, s0
	s_cbranch_execz .LBB34_274
; %bb.271:
	v_add_nc_u32_e32 v76, -8, v0
	s_movk_i32 s11, 0x160
	s_mov_b32 s0, 0
.LBB34_272:                             ; =>This Inner Loop Header: Depth=1
	scratch_load_b64 v[78:79], off, s9
	v_dual_mov_b32 v77, s11 :: v_dual_add_nc_u32 v76, -1, v76
	s_add_co_i32 s11, s11, 8
	s_wait_xcnt 0x0
	s_add_co_i32 s9, s9, 8
	ds_load_b64 v[80:81], v77
	v_cmp_eq_u32_e32 vcc_lo, 0, v76
	s_or_b32 s0, vcc_lo, s0
	s_wait_loadcnt_dscnt 0x0
	v_pk_mul_f32 v[82:83], v[80:81], v[78:79] op_sel:[1,1] op_sel_hi:[0,1]
	s_delay_alu instid0(VALU_DEP_1) | instskip(SKIP_1) | instid1(VALU_DEP_2)
	v_pk_fma_f32 v[84:85], v[80:81], v[78:79], v[82:83] op_sel_hi:[1,0,1]
	v_pk_fma_f32 v[78:79], v[80:81], v[78:79], v[82:83] neg_lo:[0,0,1] neg_hi:[0,0,1]
	v_mov_b32_e32 v79, v85
	s_delay_alu instid0(VALU_DEP_1)
	v_pk_add_f32 v[74:75], v[74:75], v[78:79]
	s_and_not1_b32 exec_lo, exec_lo, s0
	s_cbranch_execnz .LBB34_272
; %bb.273:
	s_or_b32 exec_lo, exec_lo, s0
.LBB34_274:
	s_delay_alu instid0(SALU_CYCLE_1) | instskip(SKIP_4) | instid1(VALU_DEP_1)
	s_or_b32 exec_lo, exec_lo, s10
	v_mov_b32_e32 v76, 0
	ds_load_b64 v[76:77], v76 offset:56
	s_wait_dscnt 0x0
	v_pk_mul_f32 v[78:79], v[74:75], v[76:77] op_sel:[1,1] op_sel_hi:[0,1]
	v_pk_fma_f32 v[80:81], v[74:75], v[76:77], v[78:79] op_sel_hi:[1,0,1]
	v_pk_fma_f32 v[74:75], v[74:75], v[76:77], v[78:79] neg_lo:[0,0,1] neg_hi:[0,0,1]
	s_delay_alu instid0(VALU_DEP_2)
	v_mov_b32_e32 v75, v81
	scratch_store_b64 off, v[74:75], off offset:56
.LBB34_275:
	s_wait_xcnt 0x0
	s_or_b32 exec_lo, exec_lo, s2
	scratch_load_b64 v[74:75], off, off offset:48
	v_cmp_lt_u32_e64 s0, 6, v0
	s_wait_loadcnt 0x0
	ds_store_b64 v1, v[74:75]
	s_wait_storecnt_dscnt 0x0
	s_barrier_signal -1
	s_barrier_wait -1
	s_wait_xcnt 0x0
	s_and_saveexec_b32 s2, s0
	s_cbranch_execz .LBB34_285
; %bb.276:
	s_and_not1_b32 vcc_lo, exec_lo, s3
	s_cbranch_vccnz .LBB34_278
; %bb.277:
	scratch_load_b64 v[74:75], v39, off
	ds_load_b64 v[76:77], v1
	s_wait_loadcnt_dscnt 0x0
	v_pk_mul_f32 v[78:79], v[76:77], v[74:75] op_sel:[1,1] op_sel_hi:[0,1]
	s_delay_alu instid0(VALU_DEP_1) | instskip(SKIP_1) | instid1(VALU_DEP_2)
	v_pk_fma_f32 v[80:81], v[76:77], v[74:75], v[78:79] op_sel_hi:[1,0,1]
	v_pk_fma_f32 v[74:75], v[76:77], v[74:75], v[78:79] neg_lo:[0,0,1] neg_hi:[0,0,1]
	v_mov_b32_e32 v75, v81
	s_cbranch_execz .LBB34_279
	s_branch .LBB34_280
.LBB34_278:
                                        ; implicit-def: $vgpr74_vgpr75
.LBB34_279:
	ds_load_b64 v[74:75], v1
.LBB34_280:
	s_and_saveexec_b32 s9, s1
	s_cbranch_execz .LBB34_284
; %bb.281:
	v_add_nc_u32_e32 v76, -7, v0
	s_mov_b32 s1, 56
	s_movk_i32 s11, 0x158
	s_mov_b32 s10, 0
.LBB34_282:                             ; =>This Inner Loop Header: Depth=1
	scratch_load_b64 v[78:79], off, s1
	v_dual_mov_b32 v77, s11 :: v_dual_add_nc_u32 v76, -1, v76
	s_add_co_i32 s11, s11, 8
	s_wait_xcnt 0x0
	s_add_co_i32 s1, s1, 8
	ds_load_b64 v[80:81], v77
	v_cmp_eq_u32_e32 vcc_lo, 0, v76
	s_or_b32 s10, vcc_lo, s10
	s_wait_loadcnt_dscnt 0x0
	v_pk_mul_f32 v[82:83], v[80:81], v[78:79] op_sel:[1,1] op_sel_hi:[0,1]
	s_delay_alu instid0(VALU_DEP_1) | instskip(SKIP_1) | instid1(VALU_DEP_2)
	v_pk_fma_f32 v[84:85], v[80:81], v[78:79], v[82:83] op_sel_hi:[1,0,1]
	v_pk_fma_f32 v[78:79], v[80:81], v[78:79], v[82:83] neg_lo:[0,0,1] neg_hi:[0,0,1]
	v_mov_b32_e32 v79, v85
	s_delay_alu instid0(VALU_DEP_1)
	v_pk_add_f32 v[74:75], v[74:75], v[78:79]
	s_and_not1_b32 exec_lo, exec_lo, s10
	s_cbranch_execnz .LBB34_282
; %bb.283:
	s_or_b32 exec_lo, exec_lo, s10
.LBB34_284:
	s_delay_alu instid0(SALU_CYCLE_1) | instskip(SKIP_4) | instid1(VALU_DEP_1)
	s_or_b32 exec_lo, exec_lo, s9
	v_mov_b32_e32 v76, 0
	ds_load_b64 v[76:77], v76 offset:48
	s_wait_dscnt 0x0
	v_pk_mul_f32 v[78:79], v[74:75], v[76:77] op_sel:[1,1] op_sel_hi:[0,1]
	v_pk_fma_f32 v[80:81], v[74:75], v[76:77], v[78:79] op_sel_hi:[1,0,1]
	v_pk_fma_f32 v[74:75], v[74:75], v[76:77], v[78:79] neg_lo:[0,0,1] neg_hi:[0,0,1]
	s_delay_alu instid0(VALU_DEP_2)
	v_mov_b32_e32 v75, v81
	scratch_store_b64 off, v[74:75], off offset:48
.LBB34_285:
	s_wait_xcnt 0x0
	s_or_b32 exec_lo, exec_lo, s2
	scratch_load_b64 v[74:75], off, off offset:40
	v_cmp_lt_u32_e64 s1, 5, v0
	s_wait_loadcnt 0x0
	ds_store_b64 v1, v[74:75]
	s_wait_storecnt_dscnt 0x0
	s_barrier_signal -1
	s_barrier_wait -1
	s_wait_xcnt 0x0
	s_and_saveexec_b32 s2, s1
	s_cbranch_execz .LBB34_295
; %bb.286:
	s_and_not1_b32 vcc_lo, exec_lo, s3
	s_cbranch_vccnz .LBB34_288
; %bb.287:
	scratch_load_b64 v[74:75], v39, off
	ds_load_b64 v[76:77], v1
	s_wait_loadcnt_dscnt 0x0
	v_pk_mul_f32 v[78:79], v[76:77], v[74:75] op_sel:[1,1] op_sel_hi:[0,1]
	s_delay_alu instid0(VALU_DEP_1) | instskip(SKIP_1) | instid1(VALU_DEP_2)
	v_pk_fma_f32 v[80:81], v[76:77], v[74:75], v[78:79] op_sel_hi:[1,0,1]
	v_pk_fma_f32 v[74:75], v[76:77], v[74:75], v[78:79] neg_lo:[0,0,1] neg_hi:[0,0,1]
	v_mov_b32_e32 v75, v81
	s_cbranch_execz .LBB34_289
	s_branch .LBB34_290
.LBB34_288:
                                        ; implicit-def: $vgpr74_vgpr75
.LBB34_289:
	ds_load_b64 v[74:75], v1
.LBB34_290:
	s_and_saveexec_b32 s9, s0
	s_cbranch_execz .LBB34_294
; %bb.291:
	v_add_nc_u32_e32 v76, -6, v0
	s_movk_i32 s10, 0x150
	s_mov_b32 s0, 0
.LBB34_292:                             ; =>This Inner Loop Header: Depth=1
	scratch_load_b64 v[78:79], off, s8
	v_dual_mov_b32 v77, s10 :: v_dual_add_nc_u32 v76, -1, v76
	s_add_co_i32 s10, s10, 8
	s_wait_xcnt 0x0
	s_add_co_i32 s8, s8, 8
	ds_load_b64 v[80:81], v77
	v_cmp_eq_u32_e32 vcc_lo, 0, v76
	s_or_b32 s0, vcc_lo, s0
	s_wait_loadcnt_dscnt 0x0
	v_pk_mul_f32 v[82:83], v[80:81], v[78:79] op_sel:[1,1] op_sel_hi:[0,1]
	s_delay_alu instid0(VALU_DEP_1) | instskip(SKIP_1) | instid1(VALU_DEP_2)
	v_pk_fma_f32 v[84:85], v[80:81], v[78:79], v[82:83] op_sel_hi:[1,0,1]
	v_pk_fma_f32 v[78:79], v[80:81], v[78:79], v[82:83] neg_lo:[0,0,1] neg_hi:[0,0,1]
	v_mov_b32_e32 v79, v85
	s_delay_alu instid0(VALU_DEP_1)
	v_pk_add_f32 v[74:75], v[74:75], v[78:79]
	s_and_not1_b32 exec_lo, exec_lo, s0
	s_cbranch_execnz .LBB34_292
; %bb.293:
	s_or_b32 exec_lo, exec_lo, s0
.LBB34_294:
	s_delay_alu instid0(SALU_CYCLE_1) | instskip(SKIP_4) | instid1(VALU_DEP_1)
	s_or_b32 exec_lo, exec_lo, s9
	v_mov_b32_e32 v76, 0
	ds_load_b64 v[76:77], v76 offset:40
	s_wait_dscnt 0x0
	v_pk_mul_f32 v[78:79], v[74:75], v[76:77] op_sel:[1,1] op_sel_hi:[0,1]
	v_pk_fma_f32 v[80:81], v[74:75], v[76:77], v[78:79] op_sel_hi:[1,0,1]
	v_pk_fma_f32 v[74:75], v[74:75], v[76:77], v[78:79] neg_lo:[0,0,1] neg_hi:[0,0,1]
	s_delay_alu instid0(VALU_DEP_2)
	v_mov_b32_e32 v75, v81
	scratch_store_b64 off, v[74:75], off offset:40
.LBB34_295:
	s_wait_xcnt 0x0
	s_or_b32 exec_lo, exec_lo, s2
	scratch_load_b64 v[74:75], off, off offset:32
	v_cmp_lt_u32_e64 s0, 4, v0
	s_wait_loadcnt 0x0
	ds_store_b64 v1, v[74:75]
	s_wait_storecnt_dscnt 0x0
	s_barrier_signal -1
	s_barrier_wait -1
	s_wait_xcnt 0x0
	s_and_saveexec_b32 s2, s0
	s_cbranch_execz .LBB34_305
; %bb.296:
	s_and_not1_b32 vcc_lo, exec_lo, s3
	s_cbranch_vccnz .LBB34_298
; %bb.297:
	scratch_load_b64 v[74:75], v39, off
	ds_load_b64 v[76:77], v1
	s_wait_loadcnt_dscnt 0x0
	v_pk_mul_f32 v[78:79], v[76:77], v[74:75] op_sel:[1,1] op_sel_hi:[0,1]
	s_delay_alu instid0(VALU_DEP_1) | instskip(SKIP_1) | instid1(VALU_DEP_2)
	v_pk_fma_f32 v[80:81], v[76:77], v[74:75], v[78:79] op_sel_hi:[1,0,1]
	v_pk_fma_f32 v[74:75], v[76:77], v[74:75], v[78:79] neg_lo:[0,0,1] neg_hi:[0,0,1]
	v_mov_b32_e32 v75, v81
	s_cbranch_execz .LBB34_299
	s_branch .LBB34_300
.LBB34_298:
                                        ; implicit-def: $vgpr74_vgpr75
.LBB34_299:
	ds_load_b64 v[74:75], v1
.LBB34_300:
	s_and_saveexec_b32 s8, s1
	s_cbranch_execz .LBB34_304
; %bb.301:
	v_add_nc_u32_e32 v76, -5, v0
	s_mov_b32 s1, 40
	s_movk_i32 s10, 0x148
	s_mov_b32 s9, 0
.LBB34_302:                             ; =>This Inner Loop Header: Depth=1
	scratch_load_b64 v[78:79], off, s1
	v_dual_mov_b32 v77, s10 :: v_dual_add_nc_u32 v76, -1, v76
	s_add_co_i32 s10, s10, 8
	s_wait_xcnt 0x0
	s_add_co_i32 s1, s1, 8
	ds_load_b64 v[80:81], v77
	v_cmp_eq_u32_e32 vcc_lo, 0, v76
	s_or_b32 s9, vcc_lo, s9
	s_wait_loadcnt_dscnt 0x0
	v_pk_mul_f32 v[82:83], v[80:81], v[78:79] op_sel:[1,1] op_sel_hi:[0,1]
	s_delay_alu instid0(VALU_DEP_1) | instskip(SKIP_1) | instid1(VALU_DEP_2)
	v_pk_fma_f32 v[84:85], v[80:81], v[78:79], v[82:83] op_sel_hi:[1,0,1]
	v_pk_fma_f32 v[78:79], v[80:81], v[78:79], v[82:83] neg_lo:[0,0,1] neg_hi:[0,0,1]
	v_mov_b32_e32 v79, v85
	s_delay_alu instid0(VALU_DEP_1)
	v_pk_add_f32 v[74:75], v[74:75], v[78:79]
	s_and_not1_b32 exec_lo, exec_lo, s9
	s_cbranch_execnz .LBB34_302
; %bb.303:
	s_or_b32 exec_lo, exec_lo, s9
.LBB34_304:
	s_delay_alu instid0(SALU_CYCLE_1) | instskip(SKIP_4) | instid1(VALU_DEP_1)
	s_or_b32 exec_lo, exec_lo, s8
	v_mov_b32_e32 v76, 0
	ds_load_b64 v[76:77], v76 offset:32
	s_wait_dscnt 0x0
	v_pk_mul_f32 v[78:79], v[74:75], v[76:77] op_sel:[1,1] op_sel_hi:[0,1]
	v_pk_fma_f32 v[80:81], v[74:75], v[76:77], v[78:79] op_sel_hi:[1,0,1]
	v_pk_fma_f32 v[74:75], v[74:75], v[76:77], v[78:79] neg_lo:[0,0,1] neg_hi:[0,0,1]
	s_delay_alu instid0(VALU_DEP_2)
	v_mov_b32_e32 v75, v81
	scratch_store_b64 off, v[74:75], off offset:32
.LBB34_305:
	s_wait_xcnt 0x0
	s_or_b32 exec_lo, exec_lo, s2
	scratch_load_b64 v[74:75], off, off offset:24
	v_cmp_lt_u32_e64 s2, 3, v0
	s_wait_loadcnt 0x0
	ds_store_b64 v1, v[74:75]
	s_wait_storecnt_dscnt 0x0
	s_barrier_signal -1
	s_barrier_wait -1
	s_wait_xcnt 0x0
	s_and_saveexec_b32 s1, s2
	s_cbranch_execz .LBB34_315
; %bb.306:
	s_and_not1_b32 vcc_lo, exec_lo, s3
	s_cbranch_vccnz .LBB34_308
; %bb.307:
	scratch_load_b64 v[74:75], v39, off
	ds_load_b64 v[76:77], v1
	s_wait_loadcnt_dscnt 0x0
	v_pk_mul_f32 v[78:79], v[76:77], v[74:75] op_sel:[1,1] op_sel_hi:[0,1]
	s_delay_alu instid0(VALU_DEP_1) | instskip(SKIP_1) | instid1(VALU_DEP_2)
	v_pk_fma_f32 v[80:81], v[76:77], v[74:75], v[78:79] op_sel_hi:[1,0,1]
	v_pk_fma_f32 v[74:75], v[76:77], v[74:75], v[78:79] neg_lo:[0,0,1] neg_hi:[0,0,1]
	v_mov_b32_e32 v75, v81
	s_cbranch_execz .LBB34_309
	s_branch .LBB34_310
.LBB34_308:
                                        ; implicit-def: $vgpr74_vgpr75
.LBB34_309:
	ds_load_b64 v[74:75], v1
.LBB34_310:
	s_and_saveexec_b32 s8, s0
	s_cbranch_execz .LBB34_314
; %bb.311:
	v_add_nc_u32_e32 v76, -4, v0
	s_movk_i32 s9, 0x140
	s_mov_b32 s0, 0
.LBB34_312:                             ; =>This Inner Loop Header: Depth=1
	scratch_load_b64 v[78:79], off, s5
	v_dual_mov_b32 v77, s9 :: v_dual_add_nc_u32 v76, -1, v76
	s_add_co_i32 s9, s9, 8
	s_wait_xcnt 0x0
	s_add_co_i32 s5, s5, 8
	ds_load_b64 v[80:81], v77
	v_cmp_eq_u32_e32 vcc_lo, 0, v76
	s_or_b32 s0, vcc_lo, s0
	s_wait_loadcnt_dscnt 0x0
	v_pk_mul_f32 v[82:83], v[80:81], v[78:79] op_sel:[1,1] op_sel_hi:[0,1]
	s_delay_alu instid0(VALU_DEP_1) | instskip(SKIP_1) | instid1(VALU_DEP_2)
	v_pk_fma_f32 v[84:85], v[80:81], v[78:79], v[82:83] op_sel_hi:[1,0,1]
	v_pk_fma_f32 v[78:79], v[80:81], v[78:79], v[82:83] neg_lo:[0,0,1] neg_hi:[0,0,1]
	v_mov_b32_e32 v79, v85
	s_delay_alu instid0(VALU_DEP_1)
	v_pk_add_f32 v[74:75], v[74:75], v[78:79]
	s_and_not1_b32 exec_lo, exec_lo, s0
	s_cbranch_execnz .LBB34_312
; %bb.313:
	s_or_b32 exec_lo, exec_lo, s0
.LBB34_314:
	s_delay_alu instid0(SALU_CYCLE_1) | instskip(SKIP_4) | instid1(VALU_DEP_1)
	s_or_b32 exec_lo, exec_lo, s8
	v_mov_b32_e32 v76, 0
	ds_load_b64 v[76:77], v76 offset:24
	s_wait_dscnt 0x0
	v_pk_mul_f32 v[78:79], v[74:75], v[76:77] op_sel:[1,1] op_sel_hi:[0,1]
	v_pk_fma_f32 v[80:81], v[74:75], v[76:77], v[78:79] op_sel_hi:[1,0,1]
	v_pk_fma_f32 v[74:75], v[74:75], v[76:77], v[78:79] neg_lo:[0,0,1] neg_hi:[0,0,1]
	s_delay_alu instid0(VALU_DEP_2)
	v_mov_b32_e32 v75, v81
	scratch_store_b64 off, v[74:75], off offset:24
.LBB34_315:
	s_wait_xcnt 0x0
	s_or_b32 exec_lo, exec_lo, s1
	scratch_load_b64 v[74:75], off, off offset:16
	v_cmp_lt_u32_e64 s1, 2, v0
	s_wait_loadcnt 0x0
	ds_store_b64 v1, v[74:75]
	s_wait_storecnt_dscnt 0x0
	s_barrier_signal -1
	s_barrier_wait -1
	s_wait_xcnt 0x0
	s_and_saveexec_b32 s0, s1
	s_cbranch_execz .LBB34_325
; %bb.316:
	s_and_not1_b32 vcc_lo, exec_lo, s3
	s_cbranch_vccnz .LBB34_318
; %bb.317:
	scratch_load_b64 v[74:75], v39, off
	ds_load_b64 v[76:77], v1
	s_wait_loadcnt_dscnt 0x0
	v_pk_mul_f32 v[78:79], v[76:77], v[74:75] op_sel:[1,1] op_sel_hi:[0,1]
	s_delay_alu instid0(VALU_DEP_1) | instskip(SKIP_1) | instid1(VALU_DEP_2)
	v_pk_fma_f32 v[80:81], v[76:77], v[74:75], v[78:79] op_sel_hi:[1,0,1]
	v_pk_fma_f32 v[74:75], v[76:77], v[74:75], v[78:79] neg_lo:[0,0,1] neg_hi:[0,0,1]
	v_mov_b32_e32 v75, v81
	s_cbranch_execz .LBB34_319
	s_branch .LBB34_320
.LBB34_318:
                                        ; implicit-def: $vgpr74_vgpr75
.LBB34_319:
	ds_load_b64 v[74:75], v1
.LBB34_320:
	s_and_saveexec_b32 s5, s2
	s_cbranch_execz .LBB34_324
; %bb.321:
	v_add_nc_u32_e32 v76, -3, v0
	s_mov_b32 s2, 24
	s_movk_i32 s9, 0x138
	s_mov_b32 s8, 0
.LBB34_322:                             ; =>This Inner Loop Header: Depth=1
	scratch_load_b64 v[78:79], off, s2
	v_dual_mov_b32 v77, s9 :: v_dual_add_nc_u32 v76, -1, v76
	s_add_co_i32 s9, s9, 8
	s_wait_xcnt 0x0
	s_add_co_i32 s2, s2, 8
	ds_load_b64 v[80:81], v77
	v_cmp_eq_u32_e32 vcc_lo, 0, v76
	s_or_b32 s8, vcc_lo, s8
	s_wait_loadcnt_dscnt 0x0
	v_pk_mul_f32 v[82:83], v[80:81], v[78:79] op_sel:[1,1] op_sel_hi:[0,1]
	s_delay_alu instid0(VALU_DEP_1) | instskip(SKIP_1) | instid1(VALU_DEP_2)
	v_pk_fma_f32 v[84:85], v[80:81], v[78:79], v[82:83] op_sel_hi:[1,0,1]
	v_pk_fma_f32 v[78:79], v[80:81], v[78:79], v[82:83] neg_lo:[0,0,1] neg_hi:[0,0,1]
	v_mov_b32_e32 v79, v85
	s_delay_alu instid0(VALU_DEP_1)
	v_pk_add_f32 v[74:75], v[74:75], v[78:79]
	s_and_not1_b32 exec_lo, exec_lo, s8
	s_cbranch_execnz .LBB34_322
; %bb.323:
	s_or_b32 exec_lo, exec_lo, s8
.LBB34_324:
	s_delay_alu instid0(SALU_CYCLE_1) | instskip(SKIP_4) | instid1(VALU_DEP_1)
	s_or_b32 exec_lo, exec_lo, s5
	v_mov_b32_e32 v76, 0
	ds_load_b64 v[76:77], v76 offset:16
	s_wait_dscnt 0x0
	v_pk_mul_f32 v[78:79], v[74:75], v[76:77] op_sel:[1,1] op_sel_hi:[0,1]
	v_pk_fma_f32 v[80:81], v[74:75], v[76:77], v[78:79] op_sel_hi:[1,0,1]
	v_pk_fma_f32 v[74:75], v[74:75], v[76:77], v[78:79] neg_lo:[0,0,1] neg_hi:[0,0,1]
	s_delay_alu instid0(VALU_DEP_2)
	v_mov_b32_e32 v75, v81
	scratch_store_b64 off, v[74:75], off offset:16
.LBB34_325:
	s_wait_xcnt 0x0
	s_or_b32 exec_lo, exec_lo, s0
	scratch_load_b64 v[74:75], off, off offset:8
	v_cmp_lt_u32_e64 s0, 1, v0
	s_wait_loadcnt 0x0
	ds_store_b64 v1, v[74:75]
	s_wait_storecnt_dscnt 0x0
	s_barrier_signal -1
	s_barrier_wait -1
	s_wait_xcnt 0x0
	s_and_saveexec_b32 s2, s0
	s_cbranch_execz .LBB34_335
; %bb.326:
	s_and_not1_b32 vcc_lo, exec_lo, s3
	s_cbranch_vccnz .LBB34_328
; %bb.327:
	scratch_load_b64 v[74:75], v39, off
	ds_load_b64 v[76:77], v1
	s_wait_loadcnt_dscnt 0x0
	v_pk_mul_f32 v[78:79], v[76:77], v[74:75] op_sel:[1,1] op_sel_hi:[0,1]
	s_delay_alu instid0(VALU_DEP_1) | instskip(SKIP_1) | instid1(VALU_DEP_2)
	v_pk_fma_f32 v[80:81], v[76:77], v[74:75], v[78:79] op_sel_hi:[1,0,1]
	v_pk_fma_f32 v[74:75], v[76:77], v[74:75], v[78:79] neg_lo:[0,0,1] neg_hi:[0,0,1]
	v_mov_b32_e32 v75, v81
	s_cbranch_execz .LBB34_329
	s_branch .LBB34_330
.LBB34_328:
                                        ; implicit-def: $vgpr74_vgpr75
.LBB34_329:
	ds_load_b64 v[74:75], v1
.LBB34_330:
	s_and_saveexec_b32 s5, s1
	s_cbranch_execz .LBB34_334
; %bb.331:
	v_add_nc_u32_e32 v76, -2, v0
	s_movk_i32 s8, 0x130
	s_mov_b32 s1, 0
.LBB34_332:                             ; =>This Inner Loop Header: Depth=1
	scratch_load_b64 v[78:79], off, s4
	v_dual_mov_b32 v77, s8 :: v_dual_add_nc_u32 v76, -1, v76
	s_add_co_i32 s8, s8, 8
	s_wait_xcnt 0x0
	s_add_co_i32 s4, s4, 8
	ds_load_b64 v[80:81], v77
	v_cmp_eq_u32_e32 vcc_lo, 0, v76
	s_or_b32 s1, vcc_lo, s1
	s_wait_loadcnt_dscnt 0x0
	v_pk_mul_f32 v[82:83], v[80:81], v[78:79] op_sel:[1,1] op_sel_hi:[0,1]
	s_delay_alu instid0(VALU_DEP_1) | instskip(SKIP_1) | instid1(VALU_DEP_2)
	v_pk_fma_f32 v[84:85], v[80:81], v[78:79], v[82:83] op_sel_hi:[1,0,1]
	v_pk_fma_f32 v[78:79], v[80:81], v[78:79], v[82:83] neg_lo:[0,0,1] neg_hi:[0,0,1]
	v_mov_b32_e32 v79, v85
	s_delay_alu instid0(VALU_DEP_1)
	v_pk_add_f32 v[74:75], v[74:75], v[78:79]
	s_and_not1_b32 exec_lo, exec_lo, s1
	s_cbranch_execnz .LBB34_332
; %bb.333:
	s_or_b32 exec_lo, exec_lo, s1
.LBB34_334:
	s_delay_alu instid0(SALU_CYCLE_1) | instskip(SKIP_4) | instid1(VALU_DEP_1)
	s_or_b32 exec_lo, exec_lo, s5
	v_mov_b32_e32 v76, 0
	ds_load_b64 v[76:77], v76 offset:8
	s_wait_dscnt 0x0
	v_pk_mul_f32 v[78:79], v[74:75], v[76:77] op_sel:[1,1] op_sel_hi:[0,1]
	v_pk_fma_f32 v[80:81], v[74:75], v[76:77], v[78:79] op_sel_hi:[1,0,1]
	v_pk_fma_f32 v[74:75], v[74:75], v[76:77], v[78:79] neg_lo:[0,0,1] neg_hi:[0,0,1]
	s_delay_alu instid0(VALU_DEP_2)
	v_mov_b32_e32 v75, v81
	scratch_store_b64 off, v[74:75], off offset:8
.LBB34_335:
	s_wait_xcnt 0x0
	s_or_b32 exec_lo, exec_lo, s2
	scratch_load_b64 v[74:75], off, off
	s_mov_b32 s2, 0
	s_mov_b32 s1, 0
	s_mov_b32 s5, exec_lo
                                        ; implicit-def: $vgpr94
                                        ; implicit-def: $sgpr4
	s_wait_loadcnt 0x0
	ds_store_b64 v1, v[74:75]
	s_wait_storecnt_dscnt 0x0
	s_barrier_signal -1
	s_barrier_wait -1
	s_wait_xcnt 0x0
	v_cmpx_ne_u32_e32 0, v0
	s_cbranch_execz .LBB34_345
; %bb.336:
	s_and_not1_b32 vcc_lo, exec_lo, s3
	s_cbranch_vccnz .LBB34_338
; %bb.337:
	scratch_load_b64 v[76:77], v39, off
	ds_load_b64 v[78:79], v1
	s_wait_loadcnt_dscnt 0x0
	v_dual_mul_f32 v74, v79, v77 :: v_dual_mul_f32 v75, v78, v77
	s_delay_alu instid0(VALU_DEP_1)
	v_dual_fma_f32 v74, v78, v76, -v74 :: v_dual_fmac_f32 v75, v79, v76
	s_and_not1_b32 vcc_lo, exec_lo, s1
	s_cbranch_vccz .LBB34_339
	s_branch .LBB34_340
.LBB34_338:
                                        ; implicit-def: $vgpr74
.LBB34_339:
	ds_load_b64 v[74:75], v1
.LBB34_340:
	s_and_saveexec_b32 s1, s0
	s_cbranch_execz .LBB34_344
; %bb.341:
	v_add_nc_u32_e32 v76, -1, v0
	s_or_b32 s0, 0, 8
	s_movk_i32 s8, 0x128
	s_mov_b32 s4, 0
.LBB34_342:                             ; =>This Inner Loop Header: Depth=1
	scratch_load_b64 v[78:79], off, s0
	v_mov_b32_e32 v77, s8
	s_add_co_i32 s8, s8, 8
	s_wait_xcnt 0x0
	s_add_co_i32 s0, s0, 8
	v_add_nc_u32_e32 v76, -1, v76
	ds_load_b64 v[80:81], v77
	v_cmp_eq_u32_e32 vcc_lo, 0, v76
	s_or_b32 s4, vcc_lo, s4
	s_wait_loadcnt_dscnt 0x0
	v_dual_mul_f32 v77, v81, v79 :: v_dual_mul_f32 v79, v80, v79
	s_delay_alu instid0(VALU_DEP_1) | instskip(NEXT) | instid1(VALU_DEP_1)
	v_dual_fma_f32 v77, v80, v78, -v77 :: v_dual_fmac_f32 v79, v81, v78
	v_dual_add_f32 v74, v74, v77 :: v_dual_add_f32 v75, v75, v79
	s_and_not1_b32 exec_lo, exec_lo, s4
	s_cbranch_execnz .LBB34_342
; %bb.343:
	s_or_b32 exec_lo, exec_lo, s4
.LBB34_344:
	s_delay_alu instid0(SALU_CYCLE_1)
	s_or_b32 exec_lo, exec_lo, s1
	v_mov_b32_e32 v76, 0
	s_mov_b32 s1, exec_lo
	s_or_b32 s4, 0, 4
	ds_load_b64 v[76:77], v76
	s_wait_dscnt 0x0
	v_dual_mul_f32 v78, v75, v77 :: v_dual_mul_f32 v94, v74, v77
	s_delay_alu instid0(VALU_DEP_1) | instskip(NEXT) | instid1(VALU_DEP_2)
	v_fma_f32 v74, v74, v76, -v78
	v_fmac_f32_e32 v94, v75, v76
	scratch_store_b32 off, v74, off
.LBB34_345:
	s_wait_xcnt 0x0
	s_or_b32 exec_lo, exec_lo, s5
	s_delay_alu instid0(SALU_CYCLE_1)
	s_and_b32 vcc_lo, exec_lo, s2
	s_cbranch_vccz .LBB34_681
.LBB34_346:
	scratch_load_b64 v[74:75], off, off offset:8
	v_cmp_eq_u32_e64 s0, 0, v0
	s_wait_loadcnt 0x0
	ds_store_b64 v1, v[74:75]
	s_wait_storecnt_dscnt 0x0
	s_barrier_signal -1
	s_barrier_wait -1
	s_wait_xcnt 0x0
	s_and_saveexec_b32 s2, s0
	s_cbranch_execz .LBB34_352
; %bb.347:
	s_and_b32 vcc_lo, exec_lo, s3
	s_cbranch_vccz .LBB34_349
; %bb.348:
	scratch_load_b64 v[74:75], v39, off
	ds_load_b64 v[76:77], v1
	s_wait_loadcnt_dscnt 0x0
	v_pk_mul_f32 v[78:79], v[76:77], v[74:75] op_sel:[1,1] op_sel_hi:[0,1]
	v_pk_mul_f32 v[80:81], v[76:77], v[74:75] op_sel_hi:[1,0]
	s_delay_alu instid0(VALU_DEP_2) | instskip(NEXT) | instid1(VALU_DEP_2)
	v_pk_fma_f32 v[74:75], v[76:77], v[74:75], v[78:79] op_sel_hi:[1,0,1]
	v_sub_f32_e32 v74, v80, v78
	s_cbranch_execz .LBB34_350
	s_branch .LBB34_351
.LBB34_349:
                                        ; implicit-def: $vgpr75
.LBB34_350:
	ds_load_b64 v[74:75], v1
.LBB34_351:
	s_wait_dscnt 0x0
	v_dual_mov_b32 v76, 0 :: v_dual_mov_b32 v78, v75
	v_mov_b32_e32 v79, v74
	ds_load_b64 v[76:77], v76 offset:8
	s_wait_dscnt 0x0
	v_pk_mul_f32 v[78:79], v[78:79], v[76:77] op_sel:[0,1]
	s_delay_alu instid0(VALU_DEP_1) | instskip(SKIP_1) | instid1(VALU_DEP_2)
	v_pk_fma_f32 v[80:81], v[74:75], v[76:77], v[78:79] op_sel_hi:[1,0,1]
	v_pk_fma_f32 v[74:75], v[74:75], v[76:77], v[78:79] neg_lo:[0,0,1] neg_hi:[0,0,1]
	v_mov_b32_e32 v75, v81
	scratch_store_b64 off, v[74:75], off offset:8
.LBB34_352:
	s_wait_xcnt 0x0
	s_or_b32 exec_lo, exec_lo, s2
	scratch_load_b64 v[74:75], off, off offset:16
	v_cndmask_b32_e64 v76, 0, 1, s3
	s_mov_b32 s2, exec_lo
	s_wait_loadcnt 0x0
	ds_store_b64 v1, v[74:75]
	s_wait_storecnt_dscnt 0x0
	s_barrier_signal -1
	s_barrier_wait -1
	s_wait_xcnt 0x0
	v_cmpx_gt_u32_e32 2, v0
	s_cbranch_execz .LBB34_360
; %bb.353:
	s_and_not1_b32 vcc_lo, exec_lo, s3
	s_cbranch_vccnz .LBB34_355
; %bb.354:
	scratch_load_b64 v[74:75], v39, off
	ds_load_b64 v[78:79], v1
	s_wait_loadcnt_dscnt 0x0
	v_pk_mul_f32 v[80:81], v[78:79], v[74:75] op_sel:[1,1] op_sel_hi:[0,1]
	s_delay_alu instid0(VALU_DEP_1) | instskip(SKIP_1) | instid1(VALU_DEP_2)
	v_pk_fma_f32 v[82:83], v[78:79], v[74:75], v[80:81] op_sel_hi:[1,0,1]
	v_pk_fma_f32 v[74:75], v[78:79], v[74:75], v[80:81] neg_lo:[0,0,1] neg_hi:[0,0,1]
	v_mov_b32_e32 v75, v83
	s_cbranch_execz .LBB34_356
	s_branch .LBB34_357
.LBB34_355:
                                        ; implicit-def: $vgpr74_vgpr75
.LBB34_356:
	ds_load_b64 v[74:75], v1
.LBB34_357:
	s_and_saveexec_b32 s3, s0
	s_cbranch_execz .LBB34_359
; %bb.358:
	scratch_load_b64 v[78:79], off, off offset:8
	v_mov_b32_e32 v77, 0
	ds_load_b64 v[80:81], v77 offset:296
	s_wait_loadcnt_dscnt 0x0
	v_pk_mul_f32 v[82:83], v[80:81], v[78:79] op_sel:[1,1] op_sel_hi:[0,1]
	s_delay_alu instid0(VALU_DEP_1) | instskip(SKIP_1) | instid1(VALU_DEP_2)
	v_pk_fma_f32 v[84:85], v[80:81], v[78:79], v[82:83] op_sel_hi:[1,0,1]
	v_pk_fma_f32 v[78:79], v[80:81], v[78:79], v[82:83] neg_lo:[0,0,1] neg_hi:[0,0,1]
	v_mov_b32_e32 v79, v85
	s_delay_alu instid0(VALU_DEP_1)
	v_pk_add_f32 v[74:75], v[74:75], v[78:79]
.LBB34_359:
	s_or_b32 exec_lo, exec_lo, s3
	v_mov_b32_e32 v77, 0
	ds_load_b64 v[78:79], v77 offset:16
	s_wait_dscnt 0x0
	v_pk_mul_f32 v[80:81], v[74:75], v[78:79] op_sel:[1,1] op_sel_hi:[0,1]
	s_delay_alu instid0(VALU_DEP_1) | instskip(SKIP_1) | instid1(VALU_DEP_2)
	v_pk_fma_f32 v[82:83], v[74:75], v[78:79], v[80:81] op_sel_hi:[1,0,1]
	v_pk_fma_f32 v[74:75], v[74:75], v[78:79], v[80:81] neg_lo:[0,0,1] neg_hi:[0,0,1]
	v_mov_b32_e32 v75, v83
	scratch_store_b64 off, v[74:75], off offset:16
.LBB34_360:
	s_wait_xcnt 0x0
	s_or_b32 exec_lo, exec_lo, s2
	scratch_load_b64 v[74:75], off, off offset:24
	s_mov_b32 s2, exec_lo
	s_wait_loadcnt 0x0
	ds_store_b64 v1, v[74:75]
	s_wait_storecnt_dscnt 0x0
	s_barrier_signal -1
	s_barrier_wait -1
	s_wait_xcnt 0x0
	v_cmpx_gt_u32_e32 3, v0
	s_cbranch_execz .LBB34_370
; %bb.361:
	v_cmp_ne_u32_e32 vcc_lo, 1, v76
	s_cbranch_vccnz .LBB34_363
; %bb.362:
	scratch_load_b64 v[74:75], v39, off
	ds_load_b64 v[78:79], v1
	s_wait_loadcnt_dscnt 0x0
	v_pk_mul_f32 v[80:81], v[78:79], v[74:75] op_sel:[1,1] op_sel_hi:[0,1]
	s_delay_alu instid0(VALU_DEP_1) | instskip(SKIP_1) | instid1(VALU_DEP_2)
	v_pk_fma_f32 v[82:83], v[78:79], v[74:75], v[80:81] op_sel_hi:[1,0,1]
	v_pk_fma_f32 v[74:75], v[78:79], v[74:75], v[80:81] neg_lo:[0,0,1] neg_hi:[0,0,1]
	v_mov_b32_e32 v75, v83
	s_cbranch_execz .LBB34_364
	s_branch .LBB34_365
.LBB34_363:
                                        ; implicit-def: $vgpr74_vgpr75
.LBB34_364:
	ds_load_b64 v[74:75], v1
.LBB34_365:
	s_mov_b32 s3, exec_lo
	v_cmpx_ne_u32_e32 2, v0
	s_cbranch_execz .LBB34_369
; %bb.366:
	scratch_load_b64 v[78:79], v39, off offset:8
	ds_load_b64 v[80:81], v1 offset:8
	s_wait_loadcnt_dscnt 0x0
	v_pk_mul_f32 v[82:83], v[80:81], v[78:79] op_sel:[1,1] op_sel_hi:[0,1]
	s_delay_alu instid0(VALU_DEP_1) | instskip(SKIP_1) | instid1(VALU_DEP_2)
	v_pk_fma_f32 v[84:85], v[80:81], v[78:79], v[82:83] op_sel_hi:[1,0,1]
	v_pk_fma_f32 v[78:79], v[80:81], v[78:79], v[82:83] neg_lo:[0,0,1] neg_hi:[0,0,1]
	v_mov_b32_e32 v79, v85
	s_delay_alu instid0(VALU_DEP_1)
	v_pk_add_f32 v[74:75], v[74:75], v[78:79]
	s_and_saveexec_b32 s4, s0
	s_cbranch_execz .LBB34_368
; %bb.367:
	scratch_load_b64 v[78:79], off, off offset:16
	v_mov_b32_e32 v77, 0
	ds_load_b64 v[80:81], v77 offset:304
	s_wait_loadcnt_dscnt 0x0
	v_pk_mul_f32 v[82:83], v[80:81], v[78:79] op_sel:[1,1] op_sel_hi:[0,1]
	s_delay_alu instid0(VALU_DEP_1) | instskip(SKIP_1) | instid1(VALU_DEP_2)
	v_pk_fma_f32 v[84:85], v[80:81], v[78:79], v[82:83] op_sel_hi:[1,0,1]
	v_pk_fma_f32 v[78:79], v[80:81], v[78:79], v[82:83] neg_lo:[0,0,1] neg_hi:[0,0,1]
	v_mov_b32_e32 v79, v85
	s_delay_alu instid0(VALU_DEP_1)
	v_pk_add_f32 v[74:75], v[74:75], v[78:79]
.LBB34_368:
	s_or_b32 exec_lo, exec_lo, s4
.LBB34_369:
	s_delay_alu instid0(SALU_CYCLE_1) | instskip(SKIP_4) | instid1(VALU_DEP_1)
	s_or_b32 exec_lo, exec_lo, s3
	v_mov_b32_e32 v77, 0
	ds_load_b64 v[78:79], v77 offset:24
	s_wait_dscnt 0x0
	v_pk_mul_f32 v[80:81], v[74:75], v[78:79] op_sel:[1,1] op_sel_hi:[0,1]
	v_pk_fma_f32 v[82:83], v[74:75], v[78:79], v[80:81] op_sel_hi:[1,0,1]
	v_pk_fma_f32 v[74:75], v[74:75], v[78:79], v[80:81] neg_lo:[0,0,1] neg_hi:[0,0,1]
	s_delay_alu instid0(VALU_DEP_2)
	v_mov_b32_e32 v75, v83
	scratch_store_b64 off, v[74:75], off offset:24
.LBB34_370:
	s_wait_xcnt 0x0
	s_or_b32 exec_lo, exec_lo, s2
	scratch_load_b64 v[74:75], off, off offset:32
	s_mov_b32 s0, exec_lo
	s_wait_loadcnt 0x0
	ds_store_b64 v1, v[74:75]
	s_wait_storecnt_dscnt 0x0
	s_barrier_signal -1
	s_barrier_wait -1
	s_wait_xcnt 0x0
	v_cmpx_gt_u32_e32 4, v0
	s_cbranch_execz .LBB34_380
; %bb.371:
	v_cmp_ne_u32_e32 vcc_lo, 1, v76
	s_cbranch_vccnz .LBB34_373
; %bb.372:
	scratch_load_b64 v[74:75], v39, off
	ds_load_b64 v[78:79], v1
	s_wait_loadcnt_dscnt 0x0
	v_pk_mul_f32 v[80:81], v[78:79], v[74:75] op_sel:[1,1] op_sel_hi:[0,1]
	s_delay_alu instid0(VALU_DEP_1) | instskip(SKIP_1) | instid1(VALU_DEP_2)
	v_pk_fma_f32 v[82:83], v[78:79], v[74:75], v[80:81] op_sel_hi:[1,0,1]
	v_pk_fma_f32 v[74:75], v[78:79], v[74:75], v[80:81] neg_lo:[0,0,1] neg_hi:[0,0,1]
	v_mov_b32_e32 v75, v83
	s_cbranch_execz .LBB34_374
	s_branch .LBB34_375
.LBB34_373:
                                        ; implicit-def: $vgpr74_vgpr75
.LBB34_374:
	ds_load_b64 v[74:75], v1
.LBB34_375:
	s_mov_b32 s2, exec_lo
	v_cmpx_ne_u32_e32 3, v0
	s_cbranch_execz .LBB34_379
; %bb.376:
	v_add_nc_u32_e32 v77, 0x128, v38
	v_add3_u32 v78, 0, v38, 8
	v_mov_b32_e32 v79, v0
	s_mov_b32 s3, 0
.LBB34_377:                             ; =>This Inner Loop Header: Depth=1
	scratch_load_b64 v[80:81], v78, off
	ds_load_b64 v[82:83], v77
	s_wait_xcnt 0x0
	v_dual_add_nc_u32 v77, 8, v77 :: v_dual_add_nc_u32 v78, 8, v78
	s_wait_loadcnt_dscnt 0x0
	v_pk_mul_f32 v[84:85], v[82:83], v[80:81] op_sel:[1,1] op_sel_hi:[0,1]
	s_delay_alu instid0(VALU_DEP_1) | instskip(SKIP_2) | instid1(VALU_DEP_3)
	v_pk_fma_f32 v[86:87], v[82:83], v[80:81], v[84:85] op_sel_hi:[1,0,1]
	v_add_nc_u32_e32 v79, 1, v79
	v_pk_fma_f32 v[80:81], v[82:83], v[80:81], v[84:85] neg_lo:[0,0,1] neg_hi:[0,0,1]
	v_mov_b32_e32 v81, v87
	s_delay_alu instid0(VALU_DEP_3) | instskip(NEXT) | instid1(VALU_DEP_2)
	v_cmp_lt_u32_e32 vcc_lo, 2, v79
	v_pk_add_f32 v[74:75], v[74:75], v[80:81]
	s_or_b32 s3, vcc_lo, s3
	s_delay_alu instid0(SALU_CYCLE_1)
	s_and_not1_b32 exec_lo, exec_lo, s3
	s_cbranch_execnz .LBB34_377
; %bb.378:
	s_or_b32 exec_lo, exec_lo, s3
.LBB34_379:
	s_delay_alu instid0(SALU_CYCLE_1) | instskip(SKIP_4) | instid1(VALU_DEP_1)
	s_or_b32 exec_lo, exec_lo, s2
	v_mov_b32_e32 v77, 0
	ds_load_b64 v[78:79], v77 offset:32
	s_wait_dscnt 0x0
	v_pk_mul_f32 v[80:81], v[74:75], v[78:79] op_sel:[1,1] op_sel_hi:[0,1]
	v_pk_fma_f32 v[82:83], v[74:75], v[78:79], v[80:81] op_sel_hi:[1,0,1]
	v_pk_fma_f32 v[74:75], v[74:75], v[78:79], v[80:81] neg_lo:[0,0,1] neg_hi:[0,0,1]
	s_delay_alu instid0(VALU_DEP_2)
	v_mov_b32_e32 v75, v83
	scratch_store_b64 off, v[74:75], off offset:32
.LBB34_380:
	s_wait_xcnt 0x0
	s_or_b32 exec_lo, exec_lo, s0
	scratch_load_b64 v[74:75], off, off offset:40
	s_mov_b32 s0, exec_lo
	s_wait_loadcnt 0x0
	ds_store_b64 v1, v[74:75]
	s_wait_storecnt_dscnt 0x0
	s_barrier_signal -1
	s_barrier_wait -1
	s_wait_xcnt 0x0
	v_cmpx_gt_u32_e32 5, v0
	s_cbranch_execz .LBB34_390
; %bb.381:
	v_cmp_ne_u32_e32 vcc_lo, 1, v76
	s_cbranch_vccnz .LBB34_383
; %bb.382:
	scratch_load_b64 v[74:75], v39, off
	ds_load_b64 v[78:79], v1
	s_wait_loadcnt_dscnt 0x0
	v_pk_mul_f32 v[80:81], v[78:79], v[74:75] op_sel:[1,1] op_sel_hi:[0,1]
	s_delay_alu instid0(VALU_DEP_1) | instskip(SKIP_1) | instid1(VALU_DEP_2)
	v_pk_fma_f32 v[82:83], v[78:79], v[74:75], v[80:81] op_sel_hi:[1,0,1]
	v_pk_fma_f32 v[74:75], v[78:79], v[74:75], v[80:81] neg_lo:[0,0,1] neg_hi:[0,0,1]
	v_mov_b32_e32 v75, v83
	s_cbranch_execz .LBB34_384
	s_branch .LBB34_385
.LBB34_383:
                                        ; implicit-def: $vgpr74_vgpr75
.LBB34_384:
	ds_load_b64 v[74:75], v1
.LBB34_385:
	s_mov_b32 s2, exec_lo
	v_cmpx_ne_u32_e32 4, v0
	s_cbranch_execz .LBB34_389
; %bb.386:
	v_add_nc_u32_e32 v77, 0x128, v38
	v_add3_u32 v78, 0, v38, 8
	v_mov_b32_e32 v79, v0
	s_mov_b32 s3, 0
.LBB34_387:                             ; =>This Inner Loop Header: Depth=1
	scratch_load_b64 v[80:81], v78, off
	ds_load_b64 v[82:83], v77
	s_wait_xcnt 0x0
	v_dual_add_nc_u32 v77, 8, v77 :: v_dual_add_nc_u32 v78, 8, v78
	s_wait_loadcnt_dscnt 0x0
	v_pk_mul_f32 v[84:85], v[82:83], v[80:81] op_sel:[1,1] op_sel_hi:[0,1]
	s_delay_alu instid0(VALU_DEP_1) | instskip(SKIP_2) | instid1(VALU_DEP_3)
	v_pk_fma_f32 v[86:87], v[82:83], v[80:81], v[84:85] op_sel_hi:[1,0,1]
	v_add_nc_u32_e32 v79, 1, v79
	v_pk_fma_f32 v[80:81], v[82:83], v[80:81], v[84:85] neg_lo:[0,0,1] neg_hi:[0,0,1]
	v_mov_b32_e32 v81, v87
	s_delay_alu instid0(VALU_DEP_3) | instskip(NEXT) | instid1(VALU_DEP_2)
	v_cmp_lt_u32_e32 vcc_lo, 3, v79
	v_pk_add_f32 v[74:75], v[74:75], v[80:81]
	s_or_b32 s3, vcc_lo, s3
	s_delay_alu instid0(SALU_CYCLE_1)
	s_and_not1_b32 exec_lo, exec_lo, s3
	s_cbranch_execnz .LBB34_387
; %bb.388:
	s_or_b32 exec_lo, exec_lo, s3
.LBB34_389:
	s_delay_alu instid0(SALU_CYCLE_1) | instskip(SKIP_4) | instid1(VALU_DEP_1)
	s_or_b32 exec_lo, exec_lo, s2
	v_mov_b32_e32 v77, 0
	ds_load_b64 v[78:79], v77 offset:40
	s_wait_dscnt 0x0
	v_pk_mul_f32 v[80:81], v[74:75], v[78:79] op_sel:[1,1] op_sel_hi:[0,1]
	v_pk_fma_f32 v[82:83], v[74:75], v[78:79], v[80:81] op_sel_hi:[1,0,1]
	v_pk_fma_f32 v[74:75], v[74:75], v[78:79], v[80:81] neg_lo:[0,0,1] neg_hi:[0,0,1]
	s_delay_alu instid0(VALU_DEP_2)
	v_mov_b32_e32 v75, v83
	scratch_store_b64 off, v[74:75], off offset:40
.LBB34_390:
	s_wait_xcnt 0x0
	s_or_b32 exec_lo, exec_lo, s0
	scratch_load_b64 v[74:75], off, off offset:48
	s_mov_b32 s0, exec_lo
	s_wait_loadcnt 0x0
	ds_store_b64 v1, v[74:75]
	s_wait_storecnt_dscnt 0x0
	s_barrier_signal -1
	s_barrier_wait -1
	s_wait_xcnt 0x0
	v_cmpx_gt_u32_e32 6, v0
	s_cbranch_execz .LBB34_400
; %bb.391:
	v_cmp_ne_u32_e32 vcc_lo, 1, v76
	s_cbranch_vccnz .LBB34_393
; %bb.392:
	scratch_load_b64 v[74:75], v39, off
	ds_load_b64 v[78:79], v1
	s_wait_loadcnt_dscnt 0x0
	v_pk_mul_f32 v[80:81], v[78:79], v[74:75] op_sel:[1,1] op_sel_hi:[0,1]
	s_delay_alu instid0(VALU_DEP_1) | instskip(SKIP_1) | instid1(VALU_DEP_2)
	v_pk_fma_f32 v[82:83], v[78:79], v[74:75], v[80:81] op_sel_hi:[1,0,1]
	v_pk_fma_f32 v[74:75], v[78:79], v[74:75], v[80:81] neg_lo:[0,0,1] neg_hi:[0,0,1]
	v_mov_b32_e32 v75, v83
	s_cbranch_execz .LBB34_394
	s_branch .LBB34_395
.LBB34_393:
                                        ; implicit-def: $vgpr74_vgpr75
.LBB34_394:
	ds_load_b64 v[74:75], v1
.LBB34_395:
	s_mov_b32 s2, exec_lo
	v_cmpx_ne_u32_e32 5, v0
	s_cbranch_execz .LBB34_399
; %bb.396:
	v_add_nc_u32_e32 v77, 0x128, v38
	v_add3_u32 v78, 0, v38, 8
	v_mov_b32_e32 v79, v0
	s_mov_b32 s3, 0
.LBB34_397:                             ; =>This Inner Loop Header: Depth=1
	scratch_load_b64 v[80:81], v78, off
	ds_load_b64 v[82:83], v77
	s_wait_xcnt 0x0
	v_dual_add_nc_u32 v77, 8, v77 :: v_dual_add_nc_u32 v78, 8, v78
	s_wait_loadcnt_dscnt 0x0
	v_pk_mul_f32 v[84:85], v[82:83], v[80:81] op_sel:[1,1] op_sel_hi:[0,1]
	s_delay_alu instid0(VALU_DEP_1) | instskip(SKIP_2) | instid1(VALU_DEP_3)
	v_pk_fma_f32 v[86:87], v[82:83], v[80:81], v[84:85] op_sel_hi:[1,0,1]
	v_add_nc_u32_e32 v79, 1, v79
	v_pk_fma_f32 v[80:81], v[82:83], v[80:81], v[84:85] neg_lo:[0,0,1] neg_hi:[0,0,1]
	v_mov_b32_e32 v81, v87
	s_delay_alu instid0(VALU_DEP_3) | instskip(NEXT) | instid1(VALU_DEP_2)
	v_cmp_lt_u32_e32 vcc_lo, 4, v79
	v_pk_add_f32 v[74:75], v[74:75], v[80:81]
	s_or_b32 s3, vcc_lo, s3
	s_delay_alu instid0(SALU_CYCLE_1)
	s_and_not1_b32 exec_lo, exec_lo, s3
	s_cbranch_execnz .LBB34_397
; %bb.398:
	s_or_b32 exec_lo, exec_lo, s3
.LBB34_399:
	s_delay_alu instid0(SALU_CYCLE_1) | instskip(SKIP_4) | instid1(VALU_DEP_1)
	s_or_b32 exec_lo, exec_lo, s2
	v_mov_b32_e32 v77, 0
	ds_load_b64 v[78:79], v77 offset:48
	s_wait_dscnt 0x0
	v_pk_mul_f32 v[80:81], v[74:75], v[78:79] op_sel:[1,1] op_sel_hi:[0,1]
	v_pk_fma_f32 v[82:83], v[74:75], v[78:79], v[80:81] op_sel_hi:[1,0,1]
	v_pk_fma_f32 v[74:75], v[74:75], v[78:79], v[80:81] neg_lo:[0,0,1] neg_hi:[0,0,1]
	s_delay_alu instid0(VALU_DEP_2)
	v_mov_b32_e32 v75, v83
	scratch_store_b64 off, v[74:75], off offset:48
.LBB34_400:
	s_wait_xcnt 0x0
	s_or_b32 exec_lo, exec_lo, s0
	scratch_load_b64 v[74:75], off, off offset:56
	s_mov_b32 s0, exec_lo
	s_wait_loadcnt 0x0
	ds_store_b64 v1, v[74:75]
	s_wait_storecnt_dscnt 0x0
	s_barrier_signal -1
	s_barrier_wait -1
	s_wait_xcnt 0x0
	v_cmpx_gt_u32_e32 7, v0
	s_cbranch_execz .LBB34_410
; %bb.401:
	v_cmp_ne_u32_e32 vcc_lo, 1, v76
	s_cbranch_vccnz .LBB34_403
; %bb.402:
	scratch_load_b64 v[74:75], v39, off
	ds_load_b64 v[78:79], v1
	s_wait_loadcnt_dscnt 0x0
	v_pk_mul_f32 v[80:81], v[78:79], v[74:75] op_sel:[1,1] op_sel_hi:[0,1]
	s_delay_alu instid0(VALU_DEP_1) | instskip(SKIP_1) | instid1(VALU_DEP_2)
	v_pk_fma_f32 v[82:83], v[78:79], v[74:75], v[80:81] op_sel_hi:[1,0,1]
	v_pk_fma_f32 v[74:75], v[78:79], v[74:75], v[80:81] neg_lo:[0,0,1] neg_hi:[0,0,1]
	v_mov_b32_e32 v75, v83
	s_cbranch_execz .LBB34_404
	s_branch .LBB34_405
.LBB34_403:
                                        ; implicit-def: $vgpr74_vgpr75
.LBB34_404:
	ds_load_b64 v[74:75], v1
.LBB34_405:
	s_mov_b32 s2, exec_lo
	v_cmpx_ne_u32_e32 6, v0
	s_cbranch_execz .LBB34_409
; %bb.406:
	v_add_nc_u32_e32 v77, 0x128, v38
	v_add3_u32 v78, 0, v38, 8
	v_mov_b32_e32 v79, v0
	s_mov_b32 s3, 0
.LBB34_407:                             ; =>This Inner Loop Header: Depth=1
	scratch_load_b64 v[80:81], v78, off
	ds_load_b64 v[82:83], v77
	s_wait_xcnt 0x0
	v_dual_add_nc_u32 v77, 8, v77 :: v_dual_add_nc_u32 v78, 8, v78
	s_wait_loadcnt_dscnt 0x0
	v_pk_mul_f32 v[84:85], v[82:83], v[80:81] op_sel:[1,1] op_sel_hi:[0,1]
	s_delay_alu instid0(VALU_DEP_1) | instskip(SKIP_2) | instid1(VALU_DEP_3)
	v_pk_fma_f32 v[86:87], v[82:83], v[80:81], v[84:85] op_sel_hi:[1,0,1]
	v_add_nc_u32_e32 v79, 1, v79
	v_pk_fma_f32 v[80:81], v[82:83], v[80:81], v[84:85] neg_lo:[0,0,1] neg_hi:[0,0,1]
	v_mov_b32_e32 v81, v87
	s_delay_alu instid0(VALU_DEP_3) | instskip(NEXT) | instid1(VALU_DEP_2)
	v_cmp_lt_u32_e32 vcc_lo, 5, v79
	v_pk_add_f32 v[74:75], v[74:75], v[80:81]
	s_or_b32 s3, vcc_lo, s3
	s_delay_alu instid0(SALU_CYCLE_1)
	s_and_not1_b32 exec_lo, exec_lo, s3
	s_cbranch_execnz .LBB34_407
; %bb.408:
	s_or_b32 exec_lo, exec_lo, s3
.LBB34_409:
	s_delay_alu instid0(SALU_CYCLE_1) | instskip(SKIP_4) | instid1(VALU_DEP_1)
	s_or_b32 exec_lo, exec_lo, s2
	v_mov_b32_e32 v77, 0
	ds_load_b64 v[78:79], v77 offset:56
	s_wait_dscnt 0x0
	v_pk_mul_f32 v[80:81], v[74:75], v[78:79] op_sel:[1,1] op_sel_hi:[0,1]
	v_pk_fma_f32 v[82:83], v[74:75], v[78:79], v[80:81] op_sel_hi:[1,0,1]
	v_pk_fma_f32 v[74:75], v[74:75], v[78:79], v[80:81] neg_lo:[0,0,1] neg_hi:[0,0,1]
	s_delay_alu instid0(VALU_DEP_2)
	v_mov_b32_e32 v75, v83
	scratch_store_b64 off, v[74:75], off offset:56
.LBB34_410:
	s_wait_xcnt 0x0
	s_or_b32 exec_lo, exec_lo, s0
	scratch_load_b64 v[74:75], off, off offset:64
	s_mov_b32 s0, exec_lo
	s_wait_loadcnt 0x0
	ds_store_b64 v1, v[74:75]
	s_wait_storecnt_dscnt 0x0
	s_barrier_signal -1
	s_barrier_wait -1
	s_wait_xcnt 0x0
	v_cmpx_gt_u32_e32 8, v0
	s_cbranch_execz .LBB34_420
; %bb.411:
	v_cmp_ne_u32_e32 vcc_lo, 1, v76
	s_cbranch_vccnz .LBB34_413
; %bb.412:
	scratch_load_b64 v[74:75], v39, off
	ds_load_b64 v[78:79], v1
	s_wait_loadcnt_dscnt 0x0
	v_pk_mul_f32 v[80:81], v[78:79], v[74:75] op_sel:[1,1] op_sel_hi:[0,1]
	s_delay_alu instid0(VALU_DEP_1) | instskip(SKIP_1) | instid1(VALU_DEP_2)
	v_pk_fma_f32 v[82:83], v[78:79], v[74:75], v[80:81] op_sel_hi:[1,0,1]
	v_pk_fma_f32 v[74:75], v[78:79], v[74:75], v[80:81] neg_lo:[0,0,1] neg_hi:[0,0,1]
	v_mov_b32_e32 v75, v83
	s_cbranch_execz .LBB34_414
	s_branch .LBB34_415
.LBB34_413:
                                        ; implicit-def: $vgpr74_vgpr75
.LBB34_414:
	ds_load_b64 v[74:75], v1
.LBB34_415:
	s_mov_b32 s2, exec_lo
	v_cmpx_ne_u32_e32 7, v0
	s_cbranch_execz .LBB34_419
; %bb.416:
	v_add_nc_u32_e32 v77, 0x128, v38
	v_add3_u32 v78, 0, v38, 8
	v_mov_b32_e32 v79, v0
	s_mov_b32 s3, 0
.LBB34_417:                             ; =>This Inner Loop Header: Depth=1
	scratch_load_b64 v[80:81], v78, off
	ds_load_b64 v[82:83], v77
	s_wait_xcnt 0x0
	v_dual_add_nc_u32 v77, 8, v77 :: v_dual_add_nc_u32 v78, 8, v78
	s_wait_loadcnt_dscnt 0x0
	v_pk_mul_f32 v[84:85], v[82:83], v[80:81] op_sel:[1,1] op_sel_hi:[0,1]
	s_delay_alu instid0(VALU_DEP_1) | instskip(SKIP_2) | instid1(VALU_DEP_3)
	v_pk_fma_f32 v[86:87], v[82:83], v[80:81], v[84:85] op_sel_hi:[1,0,1]
	v_add_nc_u32_e32 v79, 1, v79
	v_pk_fma_f32 v[80:81], v[82:83], v[80:81], v[84:85] neg_lo:[0,0,1] neg_hi:[0,0,1]
	v_mov_b32_e32 v81, v87
	s_delay_alu instid0(VALU_DEP_3) | instskip(NEXT) | instid1(VALU_DEP_2)
	v_cmp_lt_u32_e32 vcc_lo, 6, v79
	v_pk_add_f32 v[74:75], v[74:75], v[80:81]
	s_or_b32 s3, vcc_lo, s3
	s_delay_alu instid0(SALU_CYCLE_1)
	s_and_not1_b32 exec_lo, exec_lo, s3
	s_cbranch_execnz .LBB34_417
; %bb.418:
	s_or_b32 exec_lo, exec_lo, s3
.LBB34_419:
	s_delay_alu instid0(SALU_CYCLE_1) | instskip(SKIP_4) | instid1(VALU_DEP_1)
	s_or_b32 exec_lo, exec_lo, s2
	v_mov_b32_e32 v77, 0
	ds_load_b64 v[78:79], v77 offset:64
	s_wait_dscnt 0x0
	v_pk_mul_f32 v[80:81], v[74:75], v[78:79] op_sel:[1,1] op_sel_hi:[0,1]
	v_pk_fma_f32 v[82:83], v[74:75], v[78:79], v[80:81] op_sel_hi:[1,0,1]
	v_pk_fma_f32 v[74:75], v[74:75], v[78:79], v[80:81] neg_lo:[0,0,1] neg_hi:[0,0,1]
	s_delay_alu instid0(VALU_DEP_2)
	v_mov_b32_e32 v75, v83
	scratch_store_b64 off, v[74:75], off offset:64
.LBB34_420:
	s_wait_xcnt 0x0
	s_or_b32 exec_lo, exec_lo, s0
	scratch_load_b64 v[74:75], off, off offset:72
	s_mov_b32 s0, exec_lo
	s_wait_loadcnt 0x0
	ds_store_b64 v1, v[74:75]
	s_wait_storecnt_dscnt 0x0
	s_barrier_signal -1
	s_barrier_wait -1
	s_wait_xcnt 0x0
	v_cmpx_gt_u32_e32 9, v0
	s_cbranch_execz .LBB34_430
; %bb.421:
	v_cmp_ne_u32_e32 vcc_lo, 1, v76
	s_cbranch_vccnz .LBB34_423
; %bb.422:
	scratch_load_b64 v[74:75], v39, off
	ds_load_b64 v[78:79], v1
	s_wait_loadcnt_dscnt 0x0
	v_pk_mul_f32 v[80:81], v[78:79], v[74:75] op_sel:[1,1] op_sel_hi:[0,1]
	s_delay_alu instid0(VALU_DEP_1) | instskip(SKIP_1) | instid1(VALU_DEP_2)
	v_pk_fma_f32 v[82:83], v[78:79], v[74:75], v[80:81] op_sel_hi:[1,0,1]
	v_pk_fma_f32 v[74:75], v[78:79], v[74:75], v[80:81] neg_lo:[0,0,1] neg_hi:[0,0,1]
	v_mov_b32_e32 v75, v83
	s_cbranch_execz .LBB34_424
	s_branch .LBB34_425
.LBB34_423:
                                        ; implicit-def: $vgpr74_vgpr75
.LBB34_424:
	ds_load_b64 v[74:75], v1
.LBB34_425:
	s_mov_b32 s2, exec_lo
	v_cmpx_ne_u32_e32 8, v0
	s_cbranch_execz .LBB34_429
; %bb.426:
	v_add_nc_u32_e32 v77, 0x128, v38
	v_add3_u32 v78, 0, v38, 8
	v_mov_b32_e32 v79, v0
	s_mov_b32 s3, 0
.LBB34_427:                             ; =>This Inner Loop Header: Depth=1
	scratch_load_b64 v[80:81], v78, off
	ds_load_b64 v[82:83], v77
	s_wait_xcnt 0x0
	v_dual_add_nc_u32 v77, 8, v77 :: v_dual_add_nc_u32 v78, 8, v78
	s_wait_loadcnt_dscnt 0x0
	v_pk_mul_f32 v[84:85], v[82:83], v[80:81] op_sel:[1,1] op_sel_hi:[0,1]
	s_delay_alu instid0(VALU_DEP_1) | instskip(SKIP_2) | instid1(VALU_DEP_3)
	v_pk_fma_f32 v[86:87], v[82:83], v[80:81], v[84:85] op_sel_hi:[1,0,1]
	v_add_nc_u32_e32 v79, 1, v79
	v_pk_fma_f32 v[80:81], v[82:83], v[80:81], v[84:85] neg_lo:[0,0,1] neg_hi:[0,0,1]
	v_mov_b32_e32 v81, v87
	s_delay_alu instid0(VALU_DEP_3) | instskip(NEXT) | instid1(VALU_DEP_2)
	v_cmp_lt_u32_e32 vcc_lo, 7, v79
	v_pk_add_f32 v[74:75], v[74:75], v[80:81]
	s_or_b32 s3, vcc_lo, s3
	s_delay_alu instid0(SALU_CYCLE_1)
	s_and_not1_b32 exec_lo, exec_lo, s3
	s_cbranch_execnz .LBB34_427
; %bb.428:
	s_or_b32 exec_lo, exec_lo, s3
.LBB34_429:
	s_delay_alu instid0(SALU_CYCLE_1) | instskip(SKIP_4) | instid1(VALU_DEP_1)
	s_or_b32 exec_lo, exec_lo, s2
	v_mov_b32_e32 v77, 0
	ds_load_b64 v[78:79], v77 offset:72
	s_wait_dscnt 0x0
	v_pk_mul_f32 v[80:81], v[74:75], v[78:79] op_sel:[1,1] op_sel_hi:[0,1]
	v_pk_fma_f32 v[82:83], v[74:75], v[78:79], v[80:81] op_sel_hi:[1,0,1]
	v_pk_fma_f32 v[74:75], v[74:75], v[78:79], v[80:81] neg_lo:[0,0,1] neg_hi:[0,0,1]
	s_delay_alu instid0(VALU_DEP_2)
	v_mov_b32_e32 v75, v83
	scratch_store_b64 off, v[74:75], off offset:72
.LBB34_430:
	s_wait_xcnt 0x0
	s_or_b32 exec_lo, exec_lo, s0
	scratch_load_b64 v[74:75], off, off offset:80
	s_mov_b32 s0, exec_lo
	s_wait_loadcnt 0x0
	ds_store_b64 v1, v[74:75]
	s_wait_storecnt_dscnt 0x0
	s_barrier_signal -1
	s_barrier_wait -1
	s_wait_xcnt 0x0
	v_cmpx_gt_u32_e32 10, v0
	s_cbranch_execz .LBB34_440
; %bb.431:
	v_cmp_ne_u32_e32 vcc_lo, 1, v76
	s_cbranch_vccnz .LBB34_433
; %bb.432:
	scratch_load_b64 v[74:75], v39, off
	ds_load_b64 v[78:79], v1
	s_wait_loadcnt_dscnt 0x0
	v_pk_mul_f32 v[80:81], v[78:79], v[74:75] op_sel:[1,1] op_sel_hi:[0,1]
	s_delay_alu instid0(VALU_DEP_1) | instskip(SKIP_1) | instid1(VALU_DEP_2)
	v_pk_fma_f32 v[82:83], v[78:79], v[74:75], v[80:81] op_sel_hi:[1,0,1]
	v_pk_fma_f32 v[74:75], v[78:79], v[74:75], v[80:81] neg_lo:[0,0,1] neg_hi:[0,0,1]
	v_mov_b32_e32 v75, v83
	s_cbranch_execz .LBB34_434
	s_branch .LBB34_435
.LBB34_433:
                                        ; implicit-def: $vgpr74_vgpr75
.LBB34_434:
	ds_load_b64 v[74:75], v1
.LBB34_435:
	s_mov_b32 s2, exec_lo
	v_cmpx_ne_u32_e32 9, v0
	s_cbranch_execz .LBB34_439
; %bb.436:
	v_add_nc_u32_e32 v77, 0x128, v38
	v_add3_u32 v78, 0, v38, 8
	v_mov_b32_e32 v79, v0
	s_mov_b32 s3, 0
.LBB34_437:                             ; =>This Inner Loop Header: Depth=1
	scratch_load_b64 v[80:81], v78, off
	ds_load_b64 v[82:83], v77
	s_wait_xcnt 0x0
	v_dual_add_nc_u32 v77, 8, v77 :: v_dual_add_nc_u32 v78, 8, v78
	s_wait_loadcnt_dscnt 0x0
	v_pk_mul_f32 v[84:85], v[82:83], v[80:81] op_sel:[1,1] op_sel_hi:[0,1]
	s_delay_alu instid0(VALU_DEP_1) | instskip(SKIP_2) | instid1(VALU_DEP_3)
	v_pk_fma_f32 v[86:87], v[82:83], v[80:81], v[84:85] op_sel_hi:[1,0,1]
	v_add_nc_u32_e32 v79, 1, v79
	v_pk_fma_f32 v[80:81], v[82:83], v[80:81], v[84:85] neg_lo:[0,0,1] neg_hi:[0,0,1]
	v_mov_b32_e32 v81, v87
	s_delay_alu instid0(VALU_DEP_3) | instskip(NEXT) | instid1(VALU_DEP_2)
	v_cmp_lt_u32_e32 vcc_lo, 8, v79
	v_pk_add_f32 v[74:75], v[74:75], v[80:81]
	s_or_b32 s3, vcc_lo, s3
	s_delay_alu instid0(SALU_CYCLE_1)
	s_and_not1_b32 exec_lo, exec_lo, s3
	s_cbranch_execnz .LBB34_437
; %bb.438:
	s_or_b32 exec_lo, exec_lo, s3
.LBB34_439:
	s_delay_alu instid0(SALU_CYCLE_1) | instskip(SKIP_4) | instid1(VALU_DEP_1)
	s_or_b32 exec_lo, exec_lo, s2
	v_mov_b32_e32 v77, 0
	ds_load_b64 v[78:79], v77 offset:80
	s_wait_dscnt 0x0
	v_pk_mul_f32 v[80:81], v[74:75], v[78:79] op_sel:[1,1] op_sel_hi:[0,1]
	v_pk_fma_f32 v[82:83], v[74:75], v[78:79], v[80:81] op_sel_hi:[1,0,1]
	v_pk_fma_f32 v[74:75], v[74:75], v[78:79], v[80:81] neg_lo:[0,0,1] neg_hi:[0,0,1]
	s_delay_alu instid0(VALU_DEP_2)
	v_mov_b32_e32 v75, v83
	scratch_store_b64 off, v[74:75], off offset:80
.LBB34_440:
	s_wait_xcnt 0x0
	s_or_b32 exec_lo, exec_lo, s0
	scratch_load_b64 v[74:75], off, off offset:88
	s_mov_b32 s0, exec_lo
	s_wait_loadcnt 0x0
	ds_store_b64 v1, v[74:75]
	s_wait_storecnt_dscnt 0x0
	s_barrier_signal -1
	s_barrier_wait -1
	s_wait_xcnt 0x0
	v_cmpx_gt_u32_e32 11, v0
	s_cbranch_execz .LBB34_450
; %bb.441:
	v_cmp_ne_u32_e32 vcc_lo, 1, v76
	s_cbranch_vccnz .LBB34_443
; %bb.442:
	scratch_load_b64 v[74:75], v39, off
	ds_load_b64 v[78:79], v1
	s_wait_loadcnt_dscnt 0x0
	v_pk_mul_f32 v[80:81], v[78:79], v[74:75] op_sel:[1,1] op_sel_hi:[0,1]
	s_delay_alu instid0(VALU_DEP_1) | instskip(SKIP_1) | instid1(VALU_DEP_2)
	v_pk_fma_f32 v[82:83], v[78:79], v[74:75], v[80:81] op_sel_hi:[1,0,1]
	v_pk_fma_f32 v[74:75], v[78:79], v[74:75], v[80:81] neg_lo:[0,0,1] neg_hi:[0,0,1]
	v_mov_b32_e32 v75, v83
	s_cbranch_execz .LBB34_444
	s_branch .LBB34_445
.LBB34_443:
                                        ; implicit-def: $vgpr74_vgpr75
.LBB34_444:
	ds_load_b64 v[74:75], v1
.LBB34_445:
	s_mov_b32 s2, exec_lo
	v_cmpx_ne_u32_e32 10, v0
	s_cbranch_execz .LBB34_449
; %bb.446:
	v_add_nc_u32_e32 v77, 0x128, v38
	v_add3_u32 v78, 0, v38, 8
	v_mov_b32_e32 v79, v0
	s_mov_b32 s3, 0
.LBB34_447:                             ; =>This Inner Loop Header: Depth=1
	scratch_load_b64 v[80:81], v78, off
	ds_load_b64 v[82:83], v77
	s_wait_xcnt 0x0
	v_dual_add_nc_u32 v77, 8, v77 :: v_dual_add_nc_u32 v78, 8, v78
	s_wait_loadcnt_dscnt 0x0
	v_pk_mul_f32 v[84:85], v[82:83], v[80:81] op_sel:[1,1] op_sel_hi:[0,1]
	s_delay_alu instid0(VALU_DEP_1) | instskip(SKIP_2) | instid1(VALU_DEP_3)
	v_pk_fma_f32 v[86:87], v[82:83], v[80:81], v[84:85] op_sel_hi:[1,0,1]
	v_add_nc_u32_e32 v79, 1, v79
	v_pk_fma_f32 v[80:81], v[82:83], v[80:81], v[84:85] neg_lo:[0,0,1] neg_hi:[0,0,1]
	v_mov_b32_e32 v81, v87
	s_delay_alu instid0(VALU_DEP_3) | instskip(NEXT) | instid1(VALU_DEP_2)
	v_cmp_lt_u32_e32 vcc_lo, 9, v79
	v_pk_add_f32 v[74:75], v[74:75], v[80:81]
	s_or_b32 s3, vcc_lo, s3
	s_delay_alu instid0(SALU_CYCLE_1)
	s_and_not1_b32 exec_lo, exec_lo, s3
	s_cbranch_execnz .LBB34_447
; %bb.448:
	s_or_b32 exec_lo, exec_lo, s3
.LBB34_449:
	s_delay_alu instid0(SALU_CYCLE_1) | instskip(SKIP_4) | instid1(VALU_DEP_1)
	s_or_b32 exec_lo, exec_lo, s2
	v_mov_b32_e32 v77, 0
	ds_load_b64 v[78:79], v77 offset:88
	s_wait_dscnt 0x0
	v_pk_mul_f32 v[80:81], v[74:75], v[78:79] op_sel:[1,1] op_sel_hi:[0,1]
	v_pk_fma_f32 v[82:83], v[74:75], v[78:79], v[80:81] op_sel_hi:[1,0,1]
	v_pk_fma_f32 v[74:75], v[74:75], v[78:79], v[80:81] neg_lo:[0,0,1] neg_hi:[0,0,1]
	s_delay_alu instid0(VALU_DEP_2)
	v_mov_b32_e32 v75, v83
	scratch_store_b64 off, v[74:75], off offset:88
.LBB34_450:
	s_wait_xcnt 0x0
	s_or_b32 exec_lo, exec_lo, s0
	scratch_load_b64 v[74:75], off, off offset:96
	s_mov_b32 s0, exec_lo
	s_wait_loadcnt 0x0
	ds_store_b64 v1, v[74:75]
	s_wait_storecnt_dscnt 0x0
	s_barrier_signal -1
	s_barrier_wait -1
	s_wait_xcnt 0x0
	v_cmpx_gt_u32_e32 12, v0
	s_cbranch_execz .LBB34_460
; %bb.451:
	v_cmp_ne_u32_e32 vcc_lo, 1, v76
	s_cbranch_vccnz .LBB34_453
; %bb.452:
	scratch_load_b64 v[74:75], v39, off
	ds_load_b64 v[78:79], v1
	s_wait_loadcnt_dscnt 0x0
	v_pk_mul_f32 v[80:81], v[78:79], v[74:75] op_sel:[1,1] op_sel_hi:[0,1]
	s_delay_alu instid0(VALU_DEP_1) | instskip(SKIP_1) | instid1(VALU_DEP_2)
	v_pk_fma_f32 v[82:83], v[78:79], v[74:75], v[80:81] op_sel_hi:[1,0,1]
	v_pk_fma_f32 v[74:75], v[78:79], v[74:75], v[80:81] neg_lo:[0,0,1] neg_hi:[0,0,1]
	v_mov_b32_e32 v75, v83
	s_cbranch_execz .LBB34_454
	s_branch .LBB34_455
.LBB34_453:
                                        ; implicit-def: $vgpr74_vgpr75
.LBB34_454:
	ds_load_b64 v[74:75], v1
.LBB34_455:
	s_mov_b32 s2, exec_lo
	v_cmpx_ne_u32_e32 11, v0
	s_cbranch_execz .LBB34_459
; %bb.456:
	v_add_nc_u32_e32 v77, 0x128, v38
	v_add3_u32 v78, 0, v38, 8
	v_mov_b32_e32 v79, v0
	s_mov_b32 s3, 0
.LBB34_457:                             ; =>This Inner Loop Header: Depth=1
	scratch_load_b64 v[80:81], v78, off
	ds_load_b64 v[82:83], v77
	s_wait_xcnt 0x0
	v_dual_add_nc_u32 v77, 8, v77 :: v_dual_add_nc_u32 v78, 8, v78
	s_wait_loadcnt_dscnt 0x0
	v_pk_mul_f32 v[84:85], v[82:83], v[80:81] op_sel:[1,1] op_sel_hi:[0,1]
	s_delay_alu instid0(VALU_DEP_1) | instskip(SKIP_2) | instid1(VALU_DEP_3)
	v_pk_fma_f32 v[86:87], v[82:83], v[80:81], v[84:85] op_sel_hi:[1,0,1]
	v_add_nc_u32_e32 v79, 1, v79
	v_pk_fma_f32 v[80:81], v[82:83], v[80:81], v[84:85] neg_lo:[0,0,1] neg_hi:[0,0,1]
	v_mov_b32_e32 v81, v87
	s_delay_alu instid0(VALU_DEP_3) | instskip(NEXT) | instid1(VALU_DEP_2)
	v_cmp_lt_u32_e32 vcc_lo, 10, v79
	v_pk_add_f32 v[74:75], v[74:75], v[80:81]
	s_or_b32 s3, vcc_lo, s3
	s_delay_alu instid0(SALU_CYCLE_1)
	s_and_not1_b32 exec_lo, exec_lo, s3
	s_cbranch_execnz .LBB34_457
; %bb.458:
	s_or_b32 exec_lo, exec_lo, s3
.LBB34_459:
	s_delay_alu instid0(SALU_CYCLE_1) | instskip(SKIP_4) | instid1(VALU_DEP_1)
	s_or_b32 exec_lo, exec_lo, s2
	v_mov_b32_e32 v77, 0
	ds_load_b64 v[78:79], v77 offset:96
	s_wait_dscnt 0x0
	v_pk_mul_f32 v[80:81], v[74:75], v[78:79] op_sel:[1,1] op_sel_hi:[0,1]
	v_pk_fma_f32 v[82:83], v[74:75], v[78:79], v[80:81] op_sel_hi:[1,0,1]
	v_pk_fma_f32 v[74:75], v[74:75], v[78:79], v[80:81] neg_lo:[0,0,1] neg_hi:[0,0,1]
	s_delay_alu instid0(VALU_DEP_2)
	v_mov_b32_e32 v75, v83
	scratch_store_b64 off, v[74:75], off offset:96
.LBB34_460:
	s_wait_xcnt 0x0
	s_or_b32 exec_lo, exec_lo, s0
	scratch_load_b64 v[74:75], off, off offset:104
	s_mov_b32 s0, exec_lo
	s_wait_loadcnt 0x0
	ds_store_b64 v1, v[74:75]
	s_wait_storecnt_dscnt 0x0
	s_barrier_signal -1
	s_barrier_wait -1
	s_wait_xcnt 0x0
	v_cmpx_gt_u32_e32 13, v0
	s_cbranch_execz .LBB34_470
; %bb.461:
	v_cmp_ne_u32_e32 vcc_lo, 1, v76
	s_cbranch_vccnz .LBB34_463
; %bb.462:
	scratch_load_b64 v[74:75], v39, off
	ds_load_b64 v[78:79], v1
	s_wait_loadcnt_dscnt 0x0
	v_pk_mul_f32 v[80:81], v[78:79], v[74:75] op_sel:[1,1] op_sel_hi:[0,1]
	s_delay_alu instid0(VALU_DEP_1) | instskip(SKIP_1) | instid1(VALU_DEP_2)
	v_pk_fma_f32 v[82:83], v[78:79], v[74:75], v[80:81] op_sel_hi:[1,0,1]
	v_pk_fma_f32 v[74:75], v[78:79], v[74:75], v[80:81] neg_lo:[0,0,1] neg_hi:[0,0,1]
	v_mov_b32_e32 v75, v83
	s_cbranch_execz .LBB34_464
	s_branch .LBB34_465
.LBB34_463:
                                        ; implicit-def: $vgpr74_vgpr75
.LBB34_464:
	ds_load_b64 v[74:75], v1
.LBB34_465:
	s_mov_b32 s2, exec_lo
	v_cmpx_ne_u32_e32 12, v0
	s_cbranch_execz .LBB34_469
; %bb.466:
	v_add_nc_u32_e32 v77, 0x128, v38
	v_add3_u32 v78, 0, v38, 8
	v_mov_b32_e32 v79, v0
	s_mov_b32 s3, 0
.LBB34_467:                             ; =>This Inner Loop Header: Depth=1
	scratch_load_b64 v[80:81], v78, off
	ds_load_b64 v[82:83], v77
	s_wait_xcnt 0x0
	v_dual_add_nc_u32 v77, 8, v77 :: v_dual_add_nc_u32 v78, 8, v78
	s_wait_loadcnt_dscnt 0x0
	v_pk_mul_f32 v[84:85], v[82:83], v[80:81] op_sel:[1,1] op_sel_hi:[0,1]
	s_delay_alu instid0(VALU_DEP_1) | instskip(SKIP_2) | instid1(VALU_DEP_3)
	v_pk_fma_f32 v[86:87], v[82:83], v[80:81], v[84:85] op_sel_hi:[1,0,1]
	v_add_nc_u32_e32 v79, 1, v79
	v_pk_fma_f32 v[80:81], v[82:83], v[80:81], v[84:85] neg_lo:[0,0,1] neg_hi:[0,0,1]
	v_mov_b32_e32 v81, v87
	s_delay_alu instid0(VALU_DEP_3) | instskip(NEXT) | instid1(VALU_DEP_2)
	v_cmp_lt_u32_e32 vcc_lo, 11, v79
	v_pk_add_f32 v[74:75], v[74:75], v[80:81]
	s_or_b32 s3, vcc_lo, s3
	s_delay_alu instid0(SALU_CYCLE_1)
	s_and_not1_b32 exec_lo, exec_lo, s3
	s_cbranch_execnz .LBB34_467
; %bb.468:
	s_or_b32 exec_lo, exec_lo, s3
.LBB34_469:
	s_delay_alu instid0(SALU_CYCLE_1) | instskip(SKIP_4) | instid1(VALU_DEP_1)
	s_or_b32 exec_lo, exec_lo, s2
	v_mov_b32_e32 v77, 0
	ds_load_b64 v[78:79], v77 offset:104
	s_wait_dscnt 0x0
	v_pk_mul_f32 v[80:81], v[74:75], v[78:79] op_sel:[1,1] op_sel_hi:[0,1]
	v_pk_fma_f32 v[82:83], v[74:75], v[78:79], v[80:81] op_sel_hi:[1,0,1]
	v_pk_fma_f32 v[74:75], v[74:75], v[78:79], v[80:81] neg_lo:[0,0,1] neg_hi:[0,0,1]
	s_delay_alu instid0(VALU_DEP_2)
	v_mov_b32_e32 v75, v83
	scratch_store_b64 off, v[74:75], off offset:104
.LBB34_470:
	s_wait_xcnt 0x0
	s_or_b32 exec_lo, exec_lo, s0
	scratch_load_b64 v[74:75], off, off offset:112
	s_mov_b32 s0, exec_lo
	s_wait_loadcnt 0x0
	ds_store_b64 v1, v[74:75]
	s_wait_storecnt_dscnt 0x0
	s_barrier_signal -1
	s_barrier_wait -1
	s_wait_xcnt 0x0
	v_cmpx_gt_u32_e32 14, v0
	s_cbranch_execz .LBB34_480
; %bb.471:
	v_cmp_ne_u32_e32 vcc_lo, 1, v76
	s_cbranch_vccnz .LBB34_473
; %bb.472:
	scratch_load_b64 v[74:75], v39, off
	ds_load_b64 v[78:79], v1
	s_wait_loadcnt_dscnt 0x0
	v_pk_mul_f32 v[80:81], v[78:79], v[74:75] op_sel:[1,1] op_sel_hi:[0,1]
	s_delay_alu instid0(VALU_DEP_1) | instskip(SKIP_1) | instid1(VALU_DEP_2)
	v_pk_fma_f32 v[82:83], v[78:79], v[74:75], v[80:81] op_sel_hi:[1,0,1]
	v_pk_fma_f32 v[74:75], v[78:79], v[74:75], v[80:81] neg_lo:[0,0,1] neg_hi:[0,0,1]
	v_mov_b32_e32 v75, v83
	s_cbranch_execz .LBB34_474
	s_branch .LBB34_475
.LBB34_473:
                                        ; implicit-def: $vgpr74_vgpr75
.LBB34_474:
	ds_load_b64 v[74:75], v1
.LBB34_475:
	s_mov_b32 s2, exec_lo
	v_cmpx_ne_u32_e32 13, v0
	s_cbranch_execz .LBB34_479
; %bb.476:
	v_add_nc_u32_e32 v77, 0x128, v38
	v_add3_u32 v78, 0, v38, 8
	v_mov_b32_e32 v79, v0
	s_mov_b32 s3, 0
.LBB34_477:                             ; =>This Inner Loop Header: Depth=1
	scratch_load_b64 v[80:81], v78, off
	ds_load_b64 v[82:83], v77
	s_wait_xcnt 0x0
	v_dual_add_nc_u32 v77, 8, v77 :: v_dual_add_nc_u32 v78, 8, v78
	s_wait_loadcnt_dscnt 0x0
	v_pk_mul_f32 v[84:85], v[82:83], v[80:81] op_sel:[1,1] op_sel_hi:[0,1]
	s_delay_alu instid0(VALU_DEP_1) | instskip(SKIP_2) | instid1(VALU_DEP_3)
	v_pk_fma_f32 v[86:87], v[82:83], v[80:81], v[84:85] op_sel_hi:[1,0,1]
	v_add_nc_u32_e32 v79, 1, v79
	v_pk_fma_f32 v[80:81], v[82:83], v[80:81], v[84:85] neg_lo:[0,0,1] neg_hi:[0,0,1]
	v_mov_b32_e32 v81, v87
	s_delay_alu instid0(VALU_DEP_3) | instskip(NEXT) | instid1(VALU_DEP_2)
	v_cmp_lt_u32_e32 vcc_lo, 12, v79
	v_pk_add_f32 v[74:75], v[74:75], v[80:81]
	s_or_b32 s3, vcc_lo, s3
	s_delay_alu instid0(SALU_CYCLE_1)
	s_and_not1_b32 exec_lo, exec_lo, s3
	s_cbranch_execnz .LBB34_477
; %bb.478:
	s_or_b32 exec_lo, exec_lo, s3
.LBB34_479:
	s_delay_alu instid0(SALU_CYCLE_1) | instskip(SKIP_4) | instid1(VALU_DEP_1)
	s_or_b32 exec_lo, exec_lo, s2
	v_mov_b32_e32 v77, 0
	ds_load_b64 v[78:79], v77 offset:112
	s_wait_dscnt 0x0
	v_pk_mul_f32 v[80:81], v[74:75], v[78:79] op_sel:[1,1] op_sel_hi:[0,1]
	v_pk_fma_f32 v[82:83], v[74:75], v[78:79], v[80:81] op_sel_hi:[1,0,1]
	v_pk_fma_f32 v[74:75], v[74:75], v[78:79], v[80:81] neg_lo:[0,0,1] neg_hi:[0,0,1]
	s_delay_alu instid0(VALU_DEP_2)
	v_mov_b32_e32 v75, v83
	scratch_store_b64 off, v[74:75], off offset:112
.LBB34_480:
	s_wait_xcnt 0x0
	s_or_b32 exec_lo, exec_lo, s0
	scratch_load_b64 v[74:75], off, off offset:120
	s_mov_b32 s0, exec_lo
	s_wait_loadcnt 0x0
	ds_store_b64 v1, v[74:75]
	s_wait_storecnt_dscnt 0x0
	s_barrier_signal -1
	s_barrier_wait -1
	s_wait_xcnt 0x0
	v_cmpx_gt_u32_e32 15, v0
	s_cbranch_execz .LBB34_490
; %bb.481:
	v_cmp_ne_u32_e32 vcc_lo, 1, v76
	s_cbranch_vccnz .LBB34_483
; %bb.482:
	scratch_load_b64 v[74:75], v39, off
	ds_load_b64 v[78:79], v1
	s_wait_loadcnt_dscnt 0x0
	v_pk_mul_f32 v[80:81], v[78:79], v[74:75] op_sel:[1,1] op_sel_hi:[0,1]
	s_delay_alu instid0(VALU_DEP_1) | instskip(SKIP_1) | instid1(VALU_DEP_2)
	v_pk_fma_f32 v[82:83], v[78:79], v[74:75], v[80:81] op_sel_hi:[1,0,1]
	v_pk_fma_f32 v[74:75], v[78:79], v[74:75], v[80:81] neg_lo:[0,0,1] neg_hi:[0,0,1]
	v_mov_b32_e32 v75, v83
	s_cbranch_execz .LBB34_484
	s_branch .LBB34_485
.LBB34_483:
                                        ; implicit-def: $vgpr74_vgpr75
.LBB34_484:
	ds_load_b64 v[74:75], v1
.LBB34_485:
	s_mov_b32 s2, exec_lo
	v_cmpx_ne_u32_e32 14, v0
	s_cbranch_execz .LBB34_489
; %bb.486:
	v_add_nc_u32_e32 v77, 0x128, v38
	v_add3_u32 v78, 0, v38, 8
	v_mov_b32_e32 v79, v0
	s_mov_b32 s3, 0
.LBB34_487:                             ; =>This Inner Loop Header: Depth=1
	scratch_load_b64 v[80:81], v78, off
	ds_load_b64 v[82:83], v77
	s_wait_xcnt 0x0
	v_dual_add_nc_u32 v77, 8, v77 :: v_dual_add_nc_u32 v78, 8, v78
	s_wait_loadcnt_dscnt 0x0
	v_pk_mul_f32 v[84:85], v[82:83], v[80:81] op_sel:[1,1] op_sel_hi:[0,1]
	s_delay_alu instid0(VALU_DEP_1) | instskip(SKIP_2) | instid1(VALU_DEP_3)
	v_pk_fma_f32 v[86:87], v[82:83], v[80:81], v[84:85] op_sel_hi:[1,0,1]
	v_add_nc_u32_e32 v79, 1, v79
	v_pk_fma_f32 v[80:81], v[82:83], v[80:81], v[84:85] neg_lo:[0,0,1] neg_hi:[0,0,1]
	v_mov_b32_e32 v81, v87
	s_delay_alu instid0(VALU_DEP_3) | instskip(NEXT) | instid1(VALU_DEP_2)
	v_cmp_lt_u32_e32 vcc_lo, 13, v79
	v_pk_add_f32 v[74:75], v[74:75], v[80:81]
	s_or_b32 s3, vcc_lo, s3
	s_delay_alu instid0(SALU_CYCLE_1)
	s_and_not1_b32 exec_lo, exec_lo, s3
	s_cbranch_execnz .LBB34_487
; %bb.488:
	s_or_b32 exec_lo, exec_lo, s3
.LBB34_489:
	s_delay_alu instid0(SALU_CYCLE_1) | instskip(SKIP_4) | instid1(VALU_DEP_1)
	s_or_b32 exec_lo, exec_lo, s2
	v_mov_b32_e32 v77, 0
	ds_load_b64 v[78:79], v77 offset:120
	s_wait_dscnt 0x0
	v_pk_mul_f32 v[80:81], v[74:75], v[78:79] op_sel:[1,1] op_sel_hi:[0,1]
	v_pk_fma_f32 v[82:83], v[74:75], v[78:79], v[80:81] op_sel_hi:[1,0,1]
	v_pk_fma_f32 v[74:75], v[74:75], v[78:79], v[80:81] neg_lo:[0,0,1] neg_hi:[0,0,1]
	s_delay_alu instid0(VALU_DEP_2)
	v_mov_b32_e32 v75, v83
	scratch_store_b64 off, v[74:75], off offset:120
.LBB34_490:
	s_wait_xcnt 0x0
	s_or_b32 exec_lo, exec_lo, s0
	scratch_load_b64 v[74:75], off, off offset:128
	s_mov_b32 s0, exec_lo
	s_wait_loadcnt 0x0
	ds_store_b64 v1, v[74:75]
	s_wait_storecnt_dscnt 0x0
	s_barrier_signal -1
	s_barrier_wait -1
	s_wait_xcnt 0x0
	v_cmpx_gt_u32_e32 16, v0
	s_cbranch_execz .LBB34_500
; %bb.491:
	v_cmp_ne_u32_e32 vcc_lo, 1, v76
	s_cbranch_vccnz .LBB34_493
; %bb.492:
	scratch_load_b64 v[74:75], v39, off
	ds_load_b64 v[78:79], v1
	s_wait_loadcnt_dscnt 0x0
	v_pk_mul_f32 v[80:81], v[78:79], v[74:75] op_sel:[1,1] op_sel_hi:[0,1]
	s_delay_alu instid0(VALU_DEP_1) | instskip(SKIP_1) | instid1(VALU_DEP_2)
	v_pk_fma_f32 v[82:83], v[78:79], v[74:75], v[80:81] op_sel_hi:[1,0,1]
	v_pk_fma_f32 v[74:75], v[78:79], v[74:75], v[80:81] neg_lo:[0,0,1] neg_hi:[0,0,1]
	v_mov_b32_e32 v75, v83
	s_cbranch_execz .LBB34_494
	s_branch .LBB34_495
.LBB34_493:
                                        ; implicit-def: $vgpr74_vgpr75
.LBB34_494:
	ds_load_b64 v[74:75], v1
.LBB34_495:
	s_mov_b32 s2, exec_lo
	v_cmpx_ne_u32_e32 15, v0
	s_cbranch_execz .LBB34_499
; %bb.496:
	v_add_nc_u32_e32 v77, 0x128, v38
	v_add3_u32 v78, 0, v38, 8
	v_mov_b32_e32 v79, v0
	s_mov_b32 s3, 0
.LBB34_497:                             ; =>This Inner Loop Header: Depth=1
	scratch_load_b64 v[80:81], v78, off
	ds_load_b64 v[82:83], v77
	s_wait_xcnt 0x0
	v_dual_add_nc_u32 v77, 8, v77 :: v_dual_add_nc_u32 v78, 8, v78
	s_wait_loadcnt_dscnt 0x0
	v_pk_mul_f32 v[84:85], v[82:83], v[80:81] op_sel:[1,1] op_sel_hi:[0,1]
	s_delay_alu instid0(VALU_DEP_1) | instskip(SKIP_2) | instid1(VALU_DEP_3)
	v_pk_fma_f32 v[86:87], v[82:83], v[80:81], v[84:85] op_sel_hi:[1,0,1]
	v_add_nc_u32_e32 v79, 1, v79
	v_pk_fma_f32 v[80:81], v[82:83], v[80:81], v[84:85] neg_lo:[0,0,1] neg_hi:[0,0,1]
	v_mov_b32_e32 v81, v87
	s_delay_alu instid0(VALU_DEP_3) | instskip(NEXT) | instid1(VALU_DEP_2)
	v_cmp_lt_u32_e32 vcc_lo, 14, v79
	v_pk_add_f32 v[74:75], v[74:75], v[80:81]
	s_or_b32 s3, vcc_lo, s3
	s_delay_alu instid0(SALU_CYCLE_1)
	s_and_not1_b32 exec_lo, exec_lo, s3
	s_cbranch_execnz .LBB34_497
; %bb.498:
	s_or_b32 exec_lo, exec_lo, s3
.LBB34_499:
	s_delay_alu instid0(SALU_CYCLE_1) | instskip(SKIP_4) | instid1(VALU_DEP_1)
	s_or_b32 exec_lo, exec_lo, s2
	v_mov_b32_e32 v77, 0
	ds_load_b64 v[78:79], v77 offset:128
	s_wait_dscnt 0x0
	v_pk_mul_f32 v[80:81], v[74:75], v[78:79] op_sel:[1,1] op_sel_hi:[0,1]
	v_pk_fma_f32 v[82:83], v[74:75], v[78:79], v[80:81] op_sel_hi:[1,0,1]
	v_pk_fma_f32 v[74:75], v[74:75], v[78:79], v[80:81] neg_lo:[0,0,1] neg_hi:[0,0,1]
	s_delay_alu instid0(VALU_DEP_2)
	v_mov_b32_e32 v75, v83
	scratch_store_b64 off, v[74:75], off offset:128
.LBB34_500:
	s_wait_xcnt 0x0
	s_or_b32 exec_lo, exec_lo, s0
	scratch_load_b64 v[74:75], off, off offset:136
	s_mov_b32 s0, exec_lo
	s_wait_loadcnt 0x0
	ds_store_b64 v1, v[74:75]
	s_wait_storecnt_dscnt 0x0
	s_barrier_signal -1
	s_barrier_wait -1
	s_wait_xcnt 0x0
	v_cmpx_gt_u32_e32 17, v0
	s_cbranch_execz .LBB34_510
; %bb.501:
	v_cmp_ne_u32_e32 vcc_lo, 1, v76
	s_cbranch_vccnz .LBB34_503
; %bb.502:
	scratch_load_b64 v[74:75], v39, off
	ds_load_b64 v[78:79], v1
	s_wait_loadcnt_dscnt 0x0
	v_pk_mul_f32 v[80:81], v[78:79], v[74:75] op_sel:[1,1] op_sel_hi:[0,1]
	s_delay_alu instid0(VALU_DEP_1) | instskip(SKIP_1) | instid1(VALU_DEP_2)
	v_pk_fma_f32 v[82:83], v[78:79], v[74:75], v[80:81] op_sel_hi:[1,0,1]
	v_pk_fma_f32 v[74:75], v[78:79], v[74:75], v[80:81] neg_lo:[0,0,1] neg_hi:[0,0,1]
	v_mov_b32_e32 v75, v83
	s_cbranch_execz .LBB34_504
	s_branch .LBB34_505
.LBB34_503:
                                        ; implicit-def: $vgpr74_vgpr75
.LBB34_504:
	ds_load_b64 v[74:75], v1
.LBB34_505:
	s_mov_b32 s2, exec_lo
	v_cmpx_ne_u32_e32 16, v0
	s_cbranch_execz .LBB34_509
; %bb.506:
	v_add_nc_u32_e32 v77, 0x128, v38
	v_add3_u32 v78, 0, v38, 8
	v_mov_b32_e32 v79, v0
	s_mov_b32 s3, 0
.LBB34_507:                             ; =>This Inner Loop Header: Depth=1
	scratch_load_b64 v[80:81], v78, off
	ds_load_b64 v[82:83], v77
	s_wait_xcnt 0x0
	v_dual_add_nc_u32 v77, 8, v77 :: v_dual_add_nc_u32 v78, 8, v78
	s_wait_loadcnt_dscnt 0x0
	v_pk_mul_f32 v[84:85], v[82:83], v[80:81] op_sel:[1,1] op_sel_hi:[0,1]
	s_delay_alu instid0(VALU_DEP_1) | instskip(SKIP_2) | instid1(VALU_DEP_3)
	v_pk_fma_f32 v[86:87], v[82:83], v[80:81], v[84:85] op_sel_hi:[1,0,1]
	v_add_nc_u32_e32 v79, 1, v79
	v_pk_fma_f32 v[80:81], v[82:83], v[80:81], v[84:85] neg_lo:[0,0,1] neg_hi:[0,0,1]
	v_mov_b32_e32 v81, v87
	s_delay_alu instid0(VALU_DEP_3) | instskip(NEXT) | instid1(VALU_DEP_2)
	v_cmp_lt_u32_e32 vcc_lo, 15, v79
	v_pk_add_f32 v[74:75], v[74:75], v[80:81]
	s_or_b32 s3, vcc_lo, s3
	s_delay_alu instid0(SALU_CYCLE_1)
	s_and_not1_b32 exec_lo, exec_lo, s3
	s_cbranch_execnz .LBB34_507
; %bb.508:
	s_or_b32 exec_lo, exec_lo, s3
.LBB34_509:
	s_delay_alu instid0(SALU_CYCLE_1) | instskip(SKIP_4) | instid1(VALU_DEP_1)
	s_or_b32 exec_lo, exec_lo, s2
	v_mov_b32_e32 v77, 0
	ds_load_b64 v[78:79], v77 offset:136
	s_wait_dscnt 0x0
	v_pk_mul_f32 v[80:81], v[74:75], v[78:79] op_sel:[1,1] op_sel_hi:[0,1]
	v_pk_fma_f32 v[82:83], v[74:75], v[78:79], v[80:81] op_sel_hi:[1,0,1]
	v_pk_fma_f32 v[74:75], v[74:75], v[78:79], v[80:81] neg_lo:[0,0,1] neg_hi:[0,0,1]
	s_delay_alu instid0(VALU_DEP_2)
	v_mov_b32_e32 v75, v83
	scratch_store_b64 off, v[74:75], off offset:136
.LBB34_510:
	s_wait_xcnt 0x0
	s_or_b32 exec_lo, exec_lo, s0
	scratch_load_b64 v[74:75], off, off offset:144
	s_mov_b32 s0, exec_lo
	s_wait_loadcnt 0x0
	ds_store_b64 v1, v[74:75]
	s_wait_storecnt_dscnt 0x0
	s_barrier_signal -1
	s_barrier_wait -1
	s_wait_xcnt 0x0
	v_cmpx_gt_u32_e32 18, v0
	s_cbranch_execz .LBB34_520
; %bb.511:
	v_cmp_ne_u32_e32 vcc_lo, 1, v76
	s_cbranch_vccnz .LBB34_513
; %bb.512:
	scratch_load_b64 v[74:75], v39, off
	ds_load_b64 v[78:79], v1
	s_wait_loadcnt_dscnt 0x0
	v_pk_mul_f32 v[80:81], v[78:79], v[74:75] op_sel:[1,1] op_sel_hi:[0,1]
	s_delay_alu instid0(VALU_DEP_1) | instskip(SKIP_1) | instid1(VALU_DEP_2)
	v_pk_fma_f32 v[82:83], v[78:79], v[74:75], v[80:81] op_sel_hi:[1,0,1]
	v_pk_fma_f32 v[74:75], v[78:79], v[74:75], v[80:81] neg_lo:[0,0,1] neg_hi:[0,0,1]
	v_mov_b32_e32 v75, v83
	s_cbranch_execz .LBB34_514
	s_branch .LBB34_515
.LBB34_513:
                                        ; implicit-def: $vgpr74_vgpr75
.LBB34_514:
	ds_load_b64 v[74:75], v1
.LBB34_515:
	s_mov_b32 s2, exec_lo
	v_cmpx_ne_u32_e32 17, v0
	s_cbranch_execz .LBB34_519
; %bb.516:
	v_add_nc_u32_e32 v77, 0x128, v38
	v_add3_u32 v78, 0, v38, 8
	v_mov_b32_e32 v79, v0
	s_mov_b32 s3, 0
.LBB34_517:                             ; =>This Inner Loop Header: Depth=1
	scratch_load_b64 v[80:81], v78, off
	ds_load_b64 v[82:83], v77
	s_wait_xcnt 0x0
	v_dual_add_nc_u32 v77, 8, v77 :: v_dual_add_nc_u32 v78, 8, v78
	s_wait_loadcnt_dscnt 0x0
	v_pk_mul_f32 v[84:85], v[82:83], v[80:81] op_sel:[1,1] op_sel_hi:[0,1]
	s_delay_alu instid0(VALU_DEP_1) | instskip(SKIP_2) | instid1(VALU_DEP_3)
	v_pk_fma_f32 v[86:87], v[82:83], v[80:81], v[84:85] op_sel_hi:[1,0,1]
	v_add_nc_u32_e32 v79, 1, v79
	v_pk_fma_f32 v[80:81], v[82:83], v[80:81], v[84:85] neg_lo:[0,0,1] neg_hi:[0,0,1]
	v_mov_b32_e32 v81, v87
	s_delay_alu instid0(VALU_DEP_3) | instskip(NEXT) | instid1(VALU_DEP_2)
	v_cmp_lt_u32_e32 vcc_lo, 16, v79
	v_pk_add_f32 v[74:75], v[74:75], v[80:81]
	s_or_b32 s3, vcc_lo, s3
	s_delay_alu instid0(SALU_CYCLE_1)
	s_and_not1_b32 exec_lo, exec_lo, s3
	s_cbranch_execnz .LBB34_517
; %bb.518:
	s_or_b32 exec_lo, exec_lo, s3
.LBB34_519:
	s_delay_alu instid0(SALU_CYCLE_1) | instskip(SKIP_4) | instid1(VALU_DEP_1)
	s_or_b32 exec_lo, exec_lo, s2
	v_mov_b32_e32 v77, 0
	ds_load_b64 v[78:79], v77 offset:144
	s_wait_dscnt 0x0
	v_pk_mul_f32 v[80:81], v[74:75], v[78:79] op_sel:[1,1] op_sel_hi:[0,1]
	v_pk_fma_f32 v[82:83], v[74:75], v[78:79], v[80:81] op_sel_hi:[1,0,1]
	v_pk_fma_f32 v[74:75], v[74:75], v[78:79], v[80:81] neg_lo:[0,0,1] neg_hi:[0,0,1]
	s_delay_alu instid0(VALU_DEP_2)
	v_mov_b32_e32 v75, v83
	scratch_store_b64 off, v[74:75], off offset:144
.LBB34_520:
	s_wait_xcnt 0x0
	s_or_b32 exec_lo, exec_lo, s0
	scratch_load_b64 v[74:75], off, off offset:152
	s_mov_b32 s0, exec_lo
	s_wait_loadcnt 0x0
	ds_store_b64 v1, v[74:75]
	s_wait_storecnt_dscnt 0x0
	s_barrier_signal -1
	s_barrier_wait -1
	s_wait_xcnt 0x0
	v_cmpx_gt_u32_e32 19, v0
	s_cbranch_execz .LBB34_530
; %bb.521:
	v_cmp_ne_u32_e32 vcc_lo, 1, v76
	s_cbranch_vccnz .LBB34_523
; %bb.522:
	scratch_load_b64 v[74:75], v39, off
	ds_load_b64 v[78:79], v1
	s_wait_loadcnt_dscnt 0x0
	v_pk_mul_f32 v[80:81], v[78:79], v[74:75] op_sel:[1,1] op_sel_hi:[0,1]
	s_delay_alu instid0(VALU_DEP_1) | instskip(SKIP_1) | instid1(VALU_DEP_2)
	v_pk_fma_f32 v[82:83], v[78:79], v[74:75], v[80:81] op_sel_hi:[1,0,1]
	v_pk_fma_f32 v[74:75], v[78:79], v[74:75], v[80:81] neg_lo:[0,0,1] neg_hi:[0,0,1]
	v_mov_b32_e32 v75, v83
	s_cbranch_execz .LBB34_524
	s_branch .LBB34_525
.LBB34_523:
                                        ; implicit-def: $vgpr74_vgpr75
.LBB34_524:
	ds_load_b64 v[74:75], v1
.LBB34_525:
	s_mov_b32 s2, exec_lo
	v_cmpx_ne_u32_e32 18, v0
	s_cbranch_execz .LBB34_529
; %bb.526:
	v_add_nc_u32_e32 v77, 0x128, v38
	v_add3_u32 v78, 0, v38, 8
	v_mov_b32_e32 v79, v0
	s_mov_b32 s3, 0
.LBB34_527:                             ; =>This Inner Loop Header: Depth=1
	scratch_load_b64 v[80:81], v78, off
	ds_load_b64 v[82:83], v77
	s_wait_xcnt 0x0
	v_dual_add_nc_u32 v77, 8, v77 :: v_dual_add_nc_u32 v78, 8, v78
	s_wait_loadcnt_dscnt 0x0
	v_pk_mul_f32 v[84:85], v[82:83], v[80:81] op_sel:[1,1] op_sel_hi:[0,1]
	s_delay_alu instid0(VALU_DEP_1) | instskip(SKIP_2) | instid1(VALU_DEP_3)
	v_pk_fma_f32 v[86:87], v[82:83], v[80:81], v[84:85] op_sel_hi:[1,0,1]
	v_add_nc_u32_e32 v79, 1, v79
	v_pk_fma_f32 v[80:81], v[82:83], v[80:81], v[84:85] neg_lo:[0,0,1] neg_hi:[0,0,1]
	v_mov_b32_e32 v81, v87
	s_delay_alu instid0(VALU_DEP_3) | instskip(NEXT) | instid1(VALU_DEP_2)
	v_cmp_lt_u32_e32 vcc_lo, 17, v79
	v_pk_add_f32 v[74:75], v[74:75], v[80:81]
	s_or_b32 s3, vcc_lo, s3
	s_delay_alu instid0(SALU_CYCLE_1)
	s_and_not1_b32 exec_lo, exec_lo, s3
	s_cbranch_execnz .LBB34_527
; %bb.528:
	s_or_b32 exec_lo, exec_lo, s3
.LBB34_529:
	s_delay_alu instid0(SALU_CYCLE_1) | instskip(SKIP_4) | instid1(VALU_DEP_1)
	s_or_b32 exec_lo, exec_lo, s2
	v_mov_b32_e32 v77, 0
	ds_load_b64 v[78:79], v77 offset:152
	s_wait_dscnt 0x0
	v_pk_mul_f32 v[80:81], v[74:75], v[78:79] op_sel:[1,1] op_sel_hi:[0,1]
	v_pk_fma_f32 v[82:83], v[74:75], v[78:79], v[80:81] op_sel_hi:[1,0,1]
	v_pk_fma_f32 v[74:75], v[74:75], v[78:79], v[80:81] neg_lo:[0,0,1] neg_hi:[0,0,1]
	s_delay_alu instid0(VALU_DEP_2)
	v_mov_b32_e32 v75, v83
	scratch_store_b64 off, v[74:75], off offset:152
.LBB34_530:
	s_wait_xcnt 0x0
	s_or_b32 exec_lo, exec_lo, s0
	scratch_load_b64 v[74:75], off, off offset:160
	s_mov_b32 s0, exec_lo
	s_wait_loadcnt 0x0
	ds_store_b64 v1, v[74:75]
	s_wait_storecnt_dscnt 0x0
	s_barrier_signal -1
	s_barrier_wait -1
	s_wait_xcnt 0x0
	v_cmpx_gt_u32_e32 20, v0
	s_cbranch_execz .LBB34_540
; %bb.531:
	v_cmp_ne_u32_e32 vcc_lo, 1, v76
	s_cbranch_vccnz .LBB34_533
; %bb.532:
	scratch_load_b64 v[74:75], v39, off
	ds_load_b64 v[78:79], v1
	s_wait_loadcnt_dscnt 0x0
	v_pk_mul_f32 v[80:81], v[78:79], v[74:75] op_sel:[1,1] op_sel_hi:[0,1]
	s_delay_alu instid0(VALU_DEP_1) | instskip(SKIP_1) | instid1(VALU_DEP_2)
	v_pk_fma_f32 v[82:83], v[78:79], v[74:75], v[80:81] op_sel_hi:[1,0,1]
	v_pk_fma_f32 v[74:75], v[78:79], v[74:75], v[80:81] neg_lo:[0,0,1] neg_hi:[0,0,1]
	v_mov_b32_e32 v75, v83
	s_cbranch_execz .LBB34_534
	s_branch .LBB34_535
.LBB34_533:
                                        ; implicit-def: $vgpr74_vgpr75
.LBB34_534:
	ds_load_b64 v[74:75], v1
.LBB34_535:
	s_mov_b32 s2, exec_lo
	v_cmpx_ne_u32_e32 19, v0
	s_cbranch_execz .LBB34_539
; %bb.536:
	v_add_nc_u32_e32 v77, 0x128, v38
	v_add3_u32 v78, 0, v38, 8
	v_mov_b32_e32 v79, v0
	s_mov_b32 s3, 0
.LBB34_537:                             ; =>This Inner Loop Header: Depth=1
	scratch_load_b64 v[80:81], v78, off
	ds_load_b64 v[82:83], v77
	s_wait_xcnt 0x0
	v_dual_add_nc_u32 v77, 8, v77 :: v_dual_add_nc_u32 v78, 8, v78
	s_wait_loadcnt_dscnt 0x0
	v_pk_mul_f32 v[84:85], v[82:83], v[80:81] op_sel:[1,1] op_sel_hi:[0,1]
	s_delay_alu instid0(VALU_DEP_1) | instskip(SKIP_2) | instid1(VALU_DEP_3)
	v_pk_fma_f32 v[86:87], v[82:83], v[80:81], v[84:85] op_sel_hi:[1,0,1]
	v_add_nc_u32_e32 v79, 1, v79
	v_pk_fma_f32 v[80:81], v[82:83], v[80:81], v[84:85] neg_lo:[0,0,1] neg_hi:[0,0,1]
	v_mov_b32_e32 v81, v87
	s_delay_alu instid0(VALU_DEP_3) | instskip(NEXT) | instid1(VALU_DEP_2)
	v_cmp_lt_u32_e32 vcc_lo, 18, v79
	v_pk_add_f32 v[74:75], v[74:75], v[80:81]
	s_or_b32 s3, vcc_lo, s3
	s_delay_alu instid0(SALU_CYCLE_1)
	s_and_not1_b32 exec_lo, exec_lo, s3
	s_cbranch_execnz .LBB34_537
; %bb.538:
	s_or_b32 exec_lo, exec_lo, s3
.LBB34_539:
	s_delay_alu instid0(SALU_CYCLE_1) | instskip(SKIP_4) | instid1(VALU_DEP_1)
	s_or_b32 exec_lo, exec_lo, s2
	v_mov_b32_e32 v77, 0
	ds_load_b64 v[78:79], v77 offset:160
	s_wait_dscnt 0x0
	v_pk_mul_f32 v[80:81], v[74:75], v[78:79] op_sel:[1,1] op_sel_hi:[0,1]
	v_pk_fma_f32 v[82:83], v[74:75], v[78:79], v[80:81] op_sel_hi:[1,0,1]
	v_pk_fma_f32 v[74:75], v[74:75], v[78:79], v[80:81] neg_lo:[0,0,1] neg_hi:[0,0,1]
	s_delay_alu instid0(VALU_DEP_2)
	v_mov_b32_e32 v75, v83
	scratch_store_b64 off, v[74:75], off offset:160
.LBB34_540:
	s_wait_xcnt 0x0
	s_or_b32 exec_lo, exec_lo, s0
	scratch_load_b64 v[74:75], off, off offset:168
	s_mov_b32 s0, exec_lo
	s_wait_loadcnt 0x0
	ds_store_b64 v1, v[74:75]
	s_wait_storecnt_dscnt 0x0
	s_barrier_signal -1
	s_barrier_wait -1
	s_wait_xcnt 0x0
	v_cmpx_gt_u32_e32 21, v0
	s_cbranch_execz .LBB34_550
; %bb.541:
	v_cmp_ne_u32_e32 vcc_lo, 1, v76
	s_cbranch_vccnz .LBB34_543
; %bb.542:
	scratch_load_b64 v[74:75], v39, off
	ds_load_b64 v[78:79], v1
	s_wait_loadcnt_dscnt 0x0
	v_pk_mul_f32 v[80:81], v[78:79], v[74:75] op_sel:[1,1] op_sel_hi:[0,1]
	s_delay_alu instid0(VALU_DEP_1) | instskip(SKIP_1) | instid1(VALU_DEP_2)
	v_pk_fma_f32 v[82:83], v[78:79], v[74:75], v[80:81] op_sel_hi:[1,0,1]
	v_pk_fma_f32 v[74:75], v[78:79], v[74:75], v[80:81] neg_lo:[0,0,1] neg_hi:[0,0,1]
	v_mov_b32_e32 v75, v83
	s_cbranch_execz .LBB34_544
	s_branch .LBB34_545
.LBB34_543:
                                        ; implicit-def: $vgpr74_vgpr75
.LBB34_544:
	ds_load_b64 v[74:75], v1
.LBB34_545:
	s_mov_b32 s2, exec_lo
	v_cmpx_ne_u32_e32 20, v0
	s_cbranch_execz .LBB34_549
; %bb.546:
	v_add_nc_u32_e32 v77, 0x128, v38
	v_add3_u32 v78, 0, v38, 8
	v_mov_b32_e32 v79, v0
	s_mov_b32 s3, 0
.LBB34_547:                             ; =>This Inner Loop Header: Depth=1
	scratch_load_b64 v[80:81], v78, off
	ds_load_b64 v[82:83], v77
	s_wait_xcnt 0x0
	v_dual_add_nc_u32 v77, 8, v77 :: v_dual_add_nc_u32 v78, 8, v78
	s_wait_loadcnt_dscnt 0x0
	v_pk_mul_f32 v[84:85], v[82:83], v[80:81] op_sel:[1,1] op_sel_hi:[0,1]
	s_delay_alu instid0(VALU_DEP_1) | instskip(SKIP_2) | instid1(VALU_DEP_3)
	v_pk_fma_f32 v[86:87], v[82:83], v[80:81], v[84:85] op_sel_hi:[1,0,1]
	v_add_nc_u32_e32 v79, 1, v79
	v_pk_fma_f32 v[80:81], v[82:83], v[80:81], v[84:85] neg_lo:[0,0,1] neg_hi:[0,0,1]
	v_mov_b32_e32 v81, v87
	s_delay_alu instid0(VALU_DEP_3) | instskip(NEXT) | instid1(VALU_DEP_2)
	v_cmp_lt_u32_e32 vcc_lo, 19, v79
	v_pk_add_f32 v[74:75], v[74:75], v[80:81]
	s_or_b32 s3, vcc_lo, s3
	s_delay_alu instid0(SALU_CYCLE_1)
	s_and_not1_b32 exec_lo, exec_lo, s3
	s_cbranch_execnz .LBB34_547
; %bb.548:
	s_or_b32 exec_lo, exec_lo, s3
.LBB34_549:
	s_delay_alu instid0(SALU_CYCLE_1) | instskip(SKIP_4) | instid1(VALU_DEP_1)
	s_or_b32 exec_lo, exec_lo, s2
	v_mov_b32_e32 v77, 0
	ds_load_b64 v[78:79], v77 offset:168
	s_wait_dscnt 0x0
	v_pk_mul_f32 v[80:81], v[74:75], v[78:79] op_sel:[1,1] op_sel_hi:[0,1]
	v_pk_fma_f32 v[82:83], v[74:75], v[78:79], v[80:81] op_sel_hi:[1,0,1]
	v_pk_fma_f32 v[74:75], v[74:75], v[78:79], v[80:81] neg_lo:[0,0,1] neg_hi:[0,0,1]
	s_delay_alu instid0(VALU_DEP_2)
	v_mov_b32_e32 v75, v83
	scratch_store_b64 off, v[74:75], off offset:168
.LBB34_550:
	s_wait_xcnt 0x0
	s_or_b32 exec_lo, exec_lo, s0
	scratch_load_b64 v[74:75], off, off offset:176
	s_mov_b32 s0, exec_lo
	s_wait_loadcnt 0x0
	ds_store_b64 v1, v[74:75]
	s_wait_storecnt_dscnt 0x0
	s_barrier_signal -1
	s_barrier_wait -1
	s_wait_xcnt 0x0
	v_cmpx_gt_u32_e32 22, v0
	s_cbranch_execz .LBB34_560
; %bb.551:
	v_cmp_ne_u32_e32 vcc_lo, 1, v76
	s_cbranch_vccnz .LBB34_553
; %bb.552:
	scratch_load_b64 v[74:75], v39, off
	ds_load_b64 v[78:79], v1
	s_wait_loadcnt_dscnt 0x0
	v_pk_mul_f32 v[80:81], v[78:79], v[74:75] op_sel:[1,1] op_sel_hi:[0,1]
	s_delay_alu instid0(VALU_DEP_1) | instskip(SKIP_1) | instid1(VALU_DEP_2)
	v_pk_fma_f32 v[82:83], v[78:79], v[74:75], v[80:81] op_sel_hi:[1,0,1]
	v_pk_fma_f32 v[74:75], v[78:79], v[74:75], v[80:81] neg_lo:[0,0,1] neg_hi:[0,0,1]
	v_mov_b32_e32 v75, v83
	s_cbranch_execz .LBB34_554
	s_branch .LBB34_555
.LBB34_553:
                                        ; implicit-def: $vgpr74_vgpr75
.LBB34_554:
	ds_load_b64 v[74:75], v1
.LBB34_555:
	s_mov_b32 s2, exec_lo
	v_cmpx_ne_u32_e32 21, v0
	s_cbranch_execz .LBB34_559
; %bb.556:
	v_add_nc_u32_e32 v77, 0x128, v38
	v_add3_u32 v78, 0, v38, 8
	v_mov_b32_e32 v79, v0
	s_mov_b32 s3, 0
.LBB34_557:                             ; =>This Inner Loop Header: Depth=1
	scratch_load_b64 v[80:81], v78, off
	ds_load_b64 v[82:83], v77
	s_wait_xcnt 0x0
	v_dual_add_nc_u32 v77, 8, v77 :: v_dual_add_nc_u32 v78, 8, v78
	s_wait_loadcnt_dscnt 0x0
	v_pk_mul_f32 v[84:85], v[82:83], v[80:81] op_sel:[1,1] op_sel_hi:[0,1]
	s_delay_alu instid0(VALU_DEP_1) | instskip(SKIP_2) | instid1(VALU_DEP_3)
	v_pk_fma_f32 v[86:87], v[82:83], v[80:81], v[84:85] op_sel_hi:[1,0,1]
	v_add_nc_u32_e32 v79, 1, v79
	v_pk_fma_f32 v[80:81], v[82:83], v[80:81], v[84:85] neg_lo:[0,0,1] neg_hi:[0,0,1]
	v_mov_b32_e32 v81, v87
	s_delay_alu instid0(VALU_DEP_3) | instskip(NEXT) | instid1(VALU_DEP_2)
	v_cmp_lt_u32_e32 vcc_lo, 20, v79
	v_pk_add_f32 v[74:75], v[74:75], v[80:81]
	s_or_b32 s3, vcc_lo, s3
	s_delay_alu instid0(SALU_CYCLE_1)
	s_and_not1_b32 exec_lo, exec_lo, s3
	s_cbranch_execnz .LBB34_557
; %bb.558:
	s_or_b32 exec_lo, exec_lo, s3
.LBB34_559:
	s_delay_alu instid0(SALU_CYCLE_1) | instskip(SKIP_4) | instid1(VALU_DEP_1)
	s_or_b32 exec_lo, exec_lo, s2
	v_mov_b32_e32 v77, 0
	ds_load_b64 v[78:79], v77 offset:176
	s_wait_dscnt 0x0
	v_pk_mul_f32 v[80:81], v[74:75], v[78:79] op_sel:[1,1] op_sel_hi:[0,1]
	v_pk_fma_f32 v[82:83], v[74:75], v[78:79], v[80:81] op_sel_hi:[1,0,1]
	v_pk_fma_f32 v[74:75], v[74:75], v[78:79], v[80:81] neg_lo:[0,0,1] neg_hi:[0,0,1]
	s_delay_alu instid0(VALU_DEP_2)
	v_mov_b32_e32 v75, v83
	scratch_store_b64 off, v[74:75], off offset:176
.LBB34_560:
	s_wait_xcnt 0x0
	s_or_b32 exec_lo, exec_lo, s0
	scratch_load_b64 v[74:75], off, off offset:184
	s_mov_b32 s0, exec_lo
	s_wait_loadcnt 0x0
	ds_store_b64 v1, v[74:75]
	s_wait_storecnt_dscnt 0x0
	s_barrier_signal -1
	s_barrier_wait -1
	s_wait_xcnt 0x0
	v_cmpx_gt_u32_e32 23, v0
	s_cbranch_execz .LBB34_570
; %bb.561:
	v_cmp_ne_u32_e32 vcc_lo, 1, v76
	s_cbranch_vccnz .LBB34_563
; %bb.562:
	scratch_load_b64 v[74:75], v39, off
	ds_load_b64 v[78:79], v1
	s_wait_loadcnt_dscnt 0x0
	v_pk_mul_f32 v[80:81], v[78:79], v[74:75] op_sel:[1,1] op_sel_hi:[0,1]
	s_delay_alu instid0(VALU_DEP_1) | instskip(SKIP_1) | instid1(VALU_DEP_2)
	v_pk_fma_f32 v[82:83], v[78:79], v[74:75], v[80:81] op_sel_hi:[1,0,1]
	v_pk_fma_f32 v[74:75], v[78:79], v[74:75], v[80:81] neg_lo:[0,0,1] neg_hi:[0,0,1]
	v_mov_b32_e32 v75, v83
	s_cbranch_execz .LBB34_564
	s_branch .LBB34_565
.LBB34_563:
                                        ; implicit-def: $vgpr74_vgpr75
.LBB34_564:
	ds_load_b64 v[74:75], v1
.LBB34_565:
	s_mov_b32 s2, exec_lo
	v_cmpx_ne_u32_e32 22, v0
	s_cbranch_execz .LBB34_569
; %bb.566:
	v_add_nc_u32_e32 v77, 0x128, v38
	v_add3_u32 v78, 0, v38, 8
	v_mov_b32_e32 v79, v0
	s_mov_b32 s3, 0
.LBB34_567:                             ; =>This Inner Loop Header: Depth=1
	scratch_load_b64 v[80:81], v78, off
	ds_load_b64 v[82:83], v77
	s_wait_xcnt 0x0
	v_dual_add_nc_u32 v77, 8, v77 :: v_dual_add_nc_u32 v78, 8, v78
	s_wait_loadcnt_dscnt 0x0
	v_pk_mul_f32 v[84:85], v[82:83], v[80:81] op_sel:[1,1] op_sel_hi:[0,1]
	s_delay_alu instid0(VALU_DEP_1) | instskip(SKIP_2) | instid1(VALU_DEP_3)
	v_pk_fma_f32 v[86:87], v[82:83], v[80:81], v[84:85] op_sel_hi:[1,0,1]
	v_add_nc_u32_e32 v79, 1, v79
	v_pk_fma_f32 v[80:81], v[82:83], v[80:81], v[84:85] neg_lo:[0,0,1] neg_hi:[0,0,1]
	v_mov_b32_e32 v81, v87
	s_delay_alu instid0(VALU_DEP_3) | instskip(NEXT) | instid1(VALU_DEP_2)
	v_cmp_lt_u32_e32 vcc_lo, 21, v79
	v_pk_add_f32 v[74:75], v[74:75], v[80:81]
	s_or_b32 s3, vcc_lo, s3
	s_delay_alu instid0(SALU_CYCLE_1)
	s_and_not1_b32 exec_lo, exec_lo, s3
	s_cbranch_execnz .LBB34_567
; %bb.568:
	s_or_b32 exec_lo, exec_lo, s3
.LBB34_569:
	s_delay_alu instid0(SALU_CYCLE_1) | instskip(SKIP_4) | instid1(VALU_DEP_1)
	s_or_b32 exec_lo, exec_lo, s2
	v_mov_b32_e32 v77, 0
	ds_load_b64 v[78:79], v77 offset:184
	s_wait_dscnt 0x0
	v_pk_mul_f32 v[80:81], v[74:75], v[78:79] op_sel:[1,1] op_sel_hi:[0,1]
	v_pk_fma_f32 v[82:83], v[74:75], v[78:79], v[80:81] op_sel_hi:[1,0,1]
	v_pk_fma_f32 v[74:75], v[74:75], v[78:79], v[80:81] neg_lo:[0,0,1] neg_hi:[0,0,1]
	s_delay_alu instid0(VALU_DEP_2)
	v_mov_b32_e32 v75, v83
	scratch_store_b64 off, v[74:75], off offset:184
.LBB34_570:
	s_wait_xcnt 0x0
	s_or_b32 exec_lo, exec_lo, s0
	scratch_load_b64 v[74:75], off, off offset:192
	s_mov_b32 s0, exec_lo
	s_wait_loadcnt 0x0
	ds_store_b64 v1, v[74:75]
	s_wait_storecnt_dscnt 0x0
	s_barrier_signal -1
	s_barrier_wait -1
	s_wait_xcnt 0x0
	v_cmpx_gt_u32_e32 24, v0
	s_cbranch_execz .LBB34_580
; %bb.571:
	v_cmp_ne_u32_e32 vcc_lo, 1, v76
	s_cbranch_vccnz .LBB34_573
; %bb.572:
	scratch_load_b64 v[74:75], v39, off
	ds_load_b64 v[78:79], v1
	s_wait_loadcnt_dscnt 0x0
	v_pk_mul_f32 v[80:81], v[78:79], v[74:75] op_sel:[1,1] op_sel_hi:[0,1]
	s_delay_alu instid0(VALU_DEP_1) | instskip(SKIP_1) | instid1(VALU_DEP_2)
	v_pk_fma_f32 v[82:83], v[78:79], v[74:75], v[80:81] op_sel_hi:[1,0,1]
	v_pk_fma_f32 v[74:75], v[78:79], v[74:75], v[80:81] neg_lo:[0,0,1] neg_hi:[0,0,1]
	v_mov_b32_e32 v75, v83
	s_cbranch_execz .LBB34_574
	s_branch .LBB34_575
.LBB34_573:
                                        ; implicit-def: $vgpr74_vgpr75
.LBB34_574:
	ds_load_b64 v[74:75], v1
.LBB34_575:
	s_mov_b32 s2, exec_lo
	v_cmpx_ne_u32_e32 23, v0
	s_cbranch_execz .LBB34_579
; %bb.576:
	v_add_nc_u32_e32 v77, 0x128, v38
	v_add3_u32 v78, 0, v38, 8
	v_mov_b32_e32 v79, v0
	s_mov_b32 s3, 0
.LBB34_577:                             ; =>This Inner Loop Header: Depth=1
	scratch_load_b64 v[80:81], v78, off
	ds_load_b64 v[82:83], v77
	s_wait_xcnt 0x0
	v_dual_add_nc_u32 v77, 8, v77 :: v_dual_add_nc_u32 v78, 8, v78
	s_wait_loadcnt_dscnt 0x0
	v_pk_mul_f32 v[84:85], v[82:83], v[80:81] op_sel:[1,1] op_sel_hi:[0,1]
	s_delay_alu instid0(VALU_DEP_1) | instskip(SKIP_2) | instid1(VALU_DEP_3)
	v_pk_fma_f32 v[86:87], v[82:83], v[80:81], v[84:85] op_sel_hi:[1,0,1]
	v_add_nc_u32_e32 v79, 1, v79
	v_pk_fma_f32 v[80:81], v[82:83], v[80:81], v[84:85] neg_lo:[0,0,1] neg_hi:[0,0,1]
	v_mov_b32_e32 v81, v87
	s_delay_alu instid0(VALU_DEP_3) | instskip(NEXT) | instid1(VALU_DEP_2)
	v_cmp_lt_u32_e32 vcc_lo, 22, v79
	v_pk_add_f32 v[74:75], v[74:75], v[80:81]
	s_or_b32 s3, vcc_lo, s3
	s_delay_alu instid0(SALU_CYCLE_1)
	s_and_not1_b32 exec_lo, exec_lo, s3
	s_cbranch_execnz .LBB34_577
; %bb.578:
	s_or_b32 exec_lo, exec_lo, s3
.LBB34_579:
	s_delay_alu instid0(SALU_CYCLE_1) | instskip(SKIP_4) | instid1(VALU_DEP_1)
	s_or_b32 exec_lo, exec_lo, s2
	v_mov_b32_e32 v77, 0
	ds_load_b64 v[78:79], v77 offset:192
	s_wait_dscnt 0x0
	v_pk_mul_f32 v[80:81], v[74:75], v[78:79] op_sel:[1,1] op_sel_hi:[0,1]
	v_pk_fma_f32 v[82:83], v[74:75], v[78:79], v[80:81] op_sel_hi:[1,0,1]
	v_pk_fma_f32 v[74:75], v[74:75], v[78:79], v[80:81] neg_lo:[0,0,1] neg_hi:[0,0,1]
	s_delay_alu instid0(VALU_DEP_2)
	v_mov_b32_e32 v75, v83
	scratch_store_b64 off, v[74:75], off offset:192
.LBB34_580:
	s_wait_xcnt 0x0
	s_or_b32 exec_lo, exec_lo, s0
	scratch_load_b64 v[74:75], off, off offset:200
	s_mov_b32 s0, exec_lo
	s_wait_loadcnt 0x0
	ds_store_b64 v1, v[74:75]
	s_wait_storecnt_dscnt 0x0
	s_barrier_signal -1
	s_barrier_wait -1
	s_wait_xcnt 0x0
	v_cmpx_gt_u32_e32 25, v0
	s_cbranch_execz .LBB34_590
; %bb.581:
	v_cmp_ne_u32_e32 vcc_lo, 1, v76
	s_cbranch_vccnz .LBB34_583
; %bb.582:
	scratch_load_b64 v[74:75], v39, off
	ds_load_b64 v[78:79], v1
	s_wait_loadcnt_dscnt 0x0
	v_pk_mul_f32 v[80:81], v[78:79], v[74:75] op_sel:[1,1] op_sel_hi:[0,1]
	s_delay_alu instid0(VALU_DEP_1) | instskip(SKIP_1) | instid1(VALU_DEP_2)
	v_pk_fma_f32 v[82:83], v[78:79], v[74:75], v[80:81] op_sel_hi:[1,0,1]
	v_pk_fma_f32 v[74:75], v[78:79], v[74:75], v[80:81] neg_lo:[0,0,1] neg_hi:[0,0,1]
	v_mov_b32_e32 v75, v83
	s_cbranch_execz .LBB34_584
	s_branch .LBB34_585
.LBB34_583:
                                        ; implicit-def: $vgpr74_vgpr75
.LBB34_584:
	ds_load_b64 v[74:75], v1
.LBB34_585:
	s_mov_b32 s2, exec_lo
	v_cmpx_ne_u32_e32 24, v0
	s_cbranch_execz .LBB34_589
; %bb.586:
	v_add_nc_u32_e32 v77, 0x128, v38
	v_add3_u32 v78, 0, v38, 8
	v_mov_b32_e32 v79, v0
	s_mov_b32 s3, 0
.LBB34_587:                             ; =>This Inner Loop Header: Depth=1
	scratch_load_b64 v[80:81], v78, off
	ds_load_b64 v[82:83], v77
	s_wait_xcnt 0x0
	v_dual_add_nc_u32 v77, 8, v77 :: v_dual_add_nc_u32 v78, 8, v78
	s_wait_loadcnt_dscnt 0x0
	v_pk_mul_f32 v[84:85], v[82:83], v[80:81] op_sel:[1,1] op_sel_hi:[0,1]
	s_delay_alu instid0(VALU_DEP_1) | instskip(SKIP_2) | instid1(VALU_DEP_3)
	v_pk_fma_f32 v[86:87], v[82:83], v[80:81], v[84:85] op_sel_hi:[1,0,1]
	v_add_nc_u32_e32 v79, 1, v79
	v_pk_fma_f32 v[80:81], v[82:83], v[80:81], v[84:85] neg_lo:[0,0,1] neg_hi:[0,0,1]
	v_mov_b32_e32 v81, v87
	s_delay_alu instid0(VALU_DEP_3) | instskip(NEXT) | instid1(VALU_DEP_2)
	v_cmp_lt_u32_e32 vcc_lo, 23, v79
	v_pk_add_f32 v[74:75], v[74:75], v[80:81]
	s_or_b32 s3, vcc_lo, s3
	s_delay_alu instid0(SALU_CYCLE_1)
	s_and_not1_b32 exec_lo, exec_lo, s3
	s_cbranch_execnz .LBB34_587
; %bb.588:
	s_or_b32 exec_lo, exec_lo, s3
.LBB34_589:
	s_delay_alu instid0(SALU_CYCLE_1) | instskip(SKIP_4) | instid1(VALU_DEP_1)
	s_or_b32 exec_lo, exec_lo, s2
	v_mov_b32_e32 v77, 0
	ds_load_b64 v[78:79], v77 offset:200
	s_wait_dscnt 0x0
	v_pk_mul_f32 v[80:81], v[74:75], v[78:79] op_sel:[1,1] op_sel_hi:[0,1]
	v_pk_fma_f32 v[82:83], v[74:75], v[78:79], v[80:81] op_sel_hi:[1,0,1]
	v_pk_fma_f32 v[74:75], v[74:75], v[78:79], v[80:81] neg_lo:[0,0,1] neg_hi:[0,0,1]
	s_delay_alu instid0(VALU_DEP_2)
	v_mov_b32_e32 v75, v83
	scratch_store_b64 off, v[74:75], off offset:200
.LBB34_590:
	s_wait_xcnt 0x0
	s_or_b32 exec_lo, exec_lo, s0
	scratch_load_b64 v[74:75], off, off offset:208
	s_mov_b32 s0, exec_lo
	s_wait_loadcnt 0x0
	ds_store_b64 v1, v[74:75]
	s_wait_storecnt_dscnt 0x0
	s_barrier_signal -1
	s_barrier_wait -1
	s_wait_xcnt 0x0
	v_cmpx_gt_u32_e32 26, v0
	s_cbranch_execz .LBB34_600
; %bb.591:
	v_cmp_ne_u32_e32 vcc_lo, 1, v76
	s_cbranch_vccnz .LBB34_593
; %bb.592:
	scratch_load_b64 v[74:75], v39, off
	ds_load_b64 v[78:79], v1
	s_wait_loadcnt_dscnt 0x0
	v_pk_mul_f32 v[80:81], v[78:79], v[74:75] op_sel:[1,1] op_sel_hi:[0,1]
	s_delay_alu instid0(VALU_DEP_1) | instskip(SKIP_1) | instid1(VALU_DEP_2)
	v_pk_fma_f32 v[82:83], v[78:79], v[74:75], v[80:81] op_sel_hi:[1,0,1]
	v_pk_fma_f32 v[74:75], v[78:79], v[74:75], v[80:81] neg_lo:[0,0,1] neg_hi:[0,0,1]
	v_mov_b32_e32 v75, v83
	s_cbranch_execz .LBB34_594
	s_branch .LBB34_595
.LBB34_593:
                                        ; implicit-def: $vgpr74_vgpr75
.LBB34_594:
	ds_load_b64 v[74:75], v1
.LBB34_595:
	s_mov_b32 s2, exec_lo
	v_cmpx_ne_u32_e32 25, v0
	s_cbranch_execz .LBB34_599
; %bb.596:
	v_add_nc_u32_e32 v77, 0x128, v38
	v_add3_u32 v78, 0, v38, 8
	v_mov_b32_e32 v79, v0
	s_mov_b32 s3, 0
.LBB34_597:                             ; =>This Inner Loop Header: Depth=1
	scratch_load_b64 v[80:81], v78, off
	ds_load_b64 v[82:83], v77
	s_wait_xcnt 0x0
	v_dual_add_nc_u32 v77, 8, v77 :: v_dual_add_nc_u32 v78, 8, v78
	s_wait_loadcnt_dscnt 0x0
	v_pk_mul_f32 v[84:85], v[82:83], v[80:81] op_sel:[1,1] op_sel_hi:[0,1]
	s_delay_alu instid0(VALU_DEP_1) | instskip(SKIP_2) | instid1(VALU_DEP_3)
	v_pk_fma_f32 v[86:87], v[82:83], v[80:81], v[84:85] op_sel_hi:[1,0,1]
	v_add_nc_u32_e32 v79, 1, v79
	v_pk_fma_f32 v[80:81], v[82:83], v[80:81], v[84:85] neg_lo:[0,0,1] neg_hi:[0,0,1]
	v_mov_b32_e32 v81, v87
	s_delay_alu instid0(VALU_DEP_3) | instskip(NEXT) | instid1(VALU_DEP_2)
	v_cmp_lt_u32_e32 vcc_lo, 24, v79
	v_pk_add_f32 v[74:75], v[74:75], v[80:81]
	s_or_b32 s3, vcc_lo, s3
	s_delay_alu instid0(SALU_CYCLE_1)
	s_and_not1_b32 exec_lo, exec_lo, s3
	s_cbranch_execnz .LBB34_597
; %bb.598:
	s_or_b32 exec_lo, exec_lo, s3
.LBB34_599:
	s_delay_alu instid0(SALU_CYCLE_1) | instskip(SKIP_4) | instid1(VALU_DEP_1)
	s_or_b32 exec_lo, exec_lo, s2
	v_mov_b32_e32 v77, 0
	ds_load_b64 v[78:79], v77 offset:208
	s_wait_dscnt 0x0
	v_pk_mul_f32 v[80:81], v[74:75], v[78:79] op_sel:[1,1] op_sel_hi:[0,1]
	v_pk_fma_f32 v[82:83], v[74:75], v[78:79], v[80:81] op_sel_hi:[1,0,1]
	v_pk_fma_f32 v[74:75], v[74:75], v[78:79], v[80:81] neg_lo:[0,0,1] neg_hi:[0,0,1]
	s_delay_alu instid0(VALU_DEP_2)
	v_mov_b32_e32 v75, v83
	scratch_store_b64 off, v[74:75], off offset:208
.LBB34_600:
	s_wait_xcnt 0x0
	s_or_b32 exec_lo, exec_lo, s0
	scratch_load_b64 v[74:75], off, off offset:216
	s_mov_b32 s0, exec_lo
	s_wait_loadcnt 0x0
	ds_store_b64 v1, v[74:75]
	s_wait_storecnt_dscnt 0x0
	s_barrier_signal -1
	s_barrier_wait -1
	s_wait_xcnt 0x0
	v_cmpx_gt_u32_e32 27, v0
	s_cbranch_execz .LBB34_610
; %bb.601:
	v_cmp_ne_u32_e32 vcc_lo, 1, v76
	s_cbranch_vccnz .LBB34_603
; %bb.602:
	scratch_load_b64 v[74:75], v39, off
	ds_load_b64 v[78:79], v1
	s_wait_loadcnt_dscnt 0x0
	v_pk_mul_f32 v[80:81], v[78:79], v[74:75] op_sel:[1,1] op_sel_hi:[0,1]
	s_delay_alu instid0(VALU_DEP_1) | instskip(SKIP_1) | instid1(VALU_DEP_2)
	v_pk_fma_f32 v[82:83], v[78:79], v[74:75], v[80:81] op_sel_hi:[1,0,1]
	v_pk_fma_f32 v[74:75], v[78:79], v[74:75], v[80:81] neg_lo:[0,0,1] neg_hi:[0,0,1]
	v_mov_b32_e32 v75, v83
	s_cbranch_execz .LBB34_604
	s_branch .LBB34_605
.LBB34_603:
                                        ; implicit-def: $vgpr74_vgpr75
.LBB34_604:
	ds_load_b64 v[74:75], v1
.LBB34_605:
	s_mov_b32 s2, exec_lo
	v_cmpx_ne_u32_e32 26, v0
	s_cbranch_execz .LBB34_609
; %bb.606:
	v_add_nc_u32_e32 v77, 0x128, v38
	v_add3_u32 v78, 0, v38, 8
	v_mov_b32_e32 v79, v0
	s_mov_b32 s3, 0
.LBB34_607:                             ; =>This Inner Loop Header: Depth=1
	scratch_load_b64 v[80:81], v78, off
	ds_load_b64 v[82:83], v77
	s_wait_xcnt 0x0
	v_dual_add_nc_u32 v77, 8, v77 :: v_dual_add_nc_u32 v78, 8, v78
	s_wait_loadcnt_dscnt 0x0
	v_pk_mul_f32 v[84:85], v[82:83], v[80:81] op_sel:[1,1] op_sel_hi:[0,1]
	s_delay_alu instid0(VALU_DEP_1) | instskip(SKIP_2) | instid1(VALU_DEP_3)
	v_pk_fma_f32 v[86:87], v[82:83], v[80:81], v[84:85] op_sel_hi:[1,0,1]
	v_add_nc_u32_e32 v79, 1, v79
	v_pk_fma_f32 v[80:81], v[82:83], v[80:81], v[84:85] neg_lo:[0,0,1] neg_hi:[0,0,1]
	v_mov_b32_e32 v81, v87
	s_delay_alu instid0(VALU_DEP_3) | instskip(NEXT) | instid1(VALU_DEP_2)
	v_cmp_lt_u32_e32 vcc_lo, 25, v79
	v_pk_add_f32 v[74:75], v[74:75], v[80:81]
	s_or_b32 s3, vcc_lo, s3
	s_delay_alu instid0(SALU_CYCLE_1)
	s_and_not1_b32 exec_lo, exec_lo, s3
	s_cbranch_execnz .LBB34_607
; %bb.608:
	s_or_b32 exec_lo, exec_lo, s3
.LBB34_609:
	s_delay_alu instid0(SALU_CYCLE_1) | instskip(SKIP_4) | instid1(VALU_DEP_1)
	s_or_b32 exec_lo, exec_lo, s2
	v_mov_b32_e32 v77, 0
	ds_load_b64 v[78:79], v77 offset:216
	s_wait_dscnt 0x0
	v_pk_mul_f32 v[80:81], v[74:75], v[78:79] op_sel:[1,1] op_sel_hi:[0,1]
	v_pk_fma_f32 v[82:83], v[74:75], v[78:79], v[80:81] op_sel_hi:[1,0,1]
	v_pk_fma_f32 v[74:75], v[74:75], v[78:79], v[80:81] neg_lo:[0,0,1] neg_hi:[0,0,1]
	s_delay_alu instid0(VALU_DEP_2)
	v_mov_b32_e32 v75, v83
	scratch_store_b64 off, v[74:75], off offset:216
.LBB34_610:
	s_wait_xcnt 0x0
	s_or_b32 exec_lo, exec_lo, s0
	scratch_load_b64 v[74:75], off, off offset:224
	s_mov_b32 s0, exec_lo
	s_wait_loadcnt 0x0
	ds_store_b64 v1, v[74:75]
	s_wait_storecnt_dscnt 0x0
	s_barrier_signal -1
	s_barrier_wait -1
	s_wait_xcnt 0x0
	v_cmpx_gt_u32_e32 28, v0
	s_cbranch_execz .LBB34_620
; %bb.611:
	v_cmp_ne_u32_e32 vcc_lo, 1, v76
	s_cbranch_vccnz .LBB34_613
; %bb.612:
	scratch_load_b64 v[74:75], v39, off
	ds_load_b64 v[78:79], v1
	s_wait_loadcnt_dscnt 0x0
	v_pk_mul_f32 v[80:81], v[78:79], v[74:75] op_sel:[1,1] op_sel_hi:[0,1]
	s_delay_alu instid0(VALU_DEP_1) | instskip(SKIP_1) | instid1(VALU_DEP_2)
	v_pk_fma_f32 v[82:83], v[78:79], v[74:75], v[80:81] op_sel_hi:[1,0,1]
	v_pk_fma_f32 v[74:75], v[78:79], v[74:75], v[80:81] neg_lo:[0,0,1] neg_hi:[0,0,1]
	v_mov_b32_e32 v75, v83
	s_cbranch_execz .LBB34_614
	s_branch .LBB34_615
.LBB34_613:
                                        ; implicit-def: $vgpr74_vgpr75
.LBB34_614:
	ds_load_b64 v[74:75], v1
.LBB34_615:
	s_mov_b32 s2, exec_lo
	v_cmpx_ne_u32_e32 27, v0
	s_cbranch_execz .LBB34_619
; %bb.616:
	v_add_nc_u32_e32 v77, 0x128, v38
	v_add3_u32 v78, 0, v38, 8
	v_mov_b32_e32 v79, v0
	s_mov_b32 s3, 0
.LBB34_617:                             ; =>This Inner Loop Header: Depth=1
	scratch_load_b64 v[80:81], v78, off
	ds_load_b64 v[82:83], v77
	s_wait_xcnt 0x0
	v_dual_add_nc_u32 v77, 8, v77 :: v_dual_add_nc_u32 v78, 8, v78
	s_wait_loadcnt_dscnt 0x0
	v_pk_mul_f32 v[84:85], v[82:83], v[80:81] op_sel:[1,1] op_sel_hi:[0,1]
	s_delay_alu instid0(VALU_DEP_1) | instskip(SKIP_2) | instid1(VALU_DEP_3)
	v_pk_fma_f32 v[86:87], v[82:83], v[80:81], v[84:85] op_sel_hi:[1,0,1]
	v_add_nc_u32_e32 v79, 1, v79
	v_pk_fma_f32 v[80:81], v[82:83], v[80:81], v[84:85] neg_lo:[0,0,1] neg_hi:[0,0,1]
	v_mov_b32_e32 v81, v87
	s_delay_alu instid0(VALU_DEP_3) | instskip(NEXT) | instid1(VALU_DEP_2)
	v_cmp_lt_u32_e32 vcc_lo, 26, v79
	v_pk_add_f32 v[74:75], v[74:75], v[80:81]
	s_or_b32 s3, vcc_lo, s3
	s_delay_alu instid0(SALU_CYCLE_1)
	s_and_not1_b32 exec_lo, exec_lo, s3
	s_cbranch_execnz .LBB34_617
; %bb.618:
	s_or_b32 exec_lo, exec_lo, s3
.LBB34_619:
	s_delay_alu instid0(SALU_CYCLE_1) | instskip(SKIP_4) | instid1(VALU_DEP_1)
	s_or_b32 exec_lo, exec_lo, s2
	v_mov_b32_e32 v77, 0
	ds_load_b64 v[78:79], v77 offset:224
	s_wait_dscnt 0x0
	v_pk_mul_f32 v[80:81], v[74:75], v[78:79] op_sel:[1,1] op_sel_hi:[0,1]
	v_pk_fma_f32 v[82:83], v[74:75], v[78:79], v[80:81] op_sel_hi:[1,0,1]
	v_pk_fma_f32 v[74:75], v[74:75], v[78:79], v[80:81] neg_lo:[0,0,1] neg_hi:[0,0,1]
	s_delay_alu instid0(VALU_DEP_2)
	v_mov_b32_e32 v75, v83
	scratch_store_b64 off, v[74:75], off offset:224
.LBB34_620:
	s_wait_xcnt 0x0
	s_or_b32 exec_lo, exec_lo, s0
	scratch_load_b64 v[74:75], off, off offset:232
	s_mov_b32 s0, exec_lo
	s_wait_loadcnt 0x0
	ds_store_b64 v1, v[74:75]
	s_wait_storecnt_dscnt 0x0
	s_barrier_signal -1
	s_barrier_wait -1
	s_wait_xcnt 0x0
	v_cmpx_gt_u32_e32 29, v0
	s_cbranch_execz .LBB34_630
; %bb.621:
	v_cmp_ne_u32_e32 vcc_lo, 1, v76
	s_cbranch_vccnz .LBB34_623
; %bb.622:
	scratch_load_b64 v[74:75], v39, off
	ds_load_b64 v[78:79], v1
	s_wait_loadcnt_dscnt 0x0
	v_pk_mul_f32 v[80:81], v[78:79], v[74:75] op_sel:[1,1] op_sel_hi:[0,1]
	s_delay_alu instid0(VALU_DEP_1) | instskip(SKIP_1) | instid1(VALU_DEP_2)
	v_pk_fma_f32 v[82:83], v[78:79], v[74:75], v[80:81] op_sel_hi:[1,0,1]
	v_pk_fma_f32 v[74:75], v[78:79], v[74:75], v[80:81] neg_lo:[0,0,1] neg_hi:[0,0,1]
	v_mov_b32_e32 v75, v83
	s_cbranch_execz .LBB34_624
	s_branch .LBB34_625
.LBB34_623:
                                        ; implicit-def: $vgpr74_vgpr75
.LBB34_624:
	ds_load_b64 v[74:75], v1
.LBB34_625:
	s_mov_b32 s2, exec_lo
	v_cmpx_ne_u32_e32 28, v0
	s_cbranch_execz .LBB34_629
; %bb.626:
	v_add_nc_u32_e32 v77, 0x128, v38
	v_add3_u32 v78, 0, v38, 8
	v_mov_b32_e32 v79, v0
	s_mov_b32 s3, 0
.LBB34_627:                             ; =>This Inner Loop Header: Depth=1
	scratch_load_b64 v[80:81], v78, off
	ds_load_b64 v[82:83], v77
	s_wait_xcnt 0x0
	v_dual_add_nc_u32 v77, 8, v77 :: v_dual_add_nc_u32 v78, 8, v78
	s_wait_loadcnt_dscnt 0x0
	v_pk_mul_f32 v[84:85], v[82:83], v[80:81] op_sel:[1,1] op_sel_hi:[0,1]
	s_delay_alu instid0(VALU_DEP_1) | instskip(SKIP_2) | instid1(VALU_DEP_3)
	v_pk_fma_f32 v[86:87], v[82:83], v[80:81], v[84:85] op_sel_hi:[1,0,1]
	v_add_nc_u32_e32 v79, 1, v79
	v_pk_fma_f32 v[80:81], v[82:83], v[80:81], v[84:85] neg_lo:[0,0,1] neg_hi:[0,0,1]
	v_mov_b32_e32 v81, v87
	s_delay_alu instid0(VALU_DEP_3) | instskip(NEXT) | instid1(VALU_DEP_2)
	v_cmp_lt_u32_e32 vcc_lo, 27, v79
	v_pk_add_f32 v[74:75], v[74:75], v[80:81]
	s_or_b32 s3, vcc_lo, s3
	s_delay_alu instid0(SALU_CYCLE_1)
	s_and_not1_b32 exec_lo, exec_lo, s3
	s_cbranch_execnz .LBB34_627
; %bb.628:
	s_or_b32 exec_lo, exec_lo, s3
.LBB34_629:
	s_delay_alu instid0(SALU_CYCLE_1) | instskip(SKIP_4) | instid1(VALU_DEP_1)
	s_or_b32 exec_lo, exec_lo, s2
	v_mov_b32_e32 v77, 0
	ds_load_b64 v[78:79], v77 offset:232
	s_wait_dscnt 0x0
	v_pk_mul_f32 v[80:81], v[74:75], v[78:79] op_sel:[1,1] op_sel_hi:[0,1]
	v_pk_fma_f32 v[82:83], v[74:75], v[78:79], v[80:81] op_sel_hi:[1,0,1]
	v_pk_fma_f32 v[74:75], v[74:75], v[78:79], v[80:81] neg_lo:[0,0,1] neg_hi:[0,0,1]
	s_delay_alu instid0(VALU_DEP_2)
	v_mov_b32_e32 v75, v83
	scratch_store_b64 off, v[74:75], off offset:232
.LBB34_630:
	s_wait_xcnt 0x0
	s_or_b32 exec_lo, exec_lo, s0
	scratch_load_b64 v[74:75], off, off offset:240
	s_mov_b32 s0, exec_lo
	s_wait_loadcnt 0x0
	ds_store_b64 v1, v[74:75]
	s_wait_storecnt_dscnt 0x0
	s_barrier_signal -1
	s_barrier_wait -1
	s_wait_xcnt 0x0
	v_cmpx_gt_u32_e32 30, v0
	s_cbranch_execz .LBB34_640
; %bb.631:
	v_cmp_ne_u32_e32 vcc_lo, 1, v76
	s_cbranch_vccnz .LBB34_633
; %bb.632:
	scratch_load_b64 v[74:75], v39, off
	ds_load_b64 v[78:79], v1
	s_wait_loadcnt_dscnt 0x0
	v_pk_mul_f32 v[80:81], v[78:79], v[74:75] op_sel:[1,1] op_sel_hi:[0,1]
	s_delay_alu instid0(VALU_DEP_1) | instskip(SKIP_1) | instid1(VALU_DEP_2)
	v_pk_fma_f32 v[82:83], v[78:79], v[74:75], v[80:81] op_sel_hi:[1,0,1]
	v_pk_fma_f32 v[74:75], v[78:79], v[74:75], v[80:81] neg_lo:[0,0,1] neg_hi:[0,0,1]
	v_mov_b32_e32 v75, v83
	s_cbranch_execz .LBB34_634
	s_branch .LBB34_635
.LBB34_633:
                                        ; implicit-def: $vgpr74_vgpr75
.LBB34_634:
	ds_load_b64 v[74:75], v1
.LBB34_635:
	s_mov_b32 s2, exec_lo
	v_cmpx_ne_u32_e32 29, v0
	s_cbranch_execz .LBB34_639
; %bb.636:
	v_add_nc_u32_e32 v77, 0x128, v38
	v_add3_u32 v78, 0, v38, 8
	v_mov_b32_e32 v79, v0
	s_mov_b32 s3, 0
.LBB34_637:                             ; =>This Inner Loop Header: Depth=1
	scratch_load_b64 v[80:81], v78, off
	ds_load_b64 v[82:83], v77
	s_wait_xcnt 0x0
	v_dual_add_nc_u32 v77, 8, v77 :: v_dual_add_nc_u32 v78, 8, v78
	s_wait_loadcnt_dscnt 0x0
	v_pk_mul_f32 v[84:85], v[82:83], v[80:81] op_sel:[1,1] op_sel_hi:[0,1]
	s_delay_alu instid0(VALU_DEP_1) | instskip(SKIP_2) | instid1(VALU_DEP_3)
	v_pk_fma_f32 v[86:87], v[82:83], v[80:81], v[84:85] op_sel_hi:[1,0,1]
	v_add_nc_u32_e32 v79, 1, v79
	v_pk_fma_f32 v[80:81], v[82:83], v[80:81], v[84:85] neg_lo:[0,0,1] neg_hi:[0,0,1]
	v_mov_b32_e32 v81, v87
	s_delay_alu instid0(VALU_DEP_3) | instskip(NEXT) | instid1(VALU_DEP_2)
	v_cmp_lt_u32_e32 vcc_lo, 28, v79
	v_pk_add_f32 v[74:75], v[74:75], v[80:81]
	s_or_b32 s3, vcc_lo, s3
	s_delay_alu instid0(SALU_CYCLE_1)
	s_and_not1_b32 exec_lo, exec_lo, s3
	s_cbranch_execnz .LBB34_637
; %bb.638:
	s_or_b32 exec_lo, exec_lo, s3
.LBB34_639:
	s_delay_alu instid0(SALU_CYCLE_1) | instskip(SKIP_4) | instid1(VALU_DEP_1)
	s_or_b32 exec_lo, exec_lo, s2
	v_mov_b32_e32 v77, 0
	ds_load_b64 v[78:79], v77 offset:240
	s_wait_dscnt 0x0
	v_pk_mul_f32 v[80:81], v[74:75], v[78:79] op_sel:[1,1] op_sel_hi:[0,1]
	v_pk_fma_f32 v[82:83], v[74:75], v[78:79], v[80:81] op_sel_hi:[1,0,1]
	v_pk_fma_f32 v[74:75], v[74:75], v[78:79], v[80:81] neg_lo:[0,0,1] neg_hi:[0,0,1]
	s_delay_alu instid0(VALU_DEP_2)
	v_mov_b32_e32 v75, v83
	scratch_store_b64 off, v[74:75], off offset:240
.LBB34_640:
	s_wait_xcnt 0x0
	s_or_b32 exec_lo, exec_lo, s0
	scratch_load_b64 v[74:75], off, off offset:248
	s_mov_b32 s0, exec_lo
	s_wait_loadcnt 0x0
	ds_store_b64 v1, v[74:75]
	s_wait_storecnt_dscnt 0x0
	s_barrier_signal -1
	s_barrier_wait -1
	s_wait_xcnt 0x0
	v_cmpx_gt_u32_e32 31, v0
	s_cbranch_execz .LBB34_650
; %bb.641:
	v_cmp_ne_u32_e32 vcc_lo, 1, v76
	s_cbranch_vccnz .LBB34_643
; %bb.642:
	scratch_load_b64 v[74:75], v39, off
	ds_load_b64 v[78:79], v1
	s_wait_loadcnt_dscnt 0x0
	v_pk_mul_f32 v[80:81], v[78:79], v[74:75] op_sel:[1,1] op_sel_hi:[0,1]
	s_delay_alu instid0(VALU_DEP_1) | instskip(SKIP_1) | instid1(VALU_DEP_2)
	v_pk_fma_f32 v[82:83], v[78:79], v[74:75], v[80:81] op_sel_hi:[1,0,1]
	v_pk_fma_f32 v[74:75], v[78:79], v[74:75], v[80:81] neg_lo:[0,0,1] neg_hi:[0,0,1]
	v_mov_b32_e32 v75, v83
	s_cbranch_execz .LBB34_644
	s_branch .LBB34_645
.LBB34_643:
                                        ; implicit-def: $vgpr74_vgpr75
.LBB34_644:
	ds_load_b64 v[74:75], v1
.LBB34_645:
	s_mov_b32 s2, exec_lo
	v_cmpx_ne_u32_e32 30, v0
	s_cbranch_execz .LBB34_649
; %bb.646:
	v_add_nc_u32_e32 v77, 0x128, v38
	v_add3_u32 v78, 0, v38, 8
	v_mov_b32_e32 v79, v0
	s_mov_b32 s3, 0
.LBB34_647:                             ; =>This Inner Loop Header: Depth=1
	scratch_load_b64 v[80:81], v78, off
	ds_load_b64 v[82:83], v77
	s_wait_xcnt 0x0
	v_dual_add_nc_u32 v77, 8, v77 :: v_dual_add_nc_u32 v78, 8, v78
	s_wait_loadcnt_dscnt 0x0
	v_pk_mul_f32 v[84:85], v[82:83], v[80:81] op_sel:[1,1] op_sel_hi:[0,1]
	s_delay_alu instid0(VALU_DEP_1) | instskip(SKIP_2) | instid1(VALU_DEP_3)
	v_pk_fma_f32 v[86:87], v[82:83], v[80:81], v[84:85] op_sel_hi:[1,0,1]
	v_add_nc_u32_e32 v79, 1, v79
	v_pk_fma_f32 v[80:81], v[82:83], v[80:81], v[84:85] neg_lo:[0,0,1] neg_hi:[0,0,1]
	v_mov_b32_e32 v81, v87
	s_delay_alu instid0(VALU_DEP_3) | instskip(NEXT) | instid1(VALU_DEP_2)
	v_cmp_lt_u32_e32 vcc_lo, 29, v79
	v_pk_add_f32 v[74:75], v[74:75], v[80:81]
	s_or_b32 s3, vcc_lo, s3
	s_delay_alu instid0(SALU_CYCLE_1)
	s_and_not1_b32 exec_lo, exec_lo, s3
	s_cbranch_execnz .LBB34_647
; %bb.648:
	s_or_b32 exec_lo, exec_lo, s3
.LBB34_649:
	s_delay_alu instid0(SALU_CYCLE_1) | instskip(SKIP_4) | instid1(VALU_DEP_1)
	s_or_b32 exec_lo, exec_lo, s2
	v_mov_b32_e32 v77, 0
	ds_load_b64 v[78:79], v77 offset:248
	s_wait_dscnt 0x0
	v_pk_mul_f32 v[80:81], v[74:75], v[78:79] op_sel:[1,1] op_sel_hi:[0,1]
	v_pk_fma_f32 v[82:83], v[74:75], v[78:79], v[80:81] op_sel_hi:[1,0,1]
	v_pk_fma_f32 v[74:75], v[74:75], v[78:79], v[80:81] neg_lo:[0,0,1] neg_hi:[0,0,1]
	s_delay_alu instid0(VALU_DEP_2)
	v_mov_b32_e32 v75, v83
	scratch_store_b64 off, v[74:75], off offset:248
.LBB34_650:
	s_wait_xcnt 0x0
	s_or_b32 exec_lo, exec_lo, s0
	scratch_load_b64 v[74:75], off, off offset:256
	s_mov_b32 s0, exec_lo
	s_wait_loadcnt 0x0
	ds_store_b64 v1, v[74:75]
	s_wait_storecnt_dscnt 0x0
	s_barrier_signal -1
	s_barrier_wait -1
	s_wait_xcnt 0x0
	v_cmpx_gt_u32_e32 32, v0
	s_cbranch_execz .LBB34_660
; %bb.651:
	v_cmp_ne_u32_e32 vcc_lo, 1, v76
	s_cbranch_vccnz .LBB34_653
; %bb.652:
	scratch_load_b64 v[74:75], v39, off
	ds_load_b64 v[78:79], v1
	s_wait_loadcnt_dscnt 0x0
	v_pk_mul_f32 v[80:81], v[78:79], v[74:75] op_sel:[1,1] op_sel_hi:[0,1]
	s_delay_alu instid0(VALU_DEP_1) | instskip(SKIP_1) | instid1(VALU_DEP_2)
	v_pk_fma_f32 v[82:83], v[78:79], v[74:75], v[80:81] op_sel_hi:[1,0,1]
	v_pk_fma_f32 v[74:75], v[78:79], v[74:75], v[80:81] neg_lo:[0,0,1] neg_hi:[0,0,1]
	v_mov_b32_e32 v75, v83
	s_cbranch_execz .LBB34_654
	s_branch .LBB34_655
.LBB34_653:
                                        ; implicit-def: $vgpr74_vgpr75
.LBB34_654:
	ds_load_b64 v[74:75], v1
.LBB34_655:
	s_mov_b32 s2, exec_lo
	v_cmpx_ne_u32_e32 31, v0
	s_cbranch_execz .LBB34_659
; %bb.656:
	v_add_nc_u32_e32 v77, 0x128, v38
	v_add3_u32 v78, 0, v38, 8
	v_mov_b32_e32 v79, v0
	s_mov_b32 s3, 0
.LBB34_657:                             ; =>This Inner Loop Header: Depth=1
	scratch_load_b64 v[80:81], v78, off
	ds_load_b64 v[82:83], v77
	s_wait_xcnt 0x0
	v_dual_add_nc_u32 v77, 8, v77 :: v_dual_add_nc_u32 v78, 8, v78
	s_wait_loadcnt_dscnt 0x0
	v_pk_mul_f32 v[84:85], v[82:83], v[80:81] op_sel:[1,1] op_sel_hi:[0,1]
	s_delay_alu instid0(VALU_DEP_1) | instskip(SKIP_2) | instid1(VALU_DEP_3)
	v_pk_fma_f32 v[86:87], v[82:83], v[80:81], v[84:85] op_sel_hi:[1,0,1]
	v_add_nc_u32_e32 v79, 1, v79
	v_pk_fma_f32 v[80:81], v[82:83], v[80:81], v[84:85] neg_lo:[0,0,1] neg_hi:[0,0,1]
	v_mov_b32_e32 v81, v87
	s_delay_alu instid0(VALU_DEP_3) | instskip(NEXT) | instid1(VALU_DEP_2)
	v_cmp_lt_u32_e32 vcc_lo, 30, v79
	v_pk_add_f32 v[74:75], v[74:75], v[80:81]
	s_or_b32 s3, vcc_lo, s3
	s_delay_alu instid0(SALU_CYCLE_1)
	s_and_not1_b32 exec_lo, exec_lo, s3
	s_cbranch_execnz .LBB34_657
; %bb.658:
	s_or_b32 exec_lo, exec_lo, s3
.LBB34_659:
	s_delay_alu instid0(SALU_CYCLE_1) | instskip(SKIP_4) | instid1(VALU_DEP_1)
	s_or_b32 exec_lo, exec_lo, s2
	v_mov_b32_e32 v77, 0
	ds_load_b64 v[78:79], v77 offset:256
	s_wait_dscnt 0x0
	v_pk_mul_f32 v[80:81], v[74:75], v[78:79] op_sel:[1,1] op_sel_hi:[0,1]
	v_pk_fma_f32 v[82:83], v[74:75], v[78:79], v[80:81] op_sel_hi:[1,0,1]
	v_pk_fma_f32 v[74:75], v[74:75], v[78:79], v[80:81] neg_lo:[0,0,1] neg_hi:[0,0,1]
	s_delay_alu instid0(VALU_DEP_2)
	v_mov_b32_e32 v75, v83
	scratch_store_b64 off, v[74:75], off offset:256
.LBB34_660:
	s_wait_xcnt 0x0
	s_or_b32 exec_lo, exec_lo, s0
	scratch_load_b64 v[74:75], off, off offset:264
	v_cmp_gt_u32_e64 s0, 33, v0
	s_wait_loadcnt 0x0
	ds_store_b64 v1, v[74:75]
	s_wait_storecnt_dscnt 0x0
	s_barrier_signal -1
	s_barrier_wait -1
	s_wait_xcnt 0x0
	s_and_saveexec_b32 s2, s0
	s_cbranch_execz .LBB34_670
; %bb.661:
	v_cmp_ne_u32_e32 vcc_lo, 1, v76
	s_cbranch_vccnz .LBB34_663
; %bb.662:
	scratch_load_b64 v[74:75], v39, off
	ds_load_b64 v[78:79], v1
	s_wait_loadcnt_dscnt 0x0
	v_pk_mul_f32 v[80:81], v[78:79], v[74:75] op_sel:[1,1] op_sel_hi:[0,1]
	s_delay_alu instid0(VALU_DEP_1) | instskip(SKIP_1) | instid1(VALU_DEP_2)
	v_pk_fma_f32 v[82:83], v[78:79], v[74:75], v[80:81] op_sel_hi:[1,0,1]
	v_pk_fma_f32 v[74:75], v[78:79], v[74:75], v[80:81] neg_lo:[0,0,1] neg_hi:[0,0,1]
	v_mov_b32_e32 v75, v83
	s_cbranch_execz .LBB34_664
	s_branch .LBB34_665
.LBB34_663:
                                        ; implicit-def: $vgpr74_vgpr75
.LBB34_664:
	ds_load_b64 v[74:75], v1
.LBB34_665:
	s_mov_b32 s3, exec_lo
	v_cmpx_ne_u32_e32 32, v0
	s_cbranch_execz .LBB34_669
; %bb.666:
	v_add_nc_u32_e32 v77, 0x128, v38
	v_add3_u32 v78, 0, v38, 8
	v_mov_b32_e32 v79, v0
	s_mov_b32 s4, 0
.LBB34_667:                             ; =>This Inner Loop Header: Depth=1
	scratch_load_b64 v[80:81], v78, off
	ds_load_b64 v[82:83], v77
	s_wait_xcnt 0x0
	v_dual_add_nc_u32 v77, 8, v77 :: v_dual_add_nc_u32 v78, 8, v78
	s_wait_loadcnt_dscnt 0x0
	v_pk_mul_f32 v[84:85], v[82:83], v[80:81] op_sel:[1,1] op_sel_hi:[0,1]
	s_delay_alu instid0(VALU_DEP_1) | instskip(SKIP_2) | instid1(VALU_DEP_3)
	v_pk_fma_f32 v[86:87], v[82:83], v[80:81], v[84:85] op_sel_hi:[1,0,1]
	v_add_nc_u32_e32 v79, 1, v79
	v_pk_fma_f32 v[80:81], v[82:83], v[80:81], v[84:85] neg_lo:[0,0,1] neg_hi:[0,0,1]
	v_mov_b32_e32 v81, v87
	s_delay_alu instid0(VALU_DEP_3) | instskip(NEXT) | instid1(VALU_DEP_2)
	v_cmp_lt_u32_e32 vcc_lo, 31, v79
	v_pk_add_f32 v[74:75], v[74:75], v[80:81]
	s_or_b32 s4, vcc_lo, s4
	s_delay_alu instid0(SALU_CYCLE_1)
	s_and_not1_b32 exec_lo, exec_lo, s4
	s_cbranch_execnz .LBB34_667
; %bb.668:
	s_or_b32 exec_lo, exec_lo, s4
.LBB34_669:
	s_delay_alu instid0(SALU_CYCLE_1) | instskip(SKIP_4) | instid1(VALU_DEP_1)
	s_or_b32 exec_lo, exec_lo, s3
	v_mov_b32_e32 v77, 0
	ds_load_b64 v[78:79], v77 offset:264
	s_wait_dscnt 0x0
	v_pk_mul_f32 v[80:81], v[74:75], v[78:79] op_sel:[1,1] op_sel_hi:[0,1]
	v_pk_fma_f32 v[82:83], v[74:75], v[78:79], v[80:81] op_sel_hi:[1,0,1]
	v_pk_fma_f32 v[74:75], v[74:75], v[78:79], v[80:81] neg_lo:[0,0,1] neg_hi:[0,0,1]
	s_delay_alu instid0(VALU_DEP_2)
	v_mov_b32_e32 v75, v83
	scratch_store_b64 off, v[74:75], off offset:264
.LBB34_670:
	s_wait_xcnt 0x0
	s_or_b32 exec_lo, exec_lo, s2
	scratch_load_b64 v[74:75], off, off offset:272
	s_mov_b32 s2, exec_lo
                                        ; implicit-def: $vgpr94
                                        ; implicit-def: $sgpr4
	s_wait_loadcnt 0x0
	ds_store_b64 v1, v[74:75]
	s_wait_storecnt_dscnt 0x0
	s_barrier_signal -1
	s_barrier_wait -1
	s_wait_xcnt 0x0
	v_cmpx_ne_u32_e32 34, v0
	s_cbranch_execz .LBB34_680
; %bb.671:
	v_cmp_ne_u32_e32 vcc_lo, 1, v76
	s_cbranch_vccnz .LBB34_673
; %bb.672:
	scratch_load_b64 v[76:77], v39, off
	ds_load_b64 v[78:79], v1
	s_wait_loadcnt_dscnt 0x0
	v_dual_mul_f32 v39, v79, v77 :: v_dual_mul_f32 v75, v78, v77
	s_delay_alu instid0(VALU_DEP_1) | instskip(NEXT) | instid1(VALU_DEP_2)
	v_fma_f32 v74, v78, v76, -v39
	v_fmac_f32_e32 v75, v79, v76
	s_cbranch_execz .LBB34_674
	s_branch .LBB34_675
.LBB34_673:
                                        ; implicit-def: $vgpr75
.LBB34_674:
	ds_load_b64 v[74:75], v1
.LBB34_675:
	s_and_saveexec_b32 s3, s0
	s_cbranch_execz .LBB34_679
; %bb.676:
	v_add_nc_u32_e32 v1, 0x128, v38
	v_add3_u32 v38, 0, v38, 8
	s_mov_b32 s0, 0
.LBB34_677:                             ; =>This Inner Loop Header: Depth=1
	scratch_load_b64 v[76:77], v38, off
	ds_load_b64 v[78:79], v1
	v_dual_add_nc_u32 v0, 1, v0 :: v_dual_add_nc_u32 v1, 8, v1
	s_delay_alu instid0(VALU_DEP_1) | instskip(SKIP_3) | instid1(VALU_DEP_1)
	v_cmp_lt_u32_e32 vcc_lo, 32, v0
	s_or_b32 s0, vcc_lo, s0
	s_wait_loadcnt_dscnt 0x0
	v_dual_mul_f32 v39, v79, v77 :: v_dual_mul_f32 v77, v78, v77
	v_dual_fma_f32 v39, v78, v76, -v39 :: v_dual_fmac_f32 v77, v79, v76
	s_delay_alu instid0(VALU_DEP_1) | instskip(NEXT) | instid1(VALU_DEP_2)
	v_dual_add_nc_u32 v38, 8, v38 :: v_dual_add_f32 v74, v74, v39
	v_add_f32_e32 v75, v75, v77
	s_and_not1_b32 exec_lo, exec_lo, s0
	s_cbranch_execnz .LBB34_677
; %bb.678:
	s_or_b32 exec_lo, exec_lo, s0
.LBB34_679:
	s_delay_alu instid0(SALU_CYCLE_1)
	s_or_b32 exec_lo, exec_lo, s3
	v_mov_b32_e32 v0, 0
	s_movk_i32 s4, 0x114
	s_or_b32 s1, s1, exec_lo
	ds_load_b64 v[0:1], v0 offset:272
	s_wait_dscnt 0x0
	v_dual_mul_f32 v38, v75, v1 :: v_dual_mul_f32 v94, v74, v1
	s_delay_alu instid0(VALU_DEP_1) | instskip(NEXT) | instid1(VALU_DEP_2)
	v_fma_f32 v1, v74, v0, -v38
	v_fmac_f32_e32 v94, v75, v0
	scratch_store_b32 off, v1, off offset:272
.LBB34_680:
	s_wait_xcnt 0x0
	s_or_b32 exec_lo, exec_lo, s2
.LBB34_681:
	v_lshl_add_u64 v[92:93], v[6:7], 3, s[6:7]
	v_lshl_add_u64 v[90:91], v[8:9], 3, s[6:7]
	;; [unrolled: 1-line block ×33, first 2 shown]
	s_and_saveexec_b32 s0, s1
	s_cbranch_execz .LBB34_683
; %bb.682:
	scratch_store_b32 off, v94, s4
.LBB34_683:
	s_wait_xcnt 0x0
	s_or_b32 exec_lo, exec_lo, s0
	s_clause 0x5
	scratch_load_b128 v[50:53], off, off
	scratch_load_b128 v[54:57], off, off offset:16
	scratch_load_b128 v[58:61], off, off offset:32
	;; [unrolled: 1-line block ×5, first 2 shown]
	s_wait_loadcnt 0x5
	s_clause 0x1
	global_store_b64 v[2:3], v[50:51], off
	global_store_b64 v[4:5], v[52:53], off
	scratch_load_b128 v[2:5], off, off offset:96
	s_wait_loadcnt 0x5
	s_clause 0x1
	global_store_b64 v[92:93], v[54:55], off
	global_store_b64 v[90:91], v[56:57], off
	s_wait_loadcnt 0x4
	s_clause 0x1
	global_store_b64 v[88:89], v[58:59], off
	global_store_b64 v[86:87], v[60:61], off
	;; [unrolled: 4-line block ×5, first 2 shown]
	s_clause 0xa
	scratch_load_b128 v[50:53], off, off offset:112
	scratch_load_b128 v[54:57], off, off offset:128
	;; [unrolled: 1-line block ×10, first 2 shown]
	scratch_load_b64 v[74:75], off, off offset:272
	s_wait_loadcnt 0xb
	s_clause 0x1
	global_store_b64 v[0:1], v[2:3], off
	global_store_b64 v[6:7], v[4:5], off
	s_wait_loadcnt 0xa
	s_clause 0x1
	global_store_b64 v[8:9], v[50:51], off
	global_store_b64 v[10:11], v[52:53], off
	;; [unrolled: 4-line block ×11, first 2 shown]
	s_wait_loadcnt 0x0
	global_store_b64 v[48:49], v[74:75], off
.LBB34_684:
	s_sendmsg sendmsg(MSG_DEALLOC_VGPRS)
	s_endpgm
	.section	.rodata,"a",@progbits
	.p2align	6, 0x0
	.amdhsa_kernel _ZN9rocsolver6v33100L18trti2_kernel_smallILi35E19rocblas_complex_numIfEPS3_EEv13rocblas_fill_17rocblas_diagonal_T1_iil
		.amdhsa_group_segment_fixed_size 568
		.amdhsa_private_segment_fixed_size 288
		.amdhsa_kernarg_size 32
		.amdhsa_user_sgpr_count 2
		.amdhsa_user_sgpr_dispatch_ptr 0
		.amdhsa_user_sgpr_queue_ptr 0
		.amdhsa_user_sgpr_kernarg_segment_ptr 1
		.amdhsa_user_sgpr_dispatch_id 0
		.amdhsa_user_sgpr_kernarg_preload_length 0
		.amdhsa_user_sgpr_kernarg_preload_offset 0
		.amdhsa_user_sgpr_private_segment_size 0
		.amdhsa_wavefront_size32 1
		.amdhsa_uses_dynamic_stack 0
		.amdhsa_enable_private_segment 1
		.amdhsa_system_sgpr_workgroup_id_x 1
		.amdhsa_system_sgpr_workgroup_id_y 0
		.amdhsa_system_sgpr_workgroup_id_z 0
		.amdhsa_system_sgpr_workgroup_info 0
		.amdhsa_system_vgpr_workitem_id 0
		.amdhsa_next_free_vgpr 104
		.amdhsa_next_free_sgpr 24
		.amdhsa_named_barrier_count 0
		.amdhsa_reserve_vcc 1
		.amdhsa_float_round_mode_32 0
		.amdhsa_float_round_mode_16_64 0
		.amdhsa_float_denorm_mode_32 3
		.amdhsa_float_denorm_mode_16_64 3
		.amdhsa_fp16_overflow 0
		.amdhsa_memory_ordered 1
		.amdhsa_forward_progress 1
		.amdhsa_inst_pref_size 207
		.amdhsa_round_robin_scheduling 0
		.amdhsa_exception_fp_ieee_invalid_op 0
		.amdhsa_exception_fp_denorm_src 0
		.amdhsa_exception_fp_ieee_div_zero 0
		.amdhsa_exception_fp_ieee_overflow 0
		.amdhsa_exception_fp_ieee_underflow 0
		.amdhsa_exception_fp_ieee_inexact 0
		.amdhsa_exception_int_div_zero 0
	.end_amdhsa_kernel
	.section	.text._ZN9rocsolver6v33100L18trti2_kernel_smallILi35E19rocblas_complex_numIfEPS3_EEv13rocblas_fill_17rocblas_diagonal_T1_iil,"axG",@progbits,_ZN9rocsolver6v33100L18trti2_kernel_smallILi35E19rocblas_complex_numIfEPS3_EEv13rocblas_fill_17rocblas_diagonal_T1_iil,comdat
.Lfunc_end34:
	.size	_ZN9rocsolver6v33100L18trti2_kernel_smallILi35E19rocblas_complex_numIfEPS3_EEv13rocblas_fill_17rocblas_diagonal_T1_iil, .Lfunc_end34-_ZN9rocsolver6v33100L18trti2_kernel_smallILi35E19rocblas_complex_numIfEPS3_EEv13rocblas_fill_17rocblas_diagonal_T1_iil
                                        ; -- End function
	.set _ZN9rocsolver6v33100L18trti2_kernel_smallILi35E19rocblas_complex_numIfEPS3_EEv13rocblas_fill_17rocblas_diagonal_T1_iil.num_vgpr, 104
	.set _ZN9rocsolver6v33100L18trti2_kernel_smallILi35E19rocblas_complex_numIfEPS3_EEv13rocblas_fill_17rocblas_diagonal_T1_iil.num_agpr, 0
	.set _ZN9rocsolver6v33100L18trti2_kernel_smallILi35E19rocblas_complex_numIfEPS3_EEv13rocblas_fill_17rocblas_diagonal_T1_iil.numbered_sgpr, 24
	.set _ZN9rocsolver6v33100L18trti2_kernel_smallILi35E19rocblas_complex_numIfEPS3_EEv13rocblas_fill_17rocblas_diagonal_T1_iil.num_named_barrier, 0
	.set _ZN9rocsolver6v33100L18trti2_kernel_smallILi35E19rocblas_complex_numIfEPS3_EEv13rocblas_fill_17rocblas_diagonal_T1_iil.private_seg_size, 288
	.set _ZN9rocsolver6v33100L18trti2_kernel_smallILi35E19rocblas_complex_numIfEPS3_EEv13rocblas_fill_17rocblas_diagonal_T1_iil.uses_vcc, 1
	.set _ZN9rocsolver6v33100L18trti2_kernel_smallILi35E19rocblas_complex_numIfEPS3_EEv13rocblas_fill_17rocblas_diagonal_T1_iil.uses_flat_scratch, 1
	.set _ZN9rocsolver6v33100L18trti2_kernel_smallILi35E19rocblas_complex_numIfEPS3_EEv13rocblas_fill_17rocblas_diagonal_T1_iil.has_dyn_sized_stack, 0
	.set _ZN9rocsolver6v33100L18trti2_kernel_smallILi35E19rocblas_complex_numIfEPS3_EEv13rocblas_fill_17rocblas_diagonal_T1_iil.has_recursion, 0
	.set _ZN9rocsolver6v33100L18trti2_kernel_smallILi35E19rocblas_complex_numIfEPS3_EEv13rocblas_fill_17rocblas_diagonal_T1_iil.has_indirect_call, 0
	.section	.AMDGPU.csdata,"",@progbits
; Kernel info:
; codeLenInByte = 26440
; TotalNumSgprs: 26
; NumVgprs: 104
; ScratchSize: 288
; MemoryBound: 0
; FloatMode: 240
; IeeeMode: 1
; LDSByteSize: 568 bytes/workgroup (compile time only)
; SGPRBlocks: 0
; VGPRBlocks: 6
; NumSGPRsForWavesPerEU: 26
; NumVGPRsForWavesPerEU: 104
; NamedBarCnt: 0
; Occupancy: 9
; WaveLimiterHint : 0
; COMPUTE_PGM_RSRC2:SCRATCH_EN: 1
; COMPUTE_PGM_RSRC2:USER_SGPR: 2
; COMPUTE_PGM_RSRC2:TRAP_HANDLER: 0
; COMPUTE_PGM_RSRC2:TGID_X_EN: 1
; COMPUTE_PGM_RSRC2:TGID_Y_EN: 0
; COMPUTE_PGM_RSRC2:TGID_Z_EN: 0
; COMPUTE_PGM_RSRC2:TIDIG_COMP_CNT: 0
	.section	.text._ZN9rocsolver6v33100L18trti2_kernel_smallILi36E19rocblas_complex_numIfEPS3_EEv13rocblas_fill_17rocblas_diagonal_T1_iil,"axG",@progbits,_ZN9rocsolver6v33100L18trti2_kernel_smallILi36E19rocblas_complex_numIfEPS3_EEv13rocblas_fill_17rocblas_diagonal_T1_iil,comdat
	.globl	_ZN9rocsolver6v33100L18trti2_kernel_smallILi36E19rocblas_complex_numIfEPS3_EEv13rocblas_fill_17rocblas_diagonal_T1_iil ; -- Begin function _ZN9rocsolver6v33100L18trti2_kernel_smallILi36E19rocblas_complex_numIfEPS3_EEv13rocblas_fill_17rocblas_diagonal_T1_iil
	.p2align	8
	.type	_ZN9rocsolver6v33100L18trti2_kernel_smallILi36E19rocblas_complex_numIfEPS3_EEv13rocblas_fill_17rocblas_diagonal_T1_iil,@function
_ZN9rocsolver6v33100L18trti2_kernel_smallILi36E19rocblas_complex_numIfEPS3_EEv13rocblas_fill_17rocblas_diagonal_T1_iil: ; @_ZN9rocsolver6v33100L18trti2_kernel_smallILi36E19rocblas_complex_numIfEPS3_EEv13rocblas_fill_17rocblas_diagonal_T1_iil
; %bb.0:
	s_mov_b32 s2, exec_lo
	v_cmpx_gt_u32_e32 36, v0
	s_cbranch_execz .LBB35_704
; %bb.1:
	s_load_b256 s[4:11], s[0:1], 0x0
	s_wait_xcnt 0x0
	s_bfe_u32 s0, ttmp6, 0x4000c
	s_and_b32 s1, ttmp6, 15
	s_add_co_i32 s0, s0, 1
	s_getreg_b32 s2, hwreg(HW_REG_IB_STS2, 6, 4)
	s_mul_i32 s0, ttmp9, s0
	v_lshlrev_b32_e32 v38, 3, v0
	s_add_co_i32 s0, s1, s0
	v_mov_b32_e32 v39, 0
	s_wait_kmcnt 0x0
	v_add3_u32 v6, s9, s9, v0
	s_ashr_i32 s1, s8, 31
	s_cmp_eq_u32 s2, 0
	s_cselect_b32 s2, ttmp9, s0
	s_delay_alu instid0(VALU_DEP_1)
	v_add_nc_u32_e32 v8, s9, v6
	s_ashr_i32 s3, s2, 31
	s_mov_b32 s0, s8
	s_mul_u64 s[2:3], s[10:11], s[2:3]
	s_lshl_b64 s[0:1], s[0:1], 3
	v_add_nc_u32_e32 v10, s9, v8
	s_lshl_b64 s[2:3], s[2:3], 3
	s_delay_alu instid0(SALU_CYCLE_1) | instskip(NEXT) | instid1(SALU_CYCLE_1)
	s_add_nc_u64 s[2:3], s[6:7], s[2:3]
	s_add_nc_u64 s[6:7], s[2:3], s[0:1]
	s_delay_alu instid0(VALU_DEP_1)
	v_add_nc_u32_e32 v12, s9, v10
	v_add_nc_u64_e32 v[2:3], s[6:7], v[38:39]
	s_mov_b32 s0, s9
	s_ashr_i32 s1, s9, 31
	s_cmp_lg_u32 s5, 0x84
	v_add_nc_u32_e32 v14, s9, v12
	s_cselect_b32 s3, -1, 0
	s_delay_alu instid0(VALU_DEP_2) | instskip(SKIP_1) | instid1(VALU_DEP_2)
	v_lshl_add_u64 v[4:5], s[0:1], 3, v[2:3]
	s_mov_b32 s0, -1
	v_add_nc_u32_e32 v16, s9, v14
	s_clause 0x3
	global_load_b64 v[56:57], v0, s[6:7] scale_offset
	global_load_b64 v[58:59], v[4:5], off
	global_load_b64 v[60:61], v6, s[6:7] scale_offset
	global_load_b64 v[62:63], v8, s[6:7] scale_offset
	s_and_b32 vcc_lo, exec_lo, s3
	v_add_nc_u32_e32 v18, s9, v16
	s_delay_alu instid0(VALU_DEP_1) | instskip(NEXT) | instid1(VALU_DEP_1)
	v_add_nc_u32_e32 v20, s9, v18
	v_add_nc_u32_e32 v22, s9, v20
	s_clause 0x3
	global_load_b64 v[64:65], v10, s[6:7] scale_offset
	global_load_b64 v[66:67], v12, s[6:7] scale_offset
	;; [unrolled: 1-line block ×4, first 2 shown]
	v_add_nc_u32_e32 v24, s9, v22
	s_delay_alu instid0(VALU_DEP_1) | instskip(NEXT) | instid1(VALU_DEP_1)
	v_add_nc_u32_e32 v26, s9, v24
	v_add_nc_u32_e32 v28, s9, v26
	s_delay_alu instid0(VALU_DEP_1)
	v_add_nc_u32_e32 v30, s9, v28
	s_clause 0x3
	global_load_b64 v[72:73], v18, s[6:7] scale_offset
	global_load_b64 v[74:75], v20, s[6:7] scale_offset
	global_load_b64 v[76:77], v22, s[6:7] scale_offset
	global_load_b64 v[78:79], v24, s[6:7] scale_offset
	v_add_nc_u32_e32 v32, s9, v30
	s_delay_alu instid0(VALU_DEP_1)
	v_add_nc_u32_e32 v34, s9, v32
	s_clause 0x3
	global_load_b64 v[80:81], v26, s[6:7] scale_offset
	global_load_b64 v[82:83], v28, s[6:7] scale_offset
	global_load_b64 v[84:85], v30, s[6:7] scale_offset
	global_load_b64 v[86:87], v32, s[6:7] scale_offset
	v_add_nc_u32_e32 v36, s9, v34
	s_delay_alu instid0(VALU_DEP_1) | instskip(NEXT) | instid1(VALU_DEP_1)
	v_add_nc_u32_e32 v40, s9, v36
	v_add_nc_u32_e32 v42, s9, v40
	s_clause 0x1
	global_load_b64 v[88:89], v34, s[6:7] scale_offset
	global_load_b64 v[90:91], v36, s[6:7] scale_offset
	v_add_nc_u32_e32 v44, s9, v42
	s_delay_alu instid0(VALU_DEP_1) | instskip(NEXT) | instid1(VALU_DEP_1)
	v_add_nc_u32_e32 v46, s9, v44
	v_add_nc_u32_e32 v48, s9, v46
	s_delay_alu instid0(VALU_DEP_1) | instskip(NEXT) | instid1(VALU_DEP_1)
	v_add_nc_u32_e32 v50, s9, v48
	v_add_nc_u32_e32 v52, s9, v50
	s_delay_alu instid0(VALU_DEP_1)
	v_add_nc_u32_e32 v54, s9, v52
	s_wait_loadcnt 0x10
	scratch_store_b128 off, v[56:59], off
	s_wait_xcnt 0x0
	v_add_nc_u32_e32 v56, s9, v54
	s_clause 0x1
	global_load_b64 v[92:93], v40, s[6:7] scale_offset
	global_load_b64 v[94:95], v42, s[6:7] scale_offset
	s_wait_loadcnt 0x10
	scratch_store_b128 off, v[60:63], off offset:16
	s_wait_loadcnt 0xe
	scratch_store_b128 off, v[64:67], off offset:32
	s_wait_loadcnt 0xc
	scratch_store_b128 off, v[68:71], off offset:48
	v_add_nc_u32_e32 v58, s9, v56
	s_clause 0x3
	global_load_b64 v[96:97], v44, s[6:7] scale_offset
	global_load_b64 v[98:99], v46, s[6:7] scale_offset
	;; [unrolled: 1-line block ×4, first 2 shown]
	s_wait_loadcnt 0xe
	scratch_store_b128 off, v[72:75], off offset:64
	s_wait_loadcnt 0xc
	scratch_store_b128 off, v[76:79], off offset:80
	s_wait_xcnt 0x8
	v_add_nc_u32_e32 v60, s9, v58
	s_delay_alu instid0(VALU_DEP_1) | instskip(SKIP_1) | instid1(VALU_DEP_1)
	v_add_nc_u32_e32 v62, s9, v60
	s_wait_xcnt 0x7
	v_add_nc_u32_e32 v64, s9, v62
	s_clause 0x3
	global_load_b64 v[76:77], v52, s[6:7] scale_offset
	global_load_b64 v[78:79], v54, s[6:7] scale_offset
	;; [unrolled: 1-line block ×4, first 2 shown]
	s_wait_loadcnt 0xe
	scratch_store_b128 off, v[80:83], off offset:96
	s_wait_loadcnt 0xc
	scratch_store_b128 off, v[84:87], off offset:112
	v_add_nc_u32_e32 v66, s9, v64
	s_delay_alu instid0(VALU_DEP_1) | instskip(SKIP_3) | instid1(VALU_DEP_1)
	v_add_nc_u32_e32 v68, s9, v66
	s_wait_loadcnt 0xa
	scratch_store_b128 off, v[88:91], off offset:128
	v_add_nc_u32_e32 v70, s9, v68
	v_add_nc_u32_e32 v72, s9, v70
	s_delay_alu instid0(VALU_DEP_1)
	v_add_nc_u32_e32 v74, s9, v72
	s_wait_loadcnt 0x8
	scratch_store_b128 off, v[92:95], off offset:144
	s_wait_loadcnt 0x6
	scratch_store_b128 off, v[96:99], off offset:160
	;; [unrolled: 2-line block ×3, first 2 shown]
	s_clause 0x3
	global_load_b64 v[80:81], v60, s[6:7] scale_offset
	global_load_b64 v[82:83], v62, s[6:7] scale_offset
	;; [unrolled: 1-line block ×4, first 2 shown]
	s_wait_loadcnt 0x6
	scratch_store_b128 off, v[76:79], off offset:192
	s_wait_loadcnt 0x4
	scratch_store_b128 off, v[104:107], off offset:208
	s_clause 0x3
	global_load_b64 v[76:77], v68, s[6:7] scale_offset
	global_load_b64 v[78:79], v70, s[6:7] scale_offset
	;; [unrolled: 1-line block ×4, first 2 shown]
	s_wait_loadcnt 0x6
	scratch_store_b128 off, v[80:83], off offset:224
	s_wait_loadcnt 0x4
	scratch_store_b128 off, v[84:87], off offset:240
	;; [unrolled: 2-line block ×4, first 2 shown]
	s_cbranch_vccz .LBB35_7
; %bb.2:
	scratch_load_b64 v[76:77], v0, off scale_offset
                                        ; implicit-def: $vgpr81
                                        ; implicit-def: $vgpr78
	s_wait_loadcnt 0x0
	v_cmp_ngt_f32_e64 s0, |v76|, |v77|
	s_wait_xcnt 0x0
	s_and_saveexec_b32 s1, s0
	s_delay_alu instid0(SALU_CYCLE_1)
	s_xor_b32 s0, exec_lo, s1
	s_cbranch_execz .LBB35_4
; %bb.3:
	v_div_scale_f32 v1, null, v77, v77, v76
	v_div_scale_f32 v11, vcc_lo, v76, v77, v76
	s_delay_alu instid0(VALU_DEP_2) | instskip(SKIP_1) | instid1(TRANS32_DEP_1)
	v_rcp_f32_e32 v7, v1
	v_nop
	v_fma_f32 v9, -v1, v7, 1.0
	s_delay_alu instid0(VALU_DEP_1) | instskip(NEXT) | instid1(VALU_DEP_1)
	v_fmac_f32_e32 v7, v9, v7
	v_mul_f32_e32 v9, v11, v7
	s_delay_alu instid0(VALU_DEP_1) | instskip(NEXT) | instid1(VALU_DEP_1)
	v_fma_f32 v13, -v1, v9, v11
	v_fmac_f32_e32 v9, v13, v7
	s_delay_alu instid0(VALU_DEP_1) | instskip(NEXT) | instid1(VALU_DEP_1)
	v_fma_f32 v1, -v1, v9, v11
	v_div_fmas_f32 v1, v1, v7, v9
	s_delay_alu instid0(VALU_DEP_1) | instskip(NEXT) | instid1(VALU_DEP_1)
	v_div_fixup_f32 v1, v1, v77, v76
	v_fmac_f32_e32 v77, v76, v1
	s_delay_alu instid0(VALU_DEP_1) | instskip(NEXT) | instid1(VALU_DEP_1)
	v_div_scale_f32 v7, null, v77, v77, -1.0
	v_rcp_f32_e32 v9, v7
	v_nop
	s_delay_alu instid0(TRANS32_DEP_1) | instskip(NEXT) | instid1(VALU_DEP_1)
	v_fma_f32 v11, -v7, v9, 1.0
	v_fmac_f32_e32 v9, v11, v9
	v_div_scale_f32 v11, vcc_lo, -1.0, v77, -1.0
	s_delay_alu instid0(VALU_DEP_1) | instskip(NEXT) | instid1(VALU_DEP_1)
	v_mul_f32_e32 v13, v11, v9
	v_fma_f32 v15, -v7, v13, v11
	s_delay_alu instid0(VALU_DEP_1) | instskip(NEXT) | instid1(VALU_DEP_1)
	v_fmac_f32_e32 v13, v15, v9
	v_fma_f32 v7, -v7, v13, v11
	s_delay_alu instid0(VALU_DEP_1) | instskip(NEXT) | instid1(VALU_DEP_1)
	v_div_fmas_f32 v7, v7, v9, v13
	v_div_fixup_f32 v81, v7, v77, -1.0
                                        ; implicit-def: $vgpr76_vgpr77
	s_delay_alu instid0(VALU_DEP_1) | instskip(NEXT) | instid1(VALU_DEP_1)
	v_mul_f32_e32 v78, v1, v81
	v_xor_b32_e32 v80, 0x80000000, v78
.LBB35_4:
	s_or_saveexec_b32 s0, s0
	v_lshl_add_u32 v1, v0, 3, 0
	s_xor_b32 exec_lo, exec_lo, s0
	s_cbranch_execz .LBB35_6
; %bb.5:
	v_div_scale_f32 v7, null, v76, v76, v77
	v_div_scale_f32 v13, vcc_lo, v77, v76, v77
	s_delay_alu instid0(VALU_DEP_2) | instskip(SKIP_1) | instid1(TRANS32_DEP_1)
	v_rcp_f32_e32 v9, v7
	v_nop
	v_fma_f32 v11, -v7, v9, 1.0
	s_delay_alu instid0(VALU_DEP_1) | instskip(NEXT) | instid1(VALU_DEP_1)
	v_fmac_f32_e32 v9, v11, v9
	v_mul_f32_e32 v11, v13, v9
	s_delay_alu instid0(VALU_DEP_1) | instskip(NEXT) | instid1(VALU_DEP_1)
	v_fma_f32 v15, -v7, v11, v13
	v_fmac_f32_e32 v11, v15, v9
	s_delay_alu instid0(VALU_DEP_1) | instskip(NEXT) | instid1(VALU_DEP_1)
	v_fma_f32 v7, -v7, v11, v13
	v_div_fmas_f32 v7, v7, v9, v11
	s_delay_alu instid0(VALU_DEP_1) | instskip(NEXT) | instid1(VALU_DEP_1)
	v_div_fixup_f32 v7, v7, v76, v77
	v_fmac_f32_e32 v76, v77, v7
	s_delay_alu instid0(VALU_DEP_1) | instskip(SKIP_1) | instid1(VALU_DEP_2)
	v_div_scale_f32 v9, null, v76, v76, 1.0
	v_div_scale_f32 v15, vcc_lo, 1.0, v76, 1.0
	v_rcp_f32_e32 v11, v9
	v_nop
	s_delay_alu instid0(TRANS32_DEP_1) | instskip(NEXT) | instid1(VALU_DEP_1)
	v_fma_f32 v13, -v9, v11, 1.0
	v_fmac_f32_e32 v11, v13, v11
	s_delay_alu instid0(VALU_DEP_1) | instskip(NEXT) | instid1(VALU_DEP_1)
	v_mul_f32_e32 v13, v15, v11
	v_fma_f32 v17, -v9, v13, v15
	s_delay_alu instid0(VALU_DEP_1) | instskip(NEXT) | instid1(VALU_DEP_1)
	v_fmac_f32_e32 v13, v17, v11
	v_fma_f32 v9, -v9, v13, v15
	s_delay_alu instid0(VALU_DEP_1) | instskip(NEXT) | instid1(VALU_DEP_1)
	v_div_fmas_f32 v9, v9, v11, v13
	v_div_fixup_f32 v80, v9, v76, 1.0
	s_delay_alu instid0(VALU_DEP_1)
	v_xor_b32_e32 v78, 0x80000000, v80
	v_mul_f32_e64 v81, v7, -v80
.LBB35_6:
	s_or_b32 exec_lo, exec_lo, s0
	s_delay_alu instid0(VALU_DEP_1)
	v_xor_b32_e32 v79, 0x80000000, v81
	s_mov_b32 s0, 0
	scratch_store_b64 v1, v[80:81], off
	ds_store_b64 v38, v[78:79]
.LBB35_7:
	s_and_b32 vcc_lo, exec_lo, s0
	s_cbranch_vccz .LBB35_9
; %bb.8:
	s_mov_b64 s[0:1], 0xbf800000
	s_wait_xcnt 0x1
	v_mov_b64_e32 v[76:77], s[0:1]
	ds_store_b64 v38, v[76:77]
.LBB35_9:
	v_dual_ashrrev_i32 v7, 31, v6 :: v_dual_ashrrev_i32 v9, 31, v8
	v_dual_ashrrev_i32 v11, 31, v10 :: v_dual_ashrrev_i32 v13, 31, v12
	;; [unrolled: 1-line block ×17, first 2 shown]
	s_wait_xcnt 0x0
	v_add_nc_u32_e32 v1, 0x120, v38
	v_mov_b32_e32 v39, v38
	s_cmp_eq_u32 s4, 0x79
	s_cbranch_scc1 .LBB35_13
; %bb.10:
	scratch_load_b64 v[76:77], off, off offset:272
	v_cmp_eq_u32_e64 s0, 35, v0
	s_movk_i32 s1, 0x50
	s_movk_i32 s10, 0x60
	;; [unrolled: 1-line block ×12, first 2 shown]
	s_wait_loadcnt 0x0
	ds_store_b64 v1, v[76:77]
	s_wait_storecnt_dscnt 0x0
	s_barrier_signal -1
	s_barrier_wait -1
	s_wait_xcnt 0x0
	s_and_saveexec_b32 s2, s0
	s_cbranch_execz .LBB35_17
; %bb.11:
	s_and_b32 vcc_lo, exec_lo, s3
	s_cbranch_vccz .LBB35_14
; %bb.12:
	scratch_load_b64 v[76:77], v39, off
	ds_load_b64 v[78:79], v1
	s_wait_loadcnt_dscnt 0x0
	v_pk_mul_f32 v[80:81], v[78:79], v[76:77] op_sel:[1,1] op_sel_hi:[0,1]
	v_pk_mul_f32 v[82:83], v[78:79], v[76:77] op_sel_hi:[1,0]
	s_delay_alu instid0(VALU_DEP_2) | instskip(NEXT) | instid1(VALU_DEP_2)
	v_pk_fma_f32 v[76:77], v[78:79], v[76:77], v[80:81] op_sel_hi:[1,0,1]
	v_sub_f32_e32 v76, v82, v80
	s_cbranch_execz .LBB35_15
	s_branch .LBB35_16
.LBB35_13:
	s_mov_b32 s1, 0
                                        ; implicit-def: $vgpr100
                                        ; implicit-def: $sgpr4
	s_cbranch_execnz .LBB35_356
	s_branch .LBB35_701
.LBB35_14:
                                        ; implicit-def: $vgpr77
.LBB35_15:
	ds_load_b64 v[76:77], v1
.LBB35_16:
	s_wait_dscnt 0x0
	v_dual_mov_b32 v78, 0 :: v_dual_mov_b32 v80, v77
	v_mov_b32_e32 v81, v76
	ds_load_b64 v[78:79], v78 offset:272
	s_wait_dscnt 0x0
	v_pk_mul_f32 v[80:81], v[80:81], v[78:79] op_sel:[0,1]
	s_delay_alu instid0(VALU_DEP_1) | instskip(SKIP_1) | instid1(VALU_DEP_2)
	v_pk_fma_f32 v[82:83], v[76:77], v[78:79], v[80:81] op_sel_hi:[1,0,1]
	v_pk_fma_f32 v[76:77], v[76:77], v[78:79], v[80:81] neg_lo:[0,0,1] neg_hi:[0,0,1]
	v_mov_b32_e32 v77, v83
	scratch_store_b64 off, v[76:77], off offset:272
.LBB35_17:
	s_wait_xcnt 0x0
	s_or_b32 exec_lo, exec_lo, s2
	scratch_load_b64 v[76:77], off, off offset:264
	s_mov_b32 s9, s1
	v_cmp_lt_u32_e64 s1, 33, v0
	s_mov_b32 s4, 16
	s_mov_b32 s5, 32
	;; [unrolled: 1-line block ×4, first 2 shown]
	s_wait_loadcnt 0x0
	ds_store_b64 v1, v[76:77]
	s_wait_storecnt_dscnt 0x0
	s_barrier_signal -1
	s_barrier_wait -1
	s_wait_xcnt 0x0
	s_and_saveexec_b32 s21, s1
	s_cbranch_execz .LBB35_25
; %bb.18:
	s_and_not1_b32 vcc_lo, exec_lo, s3
	s_cbranch_vccnz .LBB35_20
; %bb.19:
	scratch_load_b64 v[76:77], v39, off
	ds_load_b64 v[78:79], v1
	s_wait_loadcnt_dscnt 0x0
	v_pk_mul_f32 v[80:81], v[78:79], v[76:77] op_sel:[1,1] op_sel_hi:[0,1]
	s_delay_alu instid0(VALU_DEP_1) | instskip(SKIP_1) | instid1(VALU_DEP_2)
	v_pk_fma_f32 v[82:83], v[78:79], v[76:77], v[80:81] op_sel_hi:[1,0,1]
	v_pk_fma_f32 v[76:77], v[78:79], v[76:77], v[80:81] neg_lo:[0,0,1] neg_hi:[0,0,1]
	v_mov_b32_e32 v77, v83
	s_cbranch_execz .LBB35_21
	s_branch .LBB35_22
.LBB35_20:
                                        ; implicit-def: $vgpr76_vgpr77
.LBB35_21:
	ds_load_b64 v[76:77], v1
.LBB35_22:
	s_and_saveexec_b32 s22, s0
	s_cbranch_execz .LBB35_24
; %bb.23:
	scratch_load_b64 v[78:79], off, off offset:272
	v_mov_b32_e32 v80, 0
	ds_load_b64 v[80:81], v80 offset:560
	s_wait_loadcnt_dscnt 0x0
	v_pk_mul_f32 v[82:83], v[80:81], v[78:79] op_sel:[1,1] op_sel_hi:[0,1]
	s_delay_alu instid0(VALU_DEP_1) | instskip(SKIP_1) | instid1(VALU_DEP_2)
	v_pk_fma_f32 v[84:85], v[80:81], v[78:79], v[82:83] op_sel_hi:[1,0,1]
	v_pk_fma_f32 v[78:79], v[80:81], v[78:79], v[82:83] neg_lo:[0,0,1] neg_hi:[0,0,1]
	v_mov_b32_e32 v79, v85
	s_delay_alu instid0(VALU_DEP_1)
	v_pk_add_f32 v[76:77], v[76:77], v[78:79]
.LBB35_24:
	s_or_b32 exec_lo, exec_lo, s22
	v_mov_b32_e32 v78, 0
	ds_load_b64 v[78:79], v78 offset:264
	s_wait_dscnt 0x0
	v_pk_mul_f32 v[80:81], v[76:77], v[78:79] op_sel:[1,1] op_sel_hi:[0,1]
	s_delay_alu instid0(VALU_DEP_1) | instskip(SKIP_1) | instid1(VALU_DEP_2)
	v_pk_fma_f32 v[82:83], v[76:77], v[78:79], v[80:81] op_sel_hi:[1,0,1]
	v_pk_fma_f32 v[76:77], v[76:77], v[78:79], v[80:81] neg_lo:[0,0,1] neg_hi:[0,0,1]
	v_mov_b32_e32 v77, v83
	scratch_store_b64 off, v[76:77], off offset:264
.LBB35_25:
	s_wait_xcnt 0x0
	s_or_b32 exec_lo, exec_lo, s21
	scratch_load_b64 v[76:77], off, off offset:256
	v_cmp_lt_u32_e64 s0, 32, v0
	s_wait_loadcnt 0x0
	ds_store_b64 v1, v[76:77]
	s_wait_storecnt_dscnt 0x0
	s_barrier_signal -1
	s_barrier_wait -1
	s_wait_xcnt 0x0
	s_and_saveexec_b32 s21, s0
	s_cbranch_execz .LBB35_35
; %bb.26:
	s_and_not1_b32 vcc_lo, exec_lo, s3
	s_cbranch_vccnz .LBB35_28
; %bb.27:
	scratch_load_b64 v[76:77], v39, off
	ds_load_b64 v[78:79], v1
	s_wait_loadcnt_dscnt 0x0
	v_pk_mul_f32 v[80:81], v[78:79], v[76:77] op_sel:[1,1] op_sel_hi:[0,1]
	s_delay_alu instid0(VALU_DEP_1) | instskip(SKIP_1) | instid1(VALU_DEP_2)
	v_pk_fma_f32 v[82:83], v[78:79], v[76:77], v[80:81] op_sel_hi:[1,0,1]
	v_pk_fma_f32 v[76:77], v[78:79], v[76:77], v[80:81] neg_lo:[0,0,1] neg_hi:[0,0,1]
	v_mov_b32_e32 v77, v83
	s_cbranch_execz .LBB35_29
	s_branch .LBB35_30
.LBB35_28:
                                        ; implicit-def: $vgpr76_vgpr77
.LBB35_29:
	ds_load_b64 v[76:77], v1
.LBB35_30:
	s_and_saveexec_b32 s22, s1
	s_cbranch_execz .LBB35_34
; %bb.31:
	v_subrev_nc_u32_e32 v78, 33, v0
	s_movk_i32 s1, 0x108
	s_movk_i32 s24, 0x228
	s_mov_b32 s23, 0
.LBB35_32:                              ; =>This Inner Loop Header: Depth=1
	scratch_load_b64 v[80:81], off, s1
	v_dual_mov_b32 v79, s24 :: v_dual_add_nc_u32 v78, -1, v78
	s_add_co_i32 s24, s24, 8
	s_wait_xcnt 0x0
	s_add_co_i32 s1, s1, 8
	ds_load_b64 v[82:83], v79
	v_cmp_eq_u32_e32 vcc_lo, 0, v78
	s_or_b32 s23, vcc_lo, s23
	s_wait_loadcnt_dscnt 0x0
	v_pk_mul_f32 v[84:85], v[82:83], v[80:81] op_sel:[1,1] op_sel_hi:[0,1]
	s_delay_alu instid0(VALU_DEP_1) | instskip(SKIP_1) | instid1(VALU_DEP_2)
	v_pk_fma_f32 v[86:87], v[82:83], v[80:81], v[84:85] op_sel_hi:[1,0,1]
	v_pk_fma_f32 v[80:81], v[82:83], v[80:81], v[84:85] neg_lo:[0,0,1] neg_hi:[0,0,1]
	v_mov_b32_e32 v81, v87
	s_delay_alu instid0(VALU_DEP_1)
	v_pk_add_f32 v[76:77], v[76:77], v[80:81]
	s_and_not1_b32 exec_lo, exec_lo, s23
	s_cbranch_execnz .LBB35_32
; %bb.33:
	s_or_b32 exec_lo, exec_lo, s23
.LBB35_34:
	s_delay_alu instid0(SALU_CYCLE_1) | instskip(SKIP_4) | instid1(VALU_DEP_1)
	s_or_b32 exec_lo, exec_lo, s22
	v_mov_b32_e32 v78, 0
	ds_load_b64 v[78:79], v78 offset:256
	s_wait_dscnt 0x0
	v_pk_mul_f32 v[80:81], v[76:77], v[78:79] op_sel:[1,1] op_sel_hi:[0,1]
	v_pk_fma_f32 v[82:83], v[76:77], v[78:79], v[80:81] op_sel_hi:[1,0,1]
	v_pk_fma_f32 v[76:77], v[76:77], v[78:79], v[80:81] neg_lo:[0,0,1] neg_hi:[0,0,1]
	s_delay_alu instid0(VALU_DEP_2)
	v_mov_b32_e32 v77, v83
	scratch_store_b64 off, v[76:77], off offset:256
.LBB35_35:
	s_wait_xcnt 0x0
	s_or_b32 exec_lo, exec_lo, s21
	scratch_load_b64 v[76:77], off, off offset:248
	v_cmp_lt_u32_e64 s1, 31, v0
	s_wait_loadcnt 0x0
	ds_store_b64 v1, v[76:77]
	s_wait_storecnt_dscnt 0x0
	s_barrier_signal -1
	s_barrier_wait -1
	s_wait_xcnt 0x0
	s_and_saveexec_b32 s21, s1
	s_cbranch_execz .LBB35_45
; %bb.36:
	s_and_not1_b32 vcc_lo, exec_lo, s3
	s_cbranch_vccnz .LBB35_38
; %bb.37:
	scratch_load_b64 v[76:77], v39, off
	ds_load_b64 v[78:79], v1
	s_wait_loadcnt_dscnt 0x0
	v_pk_mul_f32 v[80:81], v[78:79], v[76:77] op_sel:[1,1] op_sel_hi:[0,1]
	s_delay_alu instid0(VALU_DEP_1) | instskip(SKIP_1) | instid1(VALU_DEP_2)
	v_pk_fma_f32 v[82:83], v[78:79], v[76:77], v[80:81] op_sel_hi:[1,0,1]
	v_pk_fma_f32 v[76:77], v[78:79], v[76:77], v[80:81] neg_lo:[0,0,1] neg_hi:[0,0,1]
	v_mov_b32_e32 v77, v83
	s_cbranch_execz .LBB35_39
	s_branch .LBB35_40
.LBB35_38:
                                        ; implicit-def: $vgpr76_vgpr77
.LBB35_39:
	ds_load_b64 v[76:77], v1
.LBB35_40:
	s_and_saveexec_b32 s22, s0
	s_cbranch_execz .LBB35_44
; %bb.41:
	v_subrev_nc_u32_e32 v78, 32, v0
	s_movk_i32 s23, 0x220
	s_mov_b32 s0, 0
.LBB35_42:                              ; =>This Inner Loop Header: Depth=1
	scratch_load_b64 v[80:81], off, s20
	v_dual_mov_b32 v79, s23 :: v_dual_add_nc_u32 v78, -1, v78
	s_add_co_i32 s23, s23, 8
	s_wait_xcnt 0x0
	s_add_co_i32 s20, s20, 8
	ds_load_b64 v[82:83], v79
	v_cmp_eq_u32_e32 vcc_lo, 0, v78
	s_or_b32 s0, vcc_lo, s0
	s_wait_loadcnt_dscnt 0x0
	v_pk_mul_f32 v[84:85], v[82:83], v[80:81] op_sel:[1,1] op_sel_hi:[0,1]
	s_delay_alu instid0(VALU_DEP_1) | instskip(SKIP_1) | instid1(VALU_DEP_2)
	v_pk_fma_f32 v[86:87], v[82:83], v[80:81], v[84:85] op_sel_hi:[1,0,1]
	v_pk_fma_f32 v[80:81], v[82:83], v[80:81], v[84:85] neg_lo:[0,0,1] neg_hi:[0,0,1]
	v_mov_b32_e32 v81, v87
	s_delay_alu instid0(VALU_DEP_1)
	v_pk_add_f32 v[76:77], v[76:77], v[80:81]
	s_and_not1_b32 exec_lo, exec_lo, s0
	s_cbranch_execnz .LBB35_42
; %bb.43:
	s_or_b32 exec_lo, exec_lo, s0
.LBB35_44:
	s_delay_alu instid0(SALU_CYCLE_1) | instskip(SKIP_4) | instid1(VALU_DEP_1)
	s_or_b32 exec_lo, exec_lo, s22
	v_mov_b32_e32 v78, 0
	ds_load_b64 v[78:79], v78 offset:248
	s_wait_dscnt 0x0
	v_pk_mul_f32 v[80:81], v[76:77], v[78:79] op_sel:[1,1] op_sel_hi:[0,1]
	v_pk_fma_f32 v[82:83], v[76:77], v[78:79], v[80:81] op_sel_hi:[1,0,1]
	v_pk_fma_f32 v[76:77], v[76:77], v[78:79], v[80:81] neg_lo:[0,0,1] neg_hi:[0,0,1]
	s_delay_alu instid0(VALU_DEP_2)
	v_mov_b32_e32 v77, v83
	scratch_store_b64 off, v[76:77], off offset:248
.LBB35_45:
	s_wait_xcnt 0x0
	s_or_b32 exec_lo, exec_lo, s21
	scratch_load_b64 v[76:77], off, off offset:240
	v_cmp_lt_u32_e64 s0, 30, v0
	s_wait_loadcnt 0x0
	ds_store_b64 v1, v[76:77]
	s_wait_storecnt_dscnt 0x0
	s_barrier_signal -1
	s_barrier_wait -1
	s_wait_xcnt 0x0
	s_and_saveexec_b32 s20, s0
	s_cbranch_execz .LBB35_55
; %bb.46:
	s_and_not1_b32 vcc_lo, exec_lo, s3
	s_cbranch_vccnz .LBB35_48
; %bb.47:
	scratch_load_b64 v[76:77], v39, off
	ds_load_b64 v[78:79], v1
	s_wait_loadcnt_dscnt 0x0
	v_pk_mul_f32 v[80:81], v[78:79], v[76:77] op_sel:[1,1] op_sel_hi:[0,1]
	s_delay_alu instid0(VALU_DEP_1) | instskip(SKIP_1) | instid1(VALU_DEP_2)
	v_pk_fma_f32 v[82:83], v[78:79], v[76:77], v[80:81] op_sel_hi:[1,0,1]
	v_pk_fma_f32 v[76:77], v[78:79], v[76:77], v[80:81] neg_lo:[0,0,1] neg_hi:[0,0,1]
	v_mov_b32_e32 v77, v83
	s_cbranch_execz .LBB35_49
	s_branch .LBB35_50
.LBB35_48:
                                        ; implicit-def: $vgpr76_vgpr77
.LBB35_49:
	ds_load_b64 v[76:77], v1
.LBB35_50:
	s_and_saveexec_b32 s21, s1
	s_cbranch_execz .LBB35_54
; %bb.51:
	v_subrev_nc_u32_e32 v78, 31, v0
	s_movk_i32 s1, 0xf8
	s_movk_i32 s23, 0x218
	s_mov_b32 s22, 0
.LBB35_52:                              ; =>This Inner Loop Header: Depth=1
	scratch_load_b64 v[80:81], off, s1
	v_dual_mov_b32 v79, s23 :: v_dual_add_nc_u32 v78, -1, v78
	s_add_co_i32 s23, s23, 8
	s_wait_xcnt 0x0
	s_add_co_i32 s1, s1, 8
	ds_load_b64 v[82:83], v79
	v_cmp_eq_u32_e32 vcc_lo, 0, v78
	s_or_b32 s22, vcc_lo, s22
	s_wait_loadcnt_dscnt 0x0
	v_pk_mul_f32 v[84:85], v[82:83], v[80:81] op_sel:[1,1] op_sel_hi:[0,1]
	s_delay_alu instid0(VALU_DEP_1) | instskip(SKIP_1) | instid1(VALU_DEP_2)
	v_pk_fma_f32 v[86:87], v[82:83], v[80:81], v[84:85] op_sel_hi:[1,0,1]
	v_pk_fma_f32 v[80:81], v[82:83], v[80:81], v[84:85] neg_lo:[0,0,1] neg_hi:[0,0,1]
	v_mov_b32_e32 v81, v87
	s_delay_alu instid0(VALU_DEP_1)
	v_pk_add_f32 v[76:77], v[76:77], v[80:81]
	s_and_not1_b32 exec_lo, exec_lo, s22
	s_cbranch_execnz .LBB35_52
; %bb.53:
	s_or_b32 exec_lo, exec_lo, s22
.LBB35_54:
	s_delay_alu instid0(SALU_CYCLE_1) | instskip(SKIP_4) | instid1(VALU_DEP_1)
	s_or_b32 exec_lo, exec_lo, s21
	v_mov_b32_e32 v78, 0
	ds_load_b64 v[78:79], v78 offset:240
	s_wait_dscnt 0x0
	v_pk_mul_f32 v[80:81], v[76:77], v[78:79] op_sel:[1,1] op_sel_hi:[0,1]
	v_pk_fma_f32 v[82:83], v[76:77], v[78:79], v[80:81] op_sel_hi:[1,0,1]
	v_pk_fma_f32 v[76:77], v[76:77], v[78:79], v[80:81] neg_lo:[0,0,1] neg_hi:[0,0,1]
	s_delay_alu instid0(VALU_DEP_2)
	v_mov_b32_e32 v77, v83
	scratch_store_b64 off, v[76:77], off offset:240
.LBB35_55:
	s_wait_xcnt 0x0
	s_or_b32 exec_lo, exec_lo, s20
	scratch_load_b64 v[76:77], off, off offset:232
	v_cmp_lt_u32_e64 s1, 29, v0
	s_wait_loadcnt 0x0
	ds_store_b64 v1, v[76:77]
	s_wait_storecnt_dscnt 0x0
	s_barrier_signal -1
	s_barrier_wait -1
	s_wait_xcnt 0x0
	s_and_saveexec_b32 s20, s1
	s_cbranch_execz .LBB35_65
; %bb.56:
	s_and_not1_b32 vcc_lo, exec_lo, s3
	s_cbranch_vccnz .LBB35_58
; %bb.57:
	scratch_load_b64 v[76:77], v39, off
	ds_load_b64 v[78:79], v1
	s_wait_loadcnt_dscnt 0x0
	v_pk_mul_f32 v[80:81], v[78:79], v[76:77] op_sel:[1,1] op_sel_hi:[0,1]
	s_delay_alu instid0(VALU_DEP_1) | instskip(SKIP_1) | instid1(VALU_DEP_2)
	v_pk_fma_f32 v[82:83], v[78:79], v[76:77], v[80:81] op_sel_hi:[1,0,1]
	v_pk_fma_f32 v[76:77], v[78:79], v[76:77], v[80:81] neg_lo:[0,0,1] neg_hi:[0,0,1]
	v_mov_b32_e32 v77, v83
	s_cbranch_execz .LBB35_59
	s_branch .LBB35_60
.LBB35_58:
                                        ; implicit-def: $vgpr76_vgpr77
.LBB35_59:
	ds_load_b64 v[76:77], v1
.LBB35_60:
	s_and_saveexec_b32 s21, s0
	s_cbranch_execz .LBB35_64
; %bb.61:
	v_subrev_nc_u32_e32 v78, 30, v0
	s_movk_i32 s22, 0x210
	s_mov_b32 s0, 0
.LBB35_62:                              ; =>This Inner Loop Header: Depth=1
	scratch_load_b64 v[80:81], off, s19
	v_dual_mov_b32 v79, s22 :: v_dual_add_nc_u32 v78, -1, v78
	s_add_co_i32 s22, s22, 8
	s_wait_xcnt 0x0
	s_add_co_i32 s19, s19, 8
	ds_load_b64 v[82:83], v79
	v_cmp_eq_u32_e32 vcc_lo, 0, v78
	s_or_b32 s0, vcc_lo, s0
	s_wait_loadcnt_dscnt 0x0
	v_pk_mul_f32 v[84:85], v[82:83], v[80:81] op_sel:[1,1] op_sel_hi:[0,1]
	s_delay_alu instid0(VALU_DEP_1) | instskip(SKIP_1) | instid1(VALU_DEP_2)
	v_pk_fma_f32 v[86:87], v[82:83], v[80:81], v[84:85] op_sel_hi:[1,0,1]
	v_pk_fma_f32 v[80:81], v[82:83], v[80:81], v[84:85] neg_lo:[0,0,1] neg_hi:[0,0,1]
	v_mov_b32_e32 v81, v87
	s_delay_alu instid0(VALU_DEP_1)
	v_pk_add_f32 v[76:77], v[76:77], v[80:81]
	s_and_not1_b32 exec_lo, exec_lo, s0
	s_cbranch_execnz .LBB35_62
; %bb.63:
	s_or_b32 exec_lo, exec_lo, s0
.LBB35_64:
	s_delay_alu instid0(SALU_CYCLE_1) | instskip(SKIP_4) | instid1(VALU_DEP_1)
	s_or_b32 exec_lo, exec_lo, s21
	v_mov_b32_e32 v78, 0
	ds_load_b64 v[78:79], v78 offset:232
	s_wait_dscnt 0x0
	v_pk_mul_f32 v[80:81], v[76:77], v[78:79] op_sel:[1,1] op_sel_hi:[0,1]
	v_pk_fma_f32 v[82:83], v[76:77], v[78:79], v[80:81] op_sel_hi:[1,0,1]
	v_pk_fma_f32 v[76:77], v[76:77], v[78:79], v[80:81] neg_lo:[0,0,1] neg_hi:[0,0,1]
	s_delay_alu instid0(VALU_DEP_2)
	v_mov_b32_e32 v77, v83
	scratch_store_b64 off, v[76:77], off offset:232
.LBB35_65:
	s_wait_xcnt 0x0
	s_or_b32 exec_lo, exec_lo, s20
	scratch_load_b64 v[76:77], off, off offset:224
	v_cmp_lt_u32_e64 s0, 28, v0
	s_wait_loadcnt 0x0
	ds_store_b64 v1, v[76:77]
	s_wait_storecnt_dscnt 0x0
	s_barrier_signal -1
	s_barrier_wait -1
	s_wait_xcnt 0x0
	s_and_saveexec_b32 s19, s0
	s_cbranch_execz .LBB35_75
; %bb.66:
	s_and_not1_b32 vcc_lo, exec_lo, s3
	s_cbranch_vccnz .LBB35_68
; %bb.67:
	scratch_load_b64 v[76:77], v39, off
	ds_load_b64 v[78:79], v1
	s_wait_loadcnt_dscnt 0x0
	v_pk_mul_f32 v[80:81], v[78:79], v[76:77] op_sel:[1,1] op_sel_hi:[0,1]
	s_delay_alu instid0(VALU_DEP_1) | instskip(SKIP_1) | instid1(VALU_DEP_2)
	v_pk_fma_f32 v[82:83], v[78:79], v[76:77], v[80:81] op_sel_hi:[1,0,1]
	v_pk_fma_f32 v[76:77], v[78:79], v[76:77], v[80:81] neg_lo:[0,0,1] neg_hi:[0,0,1]
	v_mov_b32_e32 v77, v83
	s_cbranch_execz .LBB35_69
	s_branch .LBB35_70
.LBB35_68:
                                        ; implicit-def: $vgpr76_vgpr77
.LBB35_69:
	ds_load_b64 v[76:77], v1
.LBB35_70:
	s_and_saveexec_b32 s20, s1
	s_cbranch_execz .LBB35_74
; %bb.71:
	v_subrev_nc_u32_e32 v78, 29, v0
	s_movk_i32 s1, 0xe8
	s_movk_i32 s22, 0x208
	s_mov_b32 s21, 0
.LBB35_72:                              ; =>This Inner Loop Header: Depth=1
	scratch_load_b64 v[80:81], off, s1
	v_dual_mov_b32 v79, s22 :: v_dual_add_nc_u32 v78, -1, v78
	s_add_co_i32 s22, s22, 8
	s_wait_xcnt 0x0
	s_add_co_i32 s1, s1, 8
	ds_load_b64 v[82:83], v79
	v_cmp_eq_u32_e32 vcc_lo, 0, v78
	s_or_b32 s21, vcc_lo, s21
	s_wait_loadcnt_dscnt 0x0
	v_pk_mul_f32 v[84:85], v[82:83], v[80:81] op_sel:[1,1] op_sel_hi:[0,1]
	s_delay_alu instid0(VALU_DEP_1) | instskip(SKIP_1) | instid1(VALU_DEP_2)
	v_pk_fma_f32 v[86:87], v[82:83], v[80:81], v[84:85] op_sel_hi:[1,0,1]
	v_pk_fma_f32 v[80:81], v[82:83], v[80:81], v[84:85] neg_lo:[0,0,1] neg_hi:[0,0,1]
	v_mov_b32_e32 v81, v87
	s_delay_alu instid0(VALU_DEP_1)
	v_pk_add_f32 v[76:77], v[76:77], v[80:81]
	s_and_not1_b32 exec_lo, exec_lo, s21
	s_cbranch_execnz .LBB35_72
; %bb.73:
	s_or_b32 exec_lo, exec_lo, s21
.LBB35_74:
	s_delay_alu instid0(SALU_CYCLE_1) | instskip(SKIP_4) | instid1(VALU_DEP_1)
	s_or_b32 exec_lo, exec_lo, s20
	v_mov_b32_e32 v78, 0
	ds_load_b64 v[78:79], v78 offset:224
	s_wait_dscnt 0x0
	v_pk_mul_f32 v[80:81], v[76:77], v[78:79] op_sel:[1,1] op_sel_hi:[0,1]
	v_pk_fma_f32 v[82:83], v[76:77], v[78:79], v[80:81] op_sel_hi:[1,0,1]
	v_pk_fma_f32 v[76:77], v[76:77], v[78:79], v[80:81] neg_lo:[0,0,1] neg_hi:[0,0,1]
	s_delay_alu instid0(VALU_DEP_2)
	v_mov_b32_e32 v77, v83
	scratch_store_b64 off, v[76:77], off offset:224
.LBB35_75:
	s_wait_xcnt 0x0
	s_or_b32 exec_lo, exec_lo, s19
	scratch_load_b64 v[76:77], off, off offset:216
	v_cmp_lt_u32_e64 s1, 27, v0
	s_wait_loadcnt 0x0
	ds_store_b64 v1, v[76:77]
	s_wait_storecnt_dscnt 0x0
	s_barrier_signal -1
	s_barrier_wait -1
	s_wait_xcnt 0x0
	s_and_saveexec_b32 s19, s1
	s_cbranch_execz .LBB35_85
; %bb.76:
	s_and_not1_b32 vcc_lo, exec_lo, s3
	s_cbranch_vccnz .LBB35_78
; %bb.77:
	scratch_load_b64 v[76:77], v39, off
	ds_load_b64 v[78:79], v1
	s_wait_loadcnt_dscnt 0x0
	v_pk_mul_f32 v[80:81], v[78:79], v[76:77] op_sel:[1,1] op_sel_hi:[0,1]
	s_delay_alu instid0(VALU_DEP_1) | instskip(SKIP_1) | instid1(VALU_DEP_2)
	v_pk_fma_f32 v[82:83], v[78:79], v[76:77], v[80:81] op_sel_hi:[1,0,1]
	v_pk_fma_f32 v[76:77], v[78:79], v[76:77], v[80:81] neg_lo:[0,0,1] neg_hi:[0,0,1]
	v_mov_b32_e32 v77, v83
	s_cbranch_execz .LBB35_79
	s_branch .LBB35_80
.LBB35_78:
                                        ; implicit-def: $vgpr76_vgpr77
.LBB35_79:
	ds_load_b64 v[76:77], v1
.LBB35_80:
	s_and_saveexec_b32 s20, s0
	s_cbranch_execz .LBB35_84
; %bb.81:
	v_subrev_nc_u32_e32 v78, 28, v0
	s_movk_i32 s21, 0x200
	s_mov_b32 s0, 0
.LBB35_82:                              ; =>This Inner Loop Header: Depth=1
	scratch_load_b64 v[80:81], off, s18
	v_dual_mov_b32 v79, s21 :: v_dual_add_nc_u32 v78, -1, v78
	s_add_co_i32 s21, s21, 8
	s_wait_xcnt 0x0
	s_add_co_i32 s18, s18, 8
	ds_load_b64 v[82:83], v79
	v_cmp_eq_u32_e32 vcc_lo, 0, v78
	s_or_b32 s0, vcc_lo, s0
	s_wait_loadcnt_dscnt 0x0
	v_pk_mul_f32 v[84:85], v[82:83], v[80:81] op_sel:[1,1] op_sel_hi:[0,1]
	s_delay_alu instid0(VALU_DEP_1) | instskip(SKIP_1) | instid1(VALU_DEP_2)
	v_pk_fma_f32 v[86:87], v[82:83], v[80:81], v[84:85] op_sel_hi:[1,0,1]
	v_pk_fma_f32 v[80:81], v[82:83], v[80:81], v[84:85] neg_lo:[0,0,1] neg_hi:[0,0,1]
	v_mov_b32_e32 v81, v87
	s_delay_alu instid0(VALU_DEP_1)
	v_pk_add_f32 v[76:77], v[76:77], v[80:81]
	s_and_not1_b32 exec_lo, exec_lo, s0
	s_cbranch_execnz .LBB35_82
; %bb.83:
	s_or_b32 exec_lo, exec_lo, s0
.LBB35_84:
	s_delay_alu instid0(SALU_CYCLE_1) | instskip(SKIP_4) | instid1(VALU_DEP_1)
	s_or_b32 exec_lo, exec_lo, s20
	v_mov_b32_e32 v78, 0
	ds_load_b64 v[78:79], v78 offset:216
	s_wait_dscnt 0x0
	v_pk_mul_f32 v[80:81], v[76:77], v[78:79] op_sel:[1,1] op_sel_hi:[0,1]
	v_pk_fma_f32 v[82:83], v[76:77], v[78:79], v[80:81] op_sel_hi:[1,0,1]
	v_pk_fma_f32 v[76:77], v[76:77], v[78:79], v[80:81] neg_lo:[0,0,1] neg_hi:[0,0,1]
	s_delay_alu instid0(VALU_DEP_2)
	v_mov_b32_e32 v77, v83
	scratch_store_b64 off, v[76:77], off offset:216
.LBB35_85:
	s_wait_xcnt 0x0
	s_or_b32 exec_lo, exec_lo, s19
	scratch_load_b64 v[76:77], off, off offset:208
	v_cmp_lt_u32_e64 s0, 26, v0
	s_wait_loadcnt 0x0
	ds_store_b64 v1, v[76:77]
	s_wait_storecnt_dscnt 0x0
	s_barrier_signal -1
	s_barrier_wait -1
	s_wait_xcnt 0x0
	s_and_saveexec_b32 s18, s0
	s_cbranch_execz .LBB35_95
; %bb.86:
	s_and_not1_b32 vcc_lo, exec_lo, s3
	s_cbranch_vccnz .LBB35_88
; %bb.87:
	scratch_load_b64 v[76:77], v39, off
	ds_load_b64 v[78:79], v1
	s_wait_loadcnt_dscnt 0x0
	v_pk_mul_f32 v[80:81], v[78:79], v[76:77] op_sel:[1,1] op_sel_hi:[0,1]
	s_delay_alu instid0(VALU_DEP_1) | instskip(SKIP_1) | instid1(VALU_DEP_2)
	v_pk_fma_f32 v[82:83], v[78:79], v[76:77], v[80:81] op_sel_hi:[1,0,1]
	v_pk_fma_f32 v[76:77], v[78:79], v[76:77], v[80:81] neg_lo:[0,0,1] neg_hi:[0,0,1]
	v_mov_b32_e32 v77, v83
	s_cbranch_execz .LBB35_89
	s_branch .LBB35_90
.LBB35_88:
                                        ; implicit-def: $vgpr76_vgpr77
.LBB35_89:
	ds_load_b64 v[76:77], v1
.LBB35_90:
	s_and_saveexec_b32 s19, s1
	s_cbranch_execz .LBB35_94
; %bb.91:
	v_subrev_nc_u32_e32 v78, 27, v0
	s_movk_i32 s1, 0xd8
	s_movk_i32 s21, 0x1f8
	s_mov_b32 s20, 0
.LBB35_92:                              ; =>This Inner Loop Header: Depth=1
	scratch_load_b64 v[80:81], off, s1
	v_dual_mov_b32 v79, s21 :: v_dual_add_nc_u32 v78, -1, v78
	s_add_co_i32 s21, s21, 8
	s_wait_xcnt 0x0
	s_add_co_i32 s1, s1, 8
	ds_load_b64 v[82:83], v79
	v_cmp_eq_u32_e32 vcc_lo, 0, v78
	s_or_b32 s20, vcc_lo, s20
	s_wait_loadcnt_dscnt 0x0
	v_pk_mul_f32 v[84:85], v[82:83], v[80:81] op_sel:[1,1] op_sel_hi:[0,1]
	s_delay_alu instid0(VALU_DEP_1) | instskip(SKIP_1) | instid1(VALU_DEP_2)
	v_pk_fma_f32 v[86:87], v[82:83], v[80:81], v[84:85] op_sel_hi:[1,0,1]
	v_pk_fma_f32 v[80:81], v[82:83], v[80:81], v[84:85] neg_lo:[0,0,1] neg_hi:[0,0,1]
	v_mov_b32_e32 v81, v87
	s_delay_alu instid0(VALU_DEP_1)
	v_pk_add_f32 v[76:77], v[76:77], v[80:81]
	s_and_not1_b32 exec_lo, exec_lo, s20
	s_cbranch_execnz .LBB35_92
; %bb.93:
	s_or_b32 exec_lo, exec_lo, s20
.LBB35_94:
	s_delay_alu instid0(SALU_CYCLE_1) | instskip(SKIP_4) | instid1(VALU_DEP_1)
	s_or_b32 exec_lo, exec_lo, s19
	v_mov_b32_e32 v78, 0
	ds_load_b64 v[78:79], v78 offset:208
	s_wait_dscnt 0x0
	v_pk_mul_f32 v[80:81], v[76:77], v[78:79] op_sel:[1,1] op_sel_hi:[0,1]
	v_pk_fma_f32 v[82:83], v[76:77], v[78:79], v[80:81] op_sel_hi:[1,0,1]
	v_pk_fma_f32 v[76:77], v[76:77], v[78:79], v[80:81] neg_lo:[0,0,1] neg_hi:[0,0,1]
	s_delay_alu instid0(VALU_DEP_2)
	v_mov_b32_e32 v77, v83
	scratch_store_b64 off, v[76:77], off offset:208
.LBB35_95:
	s_wait_xcnt 0x0
	s_or_b32 exec_lo, exec_lo, s18
	scratch_load_b64 v[76:77], off, off offset:200
	v_cmp_lt_u32_e64 s1, 25, v0
	s_wait_loadcnt 0x0
	ds_store_b64 v1, v[76:77]
	s_wait_storecnt_dscnt 0x0
	s_barrier_signal -1
	s_barrier_wait -1
	s_wait_xcnt 0x0
	s_and_saveexec_b32 s18, s1
	s_cbranch_execz .LBB35_105
; %bb.96:
	s_and_not1_b32 vcc_lo, exec_lo, s3
	s_cbranch_vccnz .LBB35_98
; %bb.97:
	scratch_load_b64 v[76:77], v39, off
	ds_load_b64 v[78:79], v1
	s_wait_loadcnt_dscnt 0x0
	v_pk_mul_f32 v[80:81], v[78:79], v[76:77] op_sel:[1,1] op_sel_hi:[0,1]
	s_delay_alu instid0(VALU_DEP_1) | instskip(SKIP_1) | instid1(VALU_DEP_2)
	v_pk_fma_f32 v[82:83], v[78:79], v[76:77], v[80:81] op_sel_hi:[1,0,1]
	v_pk_fma_f32 v[76:77], v[78:79], v[76:77], v[80:81] neg_lo:[0,0,1] neg_hi:[0,0,1]
	v_mov_b32_e32 v77, v83
	s_cbranch_execz .LBB35_99
	s_branch .LBB35_100
.LBB35_98:
                                        ; implicit-def: $vgpr76_vgpr77
.LBB35_99:
	ds_load_b64 v[76:77], v1
.LBB35_100:
	s_and_saveexec_b32 s19, s0
	s_cbranch_execz .LBB35_104
; %bb.101:
	v_subrev_nc_u32_e32 v78, 26, v0
	s_movk_i32 s20, 0x1f0
	s_mov_b32 s0, 0
.LBB35_102:                             ; =>This Inner Loop Header: Depth=1
	scratch_load_b64 v[80:81], off, s17
	v_dual_mov_b32 v79, s20 :: v_dual_add_nc_u32 v78, -1, v78
	s_add_co_i32 s20, s20, 8
	s_wait_xcnt 0x0
	s_add_co_i32 s17, s17, 8
	ds_load_b64 v[82:83], v79
	v_cmp_eq_u32_e32 vcc_lo, 0, v78
	s_or_b32 s0, vcc_lo, s0
	s_wait_loadcnt_dscnt 0x0
	v_pk_mul_f32 v[84:85], v[82:83], v[80:81] op_sel:[1,1] op_sel_hi:[0,1]
	s_delay_alu instid0(VALU_DEP_1) | instskip(SKIP_1) | instid1(VALU_DEP_2)
	v_pk_fma_f32 v[86:87], v[82:83], v[80:81], v[84:85] op_sel_hi:[1,0,1]
	v_pk_fma_f32 v[80:81], v[82:83], v[80:81], v[84:85] neg_lo:[0,0,1] neg_hi:[0,0,1]
	v_mov_b32_e32 v81, v87
	s_delay_alu instid0(VALU_DEP_1)
	v_pk_add_f32 v[76:77], v[76:77], v[80:81]
	s_and_not1_b32 exec_lo, exec_lo, s0
	s_cbranch_execnz .LBB35_102
; %bb.103:
	s_or_b32 exec_lo, exec_lo, s0
.LBB35_104:
	s_delay_alu instid0(SALU_CYCLE_1) | instskip(SKIP_4) | instid1(VALU_DEP_1)
	s_or_b32 exec_lo, exec_lo, s19
	v_mov_b32_e32 v78, 0
	ds_load_b64 v[78:79], v78 offset:200
	s_wait_dscnt 0x0
	v_pk_mul_f32 v[80:81], v[76:77], v[78:79] op_sel:[1,1] op_sel_hi:[0,1]
	v_pk_fma_f32 v[82:83], v[76:77], v[78:79], v[80:81] op_sel_hi:[1,0,1]
	v_pk_fma_f32 v[76:77], v[76:77], v[78:79], v[80:81] neg_lo:[0,0,1] neg_hi:[0,0,1]
	s_delay_alu instid0(VALU_DEP_2)
	v_mov_b32_e32 v77, v83
	scratch_store_b64 off, v[76:77], off offset:200
.LBB35_105:
	s_wait_xcnt 0x0
	s_or_b32 exec_lo, exec_lo, s18
	scratch_load_b64 v[76:77], off, off offset:192
	v_cmp_lt_u32_e64 s0, 24, v0
	s_wait_loadcnt 0x0
	ds_store_b64 v1, v[76:77]
	s_wait_storecnt_dscnt 0x0
	s_barrier_signal -1
	s_barrier_wait -1
	s_wait_xcnt 0x0
	s_and_saveexec_b32 s17, s0
	s_cbranch_execz .LBB35_115
; %bb.106:
	s_and_not1_b32 vcc_lo, exec_lo, s3
	s_cbranch_vccnz .LBB35_108
; %bb.107:
	scratch_load_b64 v[76:77], v39, off
	ds_load_b64 v[78:79], v1
	s_wait_loadcnt_dscnt 0x0
	v_pk_mul_f32 v[80:81], v[78:79], v[76:77] op_sel:[1,1] op_sel_hi:[0,1]
	s_delay_alu instid0(VALU_DEP_1) | instskip(SKIP_1) | instid1(VALU_DEP_2)
	v_pk_fma_f32 v[82:83], v[78:79], v[76:77], v[80:81] op_sel_hi:[1,0,1]
	v_pk_fma_f32 v[76:77], v[78:79], v[76:77], v[80:81] neg_lo:[0,0,1] neg_hi:[0,0,1]
	v_mov_b32_e32 v77, v83
	s_cbranch_execz .LBB35_109
	s_branch .LBB35_110
.LBB35_108:
                                        ; implicit-def: $vgpr76_vgpr77
.LBB35_109:
	ds_load_b64 v[76:77], v1
.LBB35_110:
	s_and_saveexec_b32 s18, s1
	s_cbranch_execz .LBB35_114
; %bb.111:
	v_subrev_nc_u32_e32 v78, 25, v0
	s_movk_i32 s1, 0xc8
	s_movk_i32 s20, 0x1e8
	s_mov_b32 s19, 0
.LBB35_112:                             ; =>This Inner Loop Header: Depth=1
	scratch_load_b64 v[80:81], off, s1
	v_dual_mov_b32 v79, s20 :: v_dual_add_nc_u32 v78, -1, v78
	s_add_co_i32 s20, s20, 8
	s_wait_xcnt 0x0
	s_add_co_i32 s1, s1, 8
	ds_load_b64 v[82:83], v79
	v_cmp_eq_u32_e32 vcc_lo, 0, v78
	s_or_b32 s19, vcc_lo, s19
	s_wait_loadcnt_dscnt 0x0
	v_pk_mul_f32 v[84:85], v[82:83], v[80:81] op_sel:[1,1] op_sel_hi:[0,1]
	s_delay_alu instid0(VALU_DEP_1) | instskip(SKIP_1) | instid1(VALU_DEP_2)
	v_pk_fma_f32 v[86:87], v[82:83], v[80:81], v[84:85] op_sel_hi:[1,0,1]
	v_pk_fma_f32 v[80:81], v[82:83], v[80:81], v[84:85] neg_lo:[0,0,1] neg_hi:[0,0,1]
	v_mov_b32_e32 v81, v87
	s_delay_alu instid0(VALU_DEP_1)
	v_pk_add_f32 v[76:77], v[76:77], v[80:81]
	s_and_not1_b32 exec_lo, exec_lo, s19
	s_cbranch_execnz .LBB35_112
; %bb.113:
	s_or_b32 exec_lo, exec_lo, s19
.LBB35_114:
	s_delay_alu instid0(SALU_CYCLE_1) | instskip(SKIP_4) | instid1(VALU_DEP_1)
	s_or_b32 exec_lo, exec_lo, s18
	v_mov_b32_e32 v78, 0
	ds_load_b64 v[78:79], v78 offset:192
	s_wait_dscnt 0x0
	v_pk_mul_f32 v[80:81], v[76:77], v[78:79] op_sel:[1,1] op_sel_hi:[0,1]
	v_pk_fma_f32 v[82:83], v[76:77], v[78:79], v[80:81] op_sel_hi:[1,0,1]
	v_pk_fma_f32 v[76:77], v[76:77], v[78:79], v[80:81] neg_lo:[0,0,1] neg_hi:[0,0,1]
	s_delay_alu instid0(VALU_DEP_2)
	v_mov_b32_e32 v77, v83
	scratch_store_b64 off, v[76:77], off offset:192
.LBB35_115:
	s_wait_xcnt 0x0
	s_or_b32 exec_lo, exec_lo, s17
	scratch_load_b64 v[76:77], off, off offset:184
	v_cmp_lt_u32_e64 s1, 23, v0
	s_wait_loadcnt 0x0
	ds_store_b64 v1, v[76:77]
	s_wait_storecnt_dscnt 0x0
	s_barrier_signal -1
	s_barrier_wait -1
	s_wait_xcnt 0x0
	s_and_saveexec_b32 s17, s1
	s_cbranch_execz .LBB35_125
; %bb.116:
	s_and_not1_b32 vcc_lo, exec_lo, s3
	s_cbranch_vccnz .LBB35_118
; %bb.117:
	scratch_load_b64 v[76:77], v39, off
	ds_load_b64 v[78:79], v1
	s_wait_loadcnt_dscnt 0x0
	v_pk_mul_f32 v[80:81], v[78:79], v[76:77] op_sel:[1,1] op_sel_hi:[0,1]
	s_delay_alu instid0(VALU_DEP_1) | instskip(SKIP_1) | instid1(VALU_DEP_2)
	v_pk_fma_f32 v[82:83], v[78:79], v[76:77], v[80:81] op_sel_hi:[1,0,1]
	v_pk_fma_f32 v[76:77], v[78:79], v[76:77], v[80:81] neg_lo:[0,0,1] neg_hi:[0,0,1]
	v_mov_b32_e32 v77, v83
	s_cbranch_execz .LBB35_119
	s_branch .LBB35_120
.LBB35_118:
                                        ; implicit-def: $vgpr76_vgpr77
.LBB35_119:
	ds_load_b64 v[76:77], v1
.LBB35_120:
	s_and_saveexec_b32 s18, s0
	s_cbranch_execz .LBB35_124
; %bb.121:
	v_subrev_nc_u32_e32 v78, 24, v0
	s_movk_i32 s19, 0x1e0
	s_mov_b32 s0, 0
.LBB35_122:                             ; =>This Inner Loop Header: Depth=1
	scratch_load_b64 v[80:81], off, s16
	v_dual_mov_b32 v79, s19 :: v_dual_add_nc_u32 v78, -1, v78
	s_add_co_i32 s19, s19, 8
	s_wait_xcnt 0x0
	s_add_co_i32 s16, s16, 8
	ds_load_b64 v[82:83], v79
	v_cmp_eq_u32_e32 vcc_lo, 0, v78
	s_or_b32 s0, vcc_lo, s0
	s_wait_loadcnt_dscnt 0x0
	v_pk_mul_f32 v[84:85], v[82:83], v[80:81] op_sel:[1,1] op_sel_hi:[0,1]
	s_delay_alu instid0(VALU_DEP_1) | instskip(SKIP_1) | instid1(VALU_DEP_2)
	v_pk_fma_f32 v[86:87], v[82:83], v[80:81], v[84:85] op_sel_hi:[1,0,1]
	v_pk_fma_f32 v[80:81], v[82:83], v[80:81], v[84:85] neg_lo:[0,0,1] neg_hi:[0,0,1]
	v_mov_b32_e32 v81, v87
	s_delay_alu instid0(VALU_DEP_1)
	v_pk_add_f32 v[76:77], v[76:77], v[80:81]
	s_and_not1_b32 exec_lo, exec_lo, s0
	s_cbranch_execnz .LBB35_122
; %bb.123:
	s_or_b32 exec_lo, exec_lo, s0
.LBB35_124:
	s_delay_alu instid0(SALU_CYCLE_1) | instskip(SKIP_4) | instid1(VALU_DEP_1)
	s_or_b32 exec_lo, exec_lo, s18
	v_mov_b32_e32 v78, 0
	ds_load_b64 v[78:79], v78 offset:184
	s_wait_dscnt 0x0
	v_pk_mul_f32 v[80:81], v[76:77], v[78:79] op_sel:[1,1] op_sel_hi:[0,1]
	v_pk_fma_f32 v[82:83], v[76:77], v[78:79], v[80:81] op_sel_hi:[1,0,1]
	v_pk_fma_f32 v[76:77], v[76:77], v[78:79], v[80:81] neg_lo:[0,0,1] neg_hi:[0,0,1]
	s_delay_alu instid0(VALU_DEP_2)
	v_mov_b32_e32 v77, v83
	scratch_store_b64 off, v[76:77], off offset:184
.LBB35_125:
	s_wait_xcnt 0x0
	s_or_b32 exec_lo, exec_lo, s17
	scratch_load_b64 v[76:77], off, off offset:176
	v_cmp_lt_u32_e64 s0, 22, v0
	s_wait_loadcnt 0x0
	ds_store_b64 v1, v[76:77]
	s_wait_storecnt_dscnt 0x0
	s_barrier_signal -1
	s_barrier_wait -1
	s_wait_xcnt 0x0
	s_and_saveexec_b32 s16, s0
	s_cbranch_execz .LBB35_135
; %bb.126:
	s_and_not1_b32 vcc_lo, exec_lo, s3
	s_cbranch_vccnz .LBB35_128
; %bb.127:
	scratch_load_b64 v[76:77], v39, off
	ds_load_b64 v[78:79], v1
	s_wait_loadcnt_dscnt 0x0
	v_pk_mul_f32 v[80:81], v[78:79], v[76:77] op_sel:[1,1] op_sel_hi:[0,1]
	s_delay_alu instid0(VALU_DEP_1) | instskip(SKIP_1) | instid1(VALU_DEP_2)
	v_pk_fma_f32 v[82:83], v[78:79], v[76:77], v[80:81] op_sel_hi:[1,0,1]
	v_pk_fma_f32 v[76:77], v[78:79], v[76:77], v[80:81] neg_lo:[0,0,1] neg_hi:[0,0,1]
	v_mov_b32_e32 v77, v83
	s_cbranch_execz .LBB35_129
	s_branch .LBB35_130
.LBB35_128:
                                        ; implicit-def: $vgpr76_vgpr77
.LBB35_129:
	ds_load_b64 v[76:77], v1
.LBB35_130:
	s_and_saveexec_b32 s17, s1
	s_cbranch_execz .LBB35_134
; %bb.131:
	v_subrev_nc_u32_e32 v78, 23, v0
	s_movk_i32 s1, 0xb8
	s_movk_i32 s19, 0x1d8
	s_mov_b32 s18, 0
.LBB35_132:                             ; =>This Inner Loop Header: Depth=1
	scratch_load_b64 v[80:81], off, s1
	v_dual_mov_b32 v79, s19 :: v_dual_add_nc_u32 v78, -1, v78
	s_add_co_i32 s19, s19, 8
	s_wait_xcnt 0x0
	s_add_co_i32 s1, s1, 8
	ds_load_b64 v[82:83], v79
	v_cmp_eq_u32_e32 vcc_lo, 0, v78
	s_or_b32 s18, vcc_lo, s18
	s_wait_loadcnt_dscnt 0x0
	v_pk_mul_f32 v[84:85], v[82:83], v[80:81] op_sel:[1,1] op_sel_hi:[0,1]
	s_delay_alu instid0(VALU_DEP_1) | instskip(SKIP_1) | instid1(VALU_DEP_2)
	v_pk_fma_f32 v[86:87], v[82:83], v[80:81], v[84:85] op_sel_hi:[1,0,1]
	v_pk_fma_f32 v[80:81], v[82:83], v[80:81], v[84:85] neg_lo:[0,0,1] neg_hi:[0,0,1]
	v_mov_b32_e32 v81, v87
	s_delay_alu instid0(VALU_DEP_1)
	v_pk_add_f32 v[76:77], v[76:77], v[80:81]
	s_and_not1_b32 exec_lo, exec_lo, s18
	s_cbranch_execnz .LBB35_132
; %bb.133:
	s_or_b32 exec_lo, exec_lo, s18
.LBB35_134:
	s_delay_alu instid0(SALU_CYCLE_1) | instskip(SKIP_4) | instid1(VALU_DEP_1)
	s_or_b32 exec_lo, exec_lo, s17
	v_mov_b32_e32 v78, 0
	ds_load_b64 v[78:79], v78 offset:176
	s_wait_dscnt 0x0
	v_pk_mul_f32 v[80:81], v[76:77], v[78:79] op_sel:[1,1] op_sel_hi:[0,1]
	v_pk_fma_f32 v[82:83], v[76:77], v[78:79], v[80:81] op_sel_hi:[1,0,1]
	v_pk_fma_f32 v[76:77], v[76:77], v[78:79], v[80:81] neg_lo:[0,0,1] neg_hi:[0,0,1]
	s_delay_alu instid0(VALU_DEP_2)
	v_mov_b32_e32 v77, v83
	scratch_store_b64 off, v[76:77], off offset:176
.LBB35_135:
	s_wait_xcnt 0x0
	s_or_b32 exec_lo, exec_lo, s16
	scratch_load_b64 v[76:77], off, off offset:168
	v_cmp_lt_u32_e64 s1, 21, v0
	s_wait_loadcnt 0x0
	ds_store_b64 v1, v[76:77]
	s_wait_storecnt_dscnt 0x0
	s_barrier_signal -1
	s_barrier_wait -1
	s_wait_xcnt 0x0
	s_and_saveexec_b32 s16, s1
	s_cbranch_execz .LBB35_145
; %bb.136:
	s_and_not1_b32 vcc_lo, exec_lo, s3
	s_cbranch_vccnz .LBB35_138
; %bb.137:
	scratch_load_b64 v[76:77], v39, off
	ds_load_b64 v[78:79], v1
	s_wait_loadcnt_dscnt 0x0
	v_pk_mul_f32 v[80:81], v[78:79], v[76:77] op_sel:[1,1] op_sel_hi:[0,1]
	s_delay_alu instid0(VALU_DEP_1) | instskip(SKIP_1) | instid1(VALU_DEP_2)
	v_pk_fma_f32 v[82:83], v[78:79], v[76:77], v[80:81] op_sel_hi:[1,0,1]
	v_pk_fma_f32 v[76:77], v[78:79], v[76:77], v[80:81] neg_lo:[0,0,1] neg_hi:[0,0,1]
	v_mov_b32_e32 v77, v83
	s_cbranch_execz .LBB35_139
	s_branch .LBB35_140
.LBB35_138:
                                        ; implicit-def: $vgpr76_vgpr77
.LBB35_139:
	ds_load_b64 v[76:77], v1
.LBB35_140:
	s_and_saveexec_b32 s17, s0
	s_cbranch_execz .LBB35_144
; %bb.141:
	v_subrev_nc_u32_e32 v78, 22, v0
	s_movk_i32 s18, 0x1d0
	s_mov_b32 s0, 0
.LBB35_142:                             ; =>This Inner Loop Header: Depth=1
	scratch_load_b64 v[80:81], off, s15
	v_dual_mov_b32 v79, s18 :: v_dual_add_nc_u32 v78, -1, v78
	s_add_co_i32 s18, s18, 8
	s_wait_xcnt 0x0
	s_add_co_i32 s15, s15, 8
	ds_load_b64 v[82:83], v79
	v_cmp_eq_u32_e32 vcc_lo, 0, v78
	s_or_b32 s0, vcc_lo, s0
	s_wait_loadcnt_dscnt 0x0
	v_pk_mul_f32 v[84:85], v[82:83], v[80:81] op_sel:[1,1] op_sel_hi:[0,1]
	s_delay_alu instid0(VALU_DEP_1) | instskip(SKIP_1) | instid1(VALU_DEP_2)
	v_pk_fma_f32 v[86:87], v[82:83], v[80:81], v[84:85] op_sel_hi:[1,0,1]
	v_pk_fma_f32 v[80:81], v[82:83], v[80:81], v[84:85] neg_lo:[0,0,1] neg_hi:[0,0,1]
	v_mov_b32_e32 v81, v87
	s_delay_alu instid0(VALU_DEP_1)
	v_pk_add_f32 v[76:77], v[76:77], v[80:81]
	s_and_not1_b32 exec_lo, exec_lo, s0
	s_cbranch_execnz .LBB35_142
; %bb.143:
	s_or_b32 exec_lo, exec_lo, s0
.LBB35_144:
	s_delay_alu instid0(SALU_CYCLE_1) | instskip(SKIP_4) | instid1(VALU_DEP_1)
	s_or_b32 exec_lo, exec_lo, s17
	v_mov_b32_e32 v78, 0
	ds_load_b64 v[78:79], v78 offset:168
	s_wait_dscnt 0x0
	v_pk_mul_f32 v[80:81], v[76:77], v[78:79] op_sel:[1,1] op_sel_hi:[0,1]
	v_pk_fma_f32 v[82:83], v[76:77], v[78:79], v[80:81] op_sel_hi:[1,0,1]
	v_pk_fma_f32 v[76:77], v[76:77], v[78:79], v[80:81] neg_lo:[0,0,1] neg_hi:[0,0,1]
	s_delay_alu instid0(VALU_DEP_2)
	v_mov_b32_e32 v77, v83
	scratch_store_b64 off, v[76:77], off offset:168
.LBB35_145:
	s_wait_xcnt 0x0
	s_or_b32 exec_lo, exec_lo, s16
	scratch_load_b64 v[76:77], off, off offset:160
	v_cmp_lt_u32_e64 s0, 20, v0
	s_wait_loadcnt 0x0
	ds_store_b64 v1, v[76:77]
	s_wait_storecnt_dscnt 0x0
	s_barrier_signal -1
	s_barrier_wait -1
	s_wait_xcnt 0x0
	s_and_saveexec_b32 s15, s0
	s_cbranch_execz .LBB35_155
; %bb.146:
	s_and_not1_b32 vcc_lo, exec_lo, s3
	s_cbranch_vccnz .LBB35_148
; %bb.147:
	scratch_load_b64 v[76:77], v39, off
	ds_load_b64 v[78:79], v1
	s_wait_loadcnt_dscnt 0x0
	v_pk_mul_f32 v[80:81], v[78:79], v[76:77] op_sel:[1,1] op_sel_hi:[0,1]
	s_delay_alu instid0(VALU_DEP_1) | instskip(SKIP_1) | instid1(VALU_DEP_2)
	v_pk_fma_f32 v[82:83], v[78:79], v[76:77], v[80:81] op_sel_hi:[1,0,1]
	v_pk_fma_f32 v[76:77], v[78:79], v[76:77], v[80:81] neg_lo:[0,0,1] neg_hi:[0,0,1]
	v_mov_b32_e32 v77, v83
	s_cbranch_execz .LBB35_149
	s_branch .LBB35_150
.LBB35_148:
                                        ; implicit-def: $vgpr76_vgpr77
.LBB35_149:
	ds_load_b64 v[76:77], v1
.LBB35_150:
	s_and_saveexec_b32 s16, s1
	s_cbranch_execz .LBB35_154
; %bb.151:
	v_subrev_nc_u32_e32 v78, 21, v0
	s_movk_i32 s1, 0xa8
	s_movk_i32 s18, 0x1c8
	s_mov_b32 s17, 0
.LBB35_152:                             ; =>This Inner Loop Header: Depth=1
	scratch_load_b64 v[80:81], off, s1
	v_dual_mov_b32 v79, s18 :: v_dual_add_nc_u32 v78, -1, v78
	s_add_co_i32 s18, s18, 8
	s_wait_xcnt 0x0
	s_add_co_i32 s1, s1, 8
	ds_load_b64 v[82:83], v79
	v_cmp_eq_u32_e32 vcc_lo, 0, v78
	s_or_b32 s17, vcc_lo, s17
	s_wait_loadcnt_dscnt 0x0
	v_pk_mul_f32 v[84:85], v[82:83], v[80:81] op_sel:[1,1] op_sel_hi:[0,1]
	s_delay_alu instid0(VALU_DEP_1) | instskip(SKIP_1) | instid1(VALU_DEP_2)
	v_pk_fma_f32 v[86:87], v[82:83], v[80:81], v[84:85] op_sel_hi:[1,0,1]
	v_pk_fma_f32 v[80:81], v[82:83], v[80:81], v[84:85] neg_lo:[0,0,1] neg_hi:[0,0,1]
	v_mov_b32_e32 v81, v87
	s_delay_alu instid0(VALU_DEP_1)
	v_pk_add_f32 v[76:77], v[76:77], v[80:81]
	s_and_not1_b32 exec_lo, exec_lo, s17
	s_cbranch_execnz .LBB35_152
; %bb.153:
	s_or_b32 exec_lo, exec_lo, s17
.LBB35_154:
	s_delay_alu instid0(SALU_CYCLE_1) | instskip(SKIP_4) | instid1(VALU_DEP_1)
	s_or_b32 exec_lo, exec_lo, s16
	v_mov_b32_e32 v78, 0
	ds_load_b64 v[78:79], v78 offset:160
	s_wait_dscnt 0x0
	v_pk_mul_f32 v[80:81], v[76:77], v[78:79] op_sel:[1,1] op_sel_hi:[0,1]
	v_pk_fma_f32 v[82:83], v[76:77], v[78:79], v[80:81] op_sel_hi:[1,0,1]
	v_pk_fma_f32 v[76:77], v[76:77], v[78:79], v[80:81] neg_lo:[0,0,1] neg_hi:[0,0,1]
	s_delay_alu instid0(VALU_DEP_2)
	v_mov_b32_e32 v77, v83
	scratch_store_b64 off, v[76:77], off offset:160
.LBB35_155:
	s_wait_xcnt 0x0
	s_or_b32 exec_lo, exec_lo, s15
	scratch_load_b64 v[76:77], off, off offset:152
	v_cmp_lt_u32_e64 s1, 19, v0
	s_wait_loadcnt 0x0
	ds_store_b64 v1, v[76:77]
	s_wait_storecnt_dscnt 0x0
	s_barrier_signal -1
	s_barrier_wait -1
	s_wait_xcnt 0x0
	s_and_saveexec_b32 s15, s1
	s_cbranch_execz .LBB35_165
; %bb.156:
	s_and_not1_b32 vcc_lo, exec_lo, s3
	s_cbranch_vccnz .LBB35_158
; %bb.157:
	scratch_load_b64 v[76:77], v39, off
	ds_load_b64 v[78:79], v1
	s_wait_loadcnt_dscnt 0x0
	v_pk_mul_f32 v[80:81], v[78:79], v[76:77] op_sel:[1,1] op_sel_hi:[0,1]
	s_delay_alu instid0(VALU_DEP_1) | instskip(SKIP_1) | instid1(VALU_DEP_2)
	v_pk_fma_f32 v[82:83], v[78:79], v[76:77], v[80:81] op_sel_hi:[1,0,1]
	v_pk_fma_f32 v[76:77], v[78:79], v[76:77], v[80:81] neg_lo:[0,0,1] neg_hi:[0,0,1]
	v_mov_b32_e32 v77, v83
	s_cbranch_execz .LBB35_159
	s_branch .LBB35_160
.LBB35_158:
                                        ; implicit-def: $vgpr76_vgpr77
.LBB35_159:
	ds_load_b64 v[76:77], v1
.LBB35_160:
	s_and_saveexec_b32 s16, s0
	s_cbranch_execz .LBB35_164
; %bb.161:
	v_subrev_nc_u32_e32 v78, 20, v0
	s_movk_i32 s17, 0x1c0
	s_mov_b32 s0, 0
.LBB35_162:                             ; =>This Inner Loop Header: Depth=1
	scratch_load_b64 v[80:81], off, s14
	v_dual_mov_b32 v79, s17 :: v_dual_add_nc_u32 v78, -1, v78
	s_add_co_i32 s17, s17, 8
	s_wait_xcnt 0x0
	s_add_co_i32 s14, s14, 8
	ds_load_b64 v[82:83], v79
	v_cmp_eq_u32_e32 vcc_lo, 0, v78
	s_or_b32 s0, vcc_lo, s0
	s_wait_loadcnt_dscnt 0x0
	v_pk_mul_f32 v[84:85], v[82:83], v[80:81] op_sel:[1,1] op_sel_hi:[0,1]
	s_delay_alu instid0(VALU_DEP_1) | instskip(SKIP_1) | instid1(VALU_DEP_2)
	v_pk_fma_f32 v[86:87], v[82:83], v[80:81], v[84:85] op_sel_hi:[1,0,1]
	v_pk_fma_f32 v[80:81], v[82:83], v[80:81], v[84:85] neg_lo:[0,0,1] neg_hi:[0,0,1]
	v_mov_b32_e32 v81, v87
	s_delay_alu instid0(VALU_DEP_1)
	v_pk_add_f32 v[76:77], v[76:77], v[80:81]
	s_and_not1_b32 exec_lo, exec_lo, s0
	s_cbranch_execnz .LBB35_162
; %bb.163:
	s_or_b32 exec_lo, exec_lo, s0
.LBB35_164:
	s_delay_alu instid0(SALU_CYCLE_1) | instskip(SKIP_4) | instid1(VALU_DEP_1)
	s_or_b32 exec_lo, exec_lo, s16
	v_mov_b32_e32 v78, 0
	ds_load_b64 v[78:79], v78 offset:152
	s_wait_dscnt 0x0
	v_pk_mul_f32 v[80:81], v[76:77], v[78:79] op_sel:[1,1] op_sel_hi:[0,1]
	v_pk_fma_f32 v[82:83], v[76:77], v[78:79], v[80:81] op_sel_hi:[1,0,1]
	v_pk_fma_f32 v[76:77], v[76:77], v[78:79], v[80:81] neg_lo:[0,0,1] neg_hi:[0,0,1]
	s_delay_alu instid0(VALU_DEP_2)
	v_mov_b32_e32 v77, v83
	scratch_store_b64 off, v[76:77], off offset:152
.LBB35_165:
	s_wait_xcnt 0x0
	s_or_b32 exec_lo, exec_lo, s15
	scratch_load_b64 v[76:77], off, off offset:144
	v_cmp_lt_u32_e64 s0, 18, v0
	s_wait_loadcnt 0x0
	ds_store_b64 v1, v[76:77]
	s_wait_storecnt_dscnt 0x0
	s_barrier_signal -1
	s_barrier_wait -1
	s_wait_xcnt 0x0
	s_and_saveexec_b32 s14, s0
	s_cbranch_execz .LBB35_175
; %bb.166:
	s_and_not1_b32 vcc_lo, exec_lo, s3
	s_cbranch_vccnz .LBB35_168
; %bb.167:
	scratch_load_b64 v[76:77], v39, off
	ds_load_b64 v[78:79], v1
	s_wait_loadcnt_dscnt 0x0
	v_pk_mul_f32 v[80:81], v[78:79], v[76:77] op_sel:[1,1] op_sel_hi:[0,1]
	s_delay_alu instid0(VALU_DEP_1) | instskip(SKIP_1) | instid1(VALU_DEP_2)
	v_pk_fma_f32 v[82:83], v[78:79], v[76:77], v[80:81] op_sel_hi:[1,0,1]
	v_pk_fma_f32 v[76:77], v[78:79], v[76:77], v[80:81] neg_lo:[0,0,1] neg_hi:[0,0,1]
	v_mov_b32_e32 v77, v83
	s_cbranch_execz .LBB35_169
	s_branch .LBB35_170
.LBB35_168:
                                        ; implicit-def: $vgpr76_vgpr77
.LBB35_169:
	ds_load_b64 v[76:77], v1
.LBB35_170:
	s_and_saveexec_b32 s15, s1
	s_cbranch_execz .LBB35_174
; %bb.171:
	v_subrev_nc_u32_e32 v78, 19, v0
	s_movk_i32 s1, 0x98
	s_movk_i32 s17, 0x1b8
	s_mov_b32 s16, 0
.LBB35_172:                             ; =>This Inner Loop Header: Depth=1
	scratch_load_b64 v[80:81], off, s1
	v_dual_mov_b32 v79, s17 :: v_dual_add_nc_u32 v78, -1, v78
	s_add_co_i32 s17, s17, 8
	s_wait_xcnt 0x0
	s_add_co_i32 s1, s1, 8
	ds_load_b64 v[82:83], v79
	v_cmp_eq_u32_e32 vcc_lo, 0, v78
	s_or_b32 s16, vcc_lo, s16
	s_wait_loadcnt_dscnt 0x0
	v_pk_mul_f32 v[84:85], v[82:83], v[80:81] op_sel:[1,1] op_sel_hi:[0,1]
	s_delay_alu instid0(VALU_DEP_1) | instskip(SKIP_1) | instid1(VALU_DEP_2)
	v_pk_fma_f32 v[86:87], v[82:83], v[80:81], v[84:85] op_sel_hi:[1,0,1]
	v_pk_fma_f32 v[80:81], v[82:83], v[80:81], v[84:85] neg_lo:[0,0,1] neg_hi:[0,0,1]
	v_mov_b32_e32 v81, v87
	s_delay_alu instid0(VALU_DEP_1)
	v_pk_add_f32 v[76:77], v[76:77], v[80:81]
	s_and_not1_b32 exec_lo, exec_lo, s16
	s_cbranch_execnz .LBB35_172
; %bb.173:
	s_or_b32 exec_lo, exec_lo, s16
.LBB35_174:
	s_delay_alu instid0(SALU_CYCLE_1) | instskip(SKIP_4) | instid1(VALU_DEP_1)
	s_or_b32 exec_lo, exec_lo, s15
	v_mov_b32_e32 v78, 0
	ds_load_b64 v[78:79], v78 offset:144
	s_wait_dscnt 0x0
	v_pk_mul_f32 v[80:81], v[76:77], v[78:79] op_sel:[1,1] op_sel_hi:[0,1]
	v_pk_fma_f32 v[82:83], v[76:77], v[78:79], v[80:81] op_sel_hi:[1,0,1]
	v_pk_fma_f32 v[76:77], v[76:77], v[78:79], v[80:81] neg_lo:[0,0,1] neg_hi:[0,0,1]
	s_delay_alu instid0(VALU_DEP_2)
	v_mov_b32_e32 v77, v83
	scratch_store_b64 off, v[76:77], off offset:144
.LBB35_175:
	s_wait_xcnt 0x0
	s_or_b32 exec_lo, exec_lo, s14
	scratch_load_b64 v[76:77], off, off offset:136
	v_cmp_lt_u32_e64 s1, 17, v0
	s_wait_loadcnt 0x0
	ds_store_b64 v1, v[76:77]
	s_wait_storecnt_dscnt 0x0
	s_barrier_signal -1
	s_barrier_wait -1
	s_wait_xcnt 0x0
	s_and_saveexec_b32 s14, s1
	s_cbranch_execz .LBB35_185
; %bb.176:
	s_and_not1_b32 vcc_lo, exec_lo, s3
	s_cbranch_vccnz .LBB35_178
; %bb.177:
	scratch_load_b64 v[76:77], v39, off
	ds_load_b64 v[78:79], v1
	s_wait_loadcnt_dscnt 0x0
	v_pk_mul_f32 v[80:81], v[78:79], v[76:77] op_sel:[1,1] op_sel_hi:[0,1]
	s_delay_alu instid0(VALU_DEP_1) | instskip(SKIP_1) | instid1(VALU_DEP_2)
	v_pk_fma_f32 v[82:83], v[78:79], v[76:77], v[80:81] op_sel_hi:[1,0,1]
	v_pk_fma_f32 v[76:77], v[78:79], v[76:77], v[80:81] neg_lo:[0,0,1] neg_hi:[0,0,1]
	v_mov_b32_e32 v77, v83
	s_cbranch_execz .LBB35_179
	s_branch .LBB35_180
.LBB35_178:
                                        ; implicit-def: $vgpr76_vgpr77
.LBB35_179:
	ds_load_b64 v[76:77], v1
.LBB35_180:
	s_and_saveexec_b32 s15, s0
	s_cbranch_execz .LBB35_184
; %bb.181:
	v_subrev_nc_u32_e32 v78, 18, v0
	s_movk_i32 s16, 0x1b0
	s_mov_b32 s0, 0
.LBB35_182:                             ; =>This Inner Loop Header: Depth=1
	scratch_load_b64 v[80:81], off, s13
	v_dual_mov_b32 v79, s16 :: v_dual_add_nc_u32 v78, -1, v78
	s_add_co_i32 s16, s16, 8
	s_wait_xcnt 0x0
	s_add_co_i32 s13, s13, 8
	ds_load_b64 v[82:83], v79
	v_cmp_eq_u32_e32 vcc_lo, 0, v78
	s_or_b32 s0, vcc_lo, s0
	s_wait_loadcnt_dscnt 0x0
	v_pk_mul_f32 v[84:85], v[82:83], v[80:81] op_sel:[1,1] op_sel_hi:[0,1]
	s_delay_alu instid0(VALU_DEP_1) | instskip(SKIP_1) | instid1(VALU_DEP_2)
	v_pk_fma_f32 v[86:87], v[82:83], v[80:81], v[84:85] op_sel_hi:[1,0,1]
	v_pk_fma_f32 v[80:81], v[82:83], v[80:81], v[84:85] neg_lo:[0,0,1] neg_hi:[0,0,1]
	v_mov_b32_e32 v81, v87
	s_delay_alu instid0(VALU_DEP_1)
	v_pk_add_f32 v[76:77], v[76:77], v[80:81]
	s_and_not1_b32 exec_lo, exec_lo, s0
	s_cbranch_execnz .LBB35_182
; %bb.183:
	s_or_b32 exec_lo, exec_lo, s0
.LBB35_184:
	s_delay_alu instid0(SALU_CYCLE_1) | instskip(SKIP_4) | instid1(VALU_DEP_1)
	s_or_b32 exec_lo, exec_lo, s15
	v_mov_b32_e32 v78, 0
	ds_load_b64 v[78:79], v78 offset:136
	s_wait_dscnt 0x0
	v_pk_mul_f32 v[80:81], v[76:77], v[78:79] op_sel:[1,1] op_sel_hi:[0,1]
	v_pk_fma_f32 v[82:83], v[76:77], v[78:79], v[80:81] op_sel_hi:[1,0,1]
	v_pk_fma_f32 v[76:77], v[76:77], v[78:79], v[80:81] neg_lo:[0,0,1] neg_hi:[0,0,1]
	s_delay_alu instid0(VALU_DEP_2)
	v_mov_b32_e32 v77, v83
	scratch_store_b64 off, v[76:77], off offset:136
.LBB35_185:
	s_wait_xcnt 0x0
	s_or_b32 exec_lo, exec_lo, s14
	scratch_load_b64 v[76:77], off, off offset:128
	v_cmp_lt_u32_e64 s0, 16, v0
	s_wait_loadcnt 0x0
	ds_store_b64 v1, v[76:77]
	s_wait_storecnt_dscnt 0x0
	s_barrier_signal -1
	s_barrier_wait -1
	s_wait_xcnt 0x0
	s_and_saveexec_b32 s13, s0
	s_cbranch_execz .LBB35_195
; %bb.186:
	s_and_not1_b32 vcc_lo, exec_lo, s3
	s_cbranch_vccnz .LBB35_188
; %bb.187:
	scratch_load_b64 v[76:77], v39, off
	ds_load_b64 v[78:79], v1
	s_wait_loadcnt_dscnt 0x0
	v_pk_mul_f32 v[80:81], v[78:79], v[76:77] op_sel:[1,1] op_sel_hi:[0,1]
	s_delay_alu instid0(VALU_DEP_1) | instskip(SKIP_1) | instid1(VALU_DEP_2)
	v_pk_fma_f32 v[82:83], v[78:79], v[76:77], v[80:81] op_sel_hi:[1,0,1]
	v_pk_fma_f32 v[76:77], v[78:79], v[76:77], v[80:81] neg_lo:[0,0,1] neg_hi:[0,0,1]
	v_mov_b32_e32 v77, v83
	s_cbranch_execz .LBB35_189
	s_branch .LBB35_190
.LBB35_188:
                                        ; implicit-def: $vgpr76_vgpr77
.LBB35_189:
	ds_load_b64 v[76:77], v1
.LBB35_190:
	s_and_saveexec_b32 s14, s1
	s_cbranch_execz .LBB35_194
; %bb.191:
	v_subrev_nc_u32_e32 v78, 17, v0
	s_movk_i32 s1, 0x88
	s_movk_i32 s16, 0x1a8
	s_mov_b32 s15, 0
.LBB35_192:                             ; =>This Inner Loop Header: Depth=1
	scratch_load_b64 v[80:81], off, s1
	v_dual_mov_b32 v79, s16 :: v_dual_add_nc_u32 v78, -1, v78
	s_add_co_i32 s16, s16, 8
	s_wait_xcnt 0x0
	s_add_co_i32 s1, s1, 8
	ds_load_b64 v[82:83], v79
	v_cmp_eq_u32_e32 vcc_lo, 0, v78
	s_or_b32 s15, vcc_lo, s15
	s_wait_loadcnt_dscnt 0x0
	v_pk_mul_f32 v[84:85], v[82:83], v[80:81] op_sel:[1,1] op_sel_hi:[0,1]
	s_delay_alu instid0(VALU_DEP_1) | instskip(SKIP_1) | instid1(VALU_DEP_2)
	v_pk_fma_f32 v[86:87], v[82:83], v[80:81], v[84:85] op_sel_hi:[1,0,1]
	v_pk_fma_f32 v[80:81], v[82:83], v[80:81], v[84:85] neg_lo:[0,0,1] neg_hi:[0,0,1]
	v_mov_b32_e32 v81, v87
	s_delay_alu instid0(VALU_DEP_1)
	v_pk_add_f32 v[76:77], v[76:77], v[80:81]
	s_and_not1_b32 exec_lo, exec_lo, s15
	s_cbranch_execnz .LBB35_192
; %bb.193:
	s_or_b32 exec_lo, exec_lo, s15
.LBB35_194:
	s_delay_alu instid0(SALU_CYCLE_1) | instskip(SKIP_4) | instid1(VALU_DEP_1)
	s_or_b32 exec_lo, exec_lo, s14
	v_mov_b32_e32 v78, 0
	ds_load_b64 v[78:79], v78 offset:128
	s_wait_dscnt 0x0
	v_pk_mul_f32 v[80:81], v[76:77], v[78:79] op_sel:[1,1] op_sel_hi:[0,1]
	v_pk_fma_f32 v[82:83], v[76:77], v[78:79], v[80:81] op_sel_hi:[1,0,1]
	v_pk_fma_f32 v[76:77], v[76:77], v[78:79], v[80:81] neg_lo:[0,0,1] neg_hi:[0,0,1]
	s_delay_alu instid0(VALU_DEP_2)
	v_mov_b32_e32 v77, v83
	scratch_store_b64 off, v[76:77], off offset:128
.LBB35_195:
	s_wait_xcnt 0x0
	s_or_b32 exec_lo, exec_lo, s13
	scratch_load_b64 v[76:77], off, off offset:120
	v_cmp_lt_u32_e64 s1, 15, v0
	s_wait_loadcnt 0x0
	ds_store_b64 v1, v[76:77]
	s_wait_storecnt_dscnt 0x0
	s_barrier_signal -1
	s_barrier_wait -1
	s_wait_xcnt 0x0
	s_and_saveexec_b32 s13, s1
	s_cbranch_execz .LBB35_205
; %bb.196:
	s_and_not1_b32 vcc_lo, exec_lo, s3
	s_cbranch_vccnz .LBB35_198
; %bb.197:
	scratch_load_b64 v[76:77], v39, off
	ds_load_b64 v[78:79], v1
	s_wait_loadcnt_dscnt 0x0
	v_pk_mul_f32 v[80:81], v[78:79], v[76:77] op_sel:[1,1] op_sel_hi:[0,1]
	s_delay_alu instid0(VALU_DEP_1) | instskip(SKIP_1) | instid1(VALU_DEP_2)
	v_pk_fma_f32 v[82:83], v[78:79], v[76:77], v[80:81] op_sel_hi:[1,0,1]
	v_pk_fma_f32 v[76:77], v[78:79], v[76:77], v[80:81] neg_lo:[0,0,1] neg_hi:[0,0,1]
	v_mov_b32_e32 v77, v83
	s_cbranch_execz .LBB35_199
	s_branch .LBB35_200
.LBB35_198:
                                        ; implicit-def: $vgpr76_vgpr77
.LBB35_199:
	ds_load_b64 v[76:77], v1
.LBB35_200:
	s_and_saveexec_b32 s14, s0
	s_cbranch_execz .LBB35_204
; %bb.201:
	v_add_nc_u32_e32 v78, -16, v0
	s_movk_i32 s15, 0x1a0
	s_mov_b32 s0, 0
.LBB35_202:                             ; =>This Inner Loop Header: Depth=1
	scratch_load_b64 v[80:81], off, s12
	v_dual_mov_b32 v79, s15 :: v_dual_add_nc_u32 v78, -1, v78
	s_add_co_i32 s15, s15, 8
	s_wait_xcnt 0x0
	s_add_co_i32 s12, s12, 8
	ds_load_b64 v[82:83], v79
	v_cmp_eq_u32_e32 vcc_lo, 0, v78
	s_or_b32 s0, vcc_lo, s0
	s_wait_loadcnt_dscnt 0x0
	v_pk_mul_f32 v[84:85], v[82:83], v[80:81] op_sel:[1,1] op_sel_hi:[0,1]
	s_delay_alu instid0(VALU_DEP_1) | instskip(SKIP_1) | instid1(VALU_DEP_2)
	v_pk_fma_f32 v[86:87], v[82:83], v[80:81], v[84:85] op_sel_hi:[1,0,1]
	v_pk_fma_f32 v[80:81], v[82:83], v[80:81], v[84:85] neg_lo:[0,0,1] neg_hi:[0,0,1]
	v_mov_b32_e32 v81, v87
	s_delay_alu instid0(VALU_DEP_1)
	v_pk_add_f32 v[76:77], v[76:77], v[80:81]
	s_and_not1_b32 exec_lo, exec_lo, s0
	s_cbranch_execnz .LBB35_202
; %bb.203:
	s_or_b32 exec_lo, exec_lo, s0
.LBB35_204:
	s_delay_alu instid0(SALU_CYCLE_1) | instskip(SKIP_4) | instid1(VALU_DEP_1)
	s_or_b32 exec_lo, exec_lo, s14
	v_mov_b32_e32 v78, 0
	ds_load_b64 v[78:79], v78 offset:120
	s_wait_dscnt 0x0
	v_pk_mul_f32 v[80:81], v[76:77], v[78:79] op_sel:[1,1] op_sel_hi:[0,1]
	v_pk_fma_f32 v[82:83], v[76:77], v[78:79], v[80:81] op_sel_hi:[1,0,1]
	v_pk_fma_f32 v[76:77], v[76:77], v[78:79], v[80:81] neg_lo:[0,0,1] neg_hi:[0,0,1]
	s_delay_alu instid0(VALU_DEP_2)
	v_mov_b32_e32 v77, v83
	scratch_store_b64 off, v[76:77], off offset:120
.LBB35_205:
	s_wait_xcnt 0x0
	s_or_b32 exec_lo, exec_lo, s13
	scratch_load_b64 v[76:77], off, off offset:112
	v_cmp_lt_u32_e64 s0, 14, v0
	s_wait_loadcnt 0x0
	ds_store_b64 v1, v[76:77]
	s_wait_storecnt_dscnt 0x0
	s_barrier_signal -1
	s_barrier_wait -1
	s_wait_xcnt 0x0
	s_and_saveexec_b32 s12, s0
	s_cbranch_execz .LBB35_215
; %bb.206:
	s_and_not1_b32 vcc_lo, exec_lo, s3
	s_cbranch_vccnz .LBB35_208
; %bb.207:
	scratch_load_b64 v[76:77], v39, off
	ds_load_b64 v[78:79], v1
	s_wait_loadcnt_dscnt 0x0
	v_pk_mul_f32 v[80:81], v[78:79], v[76:77] op_sel:[1,1] op_sel_hi:[0,1]
	s_delay_alu instid0(VALU_DEP_1) | instskip(SKIP_1) | instid1(VALU_DEP_2)
	v_pk_fma_f32 v[82:83], v[78:79], v[76:77], v[80:81] op_sel_hi:[1,0,1]
	v_pk_fma_f32 v[76:77], v[78:79], v[76:77], v[80:81] neg_lo:[0,0,1] neg_hi:[0,0,1]
	v_mov_b32_e32 v77, v83
	s_cbranch_execz .LBB35_209
	s_branch .LBB35_210
.LBB35_208:
                                        ; implicit-def: $vgpr76_vgpr77
.LBB35_209:
	ds_load_b64 v[76:77], v1
.LBB35_210:
	s_and_saveexec_b32 s13, s1
	s_cbranch_execz .LBB35_214
; %bb.211:
	v_add_nc_u32_e32 v78, -15, v0
	s_movk_i32 s1, 0x78
	s_movk_i32 s15, 0x198
	s_mov_b32 s14, 0
.LBB35_212:                             ; =>This Inner Loop Header: Depth=1
	scratch_load_b64 v[80:81], off, s1
	v_dual_mov_b32 v79, s15 :: v_dual_add_nc_u32 v78, -1, v78
	s_add_co_i32 s15, s15, 8
	s_wait_xcnt 0x0
	s_add_co_i32 s1, s1, 8
	ds_load_b64 v[82:83], v79
	v_cmp_eq_u32_e32 vcc_lo, 0, v78
	s_or_b32 s14, vcc_lo, s14
	s_wait_loadcnt_dscnt 0x0
	v_pk_mul_f32 v[84:85], v[82:83], v[80:81] op_sel:[1,1] op_sel_hi:[0,1]
	s_delay_alu instid0(VALU_DEP_1) | instskip(SKIP_1) | instid1(VALU_DEP_2)
	v_pk_fma_f32 v[86:87], v[82:83], v[80:81], v[84:85] op_sel_hi:[1,0,1]
	v_pk_fma_f32 v[80:81], v[82:83], v[80:81], v[84:85] neg_lo:[0,0,1] neg_hi:[0,0,1]
	v_mov_b32_e32 v81, v87
	s_delay_alu instid0(VALU_DEP_1)
	v_pk_add_f32 v[76:77], v[76:77], v[80:81]
	s_and_not1_b32 exec_lo, exec_lo, s14
	s_cbranch_execnz .LBB35_212
; %bb.213:
	s_or_b32 exec_lo, exec_lo, s14
.LBB35_214:
	s_delay_alu instid0(SALU_CYCLE_1) | instskip(SKIP_4) | instid1(VALU_DEP_1)
	s_or_b32 exec_lo, exec_lo, s13
	v_mov_b32_e32 v78, 0
	ds_load_b64 v[78:79], v78 offset:112
	s_wait_dscnt 0x0
	v_pk_mul_f32 v[80:81], v[76:77], v[78:79] op_sel:[1,1] op_sel_hi:[0,1]
	v_pk_fma_f32 v[82:83], v[76:77], v[78:79], v[80:81] op_sel_hi:[1,0,1]
	v_pk_fma_f32 v[76:77], v[76:77], v[78:79], v[80:81] neg_lo:[0,0,1] neg_hi:[0,0,1]
	s_delay_alu instid0(VALU_DEP_2)
	v_mov_b32_e32 v77, v83
	scratch_store_b64 off, v[76:77], off offset:112
.LBB35_215:
	s_wait_xcnt 0x0
	s_or_b32 exec_lo, exec_lo, s12
	scratch_load_b64 v[76:77], off, off offset:104
	v_cmp_lt_u32_e64 s1, 13, v0
	s_wait_loadcnt 0x0
	ds_store_b64 v1, v[76:77]
	s_wait_storecnt_dscnt 0x0
	s_barrier_signal -1
	s_barrier_wait -1
	s_wait_xcnt 0x0
	s_and_saveexec_b32 s12, s1
	s_cbranch_execz .LBB35_225
; %bb.216:
	s_and_not1_b32 vcc_lo, exec_lo, s3
	s_cbranch_vccnz .LBB35_218
; %bb.217:
	scratch_load_b64 v[76:77], v39, off
	ds_load_b64 v[78:79], v1
	s_wait_loadcnt_dscnt 0x0
	v_pk_mul_f32 v[80:81], v[78:79], v[76:77] op_sel:[1,1] op_sel_hi:[0,1]
	s_delay_alu instid0(VALU_DEP_1) | instskip(SKIP_1) | instid1(VALU_DEP_2)
	v_pk_fma_f32 v[82:83], v[78:79], v[76:77], v[80:81] op_sel_hi:[1,0,1]
	v_pk_fma_f32 v[76:77], v[78:79], v[76:77], v[80:81] neg_lo:[0,0,1] neg_hi:[0,0,1]
	v_mov_b32_e32 v77, v83
	s_cbranch_execz .LBB35_219
	s_branch .LBB35_220
.LBB35_218:
                                        ; implicit-def: $vgpr76_vgpr77
.LBB35_219:
	ds_load_b64 v[76:77], v1
.LBB35_220:
	s_and_saveexec_b32 s13, s0
	s_cbranch_execz .LBB35_224
; %bb.221:
	v_add_nc_u32_e32 v78, -14, v0
	s_movk_i32 s14, 0x190
	s_mov_b32 s0, 0
.LBB35_222:                             ; =>This Inner Loop Header: Depth=1
	scratch_load_b64 v[80:81], off, s11
	v_dual_mov_b32 v79, s14 :: v_dual_add_nc_u32 v78, -1, v78
	s_add_co_i32 s14, s14, 8
	s_wait_xcnt 0x0
	s_add_co_i32 s11, s11, 8
	ds_load_b64 v[82:83], v79
	v_cmp_eq_u32_e32 vcc_lo, 0, v78
	s_or_b32 s0, vcc_lo, s0
	s_wait_loadcnt_dscnt 0x0
	v_pk_mul_f32 v[84:85], v[82:83], v[80:81] op_sel:[1,1] op_sel_hi:[0,1]
	s_delay_alu instid0(VALU_DEP_1) | instskip(SKIP_1) | instid1(VALU_DEP_2)
	v_pk_fma_f32 v[86:87], v[82:83], v[80:81], v[84:85] op_sel_hi:[1,0,1]
	v_pk_fma_f32 v[80:81], v[82:83], v[80:81], v[84:85] neg_lo:[0,0,1] neg_hi:[0,0,1]
	v_mov_b32_e32 v81, v87
	s_delay_alu instid0(VALU_DEP_1)
	v_pk_add_f32 v[76:77], v[76:77], v[80:81]
	s_and_not1_b32 exec_lo, exec_lo, s0
	s_cbranch_execnz .LBB35_222
; %bb.223:
	s_or_b32 exec_lo, exec_lo, s0
.LBB35_224:
	s_delay_alu instid0(SALU_CYCLE_1) | instskip(SKIP_4) | instid1(VALU_DEP_1)
	s_or_b32 exec_lo, exec_lo, s13
	v_mov_b32_e32 v78, 0
	ds_load_b64 v[78:79], v78 offset:104
	s_wait_dscnt 0x0
	v_pk_mul_f32 v[80:81], v[76:77], v[78:79] op_sel:[1,1] op_sel_hi:[0,1]
	v_pk_fma_f32 v[82:83], v[76:77], v[78:79], v[80:81] op_sel_hi:[1,0,1]
	v_pk_fma_f32 v[76:77], v[76:77], v[78:79], v[80:81] neg_lo:[0,0,1] neg_hi:[0,0,1]
	s_delay_alu instid0(VALU_DEP_2)
	v_mov_b32_e32 v77, v83
	scratch_store_b64 off, v[76:77], off offset:104
.LBB35_225:
	s_wait_xcnt 0x0
	s_or_b32 exec_lo, exec_lo, s12
	scratch_load_b64 v[76:77], off, off offset:96
	v_cmp_lt_u32_e64 s0, 12, v0
	s_wait_loadcnt 0x0
	ds_store_b64 v1, v[76:77]
	s_wait_storecnt_dscnt 0x0
	s_barrier_signal -1
	s_barrier_wait -1
	s_wait_xcnt 0x0
	s_and_saveexec_b32 s11, s0
	s_cbranch_execz .LBB35_235
; %bb.226:
	s_and_not1_b32 vcc_lo, exec_lo, s3
	s_cbranch_vccnz .LBB35_228
; %bb.227:
	scratch_load_b64 v[76:77], v39, off
	ds_load_b64 v[78:79], v1
	s_wait_loadcnt_dscnt 0x0
	v_pk_mul_f32 v[80:81], v[78:79], v[76:77] op_sel:[1,1] op_sel_hi:[0,1]
	s_delay_alu instid0(VALU_DEP_1) | instskip(SKIP_1) | instid1(VALU_DEP_2)
	v_pk_fma_f32 v[82:83], v[78:79], v[76:77], v[80:81] op_sel_hi:[1,0,1]
	v_pk_fma_f32 v[76:77], v[78:79], v[76:77], v[80:81] neg_lo:[0,0,1] neg_hi:[0,0,1]
	v_mov_b32_e32 v77, v83
	s_cbranch_execz .LBB35_229
	s_branch .LBB35_230
.LBB35_228:
                                        ; implicit-def: $vgpr76_vgpr77
.LBB35_229:
	ds_load_b64 v[76:77], v1
.LBB35_230:
	s_and_saveexec_b32 s12, s1
	s_cbranch_execz .LBB35_234
; %bb.231:
	v_add_nc_u32_e32 v78, -13, v0
	s_movk_i32 s1, 0x68
	s_movk_i32 s14, 0x188
	s_mov_b32 s13, 0
.LBB35_232:                             ; =>This Inner Loop Header: Depth=1
	scratch_load_b64 v[80:81], off, s1
	v_dual_mov_b32 v79, s14 :: v_dual_add_nc_u32 v78, -1, v78
	s_add_co_i32 s14, s14, 8
	s_wait_xcnt 0x0
	s_add_co_i32 s1, s1, 8
	ds_load_b64 v[82:83], v79
	v_cmp_eq_u32_e32 vcc_lo, 0, v78
	s_or_b32 s13, vcc_lo, s13
	s_wait_loadcnt_dscnt 0x0
	v_pk_mul_f32 v[84:85], v[82:83], v[80:81] op_sel:[1,1] op_sel_hi:[0,1]
	s_delay_alu instid0(VALU_DEP_1) | instskip(SKIP_1) | instid1(VALU_DEP_2)
	v_pk_fma_f32 v[86:87], v[82:83], v[80:81], v[84:85] op_sel_hi:[1,0,1]
	v_pk_fma_f32 v[80:81], v[82:83], v[80:81], v[84:85] neg_lo:[0,0,1] neg_hi:[0,0,1]
	v_mov_b32_e32 v81, v87
	s_delay_alu instid0(VALU_DEP_1)
	v_pk_add_f32 v[76:77], v[76:77], v[80:81]
	s_and_not1_b32 exec_lo, exec_lo, s13
	s_cbranch_execnz .LBB35_232
; %bb.233:
	s_or_b32 exec_lo, exec_lo, s13
.LBB35_234:
	s_delay_alu instid0(SALU_CYCLE_1) | instskip(SKIP_4) | instid1(VALU_DEP_1)
	s_or_b32 exec_lo, exec_lo, s12
	v_mov_b32_e32 v78, 0
	ds_load_b64 v[78:79], v78 offset:96
	s_wait_dscnt 0x0
	v_pk_mul_f32 v[80:81], v[76:77], v[78:79] op_sel:[1,1] op_sel_hi:[0,1]
	v_pk_fma_f32 v[82:83], v[76:77], v[78:79], v[80:81] op_sel_hi:[1,0,1]
	v_pk_fma_f32 v[76:77], v[76:77], v[78:79], v[80:81] neg_lo:[0,0,1] neg_hi:[0,0,1]
	s_delay_alu instid0(VALU_DEP_2)
	v_mov_b32_e32 v77, v83
	scratch_store_b64 off, v[76:77], off offset:96
.LBB35_235:
	s_wait_xcnt 0x0
	s_or_b32 exec_lo, exec_lo, s11
	scratch_load_b64 v[76:77], off, off offset:88
	v_cmp_lt_u32_e64 s1, 11, v0
	s_wait_loadcnt 0x0
	ds_store_b64 v1, v[76:77]
	s_wait_storecnt_dscnt 0x0
	s_barrier_signal -1
	s_barrier_wait -1
	s_wait_xcnt 0x0
	s_and_saveexec_b32 s11, s1
	s_cbranch_execz .LBB35_245
; %bb.236:
	s_and_not1_b32 vcc_lo, exec_lo, s3
	s_cbranch_vccnz .LBB35_238
; %bb.237:
	scratch_load_b64 v[76:77], v39, off
	ds_load_b64 v[78:79], v1
	s_wait_loadcnt_dscnt 0x0
	v_pk_mul_f32 v[80:81], v[78:79], v[76:77] op_sel:[1,1] op_sel_hi:[0,1]
	s_delay_alu instid0(VALU_DEP_1) | instskip(SKIP_1) | instid1(VALU_DEP_2)
	v_pk_fma_f32 v[82:83], v[78:79], v[76:77], v[80:81] op_sel_hi:[1,0,1]
	v_pk_fma_f32 v[76:77], v[78:79], v[76:77], v[80:81] neg_lo:[0,0,1] neg_hi:[0,0,1]
	v_mov_b32_e32 v77, v83
	s_cbranch_execz .LBB35_239
	s_branch .LBB35_240
.LBB35_238:
                                        ; implicit-def: $vgpr76_vgpr77
.LBB35_239:
	ds_load_b64 v[76:77], v1
.LBB35_240:
	s_and_saveexec_b32 s12, s0
	s_cbranch_execz .LBB35_244
; %bb.241:
	v_add_nc_u32_e32 v78, -12, v0
	s_movk_i32 s13, 0x180
	s_mov_b32 s0, 0
.LBB35_242:                             ; =>This Inner Loop Header: Depth=1
	scratch_load_b64 v[80:81], off, s10
	v_dual_mov_b32 v79, s13 :: v_dual_add_nc_u32 v78, -1, v78
	s_add_co_i32 s13, s13, 8
	s_wait_xcnt 0x0
	s_add_co_i32 s10, s10, 8
	ds_load_b64 v[82:83], v79
	v_cmp_eq_u32_e32 vcc_lo, 0, v78
	s_or_b32 s0, vcc_lo, s0
	s_wait_loadcnt_dscnt 0x0
	v_pk_mul_f32 v[84:85], v[82:83], v[80:81] op_sel:[1,1] op_sel_hi:[0,1]
	s_delay_alu instid0(VALU_DEP_1) | instskip(SKIP_1) | instid1(VALU_DEP_2)
	v_pk_fma_f32 v[86:87], v[82:83], v[80:81], v[84:85] op_sel_hi:[1,0,1]
	v_pk_fma_f32 v[80:81], v[82:83], v[80:81], v[84:85] neg_lo:[0,0,1] neg_hi:[0,0,1]
	v_mov_b32_e32 v81, v87
	s_delay_alu instid0(VALU_DEP_1)
	v_pk_add_f32 v[76:77], v[76:77], v[80:81]
	s_and_not1_b32 exec_lo, exec_lo, s0
	s_cbranch_execnz .LBB35_242
; %bb.243:
	s_or_b32 exec_lo, exec_lo, s0
.LBB35_244:
	s_delay_alu instid0(SALU_CYCLE_1) | instskip(SKIP_4) | instid1(VALU_DEP_1)
	s_or_b32 exec_lo, exec_lo, s12
	v_mov_b32_e32 v78, 0
	ds_load_b64 v[78:79], v78 offset:88
	s_wait_dscnt 0x0
	v_pk_mul_f32 v[80:81], v[76:77], v[78:79] op_sel:[1,1] op_sel_hi:[0,1]
	v_pk_fma_f32 v[82:83], v[76:77], v[78:79], v[80:81] op_sel_hi:[1,0,1]
	v_pk_fma_f32 v[76:77], v[76:77], v[78:79], v[80:81] neg_lo:[0,0,1] neg_hi:[0,0,1]
	s_delay_alu instid0(VALU_DEP_2)
	v_mov_b32_e32 v77, v83
	scratch_store_b64 off, v[76:77], off offset:88
.LBB35_245:
	s_wait_xcnt 0x0
	s_or_b32 exec_lo, exec_lo, s11
	scratch_load_b64 v[76:77], off, off offset:80
	v_cmp_lt_u32_e64 s0, 10, v0
	s_wait_loadcnt 0x0
	ds_store_b64 v1, v[76:77]
	s_wait_storecnt_dscnt 0x0
	s_barrier_signal -1
	s_barrier_wait -1
	s_wait_xcnt 0x0
	s_and_saveexec_b32 s10, s0
	s_cbranch_execz .LBB35_255
; %bb.246:
	s_and_not1_b32 vcc_lo, exec_lo, s3
	s_cbranch_vccnz .LBB35_248
; %bb.247:
	scratch_load_b64 v[76:77], v39, off
	ds_load_b64 v[78:79], v1
	s_wait_loadcnt_dscnt 0x0
	v_pk_mul_f32 v[80:81], v[78:79], v[76:77] op_sel:[1,1] op_sel_hi:[0,1]
	s_delay_alu instid0(VALU_DEP_1) | instskip(SKIP_1) | instid1(VALU_DEP_2)
	v_pk_fma_f32 v[82:83], v[78:79], v[76:77], v[80:81] op_sel_hi:[1,0,1]
	v_pk_fma_f32 v[76:77], v[78:79], v[76:77], v[80:81] neg_lo:[0,0,1] neg_hi:[0,0,1]
	v_mov_b32_e32 v77, v83
	s_cbranch_execz .LBB35_249
	s_branch .LBB35_250
.LBB35_248:
                                        ; implicit-def: $vgpr76_vgpr77
.LBB35_249:
	ds_load_b64 v[76:77], v1
.LBB35_250:
	s_and_saveexec_b32 s11, s1
	s_cbranch_execz .LBB35_254
; %bb.251:
	v_add_nc_u32_e32 v78, -11, v0
	s_movk_i32 s1, 0x58
	s_movk_i32 s13, 0x178
	s_mov_b32 s12, 0
.LBB35_252:                             ; =>This Inner Loop Header: Depth=1
	scratch_load_b64 v[80:81], off, s1
	v_dual_mov_b32 v79, s13 :: v_dual_add_nc_u32 v78, -1, v78
	s_add_co_i32 s13, s13, 8
	s_wait_xcnt 0x0
	s_add_co_i32 s1, s1, 8
	ds_load_b64 v[82:83], v79
	v_cmp_eq_u32_e32 vcc_lo, 0, v78
	s_or_b32 s12, vcc_lo, s12
	s_wait_loadcnt_dscnt 0x0
	v_pk_mul_f32 v[84:85], v[82:83], v[80:81] op_sel:[1,1] op_sel_hi:[0,1]
	s_delay_alu instid0(VALU_DEP_1) | instskip(SKIP_1) | instid1(VALU_DEP_2)
	v_pk_fma_f32 v[86:87], v[82:83], v[80:81], v[84:85] op_sel_hi:[1,0,1]
	v_pk_fma_f32 v[80:81], v[82:83], v[80:81], v[84:85] neg_lo:[0,0,1] neg_hi:[0,0,1]
	v_mov_b32_e32 v81, v87
	s_delay_alu instid0(VALU_DEP_1)
	v_pk_add_f32 v[76:77], v[76:77], v[80:81]
	s_and_not1_b32 exec_lo, exec_lo, s12
	s_cbranch_execnz .LBB35_252
; %bb.253:
	s_or_b32 exec_lo, exec_lo, s12
.LBB35_254:
	s_delay_alu instid0(SALU_CYCLE_1) | instskip(SKIP_4) | instid1(VALU_DEP_1)
	s_or_b32 exec_lo, exec_lo, s11
	v_mov_b32_e32 v78, 0
	ds_load_b64 v[78:79], v78 offset:80
	s_wait_dscnt 0x0
	v_pk_mul_f32 v[80:81], v[76:77], v[78:79] op_sel:[1,1] op_sel_hi:[0,1]
	v_pk_fma_f32 v[82:83], v[76:77], v[78:79], v[80:81] op_sel_hi:[1,0,1]
	v_pk_fma_f32 v[76:77], v[76:77], v[78:79], v[80:81] neg_lo:[0,0,1] neg_hi:[0,0,1]
	s_delay_alu instid0(VALU_DEP_2)
	v_mov_b32_e32 v77, v83
	scratch_store_b64 off, v[76:77], off offset:80
.LBB35_255:
	s_wait_xcnt 0x0
	s_or_b32 exec_lo, exec_lo, s10
	scratch_load_b64 v[76:77], off, off offset:72
	v_cmp_lt_u32_e64 s1, 9, v0
	s_wait_loadcnt 0x0
	ds_store_b64 v1, v[76:77]
	s_wait_storecnt_dscnt 0x0
	s_barrier_signal -1
	s_barrier_wait -1
	s_wait_xcnt 0x0
	s_and_saveexec_b32 s10, s1
	s_cbranch_execz .LBB35_265
; %bb.256:
	s_and_not1_b32 vcc_lo, exec_lo, s3
	s_cbranch_vccnz .LBB35_258
; %bb.257:
	scratch_load_b64 v[76:77], v39, off
	ds_load_b64 v[78:79], v1
	s_wait_loadcnt_dscnt 0x0
	v_pk_mul_f32 v[80:81], v[78:79], v[76:77] op_sel:[1,1] op_sel_hi:[0,1]
	s_delay_alu instid0(VALU_DEP_1) | instskip(SKIP_1) | instid1(VALU_DEP_2)
	v_pk_fma_f32 v[82:83], v[78:79], v[76:77], v[80:81] op_sel_hi:[1,0,1]
	v_pk_fma_f32 v[76:77], v[78:79], v[76:77], v[80:81] neg_lo:[0,0,1] neg_hi:[0,0,1]
	v_mov_b32_e32 v77, v83
	s_cbranch_execz .LBB35_259
	s_branch .LBB35_260
.LBB35_258:
                                        ; implicit-def: $vgpr76_vgpr77
.LBB35_259:
	ds_load_b64 v[76:77], v1
.LBB35_260:
	s_and_saveexec_b32 s11, s0
	s_cbranch_execz .LBB35_264
; %bb.261:
	v_add_nc_u32_e32 v78, -10, v0
	s_movk_i32 s12, 0x170
	s_mov_b32 s0, 0
.LBB35_262:                             ; =>This Inner Loop Header: Depth=1
	scratch_load_b64 v[80:81], off, s9
	v_dual_mov_b32 v79, s12 :: v_dual_add_nc_u32 v78, -1, v78
	s_add_co_i32 s12, s12, 8
	s_wait_xcnt 0x0
	s_add_co_i32 s9, s9, 8
	ds_load_b64 v[82:83], v79
	v_cmp_eq_u32_e32 vcc_lo, 0, v78
	s_or_b32 s0, vcc_lo, s0
	s_wait_loadcnt_dscnt 0x0
	v_pk_mul_f32 v[84:85], v[82:83], v[80:81] op_sel:[1,1] op_sel_hi:[0,1]
	s_delay_alu instid0(VALU_DEP_1) | instskip(SKIP_1) | instid1(VALU_DEP_2)
	v_pk_fma_f32 v[86:87], v[82:83], v[80:81], v[84:85] op_sel_hi:[1,0,1]
	v_pk_fma_f32 v[80:81], v[82:83], v[80:81], v[84:85] neg_lo:[0,0,1] neg_hi:[0,0,1]
	v_mov_b32_e32 v81, v87
	s_delay_alu instid0(VALU_DEP_1)
	v_pk_add_f32 v[76:77], v[76:77], v[80:81]
	s_and_not1_b32 exec_lo, exec_lo, s0
	s_cbranch_execnz .LBB35_262
; %bb.263:
	s_or_b32 exec_lo, exec_lo, s0
.LBB35_264:
	s_delay_alu instid0(SALU_CYCLE_1) | instskip(SKIP_4) | instid1(VALU_DEP_1)
	s_or_b32 exec_lo, exec_lo, s11
	v_mov_b32_e32 v78, 0
	ds_load_b64 v[78:79], v78 offset:72
	s_wait_dscnt 0x0
	v_pk_mul_f32 v[80:81], v[76:77], v[78:79] op_sel:[1,1] op_sel_hi:[0,1]
	v_pk_fma_f32 v[82:83], v[76:77], v[78:79], v[80:81] op_sel_hi:[1,0,1]
	v_pk_fma_f32 v[76:77], v[76:77], v[78:79], v[80:81] neg_lo:[0,0,1] neg_hi:[0,0,1]
	s_delay_alu instid0(VALU_DEP_2)
	v_mov_b32_e32 v77, v83
	scratch_store_b64 off, v[76:77], off offset:72
.LBB35_265:
	s_wait_xcnt 0x0
	s_or_b32 exec_lo, exec_lo, s10
	scratch_load_b64 v[76:77], off, off offset:64
	v_cmp_lt_u32_e64 s0, 8, v0
	s_wait_loadcnt 0x0
	ds_store_b64 v1, v[76:77]
	s_wait_storecnt_dscnt 0x0
	s_barrier_signal -1
	s_barrier_wait -1
	s_wait_xcnt 0x0
	s_and_saveexec_b32 s9, s0
	s_cbranch_execz .LBB35_275
; %bb.266:
	s_and_not1_b32 vcc_lo, exec_lo, s3
	s_cbranch_vccnz .LBB35_268
; %bb.267:
	scratch_load_b64 v[76:77], v39, off
	ds_load_b64 v[78:79], v1
	s_wait_loadcnt_dscnt 0x0
	v_pk_mul_f32 v[80:81], v[78:79], v[76:77] op_sel:[1,1] op_sel_hi:[0,1]
	s_delay_alu instid0(VALU_DEP_1) | instskip(SKIP_1) | instid1(VALU_DEP_2)
	v_pk_fma_f32 v[82:83], v[78:79], v[76:77], v[80:81] op_sel_hi:[1,0,1]
	v_pk_fma_f32 v[76:77], v[78:79], v[76:77], v[80:81] neg_lo:[0,0,1] neg_hi:[0,0,1]
	v_mov_b32_e32 v77, v83
	s_cbranch_execz .LBB35_269
	s_branch .LBB35_270
.LBB35_268:
                                        ; implicit-def: $vgpr76_vgpr77
.LBB35_269:
	ds_load_b64 v[76:77], v1
.LBB35_270:
	s_and_saveexec_b32 s10, s1
	s_cbranch_execz .LBB35_274
; %bb.271:
	v_add_nc_u32_e32 v78, -9, v0
	s_movk_i32 s1, 0x48
	s_movk_i32 s12, 0x168
	s_mov_b32 s11, 0
.LBB35_272:                             ; =>This Inner Loop Header: Depth=1
	scratch_load_b64 v[80:81], off, s1
	v_dual_mov_b32 v79, s12 :: v_dual_add_nc_u32 v78, -1, v78
	s_add_co_i32 s12, s12, 8
	s_wait_xcnt 0x0
	s_add_co_i32 s1, s1, 8
	ds_load_b64 v[82:83], v79
	v_cmp_eq_u32_e32 vcc_lo, 0, v78
	s_or_b32 s11, vcc_lo, s11
	s_wait_loadcnt_dscnt 0x0
	v_pk_mul_f32 v[84:85], v[82:83], v[80:81] op_sel:[1,1] op_sel_hi:[0,1]
	s_delay_alu instid0(VALU_DEP_1) | instskip(SKIP_1) | instid1(VALU_DEP_2)
	v_pk_fma_f32 v[86:87], v[82:83], v[80:81], v[84:85] op_sel_hi:[1,0,1]
	v_pk_fma_f32 v[80:81], v[82:83], v[80:81], v[84:85] neg_lo:[0,0,1] neg_hi:[0,0,1]
	v_mov_b32_e32 v81, v87
	s_delay_alu instid0(VALU_DEP_1)
	v_pk_add_f32 v[76:77], v[76:77], v[80:81]
	s_and_not1_b32 exec_lo, exec_lo, s11
	s_cbranch_execnz .LBB35_272
; %bb.273:
	s_or_b32 exec_lo, exec_lo, s11
.LBB35_274:
	s_delay_alu instid0(SALU_CYCLE_1) | instskip(SKIP_4) | instid1(VALU_DEP_1)
	s_or_b32 exec_lo, exec_lo, s10
	v_mov_b32_e32 v78, 0
	ds_load_b64 v[78:79], v78 offset:64
	s_wait_dscnt 0x0
	v_pk_mul_f32 v[80:81], v[76:77], v[78:79] op_sel:[1,1] op_sel_hi:[0,1]
	v_pk_fma_f32 v[82:83], v[76:77], v[78:79], v[80:81] op_sel_hi:[1,0,1]
	v_pk_fma_f32 v[76:77], v[76:77], v[78:79], v[80:81] neg_lo:[0,0,1] neg_hi:[0,0,1]
	s_delay_alu instid0(VALU_DEP_2)
	v_mov_b32_e32 v77, v83
	scratch_store_b64 off, v[76:77], off offset:64
.LBB35_275:
	s_wait_xcnt 0x0
	s_or_b32 exec_lo, exec_lo, s9
	scratch_load_b64 v[76:77], off, off offset:56
	v_cmp_lt_u32_e64 s1, 7, v0
	s_wait_loadcnt 0x0
	ds_store_b64 v1, v[76:77]
	s_wait_storecnt_dscnt 0x0
	s_barrier_signal -1
	s_barrier_wait -1
	s_wait_xcnt 0x0
	s_and_saveexec_b32 s9, s1
	s_cbranch_execz .LBB35_285
; %bb.276:
	s_and_not1_b32 vcc_lo, exec_lo, s3
	s_cbranch_vccnz .LBB35_278
; %bb.277:
	scratch_load_b64 v[76:77], v39, off
	ds_load_b64 v[78:79], v1
	s_wait_loadcnt_dscnt 0x0
	v_pk_mul_f32 v[80:81], v[78:79], v[76:77] op_sel:[1,1] op_sel_hi:[0,1]
	s_delay_alu instid0(VALU_DEP_1) | instskip(SKIP_1) | instid1(VALU_DEP_2)
	v_pk_fma_f32 v[82:83], v[78:79], v[76:77], v[80:81] op_sel_hi:[1,0,1]
	v_pk_fma_f32 v[76:77], v[78:79], v[76:77], v[80:81] neg_lo:[0,0,1] neg_hi:[0,0,1]
	v_mov_b32_e32 v77, v83
	s_cbranch_execz .LBB35_279
	s_branch .LBB35_280
.LBB35_278:
                                        ; implicit-def: $vgpr76_vgpr77
.LBB35_279:
	ds_load_b64 v[76:77], v1
.LBB35_280:
	s_and_saveexec_b32 s10, s0
	s_cbranch_execz .LBB35_284
; %bb.281:
	v_add_nc_u32_e32 v78, -8, v0
	s_movk_i32 s11, 0x160
	s_mov_b32 s0, 0
.LBB35_282:                             ; =>This Inner Loop Header: Depth=1
	scratch_load_b64 v[80:81], off, s8
	v_dual_mov_b32 v79, s11 :: v_dual_add_nc_u32 v78, -1, v78
	s_add_co_i32 s11, s11, 8
	s_wait_xcnt 0x0
	s_add_co_i32 s8, s8, 8
	ds_load_b64 v[82:83], v79
	v_cmp_eq_u32_e32 vcc_lo, 0, v78
	s_or_b32 s0, vcc_lo, s0
	s_wait_loadcnt_dscnt 0x0
	v_pk_mul_f32 v[84:85], v[82:83], v[80:81] op_sel:[1,1] op_sel_hi:[0,1]
	s_delay_alu instid0(VALU_DEP_1) | instskip(SKIP_1) | instid1(VALU_DEP_2)
	v_pk_fma_f32 v[86:87], v[82:83], v[80:81], v[84:85] op_sel_hi:[1,0,1]
	v_pk_fma_f32 v[80:81], v[82:83], v[80:81], v[84:85] neg_lo:[0,0,1] neg_hi:[0,0,1]
	v_mov_b32_e32 v81, v87
	s_delay_alu instid0(VALU_DEP_1)
	v_pk_add_f32 v[76:77], v[76:77], v[80:81]
	s_and_not1_b32 exec_lo, exec_lo, s0
	s_cbranch_execnz .LBB35_282
; %bb.283:
	s_or_b32 exec_lo, exec_lo, s0
.LBB35_284:
	s_delay_alu instid0(SALU_CYCLE_1) | instskip(SKIP_4) | instid1(VALU_DEP_1)
	s_or_b32 exec_lo, exec_lo, s10
	v_mov_b32_e32 v78, 0
	ds_load_b64 v[78:79], v78 offset:56
	s_wait_dscnt 0x0
	v_pk_mul_f32 v[80:81], v[76:77], v[78:79] op_sel:[1,1] op_sel_hi:[0,1]
	v_pk_fma_f32 v[82:83], v[76:77], v[78:79], v[80:81] op_sel_hi:[1,0,1]
	v_pk_fma_f32 v[76:77], v[76:77], v[78:79], v[80:81] neg_lo:[0,0,1] neg_hi:[0,0,1]
	s_delay_alu instid0(VALU_DEP_2)
	v_mov_b32_e32 v77, v83
	scratch_store_b64 off, v[76:77], off offset:56
.LBB35_285:
	s_wait_xcnt 0x0
	s_or_b32 exec_lo, exec_lo, s9
	scratch_load_b64 v[76:77], off, off offset:48
	v_cmp_lt_u32_e64 s0, 6, v0
	s_wait_loadcnt 0x0
	ds_store_b64 v1, v[76:77]
	s_wait_storecnt_dscnt 0x0
	s_barrier_signal -1
	s_barrier_wait -1
	s_wait_xcnt 0x0
	s_and_saveexec_b32 s8, s0
	s_cbranch_execz .LBB35_295
; %bb.286:
	s_and_not1_b32 vcc_lo, exec_lo, s3
	s_cbranch_vccnz .LBB35_288
; %bb.287:
	scratch_load_b64 v[76:77], v39, off
	ds_load_b64 v[78:79], v1
	s_wait_loadcnt_dscnt 0x0
	v_pk_mul_f32 v[80:81], v[78:79], v[76:77] op_sel:[1,1] op_sel_hi:[0,1]
	s_delay_alu instid0(VALU_DEP_1) | instskip(SKIP_1) | instid1(VALU_DEP_2)
	v_pk_fma_f32 v[82:83], v[78:79], v[76:77], v[80:81] op_sel_hi:[1,0,1]
	v_pk_fma_f32 v[76:77], v[78:79], v[76:77], v[80:81] neg_lo:[0,0,1] neg_hi:[0,0,1]
	v_mov_b32_e32 v77, v83
	s_cbranch_execz .LBB35_289
	s_branch .LBB35_290
.LBB35_288:
                                        ; implicit-def: $vgpr76_vgpr77
.LBB35_289:
	ds_load_b64 v[76:77], v1
.LBB35_290:
	s_and_saveexec_b32 s9, s1
	s_cbranch_execz .LBB35_294
; %bb.291:
	v_add_nc_u32_e32 v78, -7, v0
	s_mov_b32 s1, 56
	s_movk_i32 s11, 0x158
	s_mov_b32 s10, 0
.LBB35_292:                             ; =>This Inner Loop Header: Depth=1
	scratch_load_b64 v[80:81], off, s1
	v_dual_mov_b32 v79, s11 :: v_dual_add_nc_u32 v78, -1, v78
	s_add_co_i32 s11, s11, 8
	s_wait_xcnt 0x0
	s_add_co_i32 s1, s1, 8
	ds_load_b64 v[82:83], v79
	v_cmp_eq_u32_e32 vcc_lo, 0, v78
	s_or_b32 s10, vcc_lo, s10
	s_wait_loadcnt_dscnt 0x0
	v_pk_mul_f32 v[84:85], v[82:83], v[80:81] op_sel:[1,1] op_sel_hi:[0,1]
	s_delay_alu instid0(VALU_DEP_1) | instskip(SKIP_1) | instid1(VALU_DEP_2)
	v_pk_fma_f32 v[86:87], v[82:83], v[80:81], v[84:85] op_sel_hi:[1,0,1]
	v_pk_fma_f32 v[80:81], v[82:83], v[80:81], v[84:85] neg_lo:[0,0,1] neg_hi:[0,0,1]
	v_mov_b32_e32 v81, v87
	s_delay_alu instid0(VALU_DEP_1)
	v_pk_add_f32 v[76:77], v[76:77], v[80:81]
	s_and_not1_b32 exec_lo, exec_lo, s10
	s_cbranch_execnz .LBB35_292
; %bb.293:
	s_or_b32 exec_lo, exec_lo, s10
.LBB35_294:
	s_delay_alu instid0(SALU_CYCLE_1) | instskip(SKIP_4) | instid1(VALU_DEP_1)
	s_or_b32 exec_lo, exec_lo, s9
	v_mov_b32_e32 v78, 0
	ds_load_b64 v[78:79], v78 offset:48
	s_wait_dscnt 0x0
	v_pk_mul_f32 v[80:81], v[76:77], v[78:79] op_sel:[1,1] op_sel_hi:[0,1]
	v_pk_fma_f32 v[82:83], v[76:77], v[78:79], v[80:81] op_sel_hi:[1,0,1]
	v_pk_fma_f32 v[76:77], v[76:77], v[78:79], v[80:81] neg_lo:[0,0,1] neg_hi:[0,0,1]
	s_delay_alu instid0(VALU_DEP_2)
	v_mov_b32_e32 v77, v83
	scratch_store_b64 off, v[76:77], off offset:48
.LBB35_295:
	s_wait_xcnt 0x0
	s_or_b32 exec_lo, exec_lo, s8
	scratch_load_b64 v[76:77], off, off offset:40
	v_cmp_lt_u32_e64 s1, 5, v0
	s_wait_loadcnt 0x0
	ds_store_b64 v1, v[76:77]
	s_wait_storecnt_dscnt 0x0
	s_barrier_signal -1
	s_barrier_wait -1
	s_wait_xcnt 0x0
	s_and_saveexec_b32 s8, s1
	s_cbranch_execz .LBB35_305
; %bb.296:
	s_and_not1_b32 vcc_lo, exec_lo, s3
	s_cbranch_vccnz .LBB35_298
; %bb.297:
	scratch_load_b64 v[76:77], v39, off
	ds_load_b64 v[78:79], v1
	s_wait_loadcnt_dscnt 0x0
	v_pk_mul_f32 v[80:81], v[78:79], v[76:77] op_sel:[1,1] op_sel_hi:[0,1]
	s_delay_alu instid0(VALU_DEP_1) | instskip(SKIP_1) | instid1(VALU_DEP_2)
	v_pk_fma_f32 v[82:83], v[78:79], v[76:77], v[80:81] op_sel_hi:[1,0,1]
	v_pk_fma_f32 v[76:77], v[78:79], v[76:77], v[80:81] neg_lo:[0,0,1] neg_hi:[0,0,1]
	v_mov_b32_e32 v77, v83
	s_cbranch_execz .LBB35_299
	s_branch .LBB35_300
.LBB35_298:
                                        ; implicit-def: $vgpr76_vgpr77
.LBB35_299:
	ds_load_b64 v[76:77], v1
.LBB35_300:
	s_and_saveexec_b32 s9, s0
	s_cbranch_execz .LBB35_304
; %bb.301:
	v_add_nc_u32_e32 v78, -6, v0
	s_movk_i32 s10, 0x150
	s_mov_b32 s0, 0
.LBB35_302:                             ; =>This Inner Loop Header: Depth=1
	scratch_load_b64 v[80:81], off, s2
	v_dual_mov_b32 v79, s10 :: v_dual_add_nc_u32 v78, -1, v78
	s_add_co_i32 s10, s10, 8
	s_wait_xcnt 0x0
	s_add_co_i32 s2, s2, 8
	ds_load_b64 v[82:83], v79
	v_cmp_eq_u32_e32 vcc_lo, 0, v78
	s_or_b32 s0, vcc_lo, s0
	s_wait_loadcnt_dscnt 0x0
	v_pk_mul_f32 v[84:85], v[82:83], v[80:81] op_sel:[1,1] op_sel_hi:[0,1]
	s_delay_alu instid0(VALU_DEP_1) | instskip(SKIP_1) | instid1(VALU_DEP_2)
	v_pk_fma_f32 v[86:87], v[82:83], v[80:81], v[84:85] op_sel_hi:[1,0,1]
	v_pk_fma_f32 v[80:81], v[82:83], v[80:81], v[84:85] neg_lo:[0,0,1] neg_hi:[0,0,1]
	v_mov_b32_e32 v81, v87
	s_delay_alu instid0(VALU_DEP_1)
	v_pk_add_f32 v[76:77], v[76:77], v[80:81]
	s_and_not1_b32 exec_lo, exec_lo, s0
	s_cbranch_execnz .LBB35_302
; %bb.303:
	s_or_b32 exec_lo, exec_lo, s0
.LBB35_304:
	s_delay_alu instid0(SALU_CYCLE_1) | instskip(SKIP_4) | instid1(VALU_DEP_1)
	s_or_b32 exec_lo, exec_lo, s9
	v_mov_b32_e32 v78, 0
	ds_load_b64 v[78:79], v78 offset:40
	s_wait_dscnt 0x0
	v_pk_mul_f32 v[80:81], v[76:77], v[78:79] op_sel:[1,1] op_sel_hi:[0,1]
	v_pk_fma_f32 v[82:83], v[76:77], v[78:79], v[80:81] op_sel_hi:[1,0,1]
	v_pk_fma_f32 v[76:77], v[76:77], v[78:79], v[80:81] neg_lo:[0,0,1] neg_hi:[0,0,1]
	s_delay_alu instid0(VALU_DEP_2)
	v_mov_b32_e32 v77, v83
	scratch_store_b64 off, v[76:77], off offset:40
.LBB35_305:
	s_wait_xcnt 0x0
	s_or_b32 exec_lo, exec_lo, s8
	scratch_load_b64 v[76:77], off, off offset:32
	v_cmp_lt_u32_e64 s0, 4, v0
	s_wait_loadcnt 0x0
	ds_store_b64 v1, v[76:77]
	s_wait_storecnt_dscnt 0x0
	s_barrier_signal -1
	s_barrier_wait -1
	s_wait_xcnt 0x0
	s_and_saveexec_b32 s2, s0
	s_cbranch_execz .LBB35_315
; %bb.306:
	s_and_not1_b32 vcc_lo, exec_lo, s3
	s_cbranch_vccnz .LBB35_308
; %bb.307:
	scratch_load_b64 v[76:77], v39, off
	ds_load_b64 v[78:79], v1
	s_wait_loadcnt_dscnt 0x0
	v_pk_mul_f32 v[80:81], v[78:79], v[76:77] op_sel:[1,1] op_sel_hi:[0,1]
	s_delay_alu instid0(VALU_DEP_1) | instskip(SKIP_1) | instid1(VALU_DEP_2)
	v_pk_fma_f32 v[82:83], v[78:79], v[76:77], v[80:81] op_sel_hi:[1,0,1]
	v_pk_fma_f32 v[76:77], v[78:79], v[76:77], v[80:81] neg_lo:[0,0,1] neg_hi:[0,0,1]
	v_mov_b32_e32 v77, v83
	s_cbranch_execz .LBB35_309
	s_branch .LBB35_310
.LBB35_308:
                                        ; implicit-def: $vgpr76_vgpr77
.LBB35_309:
	ds_load_b64 v[76:77], v1
.LBB35_310:
	s_and_saveexec_b32 s8, s1
	s_cbranch_execz .LBB35_314
; %bb.311:
	v_add_nc_u32_e32 v78, -5, v0
	s_mov_b32 s1, 40
	s_movk_i32 s10, 0x148
	s_mov_b32 s9, 0
.LBB35_312:                             ; =>This Inner Loop Header: Depth=1
	scratch_load_b64 v[80:81], off, s1
	v_dual_mov_b32 v79, s10 :: v_dual_add_nc_u32 v78, -1, v78
	s_add_co_i32 s10, s10, 8
	s_wait_xcnt 0x0
	s_add_co_i32 s1, s1, 8
	ds_load_b64 v[82:83], v79
	v_cmp_eq_u32_e32 vcc_lo, 0, v78
	s_or_b32 s9, vcc_lo, s9
	s_wait_loadcnt_dscnt 0x0
	v_pk_mul_f32 v[84:85], v[82:83], v[80:81] op_sel:[1,1] op_sel_hi:[0,1]
	s_delay_alu instid0(VALU_DEP_1) | instskip(SKIP_1) | instid1(VALU_DEP_2)
	v_pk_fma_f32 v[86:87], v[82:83], v[80:81], v[84:85] op_sel_hi:[1,0,1]
	v_pk_fma_f32 v[80:81], v[82:83], v[80:81], v[84:85] neg_lo:[0,0,1] neg_hi:[0,0,1]
	v_mov_b32_e32 v81, v87
	s_delay_alu instid0(VALU_DEP_1)
	v_pk_add_f32 v[76:77], v[76:77], v[80:81]
	s_and_not1_b32 exec_lo, exec_lo, s9
	s_cbranch_execnz .LBB35_312
; %bb.313:
	s_or_b32 exec_lo, exec_lo, s9
.LBB35_314:
	s_delay_alu instid0(SALU_CYCLE_1) | instskip(SKIP_4) | instid1(VALU_DEP_1)
	s_or_b32 exec_lo, exec_lo, s8
	v_mov_b32_e32 v78, 0
	ds_load_b64 v[78:79], v78 offset:32
	s_wait_dscnt 0x0
	v_pk_mul_f32 v[80:81], v[76:77], v[78:79] op_sel:[1,1] op_sel_hi:[0,1]
	v_pk_fma_f32 v[82:83], v[76:77], v[78:79], v[80:81] op_sel_hi:[1,0,1]
	v_pk_fma_f32 v[76:77], v[76:77], v[78:79], v[80:81] neg_lo:[0,0,1] neg_hi:[0,0,1]
	s_delay_alu instid0(VALU_DEP_2)
	v_mov_b32_e32 v77, v83
	scratch_store_b64 off, v[76:77], off offset:32
.LBB35_315:
	s_wait_xcnt 0x0
	s_or_b32 exec_lo, exec_lo, s2
	scratch_load_b64 v[76:77], off, off offset:24
	v_cmp_lt_u32_e64 s2, 3, v0
	s_wait_loadcnt 0x0
	ds_store_b64 v1, v[76:77]
	s_wait_storecnt_dscnt 0x0
	s_barrier_signal -1
	s_barrier_wait -1
	s_wait_xcnt 0x0
	s_and_saveexec_b32 s1, s2
	s_cbranch_execz .LBB35_325
; %bb.316:
	s_and_not1_b32 vcc_lo, exec_lo, s3
	s_cbranch_vccnz .LBB35_318
; %bb.317:
	scratch_load_b64 v[76:77], v39, off
	ds_load_b64 v[78:79], v1
	s_wait_loadcnt_dscnt 0x0
	v_pk_mul_f32 v[80:81], v[78:79], v[76:77] op_sel:[1,1] op_sel_hi:[0,1]
	s_delay_alu instid0(VALU_DEP_1) | instskip(SKIP_1) | instid1(VALU_DEP_2)
	v_pk_fma_f32 v[82:83], v[78:79], v[76:77], v[80:81] op_sel_hi:[1,0,1]
	v_pk_fma_f32 v[76:77], v[78:79], v[76:77], v[80:81] neg_lo:[0,0,1] neg_hi:[0,0,1]
	v_mov_b32_e32 v77, v83
	s_cbranch_execz .LBB35_319
	s_branch .LBB35_320
.LBB35_318:
                                        ; implicit-def: $vgpr76_vgpr77
.LBB35_319:
	ds_load_b64 v[76:77], v1
.LBB35_320:
	s_and_saveexec_b32 s8, s0
	s_cbranch_execz .LBB35_324
; %bb.321:
	v_add_nc_u32_e32 v78, -4, v0
	s_movk_i32 s9, 0x140
	s_mov_b32 s0, 0
.LBB35_322:                             ; =>This Inner Loop Header: Depth=1
	scratch_load_b64 v[80:81], off, s5
	v_dual_mov_b32 v79, s9 :: v_dual_add_nc_u32 v78, -1, v78
	s_add_co_i32 s9, s9, 8
	s_wait_xcnt 0x0
	s_add_co_i32 s5, s5, 8
	ds_load_b64 v[82:83], v79
	v_cmp_eq_u32_e32 vcc_lo, 0, v78
	s_or_b32 s0, vcc_lo, s0
	s_wait_loadcnt_dscnt 0x0
	v_pk_mul_f32 v[84:85], v[82:83], v[80:81] op_sel:[1,1] op_sel_hi:[0,1]
	s_delay_alu instid0(VALU_DEP_1) | instskip(SKIP_1) | instid1(VALU_DEP_2)
	v_pk_fma_f32 v[86:87], v[82:83], v[80:81], v[84:85] op_sel_hi:[1,0,1]
	v_pk_fma_f32 v[80:81], v[82:83], v[80:81], v[84:85] neg_lo:[0,0,1] neg_hi:[0,0,1]
	v_mov_b32_e32 v81, v87
	s_delay_alu instid0(VALU_DEP_1)
	v_pk_add_f32 v[76:77], v[76:77], v[80:81]
	s_and_not1_b32 exec_lo, exec_lo, s0
	s_cbranch_execnz .LBB35_322
; %bb.323:
	s_or_b32 exec_lo, exec_lo, s0
.LBB35_324:
	s_delay_alu instid0(SALU_CYCLE_1) | instskip(SKIP_4) | instid1(VALU_DEP_1)
	s_or_b32 exec_lo, exec_lo, s8
	v_mov_b32_e32 v78, 0
	ds_load_b64 v[78:79], v78 offset:24
	s_wait_dscnt 0x0
	v_pk_mul_f32 v[80:81], v[76:77], v[78:79] op_sel:[1,1] op_sel_hi:[0,1]
	v_pk_fma_f32 v[82:83], v[76:77], v[78:79], v[80:81] op_sel_hi:[1,0,1]
	v_pk_fma_f32 v[76:77], v[76:77], v[78:79], v[80:81] neg_lo:[0,0,1] neg_hi:[0,0,1]
	s_delay_alu instid0(VALU_DEP_2)
	v_mov_b32_e32 v77, v83
	scratch_store_b64 off, v[76:77], off offset:24
.LBB35_325:
	s_wait_xcnt 0x0
	s_or_b32 exec_lo, exec_lo, s1
	scratch_load_b64 v[76:77], off, off offset:16
	v_cmp_lt_u32_e64 s1, 2, v0
	s_wait_loadcnt 0x0
	ds_store_b64 v1, v[76:77]
	s_wait_storecnt_dscnt 0x0
	s_barrier_signal -1
	s_barrier_wait -1
	s_wait_xcnt 0x0
	s_and_saveexec_b32 s0, s1
	s_cbranch_execz .LBB35_335
; %bb.326:
	s_and_not1_b32 vcc_lo, exec_lo, s3
	s_cbranch_vccnz .LBB35_328
; %bb.327:
	scratch_load_b64 v[76:77], v39, off
	ds_load_b64 v[78:79], v1
	s_wait_loadcnt_dscnt 0x0
	v_pk_mul_f32 v[80:81], v[78:79], v[76:77] op_sel:[1,1] op_sel_hi:[0,1]
	s_delay_alu instid0(VALU_DEP_1) | instskip(SKIP_1) | instid1(VALU_DEP_2)
	v_pk_fma_f32 v[82:83], v[78:79], v[76:77], v[80:81] op_sel_hi:[1,0,1]
	v_pk_fma_f32 v[76:77], v[78:79], v[76:77], v[80:81] neg_lo:[0,0,1] neg_hi:[0,0,1]
	v_mov_b32_e32 v77, v83
	s_cbranch_execz .LBB35_329
	s_branch .LBB35_330
.LBB35_328:
                                        ; implicit-def: $vgpr76_vgpr77
.LBB35_329:
	ds_load_b64 v[76:77], v1
.LBB35_330:
	s_and_saveexec_b32 s5, s2
	s_cbranch_execz .LBB35_334
; %bb.331:
	v_add_nc_u32_e32 v78, -3, v0
	s_mov_b32 s2, 24
	s_movk_i32 s9, 0x138
	s_mov_b32 s8, 0
.LBB35_332:                             ; =>This Inner Loop Header: Depth=1
	scratch_load_b64 v[80:81], off, s2
	v_dual_mov_b32 v79, s9 :: v_dual_add_nc_u32 v78, -1, v78
	s_add_co_i32 s9, s9, 8
	s_wait_xcnt 0x0
	s_add_co_i32 s2, s2, 8
	ds_load_b64 v[82:83], v79
	v_cmp_eq_u32_e32 vcc_lo, 0, v78
	s_or_b32 s8, vcc_lo, s8
	s_wait_loadcnt_dscnt 0x0
	v_pk_mul_f32 v[84:85], v[82:83], v[80:81] op_sel:[1,1] op_sel_hi:[0,1]
	s_delay_alu instid0(VALU_DEP_1) | instskip(SKIP_1) | instid1(VALU_DEP_2)
	v_pk_fma_f32 v[86:87], v[82:83], v[80:81], v[84:85] op_sel_hi:[1,0,1]
	v_pk_fma_f32 v[80:81], v[82:83], v[80:81], v[84:85] neg_lo:[0,0,1] neg_hi:[0,0,1]
	v_mov_b32_e32 v81, v87
	s_delay_alu instid0(VALU_DEP_1)
	v_pk_add_f32 v[76:77], v[76:77], v[80:81]
	s_and_not1_b32 exec_lo, exec_lo, s8
	s_cbranch_execnz .LBB35_332
; %bb.333:
	s_or_b32 exec_lo, exec_lo, s8
.LBB35_334:
	s_delay_alu instid0(SALU_CYCLE_1) | instskip(SKIP_4) | instid1(VALU_DEP_1)
	s_or_b32 exec_lo, exec_lo, s5
	v_mov_b32_e32 v78, 0
	ds_load_b64 v[78:79], v78 offset:16
	s_wait_dscnt 0x0
	v_pk_mul_f32 v[80:81], v[76:77], v[78:79] op_sel:[1,1] op_sel_hi:[0,1]
	v_pk_fma_f32 v[82:83], v[76:77], v[78:79], v[80:81] op_sel_hi:[1,0,1]
	v_pk_fma_f32 v[76:77], v[76:77], v[78:79], v[80:81] neg_lo:[0,0,1] neg_hi:[0,0,1]
	s_delay_alu instid0(VALU_DEP_2)
	v_mov_b32_e32 v77, v83
	scratch_store_b64 off, v[76:77], off offset:16
.LBB35_335:
	s_wait_xcnt 0x0
	s_or_b32 exec_lo, exec_lo, s0
	scratch_load_b64 v[76:77], off, off offset:8
	v_cmp_lt_u32_e64 s0, 1, v0
	s_wait_loadcnt 0x0
	ds_store_b64 v1, v[76:77]
	s_wait_storecnt_dscnt 0x0
	s_barrier_signal -1
	s_barrier_wait -1
	s_wait_xcnt 0x0
	s_and_saveexec_b32 s2, s0
	s_cbranch_execz .LBB35_345
; %bb.336:
	s_and_not1_b32 vcc_lo, exec_lo, s3
	s_cbranch_vccnz .LBB35_338
; %bb.337:
	scratch_load_b64 v[76:77], v39, off
	ds_load_b64 v[78:79], v1
	s_wait_loadcnt_dscnt 0x0
	v_pk_mul_f32 v[80:81], v[78:79], v[76:77] op_sel:[1,1] op_sel_hi:[0,1]
	s_delay_alu instid0(VALU_DEP_1) | instskip(SKIP_1) | instid1(VALU_DEP_2)
	v_pk_fma_f32 v[82:83], v[78:79], v[76:77], v[80:81] op_sel_hi:[1,0,1]
	v_pk_fma_f32 v[76:77], v[78:79], v[76:77], v[80:81] neg_lo:[0,0,1] neg_hi:[0,0,1]
	v_mov_b32_e32 v77, v83
	s_cbranch_execz .LBB35_339
	s_branch .LBB35_340
.LBB35_338:
                                        ; implicit-def: $vgpr76_vgpr77
.LBB35_339:
	ds_load_b64 v[76:77], v1
.LBB35_340:
	s_and_saveexec_b32 s5, s1
	s_cbranch_execz .LBB35_344
; %bb.341:
	v_add_nc_u32_e32 v78, -2, v0
	s_movk_i32 s8, 0x130
	s_mov_b32 s1, 0
.LBB35_342:                             ; =>This Inner Loop Header: Depth=1
	scratch_load_b64 v[80:81], off, s4
	v_dual_mov_b32 v79, s8 :: v_dual_add_nc_u32 v78, -1, v78
	s_add_co_i32 s8, s8, 8
	s_wait_xcnt 0x0
	s_add_co_i32 s4, s4, 8
	ds_load_b64 v[82:83], v79
	v_cmp_eq_u32_e32 vcc_lo, 0, v78
	s_or_b32 s1, vcc_lo, s1
	s_wait_loadcnt_dscnt 0x0
	v_pk_mul_f32 v[84:85], v[82:83], v[80:81] op_sel:[1,1] op_sel_hi:[0,1]
	s_delay_alu instid0(VALU_DEP_1) | instskip(SKIP_1) | instid1(VALU_DEP_2)
	v_pk_fma_f32 v[86:87], v[82:83], v[80:81], v[84:85] op_sel_hi:[1,0,1]
	v_pk_fma_f32 v[80:81], v[82:83], v[80:81], v[84:85] neg_lo:[0,0,1] neg_hi:[0,0,1]
	v_mov_b32_e32 v81, v87
	s_delay_alu instid0(VALU_DEP_1)
	v_pk_add_f32 v[76:77], v[76:77], v[80:81]
	s_and_not1_b32 exec_lo, exec_lo, s1
	s_cbranch_execnz .LBB35_342
; %bb.343:
	s_or_b32 exec_lo, exec_lo, s1
.LBB35_344:
	s_delay_alu instid0(SALU_CYCLE_1) | instskip(SKIP_4) | instid1(VALU_DEP_1)
	s_or_b32 exec_lo, exec_lo, s5
	v_mov_b32_e32 v78, 0
	ds_load_b64 v[78:79], v78 offset:8
	s_wait_dscnt 0x0
	v_pk_mul_f32 v[80:81], v[76:77], v[78:79] op_sel:[1,1] op_sel_hi:[0,1]
	v_pk_fma_f32 v[82:83], v[76:77], v[78:79], v[80:81] op_sel_hi:[1,0,1]
	v_pk_fma_f32 v[76:77], v[76:77], v[78:79], v[80:81] neg_lo:[0,0,1] neg_hi:[0,0,1]
	s_delay_alu instid0(VALU_DEP_2)
	v_mov_b32_e32 v77, v83
	scratch_store_b64 off, v[76:77], off offset:8
.LBB35_345:
	s_wait_xcnt 0x0
	s_or_b32 exec_lo, exec_lo, s2
	scratch_load_b64 v[76:77], off, off
	s_mov_b32 s2, 0
	s_mov_b32 s1, 0
	s_mov_b32 s5, exec_lo
                                        ; implicit-def: $vgpr100
                                        ; implicit-def: $sgpr4
	s_wait_loadcnt 0x0
	ds_store_b64 v1, v[76:77]
	s_wait_storecnt_dscnt 0x0
	s_barrier_signal -1
	s_barrier_wait -1
	s_wait_xcnt 0x0
	v_cmpx_ne_u32_e32 0, v0
	s_cbranch_execz .LBB35_355
; %bb.346:
	s_and_not1_b32 vcc_lo, exec_lo, s3
	s_cbranch_vccnz .LBB35_348
; %bb.347:
	scratch_load_b64 v[78:79], v39, off
	ds_load_b64 v[80:81], v1
	s_wait_loadcnt_dscnt 0x0
	v_dual_mul_f32 v76, v81, v79 :: v_dual_mul_f32 v77, v80, v79
	s_delay_alu instid0(VALU_DEP_1)
	v_dual_fma_f32 v76, v80, v78, -v76 :: v_dual_fmac_f32 v77, v81, v78
	s_and_not1_b32 vcc_lo, exec_lo, s1
	s_cbranch_vccz .LBB35_349
	s_branch .LBB35_350
.LBB35_348:
                                        ; implicit-def: $vgpr76
.LBB35_349:
	ds_load_b64 v[76:77], v1
.LBB35_350:
	s_and_saveexec_b32 s1, s0
	s_cbranch_execz .LBB35_354
; %bb.351:
	v_add_nc_u32_e32 v78, -1, v0
	s_or_b32 s0, 0, 8
	s_movk_i32 s8, 0x128
	s_mov_b32 s4, 0
.LBB35_352:                             ; =>This Inner Loop Header: Depth=1
	scratch_load_b64 v[80:81], off, s0
	v_mov_b32_e32 v79, s8
	s_add_co_i32 s8, s8, 8
	s_wait_xcnt 0x0
	s_add_co_i32 s0, s0, 8
	v_add_nc_u32_e32 v78, -1, v78
	ds_load_b64 v[82:83], v79
	v_cmp_eq_u32_e32 vcc_lo, 0, v78
	s_or_b32 s4, vcc_lo, s4
	s_wait_loadcnt_dscnt 0x0
	v_dual_mul_f32 v79, v83, v81 :: v_dual_mul_f32 v81, v82, v81
	s_delay_alu instid0(VALU_DEP_1) | instskip(NEXT) | instid1(VALU_DEP_1)
	v_dual_fma_f32 v79, v82, v80, -v79 :: v_dual_fmac_f32 v81, v83, v80
	v_dual_add_f32 v76, v76, v79 :: v_dual_add_f32 v77, v77, v81
	s_and_not1_b32 exec_lo, exec_lo, s4
	s_cbranch_execnz .LBB35_352
; %bb.353:
	s_or_b32 exec_lo, exec_lo, s4
.LBB35_354:
	s_delay_alu instid0(SALU_CYCLE_1)
	s_or_b32 exec_lo, exec_lo, s1
	v_mov_b32_e32 v78, 0
	s_mov_b32 s1, exec_lo
	s_or_b32 s4, 0, 4
	ds_load_b64 v[78:79], v78
	s_wait_dscnt 0x0
	v_dual_mul_f32 v80, v77, v79 :: v_dual_mul_f32 v100, v76, v79
	s_delay_alu instid0(VALU_DEP_1) | instskip(NEXT) | instid1(VALU_DEP_2)
	v_fma_f32 v76, v76, v78, -v80
	v_fmac_f32_e32 v100, v77, v78
	scratch_store_b32 off, v76, off
.LBB35_355:
	s_wait_xcnt 0x0
	s_or_b32 exec_lo, exec_lo, s5
	s_delay_alu instid0(SALU_CYCLE_1)
	s_and_b32 vcc_lo, exec_lo, s2
	s_cbranch_vccz .LBB35_701
.LBB35_356:
	scratch_load_b64 v[76:77], off, off offset:8
	v_cmp_eq_u32_e64 s0, 0, v0
	s_wait_loadcnt 0x0
	ds_store_b64 v1, v[76:77]
	s_wait_storecnt_dscnt 0x0
	s_barrier_signal -1
	s_barrier_wait -1
	s_wait_xcnt 0x0
	s_and_saveexec_b32 s2, s0
	s_cbranch_execz .LBB35_362
; %bb.357:
	s_and_b32 vcc_lo, exec_lo, s3
	s_cbranch_vccz .LBB35_359
; %bb.358:
	scratch_load_b64 v[76:77], v39, off
	ds_load_b64 v[78:79], v1
	s_wait_loadcnt_dscnt 0x0
	v_pk_mul_f32 v[80:81], v[78:79], v[76:77] op_sel:[1,1] op_sel_hi:[0,1]
	v_pk_mul_f32 v[82:83], v[78:79], v[76:77] op_sel_hi:[1,0]
	s_delay_alu instid0(VALU_DEP_2) | instskip(NEXT) | instid1(VALU_DEP_2)
	v_pk_fma_f32 v[76:77], v[78:79], v[76:77], v[80:81] op_sel_hi:[1,0,1]
	v_sub_f32_e32 v76, v82, v80
	s_cbranch_execz .LBB35_360
	s_branch .LBB35_361
.LBB35_359:
                                        ; implicit-def: $vgpr77
.LBB35_360:
	ds_load_b64 v[76:77], v1
.LBB35_361:
	s_wait_dscnt 0x0
	v_dual_mov_b32 v78, 0 :: v_dual_mov_b32 v80, v77
	v_mov_b32_e32 v81, v76
	ds_load_b64 v[78:79], v78 offset:8
	s_wait_dscnt 0x0
	v_pk_mul_f32 v[80:81], v[80:81], v[78:79] op_sel:[0,1]
	s_delay_alu instid0(VALU_DEP_1) | instskip(SKIP_1) | instid1(VALU_DEP_2)
	v_pk_fma_f32 v[82:83], v[76:77], v[78:79], v[80:81] op_sel_hi:[1,0,1]
	v_pk_fma_f32 v[76:77], v[76:77], v[78:79], v[80:81] neg_lo:[0,0,1] neg_hi:[0,0,1]
	v_mov_b32_e32 v77, v83
	scratch_store_b64 off, v[76:77], off offset:8
.LBB35_362:
	s_wait_xcnt 0x0
	s_or_b32 exec_lo, exec_lo, s2
	scratch_load_b64 v[76:77], off, off offset:16
	v_cndmask_b32_e64 v78, 0, 1, s3
	s_mov_b32 s2, exec_lo
	s_wait_loadcnt 0x0
	ds_store_b64 v1, v[76:77]
	s_wait_storecnt_dscnt 0x0
	s_barrier_signal -1
	s_barrier_wait -1
	s_wait_xcnt 0x0
	v_cmpx_gt_u32_e32 2, v0
	s_cbranch_execz .LBB35_370
; %bb.363:
	s_and_not1_b32 vcc_lo, exec_lo, s3
	s_cbranch_vccnz .LBB35_365
; %bb.364:
	scratch_load_b64 v[76:77], v39, off
	ds_load_b64 v[80:81], v1
	s_wait_loadcnt_dscnt 0x0
	v_pk_mul_f32 v[82:83], v[80:81], v[76:77] op_sel:[1,1] op_sel_hi:[0,1]
	s_delay_alu instid0(VALU_DEP_1) | instskip(SKIP_1) | instid1(VALU_DEP_2)
	v_pk_fma_f32 v[84:85], v[80:81], v[76:77], v[82:83] op_sel_hi:[1,0,1]
	v_pk_fma_f32 v[76:77], v[80:81], v[76:77], v[82:83] neg_lo:[0,0,1] neg_hi:[0,0,1]
	v_mov_b32_e32 v77, v85
	s_cbranch_execz .LBB35_366
	s_branch .LBB35_367
.LBB35_365:
                                        ; implicit-def: $vgpr76_vgpr77
.LBB35_366:
	ds_load_b64 v[76:77], v1
.LBB35_367:
	s_and_saveexec_b32 s3, s0
	s_cbranch_execz .LBB35_369
; %bb.368:
	scratch_load_b64 v[80:81], off, off offset:8
	v_mov_b32_e32 v79, 0
	ds_load_b64 v[82:83], v79 offset:296
	s_wait_loadcnt_dscnt 0x0
	v_pk_mul_f32 v[84:85], v[82:83], v[80:81] op_sel:[1,1] op_sel_hi:[0,1]
	s_delay_alu instid0(VALU_DEP_1) | instskip(SKIP_1) | instid1(VALU_DEP_2)
	v_pk_fma_f32 v[86:87], v[82:83], v[80:81], v[84:85] op_sel_hi:[1,0,1]
	v_pk_fma_f32 v[80:81], v[82:83], v[80:81], v[84:85] neg_lo:[0,0,1] neg_hi:[0,0,1]
	v_mov_b32_e32 v81, v87
	s_delay_alu instid0(VALU_DEP_1)
	v_pk_add_f32 v[76:77], v[76:77], v[80:81]
.LBB35_369:
	s_or_b32 exec_lo, exec_lo, s3
	v_mov_b32_e32 v79, 0
	ds_load_b64 v[80:81], v79 offset:16
	s_wait_dscnt 0x0
	v_pk_mul_f32 v[82:83], v[76:77], v[80:81] op_sel:[1,1] op_sel_hi:[0,1]
	s_delay_alu instid0(VALU_DEP_1) | instskip(SKIP_1) | instid1(VALU_DEP_2)
	v_pk_fma_f32 v[84:85], v[76:77], v[80:81], v[82:83] op_sel_hi:[1,0,1]
	v_pk_fma_f32 v[76:77], v[76:77], v[80:81], v[82:83] neg_lo:[0,0,1] neg_hi:[0,0,1]
	v_mov_b32_e32 v77, v85
	scratch_store_b64 off, v[76:77], off offset:16
.LBB35_370:
	s_wait_xcnt 0x0
	s_or_b32 exec_lo, exec_lo, s2
	scratch_load_b64 v[76:77], off, off offset:24
	s_mov_b32 s2, exec_lo
	s_wait_loadcnt 0x0
	ds_store_b64 v1, v[76:77]
	s_wait_storecnt_dscnt 0x0
	s_barrier_signal -1
	s_barrier_wait -1
	s_wait_xcnt 0x0
	v_cmpx_gt_u32_e32 3, v0
	s_cbranch_execz .LBB35_380
; %bb.371:
	v_cmp_ne_u32_e32 vcc_lo, 1, v78
	s_cbranch_vccnz .LBB35_373
; %bb.372:
	scratch_load_b64 v[76:77], v39, off
	ds_load_b64 v[80:81], v1
	s_wait_loadcnt_dscnt 0x0
	v_pk_mul_f32 v[82:83], v[80:81], v[76:77] op_sel:[1,1] op_sel_hi:[0,1]
	s_delay_alu instid0(VALU_DEP_1) | instskip(SKIP_1) | instid1(VALU_DEP_2)
	v_pk_fma_f32 v[84:85], v[80:81], v[76:77], v[82:83] op_sel_hi:[1,0,1]
	v_pk_fma_f32 v[76:77], v[80:81], v[76:77], v[82:83] neg_lo:[0,0,1] neg_hi:[0,0,1]
	v_mov_b32_e32 v77, v85
	s_cbranch_execz .LBB35_374
	s_branch .LBB35_375
.LBB35_373:
                                        ; implicit-def: $vgpr76_vgpr77
.LBB35_374:
	ds_load_b64 v[76:77], v1
.LBB35_375:
	s_mov_b32 s3, exec_lo
	v_cmpx_ne_u32_e32 2, v0
	s_cbranch_execz .LBB35_379
; %bb.376:
	scratch_load_b64 v[80:81], v39, off offset:8
	ds_load_b64 v[82:83], v1 offset:8
	s_wait_loadcnt_dscnt 0x0
	v_pk_mul_f32 v[84:85], v[82:83], v[80:81] op_sel:[1,1] op_sel_hi:[0,1]
	s_delay_alu instid0(VALU_DEP_1) | instskip(SKIP_1) | instid1(VALU_DEP_2)
	v_pk_fma_f32 v[86:87], v[82:83], v[80:81], v[84:85] op_sel_hi:[1,0,1]
	v_pk_fma_f32 v[80:81], v[82:83], v[80:81], v[84:85] neg_lo:[0,0,1] neg_hi:[0,0,1]
	v_mov_b32_e32 v81, v87
	s_delay_alu instid0(VALU_DEP_1)
	v_pk_add_f32 v[76:77], v[76:77], v[80:81]
	s_and_saveexec_b32 s4, s0
	s_cbranch_execz .LBB35_378
; %bb.377:
	scratch_load_b64 v[80:81], off, off offset:16
	v_mov_b32_e32 v79, 0
	ds_load_b64 v[82:83], v79 offset:304
	s_wait_loadcnt_dscnt 0x0
	v_pk_mul_f32 v[84:85], v[82:83], v[80:81] op_sel:[1,1] op_sel_hi:[0,1]
	s_delay_alu instid0(VALU_DEP_1) | instskip(SKIP_1) | instid1(VALU_DEP_2)
	v_pk_fma_f32 v[86:87], v[82:83], v[80:81], v[84:85] op_sel_hi:[1,0,1]
	v_pk_fma_f32 v[80:81], v[82:83], v[80:81], v[84:85] neg_lo:[0,0,1] neg_hi:[0,0,1]
	v_mov_b32_e32 v81, v87
	s_delay_alu instid0(VALU_DEP_1)
	v_pk_add_f32 v[76:77], v[76:77], v[80:81]
.LBB35_378:
	s_or_b32 exec_lo, exec_lo, s4
.LBB35_379:
	s_delay_alu instid0(SALU_CYCLE_1) | instskip(SKIP_4) | instid1(VALU_DEP_1)
	s_or_b32 exec_lo, exec_lo, s3
	v_mov_b32_e32 v79, 0
	ds_load_b64 v[80:81], v79 offset:24
	s_wait_dscnt 0x0
	v_pk_mul_f32 v[82:83], v[76:77], v[80:81] op_sel:[1,1] op_sel_hi:[0,1]
	v_pk_fma_f32 v[84:85], v[76:77], v[80:81], v[82:83] op_sel_hi:[1,0,1]
	v_pk_fma_f32 v[76:77], v[76:77], v[80:81], v[82:83] neg_lo:[0,0,1] neg_hi:[0,0,1]
	s_delay_alu instid0(VALU_DEP_2)
	v_mov_b32_e32 v77, v85
	scratch_store_b64 off, v[76:77], off offset:24
.LBB35_380:
	s_wait_xcnt 0x0
	s_or_b32 exec_lo, exec_lo, s2
	scratch_load_b64 v[76:77], off, off offset:32
	s_mov_b32 s0, exec_lo
	s_wait_loadcnt 0x0
	ds_store_b64 v1, v[76:77]
	s_wait_storecnt_dscnt 0x0
	s_barrier_signal -1
	s_barrier_wait -1
	s_wait_xcnt 0x0
	v_cmpx_gt_u32_e32 4, v0
	s_cbranch_execz .LBB35_390
; %bb.381:
	v_cmp_ne_u32_e32 vcc_lo, 1, v78
	s_cbranch_vccnz .LBB35_383
; %bb.382:
	scratch_load_b64 v[76:77], v39, off
	ds_load_b64 v[80:81], v1
	s_wait_loadcnt_dscnt 0x0
	v_pk_mul_f32 v[82:83], v[80:81], v[76:77] op_sel:[1,1] op_sel_hi:[0,1]
	s_delay_alu instid0(VALU_DEP_1) | instskip(SKIP_1) | instid1(VALU_DEP_2)
	v_pk_fma_f32 v[84:85], v[80:81], v[76:77], v[82:83] op_sel_hi:[1,0,1]
	v_pk_fma_f32 v[76:77], v[80:81], v[76:77], v[82:83] neg_lo:[0,0,1] neg_hi:[0,0,1]
	v_mov_b32_e32 v77, v85
	s_cbranch_execz .LBB35_384
	s_branch .LBB35_385
.LBB35_383:
                                        ; implicit-def: $vgpr76_vgpr77
.LBB35_384:
	ds_load_b64 v[76:77], v1
.LBB35_385:
	s_mov_b32 s2, exec_lo
	v_cmpx_ne_u32_e32 3, v0
	s_cbranch_execz .LBB35_389
; %bb.386:
	v_add_nc_u32_e32 v79, 0x128, v38
	v_add3_u32 v80, 0, v38, 8
	v_mov_b32_e32 v81, v0
	s_mov_b32 s3, 0
.LBB35_387:                             ; =>This Inner Loop Header: Depth=1
	scratch_load_b64 v[82:83], v80, off
	ds_load_b64 v[84:85], v79
	s_wait_xcnt 0x0
	v_dual_add_nc_u32 v79, 8, v79 :: v_dual_add_nc_u32 v80, 8, v80
	s_wait_loadcnt_dscnt 0x0
	v_pk_mul_f32 v[86:87], v[84:85], v[82:83] op_sel:[1,1] op_sel_hi:[0,1]
	s_delay_alu instid0(VALU_DEP_1) | instskip(SKIP_2) | instid1(VALU_DEP_3)
	v_pk_fma_f32 v[88:89], v[84:85], v[82:83], v[86:87] op_sel_hi:[1,0,1]
	v_add_nc_u32_e32 v81, 1, v81
	v_pk_fma_f32 v[82:83], v[84:85], v[82:83], v[86:87] neg_lo:[0,0,1] neg_hi:[0,0,1]
	v_mov_b32_e32 v83, v89
	s_delay_alu instid0(VALU_DEP_3) | instskip(NEXT) | instid1(VALU_DEP_2)
	v_cmp_lt_u32_e32 vcc_lo, 2, v81
	v_pk_add_f32 v[76:77], v[76:77], v[82:83]
	s_or_b32 s3, vcc_lo, s3
	s_delay_alu instid0(SALU_CYCLE_1)
	s_and_not1_b32 exec_lo, exec_lo, s3
	s_cbranch_execnz .LBB35_387
; %bb.388:
	s_or_b32 exec_lo, exec_lo, s3
.LBB35_389:
	s_delay_alu instid0(SALU_CYCLE_1) | instskip(SKIP_4) | instid1(VALU_DEP_1)
	s_or_b32 exec_lo, exec_lo, s2
	v_mov_b32_e32 v79, 0
	ds_load_b64 v[80:81], v79 offset:32
	s_wait_dscnt 0x0
	v_pk_mul_f32 v[82:83], v[76:77], v[80:81] op_sel:[1,1] op_sel_hi:[0,1]
	v_pk_fma_f32 v[84:85], v[76:77], v[80:81], v[82:83] op_sel_hi:[1,0,1]
	v_pk_fma_f32 v[76:77], v[76:77], v[80:81], v[82:83] neg_lo:[0,0,1] neg_hi:[0,0,1]
	s_delay_alu instid0(VALU_DEP_2)
	v_mov_b32_e32 v77, v85
	scratch_store_b64 off, v[76:77], off offset:32
.LBB35_390:
	s_wait_xcnt 0x0
	s_or_b32 exec_lo, exec_lo, s0
	scratch_load_b64 v[76:77], off, off offset:40
	s_mov_b32 s0, exec_lo
	s_wait_loadcnt 0x0
	ds_store_b64 v1, v[76:77]
	s_wait_storecnt_dscnt 0x0
	s_barrier_signal -1
	s_barrier_wait -1
	s_wait_xcnt 0x0
	v_cmpx_gt_u32_e32 5, v0
	s_cbranch_execz .LBB35_400
; %bb.391:
	v_cmp_ne_u32_e32 vcc_lo, 1, v78
	s_cbranch_vccnz .LBB35_393
; %bb.392:
	scratch_load_b64 v[76:77], v39, off
	ds_load_b64 v[80:81], v1
	s_wait_loadcnt_dscnt 0x0
	v_pk_mul_f32 v[82:83], v[80:81], v[76:77] op_sel:[1,1] op_sel_hi:[0,1]
	s_delay_alu instid0(VALU_DEP_1) | instskip(SKIP_1) | instid1(VALU_DEP_2)
	v_pk_fma_f32 v[84:85], v[80:81], v[76:77], v[82:83] op_sel_hi:[1,0,1]
	v_pk_fma_f32 v[76:77], v[80:81], v[76:77], v[82:83] neg_lo:[0,0,1] neg_hi:[0,0,1]
	v_mov_b32_e32 v77, v85
	s_cbranch_execz .LBB35_394
	s_branch .LBB35_395
.LBB35_393:
                                        ; implicit-def: $vgpr76_vgpr77
.LBB35_394:
	ds_load_b64 v[76:77], v1
.LBB35_395:
	s_mov_b32 s2, exec_lo
	v_cmpx_ne_u32_e32 4, v0
	s_cbranch_execz .LBB35_399
; %bb.396:
	v_add_nc_u32_e32 v79, 0x128, v38
	v_add3_u32 v80, 0, v38, 8
	v_mov_b32_e32 v81, v0
	s_mov_b32 s3, 0
.LBB35_397:                             ; =>This Inner Loop Header: Depth=1
	scratch_load_b64 v[82:83], v80, off
	ds_load_b64 v[84:85], v79
	s_wait_xcnt 0x0
	v_dual_add_nc_u32 v79, 8, v79 :: v_dual_add_nc_u32 v80, 8, v80
	s_wait_loadcnt_dscnt 0x0
	v_pk_mul_f32 v[86:87], v[84:85], v[82:83] op_sel:[1,1] op_sel_hi:[0,1]
	s_delay_alu instid0(VALU_DEP_1) | instskip(SKIP_2) | instid1(VALU_DEP_3)
	v_pk_fma_f32 v[88:89], v[84:85], v[82:83], v[86:87] op_sel_hi:[1,0,1]
	v_add_nc_u32_e32 v81, 1, v81
	v_pk_fma_f32 v[82:83], v[84:85], v[82:83], v[86:87] neg_lo:[0,0,1] neg_hi:[0,0,1]
	v_mov_b32_e32 v83, v89
	s_delay_alu instid0(VALU_DEP_3) | instskip(NEXT) | instid1(VALU_DEP_2)
	v_cmp_lt_u32_e32 vcc_lo, 3, v81
	v_pk_add_f32 v[76:77], v[76:77], v[82:83]
	s_or_b32 s3, vcc_lo, s3
	s_delay_alu instid0(SALU_CYCLE_1)
	s_and_not1_b32 exec_lo, exec_lo, s3
	s_cbranch_execnz .LBB35_397
; %bb.398:
	s_or_b32 exec_lo, exec_lo, s3
.LBB35_399:
	s_delay_alu instid0(SALU_CYCLE_1) | instskip(SKIP_4) | instid1(VALU_DEP_1)
	s_or_b32 exec_lo, exec_lo, s2
	v_mov_b32_e32 v79, 0
	ds_load_b64 v[80:81], v79 offset:40
	s_wait_dscnt 0x0
	v_pk_mul_f32 v[82:83], v[76:77], v[80:81] op_sel:[1,1] op_sel_hi:[0,1]
	v_pk_fma_f32 v[84:85], v[76:77], v[80:81], v[82:83] op_sel_hi:[1,0,1]
	v_pk_fma_f32 v[76:77], v[76:77], v[80:81], v[82:83] neg_lo:[0,0,1] neg_hi:[0,0,1]
	s_delay_alu instid0(VALU_DEP_2)
	v_mov_b32_e32 v77, v85
	scratch_store_b64 off, v[76:77], off offset:40
.LBB35_400:
	s_wait_xcnt 0x0
	s_or_b32 exec_lo, exec_lo, s0
	scratch_load_b64 v[76:77], off, off offset:48
	s_mov_b32 s0, exec_lo
	s_wait_loadcnt 0x0
	ds_store_b64 v1, v[76:77]
	s_wait_storecnt_dscnt 0x0
	s_barrier_signal -1
	s_barrier_wait -1
	s_wait_xcnt 0x0
	v_cmpx_gt_u32_e32 6, v0
	s_cbranch_execz .LBB35_410
; %bb.401:
	v_cmp_ne_u32_e32 vcc_lo, 1, v78
	s_cbranch_vccnz .LBB35_403
; %bb.402:
	scratch_load_b64 v[76:77], v39, off
	ds_load_b64 v[80:81], v1
	s_wait_loadcnt_dscnt 0x0
	v_pk_mul_f32 v[82:83], v[80:81], v[76:77] op_sel:[1,1] op_sel_hi:[0,1]
	s_delay_alu instid0(VALU_DEP_1) | instskip(SKIP_1) | instid1(VALU_DEP_2)
	v_pk_fma_f32 v[84:85], v[80:81], v[76:77], v[82:83] op_sel_hi:[1,0,1]
	v_pk_fma_f32 v[76:77], v[80:81], v[76:77], v[82:83] neg_lo:[0,0,1] neg_hi:[0,0,1]
	v_mov_b32_e32 v77, v85
	s_cbranch_execz .LBB35_404
	s_branch .LBB35_405
.LBB35_403:
                                        ; implicit-def: $vgpr76_vgpr77
.LBB35_404:
	ds_load_b64 v[76:77], v1
.LBB35_405:
	s_mov_b32 s2, exec_lo
	v_cmpx_ne_u32_e32 5, v0
	s_cbranch_execz .LBB35_409
; %bb.406:
	v_add_nc_u32_e32 v79, 0x128, v38
	v_add3_u32 v80, 0, v38, 8
	v_mov_b32_e32 v81, v0
	s_mov_b32 s3, 0
.LBB35_407:                             ; =>This Inner Loop Header: Depth=1
	scratch_load_b64 v[82:83], v80, off
	ds_load_b64 v[84:85], v79
	s_wait_xcnt 0x0
	v_dual_add_nc_u32 v79, 8, v79 :: v_dual_add_nc_u32 v80, 8, v80
	s_wait_loadcnt_dscnt 0x0
	v_pk_mul_f32 v[86:87], v[84:85], v[82:83] op_sel:[1,1] op_sel_hi:[0,1]
	s_delay_alu instid0(VALU_DEP_1) | instskip(SKIP_2) | instid1(VALU_DEP_3)
	v_pk_fma_f32 v[88:89], v[84:85], v[82:83], v[86:87] op_sel_hi:[1,0,1]
	v_add_nc_u32_e32 v81, 1, v81
	v_pk_fma_f32 v[82:83], v[84:85], v[82:83], v[86:87] neg_lo:[0,0,1] neg_hi:[0,0,1]
	v_mov_b32_e32 v83, v89
	s_delay_alu instid0(VALU_DEP_3) | instskip(NEXT) | instid1(VALU_DEP_2)
	v_cmp_lt_u32_e32 vcc_lo, 4, v81
	v_pk_add_f32 v[76:77], v[76:77], v[82:83]
	s_or_b32 s3, vcc_lo, s3
	s_delay_alu instid0(SALU_CYCLE_1)
	s_and_not1_b32 exec_lo, exec_lo, s3
	s_cbranch_execnz .LBB35_407
; %bb.408:
	s_or_b32 exec_lo, exec_lo, s3
.LBB35_409:
	s_delay_alu instid0(SALU_CYCLE_1) | instskip(SKIP_4) | instid1(VALU_DEP_1)
	s_or_b32 exec_lo, exec_lo, s2
	v_mov_b32_e32 v79, 0
	ds_load_b64 v[80:81], v79 offset:48
	s_wait_dscnt 0x0
	v_pk_mul_f32 v[82:83], v[76:77], v[80:81] op_sel:[1,1] op_sel_hi:[0,1]
	v_pk_fma_f32 v[84:85], v[76:77], v[80:81], v[82:83] op_sel_hi:[1,0,1]
	v_pk_fma_f32 v[76:77], v[76:77], v[80:81], v[82:83] neg_lo:[0,0,1] neg_hi:[0,0,1]
	s_delay_alu instid0(VALU_DEP_2)
	v_mov_b32_e32 v77, v85
	scratch_store_b64 off, v[76:77], off offset:48
.LBB35_410:
	s_wait_xcnt 0x0
	s_or_b32 exec_lo, exec_lo, s0
	scratch_load_b64 v[76:77], off, off offset:56
	s_mov_b32 s0, exec_lo
	s_wait_loadcnt 0x0
	ds_store_b64 v1, v[76:77]
	s_wait_storecnt_dscnt 0x0
	s_barrier_signal -1
	s_barrier_wait -1
	s_wait_xcnt 0x0
	v_cmpx_gt_u32_e32 7, v0
	s_cbranch_execz .LBB35_420
; %bb.411:
	v_cmp_ne_u32_e32 vcc_lo, 1, v78
	s_cbranch_vccnz .LBB35_413
; %bb.412:
	scratch_load_b64 v[76:77], v39, off
	ds_load_b64 v[80:81], v1
	s_wait_loadcnt_dscnt 0x0
	v_pk_mul_f32 v[82:83], v[80:81], v[76:77] op_sel:[1,1] op_sel_hi:[0,1]
	s_delay_alu instid0(VALU_DEP_1) | instskip(SKIP_1) | instid1(VALU_DEP_2)
	v_pk_fma_f32 v[84:85], v[80:81], v[76:77], v[82:83] op_sel_hi:[1,0,1]
	v_pk_fma_f32 v[76:77], v[80:81], v[76:77], v[82:83] neg_lo:[0,0,1] neg_hi:[0,0,1]
	v_mov_b32_e32 v77, v85
	s_cbranch_execz .LBB35_414
	s_branch .LBB35_415
.LBB35_413:
                                        ; implicit-def: $vgpr76_vgpr77
.LBB35_414:
	ds_load_b64 v[76:77], v1
.LBB35_415:
	s_mov_b32 s2, exec_lo
	v_cmpx_ne_u32_e32 6, v0
	s_cbranch_execz .LBB35_419
; %bb.416:
	v_add_nc_u32_e32 v79, 0x128, v38
	v_add3_u32 v80, 0, v38, 8
	v_mov_b32_e32 v81, v0
	s_mov_b32 s3, 0
.LBB35_417:                             ; =>This Inner Loop Header: Depth=1
	scratch_load_b64 v[82:83], v80, off
	ds_load_b64 v[84:85], v79
	s_wait_xcnt 0x0
	v_dual_add_nc_u32 v79, 8, v79 :: v_dual_add_nc_u32 v80, 8, v80
	s_wait_loadcnt_dscnt 0x0
	v_pk_mul_f32 v[86:87], v[84:85], v[82:83] op_sel:[1,1] op_sel_hi:[0,1]
	s_delay_alu instid0(VALU_DEP_1) | instskip(SKIP_2) | instid1(VALU_DEP_3)
	v_pk_fma_f32 v[88:89], v[84:85], v[82:83], v[86:87] op_sel_hi:[1,0,1]
	v_add_nc_u32_e32 v81, 1, v81
	v_pk_fma_f32 v[82:83], v[84:85], v[82:83], v[86:87] neg_lo:[0,0,1] neg_hi:[0,0,1]
	v_mov_b32_e32 v83, v89
	s_delay_alu instid0(VALU_DEP_3) | instskip(NEXT) | instid1(VALU_DEP_2)
	v_cmp_lt_u32_e32 vcc_lo, 5, v81
	v_pk_add_f32 v[76:77], v[76:77], v[82:83]
	s_or_b32 s3, vcc_lo, s3
	s_delay_alu instid0(SALU_CYCLE_1)
	s_and_not1_b32 exec_lo, exec_lo, s3
	s_cbranch_execnz .LBB35_417
; %bb.418:
	s_or_b32 exec_lo, exec_lo, s3
.LBB35_419:
	s_delay_alu instid0(SALU_CYCLE_1) | instskip(SKIP_4) | instid1(VALU_DEP_1)
	s_or_b32 exec_lo, exec_lo, s2
	v_mov_b32_e32 v79, 0
	ds_load_b64 v[80:81], v79 offset:56
	s_wait_dscnt 0x0
	v_pk_mul_f32 v[82:83], v[76:77], v[80:81] op_sel:[1,1] op_sel_hi:[0,1]
	v_pk_fma_f32 v[84:85], v[76:77], v[80:81], v[82:83] op_sel_hi:[1,0,1]
	v_pk_fma_f32 v[76:77], v[76:77], v[80:81], v[82:83] neg_lo:[0,0,1] neg_hi:[0,0,1]
	s_delay_alu instid0(VALU_DEP_2)
	v_mov_b32_e32 v77, v85
	scratch_store_b64 off, v[76:77], off offset:56
.LBB35_420:
	s_wait_xcnt 0x0
	s_or_b32 exec_lo, exec_lo, s0
	scratch_load_b64 v[76:77], off, off offset:64
	s_mov_b32 s0, exec_lo
	s_wait_loadcnt 0x0
	ds_store_b64 v1, v[76:77]
	s_wait_storecnt_dscnt 0x0
	s_barrier_signal -1
	s_barrier_wait -1
	s_wait_xcnt 0x0
	v_cmpx_gt_u32_e32 8, v0
	s_cbranch_execz .LBB35_430
; %bb.421:
	v_cmp_ne_u32_e32 vcc_lo, 1, v78
	s_cbranch_vccnz .LBB35_423
; %bb.422:
	scratch_load_b64 v[76:77], v39, off
	ds_load_b64 v[80:81], v1
	s_wait_loadcnt_dscnt 0x0
	v_pk_mul_f32 v[82:83], v[80:81], v[76:77] op_sel:[1,1] op_sel_hi:[0,1]
	s_delay_alu instid0(VALU_DEP_1) | instskip(SKIP_1) | instid1(VALU_DEP_2)
	v_pk_fma_f32 v[84:85], v[80:81], v[76:77], v[82:83] op_sel_hi:[1,0,1]
	v_pk_fma_f32 v[76:77], v[80:81], v[76:77], v[82:83] neg_lo:[0,0,1] neg_hi:[0,0,1]
	v_mov_b32_e32 v77, v85
	s_cbranch_execz .LBB35_424
	s_branch .LBB35_425
.LBB35_423:
                                        ; implicit-def: $vgpr76_vgpr77
.LBB35_424:
	ds_load_b64 v[76:77], v1
.LBB35_425:
	s_mov_b32 s2, exec_lo
	v_cmpx_ne_u32_e32 7, v0
	s_cbranch_execz .LBB35_429
; %bb.426:
	v_add_nc_u32_e32 v79, 0x128, v38
	v_add3_u32 v80, 0, v38, 8
	v_mov_b32_e32 v81, v0
	s_mov_b32 s3, 0
.LBB35_427:                             ; =>This Inner Loop Header: Depth=1
	scratch_load_b64 v[82:83], v80, off
	ds_load_b64 v[84:85], v79
	s_wait_xcnt 0x0
	v_dual_add_nc_u32 v79, 8, v79 :: v_dual_add_nc_u32 v80, 8, v80
	s_wait_loadcnt_dscnt 0x0
	v_pk_mul_f32 v[86:87], v[84:85], v[82:83] op_sel:[1,1] op_sel_hi:[0,1]
	s_delay_alu instid0(VALU_DEP_1) | instskip(SKIP_2) | instid1(VALU_DEP_3)
	v_pk_fma_f32 v[88:89], v[84:85], v[82:83], v[86:87] op_sel_hi:[1,0,1]
	v_add_nc_u32_e32 v81, 1, v81
	v_pk_fma_f32 v[82:83], v[84:85], v[82:83], v[86:87] neg_lo:[0,0,1] neg_hi:[0,0,1]
	v_mov_b32_e32 v83, v89
	s_delay_alu instid0(VALU_DEP_3) | instskip(NEXT) | instid1(VALU_DEP_2)
	v_cmp_lt_u32_e32 vcc_lo, 6, v81
	v_pk_add_f32 v[76:77], v[76:77], v[82:83]
	s_or_b32 s3, vcc_lo, s3
	s_delay_alu instid0(SALU_CYCLE_1)
	s_and_not1_b32 exec_lo, exec_lo, s3
	s_cbranch_execnz .LBB35_427
; %bb.428:
	s_or_b32 exec_lo, exec_lo, s3
.LBB35_429:
	s_delay_alu instid0(SALU_CYCLE_1) | instskip(SKIP_4) | instid1(VALU_DEP_1)
	s_or_b32 exec_lo, exec_lo, s2
	v_mov_b32_e32 v79, 0
	ds_load_b64 v[80:81], v79 offset:64
	s_wait_dscnt 0x0
	v_pk_mul_f32 v[82:83], v[76:77], v[80:81] op_sel:[1,1] op_sel_hi:[0,1]
	v_pk_fma_f32 v[84:85], v[76:77], v[80:81], v[82:83] op_sel_hi:[1,0,1]
	v_pk_fma_f32 v[76:77], v[76:77], v[80:81], v[82:83] neg_lo:[0,0,1] neg_hi:[0,0,1]
	s_delay_alu instid0(VALU_DEP_2)
	v_mov_b32_e32 v77, v85
	scratch_store_b64 off, v[76:77], off offset:64
.LBB35_430:
	s_wait_xcnt 0x0
	s_or_b32 exec_lo, exec_lo, s0
	scratch_load_b64 v[76:77], off, off offset:72
	s_mov_b32 s0, exec_lo
	s_wait_loadcnt 0x0
	ds_store_b64 v1, v[76:77]
	s_wait_storecnt_dscnt 0x0
	s_barrier_signal -1
	s_barrier_wait -1
	s_wait_xcnt 0x0
	v_cmpx_gt_u32_e32 9, v0
	s_cbranch_execz .LBB35_440
; %bb.431:
	v_cmp_ne_u32_e32 vcc_lo, 1, v78
	s_cbranch_vccnz .LBB35_433
; %bb.432:
	scratch_load_b64 v[76:77], v39, off
	ds_load_b64 v[80:81], v1
	s_wait_loadcnt_dscnt 0x0
	v_pk_mul_f32 v[82:83], v[80:81], v[76:77] op_sel:[1,1] op_sel_hi:[0,1]
	s_delay_alu instid0(VALU_DEP_1) | instskip(SKIP_1) | instid1(VALU_DEP_2)
	v_pk_fma_f32 v[84:85], v[80:81], v[76:77], v[82:83] op_sel_hi:[1,0,1]
	v_pk_fma_f32 v[76:77], v[80:81], v[76:77], v[82:83] neg_lo:[0,0,1] neg_hi:[0,0,1]
	v_mov_b32_e32 v77, v85
	s_cbranch_execz .LBB35_434
	s_branch .LBB35_435
.LBB35_433:
                                        ; implicit-def: $vgpr76_vgpr77
.LBB35_434:
	ds_load_b64 v[76:77], v1
.LBB35_435:
	s_mov_b32 s2, exec_lo
	v_cmpx_ne_u32_e32 8, v0
	s_cbranch_execz .LBB35_439
; %bb.436:
	v_add_nc_u32_e32 v79, 0x128, v38
	v_add3_u32 v80, 0, v38, 8
	v_mov_b32_e32 v81, v0
	s_mov_b32 s3, 0
.LBB35_437:                             ; =>This Inner Loop Header: Depth=1
	scratch_load_b64 v[82:83], v80, off
	ds_load_b64 v[84:85], v79
	s_wait_xcnt 0x0
	v_dual_add_nc_u32 v79, 8, v79 :: v_dual_add_nc_u32 v80, 8, v80
	s_wait_loadcnt_dscnt 0x0
	v_pk_mul_f32 v[86:87], v[84:85], v[82:83] op_sel:[1,1] op_sel_hi:[0,1]
	s_delay_alu instid0(VALU_DEP_1) | instskip(SKIP_2) | instid1(VALU_DEP_3)
	v_pk_fma_f32 v[88:89], v[84:85], v[82:83], v[86:87] op_sel_hi:[1,0,1]
	v_add_nc_u32_e32 v81, 1, v81
	v_pk_fma_f32 v[82:83], v[84:85], v[82:83], v[86:87] neg_lo:[0,0,1] neg_hi:[0,0,1]
	v_mov_b32_e32 v83, v89
	s_delay_alu instid0(VALU_DEP_3) | instskip(NEXT) | instid1(VALU_DEP_2)
	v_cmp_lt_u32_e32 vcc_lo, 7, v81
	v_pk_add_f32 v[76:77], v[76:77], v[82:83]
	s_or_b32 s3, vcc_lo, s3
	s_delay_alu instid0(SALU_CYCLE_1)
	s_and_not1_b32 exec_lo, exec_lo, s3
	s_cbranch_execnz .LBB35_437
; %bb.438:
	s_or_b32 exec_lo, exec_lo, s3
.LBB35_439:
	s_delay_alu instid0(SALU_CYCLE_1) | instskip(SKIP_4) | instid1(VALU_DEP_1)
	s_or_b32 exec_lo, exec_lo, s2
	v_mov_b32_e32 v79, 0
	ds_load_b64 v[80:81], v79 offset:72
	s_wait_dscnt 0x0
	v_pk_mul_f32 v[82:83], v[76:77], v[80:81] op_sel:[1,1] op_sel_hi:[0,1]
	v_pk_fma_f32 v[84:85], v[76:77], v[80:81], v[82:83] op_sel_hi:[1,0,1]
	v_pk_fma_f32 v[76:77], v[76:77], v[80:81], v[82:83] neg_lo:[0,0,1] neg_hi:[0,0,1]
	s_delay_alu instid0(VALU_DEP_2)
	v_mov_b32_e32 v77, v85
	scratch_store_b64 off, v[76:77], off offset:72
.LBB35_440:
	s_wait_xcnt 0x0
	s_or_b32 exec_lo, exec_lo, s0
	scratch_load_b64 v[76:77], off, off offset:80
	s_mov_b32 s0, exec_lo
	s_wait_loadcnt 0x0
	ds_store_b64 v1, v[76:77]
	s_wait_storecnt_dscnt 0x0
	s_barrier_signal -1
	s_barrier_wait -1
	s_wait_xcnt 0x0
	v_cmpx_gt_u32_e32 10, v0
	s_cbranch_execz .LBB35_450
; %bb.441:
	v_cmp_ne_u32_e32 vcc_lo, 1, v78
	s_cbranch_vccnz .LBB35_443
; %bb.442:
	scratch_load_b64 v[76:77], v39, off
	ds_load_b64 v[80:81], v1
	s_wait_loadcnt_dscnt 0x0
	v_pk_mul_f32 v[82:83], v[80:81], v[76:77] op_sel:[1,1] op_sel_hi:[0,1]
	s_delay_alu instid0(VALU_DEP_1) | instskip(SKIP_1) | instid1(VALU_DEP_2)
	v_pk_fma_f32 v[84:85], v[80:81], v[76:77], v[82:83] op_sel_hi:[1,0,1]
	v_pk_fma_f32 v[76:77], v[80:81], v[76:77], v[82:83] neg_lo:[0,0,1] neg_hi:[0,0,1]
	v_mov_b32_e32 v77, v85
	s_cbranch_execz .LBB35_444
	s_branch .LBB35_445
.LBB35_443:
                                        ; implicit-def: $vgpr76_vgpr77
.LBB35_444:
	ds_load_b64 v[76:77], v1
.LBB35_445:
	s_mov_b32 s2, exec_lo
	v_cmpx_ne_u32_e32 9, v0
	s_cbranch_execz .LBB35_449
; %bb.446:
	v_add_nc_u32_e32 v79, 0x128, v38
	v_add3_u32 v80, 0, v38, 8
	v_mov_b32_e32 v81, v0
	s_mov_b32 s3, 0
.LBB35_447:                             ; =>This Inner Loop Header: Depth=1
	scratch_load_b64 v[82:83], v80, off
	ds_load_b64 v[84:85], v79
	s_wait_xcnt 0x0
	v_dual_add_nc_u32 v79, 8, v79 :: v_dual_add_nc_u32 v80, 8, v80
	s_wait_loadcnt_dscnt 0x0
	v_pk_mul_f32 v[86:87], v[84:85], v[82:83] op_sel:[1,1] op_sel_hi:[0,1]
	s_delay_alu instid0(VALU_DEP_1) | instskip(SKIP_2) | instid1(VALU_DEP_3)
	v_pk_fma_f32 v[88:89], v[84:85], v[82:83], v[86:87] op_sel_hi:[1,0,1]
	v_add_nc_u32_e32 v81, 1, v81
	v_pk_fma_f32 v[82:83], v[84:85], v[82:83], v[86:87] neg_lo:[0,0,1] neg_hi:[0,0,1]
	v_mov_b32_e32 v83, v89
	s_delay_alu instid0(VALU_DEP_3) | instskip(NEXT) | instid1(VALU_DEP_2)
	v_cmp_lt_u32_e32 vcc_lo, 8, v81
	v_pk_add_f32 v[76:77], v[76:77], v[82:83]
	s_or_b32 s3, vcc_lo, s3
	s_delay_alu instid0(SALU_CYCLE_1)
	s_and_not1_b32 exec_lo, exec_lo, s3
	s_cbranch_execnz .LBB35_447
; %bb.448:
	s_or_b32 exec_lo, exec_lo, s3
.LBB35_449:
	s_delay_alu instid0(SALU_CYCLE_1) | instskip(SKIP_4) | instid1(VALU_DEP_1)
	s_or_b32 exec_lo, exec_lo, s2
	v_mov_b32_e32 v79, 0
	ds_load_b64 v[80:81], v79 offset:80
	s_wait_dscnt 0x0
	v_pk_mul_f32 v[82:83], v[76:77], v[80:81] op_sel:[1,1] op_sel_hi:[0,1]
	v_pk_fma_f32 v[84:85], v[76:77], v[80:81], v[82:83] op_sel_hi:[1,0,1]
	v_pk_fma_f32 v[76:77], v[76:77], v[80:81], v[82:83] neg_lo:[0,0,1] neg_hi:[0,0,1]
	s_delay_alu instid0(VALU_DEP_2)
	v_mov_b32_e32 v77, v85
	scratch_store_b64 off, v[76:77], off offset:80
.LBB35_450:
	s_wait_xcnt 0x0
	s_or_b32 exec_lo, exec_lo, s0
	scratch_load_b64 v[76:77], off, off offset:88
	s_mov_b32 s0, exec_lo
	s_wait_loadcnt 0x0
	ds_store_b64 v1, v[76:77]
	s_wait_storecnt_dscnt 0x0
	s_barrier_signal -1
	s_barrier_wait -1
	s_wait_xcnt 0x0
	v_cmpx_gt_u32_e32 11, v0
	s_cbranch_execz .LBB35_460
; %bb.451:
	v_cmp_ne_u32_e32 vcc_lo, 1, v78
	s_cbranch_vccnz .LBB35_453
; %bb.452:
	scratch_load_b64 v[76:77], v39, off
	ds_load_b64 v[80:81], v1
	s_wait_loadcnt_dscnt 0x0
	v_pk_mul_f32 v[82:83], v[80:81], v[76:77] op_sel:[1,1] op_sel_hi:[0,1]
	s_delay_alu instid0(VALU_DEP_1) | instskip(SKIP_1) | instid1(VALU_DEP_2)
	v_pk_fma_f32 v[84:85], v[80:81], v[76:77], v[82:83] op_sel_hi:[1,0,1]
	v_pk_fma_f32 v[76:77], v[80:81], v[76:77], v[82:83] neg_lo:[0,0,1] neg_hi:[0,0,1]
	v_mov_b32_e32 v77, v85
	s_cbranch_execz .LBB35_454
	s_branch .LBB35_455
.LBB35_453:
                                        ; implicit-def: $vgpr76_vgpr77
.LBB35_454:
	ds_load_b64 v[76:77], v1
.LBB35_455:
	s_mov_b32 s2, exec_lo
	v_cmpx_ne_u32_e32 10, v0
	s_cbranch_execz .LBB35_459
; %bb.456:
	v_add_nc_u32_e32 v79, 0x128, v38
	v_add3_u32 v80, 0, v38, 8
	v_mov_b32_e32 v81, v0
	s_mov_b32 s3, 0
.LBB35_457:                             ; =>This Inner Loop Header: Depth=1
	scratch_load_b64 v[82:83], v80, off
	ds_load_b64 v[84:85], v79
	s_wait_xcnt 0x0
	v_dual_add_nc_u32 v79, 8, v79 :: v_dual_add_nc_u32 v80, 8, v80
	s_wait_loadcnt_dscnt 0x0
	v_pk_mul_f32 v[86:87], v[84:85], v[82:83] op_sel:[1,1] op_sel_hi:[0,1]
	s_delay_alu instid0(VALU_DEP_1) | instskip(SKIP_2) | instid1(VALU_DEP_3)
	v_pk_fma_f32 v[88:89], v[84:85], v[82:83], v[86:87] op_sel_hi:[1,0,1]
	v_add_nc_u32_e32 v81, 1, v81
	v_pk_fma_f32 v[82:83], v[84:85], v[82:83], v[86:87] neg_lo:[0,0,1] neg_hi:[0,0,1]
	v_mov_b32_e32 v83, v89
	s_delay_alu instid0(VALU_DEP_3) | instskip(NEXT) | instid1(VALU_DEP_2)
	v_cmp_lt_u32_e32 vcc_lo, 9, v81
	v_pk_add_f32 v[76:77], v[76:77], v[82:83]
	s_or_b32 s3, vcc_lo, s3
	s_delay_alu instid0(SALU_CYCLE_1)
	s_and_not1_b32 exec_lo, exec_lo, s3
	s_cbranch_execnz .LBB35_457
; %bb.458:
	s_or_b32 exec_lo, exec_lo, s3
.LBB35_459:
	s_delay_alu instid0(SALU_CYCLE_1) | instskip(SKIP_4) | instid1(VALU_DEP_1)
	s_or_b32 exec_lo, exec_lo, s2
	v_mov_b32_e32 v79, 0
	ds_load_b64 v[80:81], v79 offset:88
	s_wait_dscnt 0x0
	v_pk_mul_f32 v[82:83], v[76:77], v[80:81] op_sel:[1,1] op_sel_hi:[0,1]
	v_pk_fma_f32 v[84:85], v[76:77], v[80:81], v[82:83] op_sel_hi:[1,0,1]
	v_pk_fma_f32 v[76:77], v[76:77], v[80:81], v[82:83] neg_lo:[0,0,1] neg_hi:[0,0,1]
	s_delay_alu instid0(VALU_DEP_2)
	v_mov_b32_e32 v77, v85
	scratch_store_b64 off, v[76:77], off offset:88
.LBB35_460:
	s_wait_xcnt 0x0
	s_or_b32 exec_lo, exec_lo, s0
	scratch_load_b64 v[76:77], off, off offset:96
	s_mov_b32 s0, exec_lo
	s_wait_loadcnt 0x0
	ds_store_b64 v1, v[76:77]
	s_wait_storecnt_dscnt 0x0
	s_barrier_signal -1
	s_barrier_wait -1
	s_wait_xcnt 0x0
	v_cmpx_gt_u32_e32 12, v0
	s_cbranch_execz .LBB35_470
; %bb.461:
	v_cmp_ne_u32_e32 vcc_lo, 1, v78
	s_cbranch_vccnz .LBB35_463
; %bb.462:
	scratch_load_b64 v[76:77], v39, off
	ds_load_b64 v[80:81], v1
	s_wait_loadcnt_dscnt 0x0
	v_pk_mul_f32 v[82:83], v[80:81], v[76:77] op_sel:[1,1] op_sel_hi:[0,1]
	s_delay_alu instid0(VALU_DEP_1) | instskip(SKIP_1) | instid1(VALU_DEP_2)
	v_pk_fma_f32 v[84:85], v[80:81], v[76:77], v[82:83] op_sel_hi:[1,0,1]
	v_pk_fma_f32 v[76:77], v[80:81], v[76:77], v[82:83] neg_lo:[0,0,1] neg_hi:[0,0,1]
	v_mov_b32_e32 v77, v85
	s_cbranch_execz .LBB35_464
	s_branch .LBB35_465
.LBB35_463:
                                        ; implicit-def: $vgpr76_vgpr77
.LBB35_464:
	ds_load_b64 v[76:77], v1
.LBB35_465:
	s_mov_b32 s2, exec_lo
	v_cmpx_ne_u32_e32 11, v0
	s_cbranch_execz .LBB35_469
; %bb.466:
	v_add_nc_u32_e32 v79, 0x128, v38
	v_add3_u32 v80, 0, v38, 8
	v_mov_b32_e32 v81, v0
	s_mov_b32 s3, 0
.LBB35_467:                             ; =>This Inner Loop Header: Depth=1
	scratch_load_b64 v[82:83], v80, off
	ds_load_b64 v[84:85], v79
	s_wait_xcnt 0x0
	v_dual_add_nc_u32 v79, 8, v79 :: v_dual_add_nc_u32 v80, 8, v80
	s_wait_loadcnt_dscnt 0x0
	v_pk_mul_f32 v[86:87], v[84:85], v[82:83] op_sel:[1,1] op_sel_hi:[0,1]
	s_delay_alu instid0(VALU_DEP_1) | instskip(SKIP_2) | instid1(VALU_DEP_3)
	v_pk_fma_f32 v[88:89], v[84:85], v[82:83], v[86:87] op_sel_hi:[1,0,1]
	v_add_nc_u32_e32 v81, 1, v81
	v_pk_fma_f32 v[82:83], v[84:85], v[82:83], v[86:87] neg_lo:[0,0,1] neg_hi:[0,0,1]
	v_mov_b32_e32 v83, v89
	s_delay_alu instid0(VALU_DEP_3) | instskip(NEXT) | instid1(VALU_DEP_2)
	v_cmp_lt_u32_e32 vcc_lo, 10, v81
	v_pk_add_f32 v[76:77], v[76:77], v[82:83]
	s_or_b32 s3, vcc_lo, s3
	s_delay_alu instid0(SALU_CYCLE_1)
	s_and_not1_b32 exec_lo, exec_lo, s3
	s_cbranch_execnz .LBB35_467
; %bb.468:
	s_or_b32 exec_lo, exec_lo, s3
.LBB35_469:
	s_delay_alu instid0(SALU_CYCLE_1) | instskip(SKIP_4) | instid1(VALU_DEP_1)
	s_or_b32 exec_lo, exec_lo, s2
	v_mov_b32_e32 v79, 0
	ds_load_b64 v[80:81], v79 offset:96
	s_wait_dscnt 0x0
	v_pk_mul_f32 v[82:83], v[76:77], v[80:81] op_sel:[1,1] op_sel_hi:[0,1]
	v_pk_fma_f32 v[84:85], v[76:77], v[80:81], v[82:83] op_sel_hi:[1,0,1]
	v_pk_fma_f32 v[76:77], v[76:77], v[80:81], v[82:83] neg_lo:[0,0,1] neg_hi:[0,0,1]
	s_delay_alu instid0(VALU_DEP_2)
	v_mov_b32_e32 v77, v85
	scratch_store_b64 off, v[76:77], off offset:96
.LBB35_470:
	s_wait_xcnt 0x0
	s_or_b32 exec_lo, exec_lo, s0
	scratch_load_b64 v[76:77], off, off offset:104
	s_mov_b32 s0, exec_lo
	s_wait_loadcnt 0x0
	ds_store_b64 v1, v[76:77]
	s_wait_storecnt_dscnt 0x0
	s_barrier_signal -1
	s_barrier_wait -1
	s_wait_xcnt 0x0
	v_cmpx_gt_u32_e32 13, v0
	s_cbranch_execz .LBB35_480
; %bb.471:
	v_cmp_ne_u32_e32 vcc_lo, 1, v78
	s_cbranch_vccnz .LBB35_473
; %bb.472:
	scratch_load_b64 v[76:77], v39, off
	ds_load_b64 v[80:81], v1
	s_wait_loadcnt_dscnt 0x0
	v_pk_mul_f32 v[82:83], v[80:81], v[76:77] op_sel:[1,1] op_sel_hi:[0,1]
	s_delay_alu instid0(VALU_DEP_1) | instskip(SKIP_1) | instid1(VALU_DEP_2)
	v_pk_fma_f32 v[84:85], v[80:81], v[76:77], v[82:83] op_sel_hi:[1,0,1]
	v_pk_fma_f32 v[76:77], v[80:81], v[76:77], v[82:83] neg_lo:[0,0,1] neg_hi:[0,0,1]
	v_mov_b32_e32 v77, v85
	s_cbranch_execz .LBB35_474
	s_branch .LBB35_475
.LBB35_473:
                                        ; implicit-def: $vgpr76_vgpr77
.LBB35_474:
	ds_load_b64 v[76:77], v1
.LBB35_475:
	s_mov_b32 s2, exec_lo
	v_cmpx_ne_u32_e32 12, v0
	s_cbranch_execz .LBB35_479
; %bb.476:
	v_add_nc_u32_e32 v79, 0x128, v38
	v_add3_u32 v80, 0, v38, 8
	v_mov_b32_e32 v81, v0
	s_mov_b32 s3, 0
.LBB35_477:                             ; =>This Inner Loop Header: Depth=1
	scratch_load_b64 v[82:83], v80, off
	ds_load_b64 v[84:85], v79
	s_wait_xcnt 0x0
	v_dual_add_nc_u32 v79, 8, v79 :: v_dual_add_nc_u32 v80, 8, v80
	s_wait_loadcnt_dscnt 0x0
	v_pk_mul_f32 v[86:87], v[84:85], v[82:83] op_sel:[1,1] op_sel_hi:[0,1]
	s_delay_alu instid0(VALU_DEP_1) | instskip(SKIP_2) | instid1(VALU_DEP_3)
	v_pk_fma_f32 v[88:89], v[84:85], v[82:83], v[86:87] op_sel_hi:[1,0,1]
	v_add_nc_u32_e32 v81, 1, v81
	v_pk_fma_f32 v[82:83], v[84:85], v[82:83], v[86:87] neg_lo:[0,0,1] neg_hi:[0,0,1]
	v_mov_b32_e32 v83, v89
	s_delay_alu instid0(VALU_DEP_3) | instskip(NEXT) | instid1(VALU_DEP_2)
	v_cmp_lt_u32_e32 vcc_lo, 11, v81
	v_pk_add_f32 v[76:77], v[76:77], v[82:83]
	s_or_b32 s3, vcc_lo, s3
	s_delay_alu instid0(SALU_CYCLE_1)
	s_and_not1_b32 exec_lo, exec_lo, s3
	s_cbranch_execnz .LBB35_477
; %bb.478:
	s_or_b32 exec_lo, exec_lo, s3
.LBB35_479:
	s_delay_alu instid0(SALU_CYCLE_1) | instskip(SKIP_4) | instid1(VALU_DEP_1)
	s_or_b32 exec_lo, exec_lo, s2
	v_mov_b32_e32 v79, 0
	ds_load_b64 v[80:81], v79 offset:104
	s_wait_dscnt 0x0
	v_pk_mul_f32 v[82:83], v[76:77], v[80:81] op_sel:[1,1] op_sel_hi:[0,1]
	v_pk_fma_f32 v[84:85], v[76:77], v[80:81], v[82:83] op_sel_hi:[1,0,1]
	v_pk_fma_f32 v[76:77], v[76:77], v[80:81], v[82:83] neg_lo:[0,0,1] neg_hi:[0,0,1]
	s_delay_alu instid0(VALU_DEP_2)
	v_mov_b32_e32 v77, v85
	scratch_store_b64 off, v[76:77], off offset:104
.LBB35_480:
	s_wait_xcnt 0x0
	s_or_b32 exec_lo, exec_lo, s0
	scratch_load_b64 v[76:77], off, off offset:112
	s_mov_b32 s0, exec_lo
	s_wait_loadcnt 0x0
	ds_store_b64 v1, v[76:77]
	s_wait_storecnt_dscnt 0x0
	s_barrier_signal -1
	s_barrier_wait -1
	s_wait_xcnt 0x0
	v_cmpx_gt_u32_e32 14, v0
	s_cbranch_execz .LBB35_490
; %bb.481:
	v_cmp_ne_u32_e32 vcc_lo, 1, v78
	s_cbranch_vccnz .LBB35_483
; %bb.482:
	scratch_load_b64 v[76:77], v39, off
	ds_load_b64 v[80:81], v1
	s_wait_loadcnt_dscnt 0x0
	v_pk_mul_f32 v[82:83], v[80:81], v[76:77] op_sel:[1,1] op_sel_hi:[0,1]
	s_delay_alu instid0(VALU_DEP_1) | instskip(SKIP_1) | instid1(VALU_DEP_2)
	v_pk_fma_f32 v[84:85], v[80:81], v[76:77], v[82:83] op_sel_hi:[1,0,1]
	v_pk_fma_f32 v[76:77], v[80:81], v[76:77], v[82:83] neg_lo:[0,0,1] neg_hi:[0,0,1]
	v_mov_b32_e32 v77, v85
	s_cbranch_execz .LBB35_484
	s_branch .LBB35_485
.LBB35_483:
                                        ; implicit-def: $vgpr76_vgpr77
.LBB35_484:
	ds_load_b64 v[76:77], v1
.LBB35_485:
	s_mov_b32 s2, exec_lo
	v_cmpx_ne_u32_e32 13, v0
	s_cbranch_execz .LBB35_489
; %bb.486:
	v_add_nc_u32_e32 v79, 0x128, v38
	v_add3_u32 v80, 0, v38, 8
	v_mov_b32_e32 v81, v0
	s_mov_b32 s3, 0
.LBB35_487:                             ; =>This Inner Loop Header: Depth=1
	scratch_load_b64 v[82:83], v80, off
	ds_load_b64 v[84:85], v79
	s_wait_xcnt 0x0
	v_dual_add_nc_u32 v79, 8, v79 :: v_dual_add_nc_u32 v80, 8, v80
	s_wait_loadcnt_dscnt 0x0
	v_pk_mul_f32 v[86:87], v[84:85], v[82:83] op_sel:[1,1] op_sel_hi:[0,1]
	s_delay_alu instid0(VALU_DEP_1) | instskip(SKIP_2) | instid1(VALU_DEP_3)
	v_pk_fma_f32 v[88:89], v[84:85], v[82:83], v[86:87] op_sel_hi:[1,0,1]
	v_add_nc_u32_e32 v81, 1, v81
	v_pk_fma_f32 v[82:83], v[84:85], v[82:83], v[86:87] neg_lo:[0,0,1] neg_hi:[0,0,1]
	v_mov_b32_e32 v83, v89
	s_delay_alu instid0(VALU_DEP_3) | instskip(NEXT) | instid1(VALU_DEP_2)
	v_cmp_lt_u32_e32 vcc_lo, 12, v81
	v_pk_add_f32 v[76:77], v[76:77], v[82:83]
	s_or_b32 s3, vcc_lo, s3
	s_delay_alu instid0(SALU_CYCLE_1)
	s_and_not1_b32 exec_lo, exec_lo, s3
	s_cbranch_execnz .LBB35_487
; %bb.488:
	s_or_b32 exec_lo, exec_lo, s3
.LBB35_489:
	s_delay_alu instid0(SALU_CYCLE_1) | instskip(SKIP_4) | instid1(VALU_DEP_1)
	s_or_b32 exec_lo, exec_lo, s2
	v_mov_b32_e32 v79, 0
	ds_load_b64 v[80:81], v79 offset:112
	s_wait_dscnt 0x0
	v_pk_mul_f32 v[82:83], v[76:77], v[80:81] op_sel:[1,1] op_sel_hi:[0,1]
	v_pk_fma_f32 v[84:85], v[76:77], v[80:81], v[82:83] op_sel_hi:[1,0,1]
	v_pk_fma_f32 v[76:77], v[76:77], v[80:81], v[82:83] neg_lo:[0,0,1] neg_hi:[0,0,1]
	s_delay_alu instid0(VALU_DEP_2)
	v_mov_b32_e32 v77, v85
	scratch_store_b64 off, v[76:77], off offset:112
.LBB35_490:
	s_wait_xcnt 0x0
	s_or_b32 exec_lo, exec_lo, s0
	scratch_load_b64 v[76:77], off, off offset:120
	s_mov_b32 s0, exec_lo
	s_wait_loadcnt 0x0
	ds_store_b64 v1, v[76:77]
	s_wait_storecnt_dscnt 0x0
	s_barrier_signal -1
	s_barrier_wait -1
	s_wait_xcnt 0x0
	v_cmpx_gt_u32_e32 15, v0
	s_cbranch_execz .LBB35_500
; %bb.491:
	v_cmp_ne_u32_e32 vcc_lo, 1, v78
	s_cbranch_vccnz .LBB35_493
; %bb.492:
	scratch_load_b64 v[76:77], v39, off
	ds_load_b64 v[80:81], v1
	s_wait_loadcnt_dscnt 0x0
	v_pk_mul_f32 v[82:83], v[80:81], v[76:77] op_sel:[1,1] op_sel_hi:[0,1]
	s_delay_alu instid0(VALU_DEP_1) | instskip(SKIP_1) | instid1(VALU_DEP_2)
	v_pk_fma_f32 v[84:85], v[80:81], v[76:77], v[82:83] op_sel_hi:[1,0,1]
	v_pk_fma_f32 v[76:77], v[80:81], v[76:77], v[82:83] neg_lo:[0,0,1] neg_hi:[0,0,1]
	v_mov_b32_e32 v77, v85
	s_cbranch_execz .LBB35_494
	s_branch .LBB35_495
.LBB35_493:
                                        ; implicit-def: $vgpr76_vgpr77
.LBB35_494:
	ds_load_b64 v[76:77], v1
.LBB35_495:
	s_mov_b32 s2, exec_lo
	v_cmpx_ne_u32_e32 14, v0
	s_cbranch_execz .LBB35_499
; %bb.496:
	v_add_nc_u32_e32 v79, 0x128, v38
	v_add3_u32 v80, 0, v38, 8
	v_mov_b32_e32 v81, v0
	s_mov_b32 s3, 0
.LBB35_497:                             ; =>This Inner Loop Header: Depth=1
	scratch_load_b64 v[82:83], v80, off
	ds_load_b64 v[84:85], v79
	s_wait_xcnt 0x0
	v_dual_add_nc_u32 v79, 8, v79 :: v_dual_add_nc_u32 v80, 8, v80
	s_wait_loadcnt_dscnt 0x0
	v_pk_mul_f32 v[86:87], v[84:85], v[82:83] op_sel:[1,1] op_sel_hi:[0,1]
	s_delay_alu instid0(VALU_DEP_1) | instskip(SKIP_2) | instid1(VALU_DEP_3)
	v_pk_fma_f32 v[88:89], v[84:85], v[82:83], v[86:87] op_sel_hi:[1,0,1]
	v_add_nc_u32_e32 v81, 1, v81
	v_pk_fma_f32 v[82:83], v[84:85], v[82:83], v[86:87] neg_lo:[0,0,1] neg_hi:[0,0,1]
	v_mov_b32_e32 v83, v89
	s_delay_alu instid0(VALU_DEP_3) | instskip(NEXT) | instid1(VALU_DEP_2)
	v_cmp_lt_u32_e32 vcc_lo, 13, v81
	v_pk_add_f32 v[76:77], v[76:77], v[82:83]
	s_or_b32 s3, vcc_lo, s3
	s_delay_alu instid0(SALU_CYCLE_1)
	s_and_not1_b32 exec_lo, exec_lo, s3
	s_cbranch_execnz .LBB35_497
; %bb.498:
	s_or_b32 exec_lo, exec_lo, s3
.LBB35_499:
	s_delay_alu instid0(SALU_CYCLE_1) | instskip(SKIP_4) | instid1(VALU_DEP_1)
	s_or_b32 exec_lo, exec_lo, s2
	v_mov_b32_e32 v79, 0
	ds_load_b64 v[80:81], v79 offset:120
	s_wait_dscnt 0x0
	v_pk_mul_f32 v[82:83], v[76:77], v[80:81] op_sel:[1,1] op_sel_hi:[0,1]
	v_pk_fma_f32 v[84:85], v[76:77], v[80:81], v[82:83] op_sel_hi:[1,0,1]
	v_pk_fma_f32 v[76:77], v[76:77], v[80:81], v[82:83] neg_lo:[0,0,1] neg_hi:[0,0,1]
	s_delay_alu instid0(VALU_DEP_2)
	v_mov_b32_e32 v77, v85
	scratch_store_b64 off, v[76:77], off offset:120
.LBB35_500:
	s_wait_xcnt 0x0
	s_or_b32 exec_lo, exec_lo, s0
	scratch_load_b64 v[76:77], off, off offset:128
	s_mov_b32 s0, exec_lo
	s_wait_loadcnt 0x0
	ds_store_b64 v1, v[76:77]
	s_wait_storecnt_dscnt 0x0
	s_barrier_signal -1
	s_barrier_wait -1
	s_wait_xcnt 0x0
	v_cmpx_gt_u32_e32 16, v0
	s_cbranch_execz .LBB35_510
; %bb.501:
	v_cmp_ne_u32_e32 vcc_lo, 1, v78
	s_cbranch_vccnz .LBB35_503
; %bb.502:
	scratch_load_b64 v[76:77], v39, off
	ds_load_b64 v[80:81], v1
	s_wait_loadcnt_dscnt 0x0
	v_pk_mul_f32 v[82:83], v[80:81], v[76:77] op_sel:[1,1] op_sel_hi:[0,1]
	s_delay_alu instid0(VALU_DEP_1) | instskip(SKIP_1) | instid1(VALU_DEP_2)
	v_pk_fma_f32 v[84:85], v[80:81], v[76:77], v[82:83] op_sel_hi:[1,0,1]
	v_pk_fma_f32 v[76:77], v[80:81], v[76:77], v[82:83] neg_lo:[0,0,1] neg_hi:[0,0,1]
	v_mov_b32_e32 v77, v85
	s_cbranch_execz .LBB35_504
	s_branch .LBB35_505
.LBB35_503:
                                        ; implicit-def: $vgpr76_vgpr77
.LBB35_504:
	ds_load_b64 v[76:77], v1
.LBB35_505:
	s_mov_b32 s2, exec_lo
	v_cmpx_ne_u32_e32 15, v0
	s_cbranch_execz .LBB35_509
; %bb.506:
	v_add_nc_u32_e32 v79, 0x128, v38
	v_add3_u32 v80, 0, v38, 8
	v_mov_b32_e32 v81, v0
	s_mov_b32 s3, 0
.LBB35_507:                             ; =>This Inner Loop Header: Depth=1
	scratch_load_b64 v[82:83], v80, off
	ds_load_b64 v[84:85], v79
	s_wait_xcnt 0x0
	v_dual_add_nc_u32 v79, 8, v79 :: v_dual_add_nc_u32 v80, 8, v80
	s_wait_loadcnt_dscnt 0x0
	v_pk_mul_f32 v[86:87], v[84:85], v[82:83] op_sel:[1,1] op_sel_hi:[0,1]
	s_delay_alu instid0(VALU_DEP_1) | instskip(SKIP_2) | instid1(VALU_DEP_3)
	v_pk_fma_f32 v[88:89], v[84:85], v[82:83], v[86:87] op_sel_hi:[1,0,1]
	v_add_nc_u32_e32 v81, 1, v81
	v_pk_fma_f32 v[82:83], v[84:85], v[82:83], v[86:87] neg_lo:[0,0,1] neg_hi:[0,0,1]
	v_mov_b32_e32 v83, v89
	s_delay_alu instid0(VALU_DEP_3) | instskip(NEXT) | instid1(VALU_DEP_2)
	v_cmp_lt_u32_e32 vcc_lo, 14, v81
	v_pk_add_f32 v[76:77], v[76:77], v[82:83]
	s_or_b32 s3, vcc_lo, s3
	s_delay_alu instid0(SALU_CYCLE_1)
	s_and_not1_b32 exec_lo, exec_lo, s3
	s_cbranch_execnz .LBB35_507
; %bb.508:
	s_or_b32 exec_lo, exec_lo, s3
.LBB35_509:
	s_delay_alu instid0(SALU_CYCLE_1) | instskip(SKIP_4) | instid1(VALU_DEP_1)
	s_or_b32 exec_lo, exec_lo, s2
	v_mov_b32_e32 v79, 0
	ds_load_b64 v[80:81], v79 offset:128
	s_wait_dscnt 0x0
	v_pk_mul_f32 v[82:83], v[76:77], v[80:81] op_sel:[1,1] op_sel_hi:[0,1]
	v_pk_fma_f32 v[84:85], v[76:77], v[80:81], v[82:83] op_sel_hi:[1,0,1]
	v_pk_fma_f32 v[76:77], v[76:77], v[80:81], v[82:83] neg_lo:[0,0,1] neg_hi:[0,0,1]
	s_delay_alu instid0(VALU_DEP_2)
	v_mov_b32_e32 v77, v85
	scratch_store_b64 off, v[76:77], off offset:128
.LBB35_510:
	s_wait_xcnt 0x0
	s_or_b32 exec_lo, exec_lo, s0
	scratch_load_b64 v[76:77], off, off offset:136
	s_mov_b32 s0, exec_lo
	s_wait_loadcnt 0x0
	ds_store_b64 v1, v[76:77]
	s_wait_storecnt_dscnt 0x0
	s_barrier_signal -1
	s_barrier_wait -1
	s_wait_xcnt 0x0
	v_cmpx_gt_u32_e32 17, v0
	s_cbranch_execz .LBB35_520
; %bb.511:
	v_cmp_ne_u32_e32 vcc_lo, 1, v78
	s_cbranch_vccnz .LBB35_513
; %bb.512:
	scratch_load_b64 v[76:77], v39, off
	ds_load_b64 v[80:81], v1
	s_wait_loadcnt_dscnt 0x0
	v_pk_mul_f32 v[82:83], v[80:81], v[76:77] op_sel:[1,1] op_sel_hi:[0,1]
	s_delay_alu instid0(VALU_DEP_1) | instskip(SKIP_1) | instid1(VALU_DEP_2)
	v_pk_fma_f32 v[84:85], v[80:81], v[76:77], v[82:83] op_sel_hi:[1,0,1]
	v_pk_fma_f32 v[76:77], v[80:81], v[76:77], v[82:83] neg_lo:[0,0,1] neg_hi:[0,0,1]
	v_mov_b32_e32 v77, v85
	s_cbranch_execz .LBB35_514
	s_branch .LBB35_515
.LBB35_513:
                                        ; implicit-def: $vgpr76_vgpr77
.LBB35_514:
	ds_load_b64 v[76:77], v1
.LBB35_515:
	s_mov_b32 s2, exec_lo
	v_cmpx_ne_u32_e32 16, v0
	s_cbranch_execz .LBB35_519
; %bb.516:
	v_add_nc_u32_e32 v79, 0x128, v38
	v_add3_u32 v80, 0, v38, 8
	v_mov_b32_e32 v81, v0
	s_mov_b32 s3, 0
.LBB35_517:                             ; =>This Inner Loop Header: Depth=1
	scratch_load_b64 v[82:83], v80, off
	ds_load_b64 v[84:85], v79
	s_wait_xcnt 0x0
	v_dual_add_nc_u32 v79, 8, v79 :: v_dual_add_nc_u32 v80, 8, v80
	s_wait_loadcnt_dscnt 0x0
	v_pk_mul_f32 v[86:87], v[84:85], v[82:83] op_sel:[1,1] op_sel_hi:[0,1]
	s_delay_alu instid0(VALU_DEP_1) | instskip(SKIP_2) | instid1(VALU_DEP_3)
	v_pk_fma_f32 v[88:89], v[84:85], v[82:83], v[86:87] op_sel_hi:[1,0,1]
	v_add_nc_u32_e32 v81, 1, v81
	v_pk_fma_f32 v[82:83], v[84:85], v[82:83], v[86:87] neg_lo:[0,0,1] neg_hi:[0,0,1]
	v_mov_b32_e32 v83, v89
	s_delay_alu instid0(VALU_DEP_3) | instskip(NEXT) | instid1(VALU_DEP_2)
	v_cmp_lt_u32_e32 vcc_lo, 15, v81
	v_pk_add_f32 v[76:77], v[76:77], v[82:83]
	s_or_b32 s3, vcc_lo, s3
	s_delay_alu instid0(SALU_CYCLE_1)
	s_and_not1_b32 exec_lo, exec_lo, s3
	s_cbranch_execnz .LBB35_517
; %bb.518:
	s_or_b32 exec_lo, exec_lo, s3
.LBB35_519:
	s_delay_alu instid0(SALU_CYCLE_1) | instskip(SKIP_4) | instid1(VALU_DEP_1)
	s_or_b32 exec_lo, exec_lo, s2
	v_mov_b32_e32 v79, 0
	ds_load_b64 v[80:81], v79 offset:136
	s_wait_dscnt 0x0
	v_pk_mul_f32 v[82:83], v[76:77], v[80:81] op_sel:[1,1] op_sel_hi:[0,1]
	v_pk_fma_f32 v[84:85], v[76:77], v[80:81], v[82:83] op_sel_hi:[1,0,1]
	v_pk_fma_f32 v[76:77], v[76:77], v[80:81], v[82:83] neg_lo:[0,0,1] neg_hi:[0,0,1]
	s_delay_alu instid0(VALU_DEP_2)
	v_mov_b32_e32 v77, v85
	scratch_store_b64 off, v[76:77], off offset:136
.LBB35_520:
	s_wait_xcnt 0x0
	s_or_b32 exec_lo, exec_lo, s0
	scratch_load_b64 v[76:77], off, off offset:144
	s_mov_b32 s0, exec_lo
	s_wait_loadcnt 0x0
	ds_store_b64 v1, v[76:77]
	s_wait_storecnt_dscnt 0x0
	s_barrier_signal -1
	s_barrier_wait -1
	s_wait_xcnt 0x0
	v_cmpx_gt_u32_e32 18, v0
	s_cbranch_execz .LBB35_530
; %bb.521:
	v_cmp_ne_u32_e32 vcc_lo, 1, v78
	s_cbranch_vccnz .LBB35_523
; %bb.522:
	scratch_load_b64 v[76:77], v39, off
	ds_load_b64 v[80:81], v1
	s_wait_loadcnt_dscnt 0x0
	v_pk_mul_f32 v[82:83], v[80:81], v[76:77] op_sel:[1,1] op_sel_hi:[0,1]
	s_delay_alu instid0(VALU_DEP_1) | instskip(SKIP_1) | instid1(VALU_DEP_2)
	v_pk_fma_f32 v[84:85], v[80:81], v[76:77], v[82:83] op_sel_hi:[1,0,1]
	v_pk_fma_f32 v[76:77], v[80:81], v[76:77], v[82:83] neg_lo:[0,0,1] neg_hi:[0,0,1]
	v_mov_b32_e32 v77, v85
	s_cbranch_execz .LBB35_524
	s_branch .LBB35_525
.LBB35_523:
                                        ; implicit-def: $vgpr76_vgpr77
.LBB35_524:
	ds_load_b64 v[76:77], v1
.LBB35_525:
	s_mov_b32 s2, exec_lo
	v_cmpx_ne_u32_e32 17, v0
	s_cbranch_execz .LBB35_529
; %bb.526:
	v_add_nc_u32_e32 v79, 0x128, v38
	v_add3_u32 v80, 0, v38, 8
	v_mov_b32_e32 v81, v0
	s_mov_b32 s3, 0
.LBB35_527:                             ; =>This Inner Loop Header: Depth=1
	scratch_load_b64 v[82:83], v80, off
	ds_load_b64 v[84:85], v79
	s_wait_xcnt 0x0
	v_dual_add_nc_u32 v79, 8, v79 :: v_dual_add_nc_u32 v80, 8, v80
	s_wait_loadcnt_dscnt 0x0
	v_pk_mul_f32 v[86:87], v[84:85], v[82:83] op_sel:[1,1] op_sel_hi:[0,1]
	s_delay_alu instid0(VALU_DEP_1) | instskip(SKIP_2) | instid1(VALU_DEP_3)
	v_pk_fma_f32 v[88:89], v[84:85], v[82:83], v[86:87] op_sel_hi:[1,0,1]
	v_add_nc_u32_e32 v81, 1, v81
	v_pk_fma_f32 v[82:83], v[84:85], v[82:83], v[86:87] neg_lo:[0,0,1] neg_hi:[0,0,1]
	v_mov_b32_e32 v83, v89
	s_delay_alu instid0(VALU_DEP_3) | instskip(NEXT) | instid1(VALU_DEP_2)
	v_cmp_lt_u32_e32 vcc_lo, 16, v81
	v_pk_add_f32 v[76:77], v[76:77], v[82:83]
	s_or_b32 s3, vcc_lo, s3
	s_delay_alu instid0(SALU_CYCLE_1)
	s_and_not1_b32 exec_lo, exec_lo, s3
	s_cbranch_execnz .LBB35_527
; %bb.528:
	s_or_b32 exec_lo, exec_lo, s3
.LBB35_529:
	s_delay_alu instid0(SALU_CYCLE_1) | instskip(SKIP_4) | instid1(VALU_DEP_1)
	s_or_b32 exec_lo, exec_lo, s2
	v_mov_b32_e32 v79, 0
	ds_load_b64 v[80:81], v79 offset:144
	s_wait_dscnt 0x0
	v_pk_mul_f32 v[82:83], v[76:77], v[80:81] op_sel:[1,1] op_sel_hi:[0,1]
	v_pk_fma_f32 v[84:85], v[76:77], v[80:81], v[82:83] op_sel_hi:[1,0,1]
	v_pk_fma_f32 v[76:77], v[76:77], v[80:81], v[82:83] neg_lo:[0,0,1] neg_hi:[0,0,1]
	s_delay_alu instid0(VALU_DEP_2)
	v_mov_b32_e32 v77, v85
	scratch_store_b64 off, v[76:77], off offset:144
.LBB35_530:
	s_wait_xcnt 0x0
	s_or_b32 exec_lo, exec_lo, s0
	scratch_load_b64 v[76:77], off, off offset:152
	s_mov_b32 s0, exec_lo
	s_wait_loadcnt 0x0
	ds_store_b64 v1, v[76:77]
	s_wait_storecnt_dscnt 0x0
	s_barrier_signal -1
	s_barrier_wait -1
	s_wait_xcnt 0x0
	v_cmpx_gt_u32_e32 19, v0
	s_cbranch_execz .LBB35_540
; %bb.531:
	v_cmp_ne_u32_e32 vcc_lo, 1, v78
	s_cbranch_vccnz .LBB35_533
; %bb.532:
	scratch_load_b64 v[76:77], v39, off
	ds_load_b64 v[80:81], v1
	s_wait_loadcnt_dscnt 0x0
	v_pk_mul_f32 v[82:83], v[80:81], v[76:77] op_sel:[1,1] op_sel_hi:[0,1]
	s_delay_alu instid0(VALU_DEP_1) | instskip(SKIP_1) | instid1(VALU_DEP_2)
	v_pk_fma_f32 v[84:85], v[80:81], v[76:77], v[82:83] op_sel_hi:[1,0,1]
	v_pk_fma_f32 v[76:77], v[80:81], v[76:77], v[82:83] neg_lo:[0,0,1] neg_hi:[0,0,1]
	v_mov_b32_e32 v77, v85
	s_cbranch_execz .LBB35_534
	s_branch .LBB35_535
.LBB35_533:
                                        ; implicit-def: $vgpr76_vgpr77
.LBB35_534:
	ds_load_b64 v[76:77], v1
.LBB35_535:
	s_mov_b32 s2, exec_lo
	v_cmpx_ne_u32_e32 18, v0
	s_cbranch_execz .LBB35_539
; %bb.536:
	v_add_nc_u32_e32 v79, 0x128, v38
	v_add3_u32 v80, 0, v38, 8
	v_mov_b32_e32 v81, v0
	s_mov_b32 s3, 0
.LBB35_537:                             ; =>This Inner Loop Header: Depth=1
	scratch_load_b64 v[82:83], v80, off
	ds_load_b64 v[84:85], v79
	s_wait_xcnt 0x0
	v_dual_add_nc_u32 v79, 8, v79 :: v_dual_add_nc_u32 v80, 8, v80
	s_wait_loadcnt_dscnt 0x0
	v_pk_mul_f32 v[86:87], v[84:85], v[82:83] op_sel:[1,1] op_sel_hi:[0,1]
	s_delay_alu instid0(VALU_DEP_1) | instskip(SKIP_2) | instid1(VALU_DEP_3)
	v_pk_fma_f32 v[88:89], v[84:85], v[82:83], v[86:87] op_sel_hi:[1,0,1]
	v_add_nc_u32_e32 v81, 1, v81
	v_pk_fma_f32 v[82:83], v[84:85], v[82:83], v[86:87] neg_lo:[0,0,1] neg_hi:[0,0,1]
	v_mov_b32_e32 v83, v89
	s_delay_alu instid0(VALU_DEP_3) | instskip(NEXT) | instid1(VALU_DEP_2)
	v_cmp_lt_u32_e32 vcc_lo, 17, v81
	v_pk_add_f32 v[76:77], v[76:77], v[82:83]
	s_or_b32 s3, vcc_lo, s3
	s_delay_alu instid0(SALU_CYCLE_1)
	s_and_not1_b32 exec_lo, exec_lo, s3
	s_cbranch_execnz .LBB35_537
; %bb.538:
	s_or_b32 exec_lo, exec_lo, s3
.LBB35_539:
	s_delay_alu instid0(SALU_CYCLE_1) | instskip(SKIP_4) | instid1(VALU_DEP_1)
	s_or_b32 exec_lo, exec_lo, s2
	v_mov_b32_e32 v79, 0
	ds_load_b64 v[80:81], v79 offset:152
	s_wait_dscnt 0x0
	v_pk_mul_f32 v[82:83], v[76:77], v[80:81] op_sel:[1,1] op_sel_hi:[0,1]
	v_pk_fma_f32 v[84:85], v[76:77], v[80:81], v[82:83] op_sel_hi:[1,0,1]
	v_pk_fma_f32 v[76:77], v[76:77], v[80:81], v[82:83] neg_lo:[0,0,1] neg_hi:[0,0,1]
	s_delay_alu instid0(VALU_DEP_2)
	v_mov_b32_e32 v77, v85
	scratch_store_b64 off, v[76:77], off offset:152
.LBB35_540:
	s_wait_xcnt 0x0
	s_or_b32 exec_lo, exec_lo, s0
	scratch_load_b64 v[76:77], off, off offset:160
	s_mov_b32 s0, exec_lo
	s_wait_loadcnt 0x0
	ds_store_b64 v1, v[76:77]
	s_wait_storecnt_dscnt 0x0
	s_barrier_signal -1
	s_barrier_wait -1
	s_wait_xcnt 0x0
	v_cmpx_gt_u32_e32 20, v0
	s_cbranch_execz .LBB35_550
; %bb.541:
	v_cmp_ne_u32_e32 vcc_lo, 1, v78
	s_cbranch_vccnz .LBB35_543
; %bb.542:
	scratch_load_b64 v[76:77], v39, off
	ds_load_b64 v[80:81], v1
	s_wait_loadcnt_dscnt 0x0
	v_pk_mul_f32 v[82:83], v[80:81], v[76:77] op_sel:[1,1] op_sel_hi:[0,1]
	s_delay_alu instid0(VALU_DEP_1) | instskip(SKIP_1) | instid1(VALU_DEP_2)
	v_pk_fma_f32 v[84:85], v[80:81], v[76:77], v[82:83] op_sel_hi:[1,0,1]
	v_pk_fma_f32 v[76:77], v[80:81], v[76:77], v[82:83] neg_lo:[0,0,1] neg_hi:[0,0,1]
	v_mov_b32_e32 v77, v85
	s_cbranch_execz .LBB35_544
	s_branch .LBB35_545
.LBB35_543:
                                        ; implicit-def: $vgpr76_vgpr77
.LBB35_544:
	ds_load_b64 v[76:77], v1
.LBB35_545:
	s_mov_b32 s2, exec_lo
	v_cmpx_ne_u32_e32 19, v0
	s_cbranch_execz .LBB35_549
; %bb.546:
	v_add_nc_u32_e32 v79, 0x128, v38
	v_add3_u32 v80, 0, v38, 8
	v_mov_b32_e32 v81, v0
	s_mov_b32 s3, 0
.LBB35_547:                             ; =>This Inner Loop Header: Depth=1
	scratch_load_b64 v[82:83], v80, off
	ds_load_b64 v[84:85], v79
	s_wait_xcnt 0x0
	v_dual_add_nc_u32 v79, 8, v79 :: v_dual_add_nc_u32 v80, 8, v80
	s_wait_loadcnt_dscnt 0x0
	v_pk_mul_f32 v[86:87], v[84:85], v[82:83] op_sel:[1,1] op_sel_hi:[0,1]
	s_delay_alu instid0(VALU_DEP_1) | instskip(SKIP_2) | instid1(VALU_DEP_3)
	v_pk_fma_f32 v[88:89], v[84:85], v[82:83], v[86:87] op_sel_hi:[1,0,1]
	v_add_nc_u32_e32 v81, 1, v81
	v_pk_fma_f32 v[82:83], v[84:85], v[82:83], v[86:87] neg_lo:[0,0,1] neg_hi:[0,0,1]
	v_mov_b32_e32 v83, v89
	s_delay_alu instid0(VALU_DEP_3) | instskip(NEXT) | instid1(VALU_DEP_2)
	v_cmp_lt_u32_e32 vcc_lo, 18, v81
	v_pk_add_f32 v[76:77], v[76:77], v[82:83]
	s_or_b32 s3, vcc_lo, s3
	s_delay_alu instid0(SALU_CYCLE_1)
	s_and_not1_b32 exec_lo, exec_lo, s3
	s_cbranch_execnz .LBB35_547
; %bb.548:
	s_or_b32 exec_lo, exec_lo, s3
.LBB35_549:
	s_delay_alu instid0(SALU_CYCLE_1) | instskip(SKIP_4) | instid1(VALU_DEP_1)
	s_or_b32 exec_lo, exec_lo, s2
	v_mov_b32_e32 v79, 0
	ds_load_b64 v[80:81], v79 offset:160
	s_wait_dscnt 0x0
	v_pk_mul_f32 v[82:83], v[76:77], v[80:81] op_sel:[1,1] op_sel_hi:[0,1]
	v_pk_fma_f32 v[84:85], v[76:77], v[80:81], v[82:83] op_sel_hi:[1,0,1]
	v_pk_fma_f32 v[76:77], v[76:77], v[80:81], v[82:83] neg_lo:[0,0,1] neg_hi:[0,0,1]
	s_delay_alu instid0(VALU_DEP_2)
	v_mov_b32_e32 v77, v85
	scratch_store_b64 off, v[76:77], off offset:160
.LBB35_550:
	s_wait_xcnt 0x0
	s_or_b32 exec_lo, exec_lo, s0
	scratch_load_b64 v[76:77], off, off offset:168
	s_mov_b32 s0, exec_lo
	s_wait_loadcnt 0x0
	ds_store_b64 v1, v[76:77]
	s_wait_storecnt_dscnt 0x0
	s_barrier_signal -1
	s_barrier_wait -1
	s_wait_xcnt 0x0
	v_cmpx_gt_u32_e32 21, v0
	s_cbranch_execz .LBB35_560
; %bb.551:
	v_cmp_ne_u32_e32 vcc_lo, 1, v78
	s_cbranch_vccnz .LBB35_553
; %bb.552:
	scratch_load_b64 v[76:77], v39, off
	ds_load_b64 v[80:81], v1
	s_wait_loadcnt_dscnt 0x0
	v_pk_mul_f32 v[82:83], v[80:81], v[76:77] op_sel:[1,1] op_sel_hi:[0,1]
	s_delay_alu instid0(VALU_DEP_1) | instskip(SKIP_1) | instid1(VALU_DEP_2)
	v_pk_fma_f32 v[84:85], v[80:81], v[76:77], v[82:83] op_sel_hi:[1,0,1]
	v_pk_fma_f32 v[76:77], v[80:81], v[76:77], v[82:83] neg_lo:[0,0,1] neg_hi:[0,0,1]
	v_mov_b32_e32 v77, v85
	s_cbranch_execz .LBB35_554
	s_branch .LBB35_555
.LBB35_553:
                                        ; implicit-def: $vgpr76_vgpr77
.LBB35_554:
	ds_load_b64 v[76:77], v1
.LBB35_555:
	s_mov_b32 s2, exec_lo
	v_cmpx_ne_u32_e32 20, v0
	s_cbranch_execz .LBB35_559
; %bb.556:
	v_add_nc_u32_e32 v79, 0x128, v38
	v_add3_u32 v80, 0, v38, 8
	v_mov_b32_e32 v81, v0
	s_mov_b32 s3, 0
.LBB35_557:                             ; =>This Inner Loop Header: Depth=1
	scratch_load_b64 v[82:83], v80, off
	ds_load_b64 v[84:85], v79
	s_wait_xcnt 0x0
	v_dual_add_nc_u32 v79, 8, v79 :: v_dual_add_nc_u32 v80, 8, v80
	s_wait_loadcnt_dscnt 0x0
	v_pk_mul_f32 v[86:87], v[84:85], v[82:83] op_sel:[1,1] op_sel_hi:[0,1]
	s_delay_alu instid0(VALU_DEP_1) | instskip(SKIP_2) | instid1(VALU_DEP_3)
	v_pk_fma_f32 v[88:89], v[84:85], v[82:83], v[86:87] op_sel_hi:[1,0,1]
	v_add_nc_u32_e32 v81, 1, v81
	v_pk_fma_f32 v[82:83], v[84:85], v[82:83], v[86:87] neg_lo:[0,0,1] neg_hi:[0,0,1]
	v_mov_b32_e32 v83, v89
	s_delay_alu instid0(VALU_DEP_3) | instskip(NEXT) | instid1(VALU_DEP_2)
	v_cmp_lt_u32_e32 vcc_lo, 19, v81
	v_pk_add_f32 v[76:77], v[76:77], v[82:83]
	s_or_b32 s3, vcc_lo, s3
	s_delay_alu instid0(SALU_CYCLE_1)
	s_and_not1_b32 exec_lo, exec_lo, s3
	s_cbranch_execnz .LBB35_557
; %bb.558:
	s_or_b32 exec_lo, exec_lo, s3
.LBB35_559:
	s_delay_alu instid0(SALU_CYCLE_1) | instskip(SKIP_4) | instid1(VALU_DEP_1)
	s_or_b32 exec_lo, exec_lo, s2
	v_mov_b32_e32 v79, 0
	ds_load_b64 v[80:81], v79 offset:168
	s_wait_dscnt 0x0
	v_pk_mul_f32 v[82:83], v[76:77], v[80:81] op_sel:[1,1] op_sel_hi:[0,1]
	v_pk_fma_f32 v[84:85], v[76:77], v[80:81], v[82:83] op_sel_hi:[1,0,1]
	v_pk_fma_f32 v[76:77], v[76:77], v[80:81], v[82:83] neg_lo:[0,0,1] neg_hi:[0,0,1]
	s_delay_alu instid0(VALU_DEP_2)
	v_mov_b32_e32 v77, v85
	scratch_store_b64 off, v[76:77], off offset:168
.LBB35_560:
	s_wait_xcnt 0x0
	s_or_b32 exec_lo, exec_lo, s0
	scratch_load_b64 v[76:77], off, off offset:176
	s_mov_b32 s0, exec_lo
	s_wait_loadcnt 0x0
	ds_store_b64 v1, v[76:77]
	s_wait_storecnt_dscnt 0x0
	s_barrier_signal -1
	s_barrier_wait -1
	s_wait_xcnt 0x0
	v_cmpx_gt_u32_e32 22, v0
	s_cbranch_execz .LBB35_570
; %bb.561:
	v_cmp_ne_u32_e32 vcc_lo, 1, v78
	s_cbranch_vccnz .LBB35_563
; %bb.562:
	scratch_load_b64 v[76:77], v39, off
	ds_load_b64 v[80:81], v1
	s_wait_loadcnt_dscnt 0x0
	v_pk_mul_f32 v[82:83], v[80:81], v[76:77] op_sel:[1,1] op_sel_hi:[0,1]
	s_delay_alu instid0(VALU_DEP_1) | instskip(SKIP_1) | instid1(VALU_DEP_2)
	v_pk_fma_f32 v[84:85], v[80:81], v[76:77], v[82:83] op_sel_hi:[1,0,1]
	v_pk_fma_f32 v[76:77], v[80:81], v[76:77], v[82:83] neg_lo:[0,0,1] neg_hi:[0,0,1]
	v_mov_b32_e32 v77, v85
	s_cbranch_execz .LBB35_564
	s_branch .LBB35_565
.LBB35_563:
                                        ; implicit-def: $vgpr76_vgpr77
.LBB35_564:
	ds_load_b64 v[76:77], v1
.LBB35_565:
	s_mov_b32 s2, exec_lo
	v_cmpx_ne_u32_e32 21, v0
	s_cbranch_execz .LBB35_569
; %bb.566:
	v_add_nc_u32_e32 v79, 0x128, v38
	v_add3_u32 v80, 0, v38, 8
	v_mov_b32_e32 v81, v0
	s_mov_b32 s3, 0
.LBB35_567:                             ; =>This Inner Loop Header: Depth=1
	scratch_load_b64 v[82:83], v80, off
	ds_load_b64 v[84:85], v79
	s_wait_xcnt 0x0
	v_dual_add_nc_u32 v79, 8, v79 :: v_dual_add_nc_u32 v80, 8, v80
	s_wait_loadcnt_dscnt 0x0
	v_pk_mul_f32 v[86:87], v[84:85], v[82:83] op_sel:[1,1] op_sel_hi:[0,1]
	s_delay_alu instid0(VALU_DEP_1) | instskip(SKIP_2) | instid1(VALU_DEP_3)
	v_pk_fma_f32 v[88:89], v[84:85], v[82:83], v[86:87] op_sel_hi:[1,0,1]
	v_add_nc_u32_e32 v81, 1, v81
	v_pk_fma_f32 v[82:83], v[84:85], v[82:83], v[86:87] neg_lo:[0,0,1] neg_hi:[0,0,1]
	v_mov_b32_e32 v83, v89
	s_delay_alu instid0(VALU_DEP_3) | instskip(NEXT) | instid1(VALU_DEP_2)
	v_cmp_lt_u32_e32 vcc_lo, 20, v81
	v_pk_add_f32 v[76:77], v[76:77], v[82:83]
	s_or_b32 s3, vcc_lo, s3
	s_delay_alu instid0(SALU_CYCLE_1)
	s_and_not1_b32 exec_lo, exec_lo, s3
	s_cbranch_execnz .LBB35_567
; %bb.568:
	s_or_b32 exec_lo, exec_lo, s3
.LBB35_569:
	s_delay_alu instid0(SALU_CYCLE_1) | instskip(SKIP_4) | instid1(VALU_DEP_1)
	s_or_b32 exec_lo, exec_lo, s2
	v_mov_b32_e32 v79, 0
	ds_load_b64 v[80:81], v79 offset:176
	s_wait_dscnt 0x0
	v_pk_mul_f32 v[82:83], v[76:77], v[80:81] op_sel:[1,1] op_sel_hi:[0,1]
	v_pk_fma_f32 v[84:85], v[76:77], v[80:81], v[82:83] op_sel_hi:[1,0,1]
	v_pk_fma_f32 v[76:77], v[76:77], v[80:81], v[82:83] neg_lo:[0,0,1] neg_hi:[0,0,1]
	s_delay_alu instid0(VALU_DEP_2)
	v_mov_b32_e32 v77, v85
	scratch_store_b64 off, v[76:77], off offset:176
.LBB35_570:
	s_wait_xcnt 0x0
	s_or_b32 exec_lo, exec_lo, s0
	scratch_load_b64 v[76:77], off, off offset:184
	s_mov_b32 s0, exec_lo
	s_wait_loadcnt 0x0
	ds_store_b64 v1, v[76:77]
	s_wait_storecnt_dscnt 0x0
	s_barrier_signal -1
	s_barrier_wait -1
	s_wait_xcnt 0x0
	v_cmpx_gt_u32_e32 23, v0
	s_cbranch_execz .LBB35_580
; %bb.571:
	v_cmp_ne_u32_e32 vcc_lo, 1, v78
	s_cbranch_vccnz .LBB35_573
; %bb.572:
	scratch_load_b64 v[76:77], v39, off
	ds_load_b64 v[80:81], v1
	s_wait_loadcnt_dscnt 0x0
	v_pk_mul_f32 v[82:83], v[80:81], v[76:77] op_sel:[1,1] op_sel_hi:[0,1]
	s_delay_alu instid0(VALU_DEP_1) | instskip(SKIP_1) | instid1(VALU_DEP_2)
	v_pk_fma_f32 v[84:85], v[80:81], v[76:77], v[82:83] op_sel_hi:[1,0,1]
	v_pk_fma_f32 v[76:77], v[80:81], v[76:77], v[82:83] neg_lo:[0,0,1] neg_hi:[0,0,1]
	v_mov_b32_e32 v77, v85
	s_cbranch_execz .LBB35_574
	s_branch .LBB35_575
.LBB35_573:
                                        ; implicit-def: $vgpr76_vgpr77
.LBB35_574:
	ds_load_b64 v[76:77], v1
.LBB35_575:
	s_mov_b32 s2, exec_lo
	v_cmpx_ne_u32_e32 22, v0
	s_cbranch_execz .LBB35_579
; %bb.576:
	v_add_nc_u32_e32 v79, 0x128, v38
	v_add3_u32 v80, 0, v38, 8
	v_mov_b32_e32 v81, v0
	s_mov_b32 s3, 0
.LBB35_577:                             ; =>This Inner Loop Header: Depth=1
	scratch_load_b64 v[82:83], v80, off
	ds_load_b64 v[84:85], v79
	s_wait_xcnt 0x0
	v_dual_add_nc_u32 v79, 8, v79 :: v_dual_add_nc_u32 v80, 8, v80
	s_wait_loadcnt_dscnt 0x0
	v_pk_mul_f32 v[86:87], v[84:85], v[82:83] op_sel:[1,1] op_sel_hi:[0,1]
	s_delay_alu instid0(VALU_DEP_1) | instskip(SKIP_2) | instid1(VALU_DEP_3)
	v_pk_fma_f32 v[88:89], v[84:85], v[82:83], v[86:87] op_sel_hi:[1,0,1]
	v_add_nc_u32_e32 v81, 1, v81
	v_pk_fma_f32 v[82:83], v[84:85], v[82:83], v[86:87] neg_lo:[0,0,1] neg_hi:[0,0,1]
	v_mov_b32_e32 v83, v89
	s_delay_alu instid0(VALU_DEP_3) | instskip(NEXT) | instid1(VALU_DEP_2)
	v_cmp_lt_u32_e32 vcc_lo, 21, v81
	v_pk_add_f32 v[76:77], v[76:77], v[82:83]
	s_or_b32 s3, vcc_lo, s3
	s_delay_alu instid0(SALU_CYCLE_1)
	s_and_not1_b32 exec_lo, exec_lo, s3
	s_cbranch_execnz .LBB35_577
; %bb.578:
	s_or_b32 exec_lo, exec_lo, s3
.LBB35_579:
	s_delay_alu instid0(SALU_CYCLE_1) | instskip(SKIP_4) | instid1(VALU_DEP_1)
	s_or_b32 exec_lo, exec_lo, s2
	v_mov_b32_e32 v79, 0
	ds_load_b64 v[80:81], v79 offset:184
	s_wait_dscnt 0x0
	v_pk_mul_f32 v[82:83], v[76:77], v[80:81] op_sel:[1,1] op_sel_hi:[0,1]
	v_pk_fma_f32 v[84:85], v[76:77], v[80:81], v[82:83] op_sel_hi:[1,0,1]
	v_pk_fma_f32 v[76:77], v[76:77], v[80:81], v[82:83] neg_lo:[0,0,1] neg_hi:[0,0,1]
	s_delay_alu instid0(VALU_DEP_2)
	v_mov_b32_e32 v77, v85
	scratch_store_b64 off, v[76:77], off offset:184
.LBB35_580:
	s_wait_xcnt 0x0
	s_or_b32 exec_lo, exec_lo, s0
	scratch_load_b64 v[76:77], off, off offset:192
	s_mov_b32 s0, exec_lo
	s_wait_loadcnt 0x0
	ds_store_b64 v1, v[76:77]
	s_wait_storecnt_dscnt 0x0
	s_barrier_signal -1
	s_barrier_wait -1
	s_wait_xcnt 0x0
	v_cmpx_gt_u32_e32 24, v0
	s_cbranch_execz .LBB35_590
; %bb.581:
	v_cmp_ne_u32_e32 vcc_lo, 1, v78
	s_cbranch_vccnz .LBB35_583
; %bb.582:
	scratch_load_b64 v[76:77], v39, off
	ds_load_b64 v[80:81], v1
	s_wait_loadcnt_dscnt 0x0
	v_pk_mul_f32 v[82:83], v[80:81], v[76:77] op_sel:[1,1] op_sel_hi:[0,1]
	s_delay_alu instid0(VALU_DEP_1) | instskip(SKIP_1) | instid1(VALU_DEP_2)
	v_pk_fma_f32 v[84:85], v[80:81], v[76:77], v[82:83] op_sel_hi:[1,0,1]
	v_pk_fma_f32 v[76:77], v[80:81], v[76:77], v[82:83] neg_lo:[0,0,1] neg_hi:[0,0,1]
	v_mov_b32_e32 v77, v85
	s_cbranch_execz .LBB35_584
	s_branch .LBB35_585
.LBB35_583:
                                        ; implicit-def: $vgpr76_vgpr77
.LBB35_584:
	ds_load_b64 v[76:77], v1
.LBB35_585:
	s_mov_b32 s2, exec_lo
	v_cmpx_ne_u32_e32 23, v0
	s_cbranch_execz .LBB35_589
; %bb.586:
	v_add_nc_u32_e32 v79, 0x128, v38
	v_add3_u32 v80, 0, v38, 8
	v_mov_b32_e32 v81, v0
	s_mov_b32 s3, 0
.LBB35_587:                             ; =>This Inner Loop Header: Depth=1
	scratch_load_b64 v[82:83], v80, off
	ds_load_b64 v[84:85], v79
	s_wait_xcnt 0x0
	v_dual_add_nc_u32 v79, 8, v79 :: v_dual_add_nc_u32 v80, 8, v80
	s_wait_loadcnt_dscnt 0x0
	v_pk_mul_f32 v[86:87], v[84:85], v[82:83] op_sel:[1,1] op_sel_hi:[0,1]
	s_delay_alu instid0(VALU_DEP_1) | instskip(SKIP_2) | instid1(VALU_DEP_3)
	v_pk_fma_f32 v[88:89], v[84:85], v[82:83], v[86:87] op_sel_hi:[1,0,1]
	v_add_nc_u32_e32 v81, 1, v81
	v_pk_fma_f32 v[82:83], v[84:85], v[82:83], v[86:87] neg_lo:[0,0,1] neg_hi:[0,0,1]
	v_mov_b32_e32 v83, v89
	s_delay_alu instid0(VALU_DEP_3) | instskip(NEXT) | instid1(VALU_DEP_2)
	v_cmp_lt_u32_e32 vcc_lo, 22, v81
	v_pk_add_f32 v[76:77], v[76:77], v[82:83]
	s_or_b32 s3, vcc_lo, s3
	s_delay_alu instid0(SALU_CYCLE_1)
	s_and_not1_b32 exec_lo, exec_lo, s3
	s_cbranch_execnz .LBB35_587
; %bb.588:
	s_or_b32 exec_lo, exec_lo, s3
.LBB35_589:
	s_delay_alu instid0(SALU_CYCLE_1) | instskip(SKIP_4) | instid1(VALU_DEP_1)
	s_or_b32 exec_lo, exec_lo, s2
	v_mov_b32_e32 v79, 0
	ds_load_b64 v[80:81], v79 offset:192
	s_wait_dscnt 0x0
	v_pk_mul_f32 v[82:83], v[76:77], v[80:81] op_sel:[1,1] op_sel_hi:[0,1]
	v_pk_fma_f32 v[84:85], v[76:77], v[80:81], v[82:83] op_sel_hi:[1,0,1]
	v_pk_fma_f32 v[76:77], v[76:77], v[80:81], v[82:83] neg_lo:[0,0,1] neg_hi:[0,0,1]
	s_delay_alu instid0(VALU_DEP_2)
	v_mov_b32_e32 v77, v85
	scratch_store_b64 off, v[76:77], off offset:192
.LBB35_590:
	s_wait_xcnt 0x0
	s_or_b32 exec_lo, exec_lo, s0
	scratch_load_b64 v[76:77], off, off offset:200
	s_mov_b32 s0, exec_lo
	s_wait_loadcnt 0x0
	ds_store_b64 v1, v[76:77]
	s_wait_storecnt_dscnt 0x0
	s_barrier_signal -1
	s_barrier_wait -1
	s_wait_xcnt 0x0
	v_cmpx_gt_u32_e32 25, v0
	s_cbranch_execz .LBB35_600
; %bb.591:
	v_cmp_ne_u32_e32 vcc_lo, 1, v78
	s_cbranch_vccnz .LBB35_593
; %bb.592:
	scratch_load_b64 v[76:77], v39, off
	ds_load_b64 v[80:81], v1
	s_wait_loadcnt_dscnt 0x0
	v_pk_mul_f32 v[82:83], v[80:81], v[76:77] op_sel:[1,1] op_sel_hi:[0,1]
	s_delay_alu instid0(VALU_DEP_1) | instskip(SKIP_1) | instid1(VALU_DEP_2)
	v_pk_fma_f32 v[84:85], v[80:81], v[76:77], v[82:83] op_sel_hi:[1,0,1]
	v_pk_fma_f32 v[76:77], v[80:81], v[76:77], v[82:83] neg_lo:[0,0,1] neg_hi:[0,0,1]
	v_mov_b32_e32 v77, v85
	s_cbranch_execz .LBB35_594
	s_branch .LBB35_595
.LBB35_593:
                                        ; implicit-def: $vgpr76_vgpr77
.LBB35_594:
	ds_load_b64 v[76:77], v1
.LBB35_595:
	s_mov_b32 s2, exec_lo
	v_cmpx_ne_u32_e32 24, v0
	s_cbranch_execz .LBB35_599
; %bb.596:
	v_add_nc_u32_e32 v79, 0x128, v38
	v_add3_u32 v80, 0, v38, 8
	v_mov_b32_e32 v81, v0
	s_mov_b32 s3, 0
.LBB35_597:                             ; =>This Inner Loop Header: Depth=1
	scratch_load_b64 v[82:83], v80, off
	ds_load_b64 v[84:85], v79
	s_wait_xcnt 0x0
	v_dual_add_nc_u32 v79, 8, v79 :: v_dual_add_nc_u32 v80, 8, v80
	s_wait_loadcnt_dscnt 0x0
	v_pk_mul_f32 v[86:87], v[84:85], v[82:83] op_sel:[1,1] op_sel_hi:[0,1]
	s_delay_alu instid0(VALU_DEP_1) | instskip(SKIP_2) | instid1(VALU_DEP_3)
	v_pk_fma_f32 v[88:89], v[84:85], v[82:83], v[86:87] op_sel_hi:[1,0,1]
	v_add_nc_u32_e32 v81, 1, v81
	v_pk_fma_f32 v[82:83], v[84:85], v[82:83], v[86:87] neg_lo:[0,0,1] neg_hi:[0,0,1]
	v_mov_b32_e32 v83, v89
	s_delay_alu instid0(VALU_DEP_3) | instskip(NEXT) | instid1(VALU_DEP_2)
	v_cmp_lt_u32_e32 vcc_lo, 23, v81
	v_pk_add_f32 v[76:77], v[76:77], v[82:83]
	s_or_b32 s3, vcc_lo, s3
	s_delay_alu instid0(SALU_CYCLE_1)
	s_and_not1_b32 exec_lo, exec_lo, s3
	s_cbranch_execnz .LBB35_597
; %bb.598:
	s_or_b32 exec_lo, exec_lo, s3
.LBB35_599:
	s_delay_alu instid0(SALU_CYCLE_1) | instskip(SKIP_4) | instid1(VALU_DEP_1)
	s_or_b32 exec_lo, exec_lo, s2
	v_mov_b32_e32 v79, 0
	ds_load_b64 v[80:81], v79 offset:200
	s_wait_dscnt 0x0
	v_pk_mul_f32 v[82:83], v[76:77], v[80:81] op_sel:[1,1] op_sel_hi:[0,1]
	v_pk_fma_f32 v[84:85], v[76:77], v[80:81], v[82:83] op_sel_hi:[1,0,1]
	v_pk_fma_f32 v[76:77], v[76:77], v[80:81], v[82:83] neg_lo:[0,0,1] neg_hi:[0,0,1]
	s_delay_alu instid0(VALU_DEP_2)
	v_mov_b32_e32 v77, v85
	scratch_store_b64 off, v[76:77], off offset:200
.LBB35_600:
	s_wait_xcnt 0x0
	s_or_b32 exec_lo, exec_lo, s0
	scratch_load_b64 v[76:77], off, off offset:208
	s_mov_b32 s0, exec_lo
	s_wait_loadcnt 0x0
	ds_store_b64 v1, v[76:77]
	s_wait_storecnt_dscnt 0x0
	s_barrier_signal -1
	s_barrier_wait -1
	s_wait_xcnt 0x0
	v_cmpx_gt_u32_e32 26, v0
	s_cbranch_execz .LBB35_610
; %bb.601:
	v_cmp_ne_u32_e32 vcc_lo, 1, v78
	s_cbranch_vccnz .LBB35_603
; %bb.602:
	scratch_load_b64 v[76:77], v39, off
	ds_load_b64 v[80:81], v1
	s_wait_loadcnt_dscnt 0x0
	v_pk_mul_f32 v[82:83], v[80:81], v[76:77] op_sel:[1,1] op_sel_hi:[0,1]
	s_delay_alu instid0(VALU_DEP_1) | instskip(SKIP_1) | instid1(VALU_DEP_2)
	v_pk_fma_f32 v[84:85], v[80:81], v[76:77], v[82:83] op_sel_hi:[1,0,1]
	v_pk_fma_f32 v[76:77], v[80:81], v[76:77], v[82:83] neg_lo:[0,0,1] neg_hi:[0,0,1]
	v_mov_b32_e32 v77, v85
	s_cbranch_execz .LBB35_604
	s_branch .LBB35_605
.LBB35_603:
                                        ; implicit-def: $vgpr76_vgpr77
.LBB35_604:
	ds_load_b64 v[76:77], v1
.LBB35_605:
	s_mov_b32 s2, exec_lo
	v_cmpx_ne_u32_e32 25, v0
	s_cbranch_execz .LBB35_609
; %bb.606:
	v_add_nc_u32_e32 v79, 0x128, v38
	v_add3_u32 v80, 0, v38, 8
	v_mov_b32_e32 v81, v0
	s_mov_b32 s3, 0
.LBB35_607:                             ; =>This Inner Loop Header: Depth=1
	scratch_load_b64 v[82:83], v80, off
	ds_load_b64 v[84:85], v79
	s_wait_xcnt 0x0
	v_dual_add_nc_u32 v79, 8, v79 :: v_dual_add_nc_u32 v80, 8, v80
	s_wait_loadcnt_dscnt 0x0
	v_pk_mul_f32 v[86:87], v[84:85], v[82:83] op_sel:[1,1] op_sel_hi:[0,1]
	s_delay_alu instid0(VALU_DEP_1) | instskip(SKIP_2) | instid1(VALU_DEP_3)
	v_pk_fma_f32 v[88:89], v[84:85], v[82:83], v[86:87] op_sel_hi:[1,0,1]
	v_add_nc_u32_e32 v81, 1, v81
	v_pk_fma_f32 v[82:83], v[84:85], v[82:83], v[86:87] neg_lo:[0,0,1] neg_hi:[0,0,1]
	v_mov_b32_e32 v83, v89
	s_delay_alu instid0(VALU_DEP_3) | instskip(NEXT) | instid1(VALU_DEP_2)
	v_cmp_lt_u32_e32 vcc_lo, 24, v81
	v_pk_add_f32 v[76:77], v[76:77], v[82:83]
	s_or_b32 s3, vcc_lo, s3
	s_delay_alu instid0(SALU_CYCLE_1)
	s_and_not1_b32 exec_lo, exec_lo, s3
	s_cbranch_execnz .LBB35_607
; %bb.608:
	s_or_b32 exec_lo, exec_lo, s3
.LBB35_609:
	s_delay_alu instid0(SALU_CYCLE_1) | instskip(SKIP_4) | instid1(VALU_DEP_1)
	s_or_b32 exec_lo, exec_lo, s2
	v_mov_b32_e32 v79, 0
	ds_load_b64 v[80:81], v79 offset:208
	s_wait_dscnt 0x0
	v_pk_mul_f32 v[82:83], v[76:77], v[80:81] op_sel:[1,1] op_sel_hi:[0,1]
	v_pk_fma_f32 v[84:85], v[76:77], v[80:81], v[82:83] op_sel_hi:[1,0,1]
	v_pk_fma_f32 v[76:77], v[76:77], v[80:81], v[82:83] neg_lo:[0,0,1] neg_hi:[0,0,1]
	s_delay_alu instid0(VALU_DEP_2)
	v_mov_b32_e32 v77, v85
	scratch_store_b64 off, v[76:77], off offset:208
.LBB35_610:
	s_wait_xcnt 0x0
	s_or_b32 exec_lo, exec_lo, s0
	scratch_load_b64 v[76:77], off, off offset:216
	s_mov_b32 s0, exec_lo
	s_wait_loadcnt 0x0
	ds_store_b64 v1, v[76:77]
	s_wait_storecnt_dscnt 0x0
	s_barrier_signal -1
	s_barrier_wait -1
	s_wait_xcnt 0x0
	v_cmpx_gt_u32_e32 27, v0
	s_cbranch_execz .LBB35_620
; %bb.611:
	v_cmp_ne_u32_e32 vcc_lo, 1, v78
	s_cbranch_vccnz .LBB35_613
; %bb.612:
	scratch_load_b64 v[76:77], v39, off
	ds_load_b64 v[80:81], v1
	s_wait_loadcnt_dscnt 0x0
	v_pk_mul_f32 v[82:83], v[80:81], v[76:77] op_sel:[1,1] op_sel_hi:[0,1]
	s_delay_alu instid0(VALU_DEP_1) | instskip(SKIP_1) | instid1(VALU_DEP_2)
	v_pk_fma_f32 v[84:85], v[80:81], v[76:77], v[82:83] op_sel_hi:[1,0,1]
	v_pk_fma_f32 v[76:77], v[80:81], v[76:77], v[82:83] neg_lo:[0,0,1] neg_hi:[0,0,1]
	v_mov_b32_e32 v77, v85
	s_cbranch_execz .LBB35_614
	s_branch .LBB35_615
.LBB35_613:
                                        ; implicit-def: $vgpr76_vgpr77
.LBB35_614:
	ds_load_b64 v[76:77], v1
.LBB35_615:
	s_mov_b32 s2, exec_lo
	v_cmpx_ne_u32_e32 26, v0
	s_cbranch_execz .LBB35_619
; %bb.616:
	v_add_nc_u32_e32 v79, 0x128, v38
	v_add3_u32 v80, 0, v38, 8
	v_mov_b32_e32 v81, v0
	s_mov_b32 s3, 0
.LBB35_617:                             ; =>This Inner Loop Header: Depth=1
	scratch_load_b64 v[82:83], v80, off
	ds_load_b64 v[84:85], v79
	s_wait_xcnt 0x0
	v_dual_add_nc_u32 v79, 8, v79 :: v_dual_add_nc_u32 v80, 8, v80
	s_wait_loadcnt_dscnt 0x0
	v_pk_mul_f32 v[86:87], v[84:85], v[82:83] op_sel:[1,1] op_sel_hi:[0,1]
	s_delay_alu instid0(VALU_DEP_1) | instskip(SKIP_2) | instid1(VALU_DEP_3)
	v_pk_fma_f32 v[88:89], v[84:85], v[82:83], v[86:87] op_sel_hi:[1,0,1]
	v_add_nc_u32_e32 v81, 1, v81
	v_pk_fma_f32 v[82:83], v[84:85], v[82:83], v[86:87] neg_lo:[0,0,1] neg_hi:[0,0,1]
	v_mov_b32_e32 v83, v89
	s_delay_alu instid0(VALU_DEP_3) | instskip(NEXT) | instid1(VALU_DEP_2)
	v_cmp_lt_u32_e32 vcc_lo, 25, v81
	v_pk_add_f32 v[76:77], v[76:77], v[82:83]
	s_or_b32 s3, vcc_lo, s3
	s_delay_alu instid0(SALU_CYCLE_1)
	s_and_not1_b32 exec_lo, exec_lo, s3
	s_cbranch_execnz .LBB35_617
; %bb.618:
	s_or_b32 exec_lo, exec_lo, s3
.LBB35_619:
	s_delay_alu instid0(SALU_CYCLE_1) | instskip(SKIP_4) | instid1(VALU_DEP_1)
	s_or_b32 exec_lo, exec_lo, s2
	v_mov_b32_e32 v79, 0
	ds_load_b64 v[80:81], v79 offset:216
	s_wait_dscnt 0x0
	v_pk_mul_f32 v[82:83], v[76:77], v[80:81] op_sel:[1,1] op_sel_hi:[0,1]
	v_pk_fma_f32 v[84:85], v[76:77], v[80:81], v[82:83] op_sel_hi:[1,0,1]
	v_pk_fma_f32 v[76:77], v[76:77], v[80:81], v[82:83] neg_lo:[0,0,1] neg_hi:[0,0,1]
	s_delay_alu instid0(VALU_DEP_2)
	v_mov_b32_e32 v77, v85
	scratch_store_b64 off, v[76:77], off offset:216
.LBB35_620:
	s_wait_xcnt 0x0
	s_or_b32 exec_lo, exec_lo, s0
	scratch_load_b64 v[76:77], off, off offset:224
	s_mov_b32 s0, exec_lo
	s_wait_loadcnt 0x0
	ds_store_b64 v1, v[76:77]
	s_wait_storecnt_dscnt 0x0
	s_barrier_signal -1
	s_barrier_wait -1
	s_wait_xcnt 0x0
	v_cmpx_gt_u32_e32 28, v0
	s_cbranch_execz .LBB35_630
; %bb.621:
	v_cmp_ne_u32_e32 vcc_lo, 1, v78
	s_cbranch_vccnz .LBB35_623
; %bb.622:
	scratch_load_b64 v[76:77], v39, off
	ds_load_b64 v[80:81], v1
	s_wait_loadcnt_dscnt 0x0
	v_pk_mul_f32 v[82:83], v[80:81], v[76:77] op_sel:[1,1] op_sel_hi:[0,1]
	s_delay_alu instid0(VALU_DEP_1) | instskip(SKIP_1) | instid1(VALU_DEP_2)
	v_pk_fma_f32 v[84:85], v[80:81], v[76:77], v[82:83] op_sel_hi:[1,0,1]
	v_pk_fma_f32 v[76:77], v[80:81], v[76:77], v[82:83] neg_lo:[0,0,1] neg_hi:[0,0,1]
	v_mov_b32_e32 v77, v85
	s_cbranch_execz .LBB35_624
	s_branch .LBB35_625
.LBB35_623:
                                        ; implicit-def: $vgpr76_vgpr77
.LBB35_624:
	ds_load_b64 v[76:77], v1
.LBB35_625:
	s_mov_b32 s2, exec_lo
	v_cmpx_ne_u32_e32 27, v0
	s_cbranch_execz .LBB35_629
; %bb.626:
	v_add_nc_u32_e32 v79, 0x128, v38
	v_add3_u32 v80, 0, v38, 8
	v_mov_b32_e32 v81, v0
	s_mov_b32 s3, 0
.LBB35_627:                             ; =>This Inner Loop Header: Depth=1
	scratch_load_b64 v[82:83], v80, off
	ds_load_b64 v[84:85], v79
	s_wait_xcnt 0x0
	v_dual_add_nc_u32 v79, 8, v79 :: v_dual_add_nc_u32 v80, 8, v80
	s_wait_loadcnt_dscnt 0x0
	v_pk_mul_f32 v[86:87], v[84:85], v[82:83] op_sel:[1,1] op_sel_hi:[0,1]
	s_delay_alu instid0(VALU_DEP_1) | instskip(SKIP_2) | instid1(VALU_DEP_3)
	v_pk_fma_f32 v[88:89], v[84:85], v[82:83], v[86:87] op_sel_hi:[1,0,1]
	v_add_nc_u32_e32 v81, 1, v81
	v_pk_fma_f32 v[82:83], v[84:85], v[82:83], v[86:87] neg_lo:[0,0,1] neg_hi:[0,0,1]
	v_mov_b32_e32 v83, v89
	s_delay_alu instid0(VALU_DEP_3) | instskip(NEXT) | instid1(VALU_DEP_2)
	v_cmp_lt_u32_e32 vcc_lo, 26, v81
	v_pk_add_f32 v[76:77], v[76:77], v[82:83]
	s_or_b32 s3, vcc_lo, s3
	s_delay_alu instid0(SALU_CYCLE_1)
	s_and_not1_b32 exec_lo, exec_lo, s3
	s_cbranch_execnz .LBB35_627
; %bb.628:
	s_or_b32 exec_lo, exec_lo, s3
.LBB35_629:
	s_delay_alu instid0(SALU_CYCLE_1) | instskip(SKIP_4) | instid1(VALU_DEP_1)
	s_or_b32 exec_lo, exec_lo, s2
	v_mov_b32_e32 v79, 0
	ds_load_b64 v[80:81], v79 offset:224
	s_wait_dscnt 0x0
	v_pk_mul_f32 v[82:83], v[76:77], v[80:81] op_sel:[1,1] op_sel_hi:[0,1]
	v_pk_fma_f32 v[84:85], v[76:77], v[80:81], v[82:83] op_sel_hi:[1,0,1]
	v_pk_fma_f32 v[76:77], v[76:77], v[80:81], v[82:83] neg_lo:[0,0,1] neg_hi:[0,0,1]
	s_delay_alu instid0(VALU_DEP_2)
	v_mov_b32_e32 v77, v85
	scratch_store_b64 off, v[76:77], off offset:224
.LBB35_630:
	s_wait_xcnt 0x0
	s_or_b32 exec_lo, exec_lo, s0
	scratch_load_b64 v[76:77], off, off offset:232
	s_mov_b32 s0, exec_lo
	s_wait_loadcnt 0x0
	ds_store_b64 v1, v[76:77]
	s_wait_storecnt_dscnt 0x0
	s_barrier_signal -1
	s_barrier_wait -1
	s_wait_xcnt 0x0
	v_cmpx_gt_u32_e32 29, v0
	s_cbranch_execz .LBB35_640
; %bb.631:
	v_cmp_ne_u32_e32 vcc_lo, 1, v78
	s_cbranch_vccnz .LBB35_633
; %bb.632:
	scratch_load_b64 v[76:77], v39, off
	ds_load_b64 v[80:81], v1
	s_wait_loadcnt_dscnt 0x0
	v_pk_mul_f32 v[82:83], v[80:81], v[76:77] op_sel:[1,1] op_sel_hi:[0,1]
	s_delay_alu instid0(VALU_DEP_1) | instskip(SKIP_1) | instid1(VALU_DEP_2)
	v_pk_fma_f32 v[84:85], v[80:81], v[76:77], v[82:83] op_sel_hi:[1,0,1]
	v_pk_fma_f32 v[76:77], v[80:81], v[76:77], v[82:83] neg_lo:[0,0,1] neg_hi:[0,0,1]
	v_mov_b32_e32 v77, v85
	s_cbranch_execz .LBB35_634
	s_branch .LBB35_635
.LBB35_633:
                                        ; implicit-def: $vgpr76_vgpr77
.LBB35_634:
	ds_load_b64 v[76:77], v1
.LBB35_635:
	s_mov_b32 s2, exec_lo
	v_cmpx_ne_u32_e32 28, v0
	s_cbranch_execz .LBB35_639
; %bb.636:
	v_add_nc_u32_e32 v79, 0x128, v38
	v_add3_u32 v80, 0, v38, 8
	v_mov_b32_e32 v81, v0
	s_mov_b32 s3, 0
.LBB35_637:                             ; =>This Inner Loop Header: Depth=1
	scratch_load_b64 v[82:83], v80, off
	ds_load_b64 v[84:85], v79
	s_wait_xcnt 0x0
	v_dual_add_nc_u32 v79, 8, v79 :: v_dual_add_nc_u32 v80, 8, v80
	s_wait_loadcnt_dscnt 0x0
	v_pk_mul_f32 v[86:87], v[84:85], v[82:83] op_sel:[1,1] op_sel_hi:[0,1]
	s_delay_alu instid0(VALU_DEP_1) | instskip(SKIP_2) | instid1(VALU_DEP_3)
	v_pk_fma_f32 v[88:89], v[84:85], v[82:83], v[86:87] op_sel_hi:[1,0,1]
	v_add_nc_u32_e32 v81, 1, v81
	v_pk_fma_f32 v[82:83], v[84:85], v[82:83], v[86:87] neg_lo:[0,0,1] neg_hi:[0,0,1]
	v_mov_b32_e32 v83, v89
	s_delay_alu instid0(VALU_DEP_3) | instskip(NEXT) | instid1(VALU_DEP_2)
	v_cmp_lt_u32_e32 vcc_lo, 27, v81
	v_pk_add_f32 v[76:77], v[76:77], v[82:83]
	s_or_b32 s3, vcc_lo, s3
	s_delay_alu instid0(SALU_CYCLE_1)
	s_and_not1_b32 exec_lo, exec_lo, s3
	s_cbranch_execnz .LBB35_637
; %bb.638:
	s_or_b32 exec_lo, exec_lo, s3
.LBB35_639:
	s_delay_alu instid0(SALU_CYCLE_1) | instskip(SKIP_4) | instid1(VALU_DEP_1)
	s_or_b32 exec_lo, exec_lo, s2
	v_mov_b32_e32 v79, 0
	ds_load_b64 v[80:81], v79 offset:232
	s_wait_dscnt 0x0
	v_pk_mul_f32 v[82:83], v[76:77], v[80:81] op_sel:[1,1] op_sel_hi:[0,1]
	v_pk_fma_f32 v[84:85], v[76:77], v[80:81], v[82:83] op_sel_hi:[1,0,1]
	v_pk_fma_f32 v[76:77], v[76:77], v[80:81], v[82:83] neg_lo:[0,0,1] neg_hi:[0,0,1]
	s_delay_alu instid0(VALU_DEP_2)
	v_mov_b32_e32 v77, v85
	scratch_store_b64 off, v[76:77], off offset:232
.LBB35_640:
	s_wait_xcnt 0x0
	s_or_b32 exec_lo, exec_lo, s0
	scratch_load_b64 v[76:77], off, off offset:240
	s_mov_b32 s0, exec_lo
	s_wait_loadcnt 0x0
	ds_store_b64 v1, v[76:77]
	s_wait_storecnt_dscnt 0x0
	s_barrier_signal -1
	s_barrier_wait -1
	s_wait_xcnt 0x0
	v_cmpx_gt_u32_e32 30, v0
	s_cbranch_execz .LBB35_650
; %bb.641:
	v_cmp_ne_u32_e32 vcc_lo, 1, v78
	s_cbranch_vccnz .LBB35_643
; %bb.642:
	scratch_load_b64 v[76:77], v39, off
	ds_load_b64 v[80:81], v1
	s_wait_loadcnt_dscnt 0x0
	v_pk_mul_f32 v[82:83], v[80:81], v[76:77] op_sel:[1,1] op_sel_hi:[0,1]
	s_delay_alu instid0(VALU_DEP_1) | instskip(SKIP_1) | instid1(VALU_DEP_2)
	v_pk_fma_f32 v[84:85], v[80:81], v[76:77], v[82:83] op_sel_hi:[1,0,1]
	v_pk_fma_f32 v[76:77], v[80:81], v[76:77], v[82:83] neg_lo:[0,0,1] neg_hi:[0,0,1]
	v_mov_b32_e32 v77, v85
	s_cbranch_execz .LBB35_644
	s_branch .LBB35_645
.LBB35_643:
                                        ; implicit-def: $vgpr76_vgpr77
.LBB35_644:
	ds_load_b64 v[76:77], v1
.LBB35_645:
	s_mov_b32 s2, exec_lo
	v_cmpx_ne_u32_e32 29, v0
	s_cbranch_execz .LBB35_649
; %bb.646:
	v_add_nc_u32_e32 v79, 0x128, v38
	v_add3_u32 v80, 0, v38, 8
	v_mov_b32_e32 v81, v0
	s_mov_b32 s3, 0
.LBB35_647:                             ; =>This Inner Loop Header: Depth=1
	scratch_load_b64 v[82:83], v80, off
	ds_load_b64 v[84:85], v79
	s_wait_xcnt 0x0
	v_dual_add_nc_u32 v79, 8, v79 :: v_dual_add_nc_u32 v80, 8, v80
	s_wait_loadcnt_dscnt 0x0
	v_pk_mul_f32 v[86:87], v[84:85], v[82:83] op_sel:[1,1] op_sel_hi:[0,1]
	s_delay_alu instid0(VALU_DEP_1) | instskip(SKIP_2) | instid1(VALU_DEP_3)
	v_pk_fma_f32 v[88:89], v[84:85], v[82:83], v[86:87] op_sel_hi:[1,0,1]
	v_add_nc_u32_e32 v81, 1, v81
	v_pk_fma_f32 v[82:83], v[84:85], v[82:83], v[86:87] neg_lo:[0,0,1] neg_hi:[0,0,1]
	v_mov_b32_e32 v83, v89
	s_delay_alu instid0(VALU_DEP_3) | instskip(NEXT) | instid1(VALU_DEP_2)
	v_cmp_lt_u32_e32 vcc_lo, 28, v81
	v_pk_add_f32 v[76:77], v[76:77], v[82:83]
	s_or_b32 s3, vcc_lo, s3
	s_delay_alu instid0(SALU_CYCLE_1)
	s_and_not1_b32 exec_lo, exec_lo, s3
	s_cbranch_execnz .LBB35_647
; %bb.648:
	s_or_b32 exec_lo, exec_lo, s3
.LBB35_649:
	s_delay_alu instid0(SALU_CYCLE_1) | instskip(SKIP_4) | instid1(VALU_DEP_1)
	s_or_b32 exec_lo, exec_lo, s2
	v_mov_b32_e32 v79, 0
	ds_load_b64 v[80:81], v79 offset:240
	s_wait_dscnt 0x0
	v_pk_mul_f32 v[82:83], v[76:77], v[80:81] op_sel:[1,1] op_sel_hi:[0,1]
	v_pk_fma_f32 v[84:85], v[76:77], v[80:81], v[82:83] op_sel_hi:[1,0,1]
	v_pk_fma_f32 v[76:77], v[76:77], v[80:81], v[82:83] neg_lo:[0,0,1] neg_hi:[0,0,1]
	s_delay_alu instid0(VALU_DEP_2)
	v_mov_b32_e32 v77, v85
	scratch_store_b64 off, v[76:77], off offset:240
.LBB35_650:
	s_wait_xcnt 0x0
	s_or_b32 exec_lo, exec_lo, s0
	scratch_load_b64 v[76:77], off, off offset:248
	s_mov_b32 s0, exec_lo
	s_wait_loadcnt 0x0
	ds_store_b64 v1, v[76:77]
	s_wait_storecnt_dscnt 0x0
	s_barrier_signal -1
	s_barrier_wait -1
	s_wait_xcnt 0x0
	v_cmpx_gt_u32_e32 31, v0
	s_cbranch_execz .LBB35_660
; %bb.651:
	v_cmp_ne_u32_e32 vcc_lo, 1, v78
	s_cbranch_vccnz .LBB35_653
; %bb.652:
	scratch_load_b64 v[76:77], v39, off
	ds_load_b64 v[80:81], v1
	s_wait_loadcnt_dscnt 0x0
	v_pk_mul_f32 v[82:83], v[80:81], v[76:77] op_sel:[1,1] op_sel_hi:[0,1]
	s_delay_alu instid0(VALU_DEP_1) | instskip(SKIP_1) | instid1(VALU_DEP_2)
	v_pk_fma_f32 v[84:85], v[80:81], v[76:77], v[82:83] op_sel_hi:[1,0,1]
	v_pk_fma_f32 v[76:77], v[80:81], v[76:77], v[82:83] neg_lo:[0,0,1] neg_hi:[0,0,1]
	v_mov_b32_e32 v77, v85
	s_cbranch_execz .LBB35_654
	s_branch .LBB35_655
.LBB35_653:
                                        ; implicit-def: $vgpr76_vgpr77
.LBB35_654:
	ds_load_b64 v[76:77], v1
.LBB35_655:
	s_mov_b32 s2, exec_lo
	v_cmpx_ne_u32_e32 30, v0
	s_cbranch_execz .LBB35_659
; %bb.656:
	v_add_nc_u32_e32 v79, 0x128, v38
	v_add3_u32 v80, 0, v38, 8
	v_mov_b32_e32 v81, v0
	s_mov_b32 s3, 0
.LBB35_657:                             ; =>This Inner Loop Header: Depth=1
	scratch_load_b64 v[82:83], v80, off
	ds_load_b64 v[84:85], v79
	s_wait_xcnt 0x0
	v_dual_add_nc_u32 v79, 8, v79 :: v_dual_add_nc_u32 v80, 8, v80
	s_wait_loadcnt_dscnt 0x0
	v_pk_mul_f32 v[86:87], v[84:85], v[82:83] op_sel:[1,1] op_sel_hi:[0,1]
	s_delay_alu instid0(VALU_DEP_1) | instskip(SKIP_2) | instid1(VALU_DEP_3)
	v_pk_fma_f32 v[88:89], v[84:85], v[82:83], v[86:87] op_sel_hi:[1,0,1]
	v_add_nc_u32_e32 v81, 1, v81
	v_pk_fma_f32 v[82:83], v[84:85], v[82:83], v[86:87] neg_lo:[0,0,1] neg_hi:[0,0,1]
	v_mov_b32_e32 v83, v89
	s_delay_alu instid0(VALU_DEP_3) | instskip(NEXT) | instid1(VALU_DEP_2)
	v_cmp_lt_u32_e32 vcc_lo, 29, v81
	v_pk_add_f32 v[76:77], v[76:77], v[82:83]
	s_or_b32 s3, vcc_lo, s3
	s_delay_alu instid0(SALU_CYCLE_1)
	s_and_not1_b32 exec_lo, exec_lo, s3
	s_cbranch_execnz .LBB35_657
; %bb.658:
	s_or_b32 exec_lo, exec_lo, s3
.LBB35_659:
	s_delay_alu instid0(SALU_CYCLE_1) | instskip(SKIP_4) | instid1(VALU_DEP_1)
	s_or_b32 exec_lo, exec_lo, s2
	v_mov_b32_e32 v79, 0
	ds_load_b64 v[80:81], v79 offset:248
	s_wait_dscnt 0x0
	v_pk_mul_f32 v[82:83], v[76:77], v[80:81] op_sel:[1,1] op_sel_hi:[0,1]
	v_pk_fma_f32 v[84:85], v[76:77], v[80:81], v[82:83] op_sel_hi:[1,0,1]
	v_pk_fma_f32 v[76:77], v[76:77], v[80:81], v[82:83] neg_lo:[0,0,1] neg_hi:[0,0,1]
	s_delay_alu instid0(VALU_DEP_2)
	v_mov_b32_e32 v77, v85
	scratch_store_b64 off, v[76:77], off offset:248
.LBB35_660:
	s_wait_xcnt 0x0
	s_or_b32 exec_lo, exec_lo, s0
	scratch_load_b64 v[76:77], off, off offset:256
	s_mov_b32 s0, exec_lo
	s_wait_loadcnt 0x0
	ds_store_b64 v1, v[76:77]
	s_wait_storecnt_dscnt 0x0
	s_barrier_signal -1
	s_barrier_wait -1
	s_wait_xcnt 0x0
	v_cmpx_gt_u32_e32 32, v0
	s_cbranch_execz .LBB35_670
; %bb.661:
	v_cmp_ne_u32_e32 vcc_lo, 1, v78
	s_cbranch_vccnz .LBB35_663
; %bb.662:
	scratch_load_b64 v[76:77], v39, off
	ds_load_b64 v[80:81], v1
	s_wait_loadcnt_dscnt 0x0
	v_pk_mul_f32 v[82:83], v[80:81], v[76:77] op_sel:[1,1] op_sel_hi:[0,1]
	s_delay_alu instid0(VALU_DEP_1) | instskip(SKIP_1) | instid1(VALU_DEP_2)
	v_pk_fma_f32 v[84:85], v[80:81], v[76:77], v[82:83] op_sel_hi:[1,0,1]
	v_pk_fma_f32 v[76:77], v[80:81], v[76:77], v[82:83] neg_lo:[0,0,1] neg_hi:[0,0,1]
	v_mov_b32_e32 v77, v85
	s_cbranch_execz .LBB35_664
	s_branch .LBB35_665
.LBB35_663:
                                        ; implicit-def: $vgpr76_vgpr77
.LBB35_664:
	ds_load_b64 v[76:77], v1
.LBB35_665:
	s_mov_b32 s2, exec_lo
	v_cmpx_ne_u32_e32 31, v0
	s_cbranch_execz .LBB35_669
; %bb.666:
	v_add_nc_u32_e32 v79, 0x128, v38
	v_add3_u32 v80, 0, v38, 8
	v_mov_b32_e32 v81, v0
	s_mov_b32 s3, 0
.LBB35_667:                             ; =>This Inner Loop Header: Depth=1
	scratch_load_b64 v[82:83], v80, off
	ds_load_b64 v[84:85], v79
	s_wait_xcnt 0x0
	v_dual_add_nc_u32 v79, 8, v79 :: v_dual_add_nc_u32 v80, 8, v80
	s_wait_loadcnt_dscnt 0x0
	v_pk_mul_f32 v[86:87], v[84:85], v[82:83] op_sel:[1,1] op_sel_hi:[0,1]
	s_delay_alu instid0(VALU_DEP_1) | instskip(SKIP_2) | instid1(VALU_DEP_3)
	v_pk_fma_f32 v[88:89], v[84:85], v[82:83], v[86:87] op_sel_hi:[1,0,1]
	v_add_nc_u32_e32 v81, 1, v81
	v_pk_fma_f32 v[82:83], v[84:85], v[82:83], v[86:87] neg_lo:[0,0,1] neg_hi:[0,0,1]
	v_mov_b32_e32 v83, v89
	s_delay_alu instid0(VALU_DEP_3) | instskip(NEXT) | instid1(VALU_DEP_2)
	v_cmp_lt_u32_e32 vcc_lo, 30, v81
	v_pk_add_f32 v[76:77], v[76:77], v[82:83]
	s_or_b32 s3, vcc_lo, s3
	s_delay_alu instid0(SALU_CYCLE_1)
	s_and_not1_b32 exec_lo, exec_lo, s3
	s_cbranch_execnz .LBB35_667
; %bb.668:
	s_or_b32 exec_lo, exec_lo, s3
.LBB35_669:
	s_delay_alu instid0(SALU_CYCLE_1) | instskip(SKIP_4) | instid1(VALU_DEP_1)
	s_or_b32 exec_lo, exec_lo, s2
	v_mov_b32_e32 v79, 0
	ds_load_b64 v[80:81], v79 offset:256
	s_wait_dscnt 0x0
	v_pk_mul_f32 v[82:83], v[76:77], v[80:81] op_sel:[1,1] op_sel_hi:[0,1]
	v_pk_fma_f32 v[84:85], v[76:77], v[80:81], v[82:83] op_sel_hi:[1,0,1]
	v_pk_fma_f32 v[76:77], v[76:77], v[80:81], v[82:83] neg_lo:[0,0,1] neg_hi:[0,0,1]
	s_delay_alu instid0(VALU_DEP_2)
	v_mov_b32_e32 v77, v85
	scratch_store_b64 off, v[76:77], off offset:256
.LBB35_670:
	s_wait_xcnt 0x0
	s_or_b32 exec_lo, exec_lo, s0
	scratch_load_b64 v[76:77], off, off offset:264
	s_mov_b32 s0, exec_lo
	s_wait_loadcnt 0x0
	ds_store_b64 v1, v[76:77]
	s_wait_storecnt_dscnt 0x0
	s_barrier_signal -1
	s_barrier_wait -1
	s_wait_xcnt 0x0
	v_cmpx_gt_u32_e32 33, v0
	s_cbranch_execz .LBB35_680
; %bb.671:
	v_cmp_ne_u32_e32 vcc_lo, 1, v78
	s_cbranch_vccnz .LBB35_673
; %bb.672:
	scratch_load_b64 v[76:77], v39, off
	ds_load_b64 v[80:81], v1
	s_wait_loadcnt_dscnt 0x0
	v_pk_mul_f32 v[82:83], v[80:81], v[76:77] op_sel:[1,1] op_sel_hi:[0,1]
	s_delay_alu instid0(VALU_DEP_1) | instskip(SKIP_1) | instid1(VALU_DEP_2)
	v_pk_fma_f32 v[84:85], v[80:81], v[76:77], v[82:83] op_sel_hi:[1,0,1]
	v_pk_fma_f32 v[76:77], v[80:81], v[76:77], v[82:83] neg_lo:[0,0,1] neg_hi:[0,0,1]
	v_mov_b32_e32 v77, v85
	s_cbranch_execz .LBB35_674
	s_branch .LBB35_675
.LBB35_673:
                                        ; implicit-def: $vgpr76_vgpr77
.LBB35_674:
	ds_load_b64 v[76:77], v1
.LBB35_675:
	s_mov_b32 s2, exec_lo
	v_cmpx_ne_u32_e32 32, v0
	s_cbranch_execz .LBB35_679
; %bb.676:
	v_add_nc_u32_e32 v79, 0x128, v38
	v_add3_u32 v80, 0, v38, 8
	v_mov_b32_e32 v81, v0
	s_mov_b32 s3, 0
.LBB35_677:                             ; =>This Inner Loop Header: Depth=1
	scratch_load_b64 v[82:83], v80, off
	ds_load_b64 v[84:85], v79
	s_wait_xcnt 0x0
	v_dual_add_nc_u32 v79, 8, v79 :: v_dual_add_nc_u32 v80, 8, v80
	s_wait_loadcnt_dscnt 0x0
	v_pk_mul_f32 v[86:87], v[84:85], v[82:83] op_sel:[1,1] op_sel_hi:[0,1]
	s_delay_alu instid0(VALU_DEP_1) | instskip(SKIP_2) | instid1(VALU_DEP_3)
	v_pk_fma_f32 v[88:89], v[84:85], v[82:83], v[86:87] op_sel_hi:[1,0,1]
	v_add_nc_u32_e32 v81, 1, v81
	v_pk_fma_f32 v[82:83], v[84:85], v[82:83], v[86:87] neg_lo:[0,0,1] neg_hi:[0,0,1]
	v_mov_b32_e32 v83, v89
	s_delay_alu instid0(VALU_DEP_3) | instskip(NEXT) | instid1(VALU_DEP_2)
	v_cmp_lt_u32_e32 vcc_lo, 31, v81
	v_pk_add_f32 v[76:77], v[76:77], v[82:83]
	s_or_b32 s3, vcc_lo, s3
	s_delay_alu instid0(SALU_CYCLE_1)
	s_and_not1_b32 exec_lo, exec_lo, s3
	s_cbranch_execnz .LBB35_677
; %bb.678:
	s_or_b32 exec_lo, exec_lo, s3
.LBB35_679:
	s_delay_alu instid0(SALU_CYCLE_1) | instskip(SKIP_4) | instid1(VALU_DEP_1)
	s_or_b32 exec_lo, exec_lo, s2
	v_mov_b32_e32 v79, 0
	ds_load_b64 v[80:81], v79 offset:264
	s_wait_dscnt 0x0
	v_pk_mul_f32 v[82:83], v[76:77], v[80:81] op_sel:[1,1] op_sel_hi:[0,1]
	v_pk_fma_f32 v[84:85], v[76:77], v[80:81], v[82:83] op_sel_hi:[1,0,1]
	v_pk_fma_f32 v[76:77], v[76:77], v[80:81], v[82:83] neg_lo:[0,0,1] neg_hi:[0,0,1]
	s_delay_alu instid0(VALU_DEP_2)
	v_mov_b32_e32 v77, v85
	scratch_store_b64 off, v[76:77], off offset:264
.LBB35_680:
	s_wait_xcnt 0x0
	s_or_b32 exec_lo, exec_lo, s0
	scratch_load_b64 v[76:77], off, off offset:272
	v_cmp_gt_u32_e64 s0, 34, v0
	s_wait_loadcnt 0x0
	ds_store_b64 v1, v[76:77]
	s_wait_storecnt_dscnt 0x0
	s_barrier_signal -1
	s_barrier_wait -1
	s_wait_xcnt 0x0
	s_and_saveexec_b32 s2, s0
	s_cbranch_execz .LBB35_690
; %bb.681:
	v_cmp_ne_u32_e32 vcc_lo, 1, v78
	s_cbranch_vccnz .LBB35_683
; %bb.682:
	scratch_load_b64 v[76:77], v39, off
	ds_load_b64 v[80:81], v1
	s_wait_loadcnt_dscnt 0x0
	v_pk_mul_f32 v[82:83], v[80:81], v[76:77] op_sel:[1,1] op_sel_hi:[0,1]
	s_delay_alu instid0(VALU_DEP_1) | instskip(SKIP_1) | instid1(VALU_DEP_2)
	v_pk_fma_f32 v[84:85], v[80:81], v[76:77], v[82:83] op_sel_hi:[1,0,1]
	v_pk_fma_f32 v[76:77], v[80:81], v[76:77], v[82:83] neg_lo:[0,0,1] neg_hi:[0,0,1]
	v_mov_b32_e32 v77, v85
	s_cbranch_execz .LBB35_684
	s_branch .LBB35_685
.LBB35_683:
                                        ; implicit-def: $vgpr76_vgpr77
.LBB35_684:
	ds_load_b64 v[76:77], v1
.LBB35_685:
	s_mov_b32 s3, exec_lo
	v_cmpx_ne_u32_e32 33, v0
	s_cbranch_execz .LBB35_689
; %bb.686:
	v_add_nc_u32_e32 v79, 0x128, v38
	v_add3_u32 v80, 0, v38, 8
	v_mov_b32_e32 v81, v0
	s_mov_b32 s4, 0
.LBB35_687:                             ; =>This Inner Loop Header: Depth=1
	scratch_load_b64 v[82:83], v80, off
	ds_load_b64 v[84:85], v79
	s_wait_xcnt 0x0
	v_dual_add_nc_u32 v79, 8, v79 :: v_dual_add_nc_u32 v80, 8, v80
	s_wait_loadcnt_dscnt 0x0
	v_pk_mul_f32 v[86:87], v[84:85], v[82:83] op_sel:[1,1] op_sel_hi:[0,1]
	s_delay_alu instid0(VALU_DEP_1) | instskip(SKIP_2) | instid1(VALU_DEP_3)
	v_pk_fma_f32 v[88:89], v[84:85], v[82:83], v[86:87] op_sel_hi:[1,0,1]
	v_add_nc_u32_e32 v81, 1, v81
	v_pk_fma_f32 v[82:83], v[84:85], v[82:83], v[86:87] neg_lo:[0,0,1] neg_hi:[0,0,1]
	v_mov_b32_e32 v83, v89
	s_delay_alu instid0(VALU_DEP_3) | instskip(NEXT) | instid1(VALU_DEP_2)
	v_cmp_lt_u32_e32 vcc_lo, 32, v81
	v_pk_add_f32 v[76:77], v[76:77], v[82:83]
	s_or_b32 s4, vcc_lo, s4
	s_delay_alu instid0(SALU_CYCLE_1)
	s_and_not1_b32 exec_lo, exec_lo, s4
	s_cbranch_execnz .LBB35_687
; %bb.688:
	s_or_b32 exec_lo, exec_lo, s4
.LBB35_689:
	s_delay_alu instid0(SALU_CYCLE_1) | instskip(SKIP_4) | instid1(VALU_DEP_1)
	s_or_b32 exec_lo, exec_lo, s3
	v_mov_b32_e32 v79, 0
	ds_load_b64 v[80:81], v79 offset:272
	s_wait_dscnt 0x0
	v_pk_mul_f32 v[82:83], v[76:77], v[80:81] op_sel:[1,1] op_sel_hi:[0,1]
	v_pk_fma_f32 v[84:85], v[76:77], v[80:81], v[82:83] op_sel_hi:[1,0,1]
	v_pk_fma_f32 v[76:77], v[76:77], v[80:81], v[82:83] neg_lo:[0,0,1] neg_hi:[0,0,1]
	s_delay_alu instid0(VALU_DEP_2)
	v_mov_b32_e32 v77, v85
	scratch_store_b64 off, v[76:77], off offset:272
.LBB35_690:
	s_wait_xcnt 0x0
	s_or_b32 exec_lo, exec_lo, s2
	scratch_load_b64 v[76:77], off, off offset:280
	s_mov_b32 s2, exec_lo
                                        ; implicit-def: $vgpr100
                                        ; implicit-def: $sgpr4
	s_wait_loadcnt 0x0
	ds_store_b64 v1, v[76:77]
	s_wait_storecnt_dscnt 0x0
	s_barrier_signal -1
	s_barrier_wait -1
	s_wait_xcnt 0x0
	v_cmpx_ne_u32_e32 35, v0
	s_cbranch_execz .LBB35_700
; %bb.691:
	v_cmp_ne_u32_e32 vcc_lo, 1, v78
	s_cbranch_vccnz .LBB35_693
; %bb.692:
	scratch_load_b64 v[78:79], v39, off
	ds_load_b64 v[80:81], v1
	s_wait_loadcnt_dscnt 0x0
	v_dual_mul_f32 v39, v81, v79 :: v_dual_mul_f32 v77, v80, v79
	s_delay_alu instid0(VALU_DEP_1)
	v_dual_fma_f32 v76, v80, v78, -v39 :: v_dual_fmac_f32 v77, v81, v78
	s_cbranch_execz .LBB35_694
	s_branch .LBB35_695
.LBB35_693:
                                        ; implicit-def: $vgpr77
.LBB35_694:
	ds_load_b64 v[76:77], v1
.LBB35_695:
	s_and_saveexec_b32 s3, s0
	s_cbranch_execz .LBB35_699
; %bb.696:
	v_add_nc_u32_e32 v1, 0x128, v38
	v_add3_u32 v38, 0, v38, 8
	s_mov_b32 s0, 0
.LBB35_697:                             ; =>This Inner Loop Header: Depth=1
	scratch_load_b64 v[78:79], v38, off
	ds_load_b64 v[80:81], v1
	s_wait_loadcnt_dscnt 0x0
	v_dual_add_nc_u32 v1, 8, v1 :: v_dual_mul_f32 v39, v81, v79
	v_dual_mul_f32 v79, v80, v79 :: v_dual_add_nc_u32 v0, 1, v0
	s_delay_alu instid0(VALU_DEP_2) | instskip(NEXT) | instid1(VALU_DEP_2)
	v_fma_f32 v39, v80, v78, -v39
	v_fmac_f32_e32 v79, v81, v78
	s_delay_alu instid0(VALU_DEP_3) | instskip(NEXT) | instid1(VALU_DEP_3)
	v_cmp_lt_u32_e32 vcc_lo, 33, v0
	v_dual_add_nc_u32 v38, 8, v38 :: v_dual_add_f32 v76, v76, v39
	s_delay_alu instid0(VALU_DEP_3) | instskip(SKIP_1) | instid1(SALU_CYCLE_1)
	v_add_f32_e32 v77, v77, v79
	s_or_b32 s0, vcc_lo, s0
	s_and_not1_b32 exec_lo, exec_lo, s0
	s_cbranch_execnz .LBB35_697
; %bb.698:
	s_or_b32 exec_lo, exec_lo, s0
.LBB35_699:
	s_delay_alu instid0(SALU_CYCLE_1)
	s_or_b32 exec_lo, exec_lo, s3
	v_mov_b32_e32 v0, 0
	s_movk_i32 s4, 0x11c
	s_or_b32 s1, s1, exec_lo
	ds_load_b64 v[0:1], v0 offset:280
	s_wait_dscnt 0x0
	v_dual_mul_f32 v38, v77, v1 :: v_dual_mul_f32 v100, v76, v1
	s_delay_alu instid0(VALU_DEP_1)
	v_dual_fma_f32 v1, v76, v0, -v38 :: v_dual_fmac_f32 v100, v77, v0
	scratch_store_b32 off, v1, off offset:280
.LBB35_700:
	s_wait_xcnt 0x0
	s_or_b32 exec_lo, exec_lo, s2
.LBB35_701:
	v_lshl_add_u64 v[96:97], v[6:7], 3, s[6:7]
	v_lshl_add_u64 v[98:99], v[8:9], 3, s[6:7]
	v_lshl_add_u64 v[92:93], v[10:11], 3, s[6:7]
	v_lshl_add_u64 v[94:95], v[12:13], 3, s[6:7]
	v_lshl_add_u64 v[88:89], v[14:15], 3, s[6:7]
	v_lshl_add_u64 v[90:91], v[16:17], 3, s[6:7]
	v_lshl_add_u64 v[84:85], v[18:19], 3, s[6:7]
	v_lshl_add_u64 v[86:87], v[20:21], 3, s[6:7]
	v_lshl_add_u64 v[80:81], v[22:23], 3, s[6:7]
	v_lshl_add_u64 v[82:83], v[24:25], 3, s[6:7]
	v_lshl_add_u64 v[76:77], v[26:27], 3, s[6:7]
	v_lshl_add_u64 v[78:79], v[28:29], 3, s[6:7]
	v_lshl_add_u64 v[8:9], v[30:31], 3, s[6:7]
	v_lshl_add_u64 v[10:11], v[32:33], 3, s[6:7]
	v_lshl_add_u64 v[12:13], v[34:35], 3, s[6:7]
	v_lshl_add_u64 v[14:15], v[36:37], 3, s[6:7]
	v_lshl_add_u64 v[16:17], v[40:41], 3, s[6:7]
	v_lshl_add_u64 v[18:19], v[42:43], 3, s[6:7]
	v_lshl_add_u64 v[20:21], v[44:45], 3, s[6:7]
	v_lshl_add_u64 v[22:23], v[46:47], 3, s[6:7]
	v_lshl_add_u64 v[24:25], v[48:49], 3, s[6:7]
	v_lshl_add_u64 v[26:27], v[50:51], 3, s[6:7]
	v_lshl_add_u64 v[28:29], v[52:53], 3, s[6:7]
	v_lshl_add_u64 v[30:31], v[54:55], 3, s[6:7]
	v_lshl_add_u64 v[32:33], v[56:57], 3, s[6:7]
	v_lshl_add_u64 v[34:35], v[58:59], 3, s[6:7]
	v_lshl_add_u64 v[36:37], v[60:61], 3, s[6:7]
	v_lshl_add_u64 v[38:39], v[62:63], 3, s[6:7]
	v_lshl_add_u64 v[40:41], v[64:65], 3, s[6:7]
	v_lshl_add_u64 v[42:43], v[66:67], 3, s[6:7]
	v_lshl_add_u64 v[44:45], v[68:69], 3, s[6:7]
	v_lshl_add_u64 v[46:47], v[70:71], 3, s[6:7]
	v_lshl_add_u64 v[0:1], v[72:73], 3, s[6:7]
	v_lshl_add_u64 v[6:7], v[74:75], 3, s[6:7]
	s_and_saveexec_b32 s0, s1
	s_cbranch_execz .LBB35_703
; %bb.702:
	scratch_store_b32 off, v100, s4
.LBB35_703:
	s_wait_xcnt 0x0
	s_or_b32 exec_lo, exec_lo, s0
	s_clause 0x4
	scratch_load_b128 v[48:51], off, off
	scratch_load_b128 v[52:55], off, off offset:16
	scratch_load_b128 v[56:59], off, off offset:32
	;; [unrolled: 1-line block ×4, first 2 shown]
	s_wait_loadcnt 0x4
	s_clause 0x1
	global_store_b64 v[2:3], v[48:49], off
	global_store_b64 v[4:5], v[50:51], off
	s_clause 0x1
	scratch_load_b128 v[2:5], off, off offset:80
	scratch_load_b128 v[48:51], off, off offset:96
	s_wait_loadcnt 0x5
	s_clause 0x1
	global_store_b64 v[96:97], v[52:53], off
	global_store_b64 v[98:99], v[54:55], off
	s_clause 0x1
	scratch_load_b128 v[52:55], off, off offset:112
	scratch_load_b128 v[68:71], off, off offset:128
	;; [unrolled: 7-line block ×6, first 2 shown]
	s_wait_loadcnt 0xa
	s_clause 0x1
	global_store_b64 v[76:77], v[48:49], off
	global_store_b64 v[78:79], v[50:51], off
	scratch_load_b128 v[48:51], off, off offset:272
	s_wait_loadcnt 0xa
	s_clause 0x1
	global_store_b64 v[8:9], v[52:53], off
	global_store_b64 v[10:11], v[54:55], off
	s_wait_loadcnt 0x9
	s_clause 0x1
	global_store_b64 v[12:13], v[68:69], off
	global_store_b64 v[14:15], v[70:71], off
	;; [unrolled: 4-line block ×11, first 2 shown]
.LBB35_704:
	s_sendmsg sendmsg(MSG_DEALLOC_VGPRS)
	s_endpgm
	.section	.rodata,"a",@progbits
	.p2align	6, 0x0
	.amdhsa_kernel _ZN9rocsolver6v33100L18trti2_kernel_smallILi36E19rocblas_complex_numIfEPS3_EEv13rocblas_fill_17rocblas_diagonal_T1_iil
		.amdhsa_group_segment_fixed_size 576
		.amdhsa_private_segment_fixed_size 304
		.amdhsa_kernarg_size 32
		.amdhsa_user_sgpr_count 2
		.amdhsa_user_sgpr_dispatch_ptr 0
		.amdhsa_user_sgpr_queue_ptr 0
		.amdhsa_user_sgpr_kernarg_segment_ptr 1
		.amdhsa_user_sgpr_dispatch_id 0
		.amdhsa_user_sgpr_kernarg_preload_length 0
		.amdhsa_user_sgpr_kernarg_preload_offset 0
		.amdhsa_user_sgpr_private_segment_size 0
		.amdhsa_wavefront_size32 1
		.amdhsa_uses_dynamic_stack 0
		.amdhsa_enable_private_segment 1
		.amdhsa_system_sgpr_workgroup_id_x 1
		.amdhsa_system_sgpr_workgroup_id_y 0
		.amdhsa_system_sgpr_workgroup_id_z 0
		.amdhsa_system_sgpr_workgroup_info 0
		.amdhsa_system_vgpr_workitem_id 0
		.amdhsa_next_free_vgpr 108
		.amdhsa_next_free_sgpr 25
		.amdhsa_named_barrier_count 0
		.amdhsa_reserve_vcc 1
		.amdhsa_float_round_mode_32 0
		.amdhsa_float_round_mode_16_64 0
		.amdhsa_float_denorm_mode_32 3
		.amdhsa_float_denorm_mode_16_64 3
		.amdhsa_fp16_overflow 0
		.amdhsa_memory_ordered 1
		.amdhsa_forward_progress 1
		.amdhsa_inst_pref_size 213
		.amdhsa_round_robin_scheduling 0
		.amdhsa_exception_fp_ieee_invalid_op 0
		.amdhsa_exception_fp_denorm_src 0
		.amdhsa_exception_fp_ieee_div_zero 0
		.amdhsa_exception_fp_ieee_overflow 0
		.amdhsa_exception_fp_ieee_underflow 0
		.amdhsa_exception_fp_ieee_inexact 0
		.amdhsa_exception_int_div_zero 0
	.end_amdhsa_kernel
	.section	.text._ZN9rocsolver6v33100L18trti2_kernel_smallILi36E19rocblas_complex_numIfEPS3_EEv13rocblas_fill_17rocblas_diagonal_T1_iil,"axG",@progbits,_ZN9rocsolver6v33100L18trti2_kernel_smallILi36E19rocblas_complex_numIfEPS3_EEv13rocblas_fill_17rocblas_diagonal_T1_iil,comdat
.Lfunc_end35:
	.size	_ZN9rocsolver6v33100L18trti2_kernel_smallILi36E19rocblas_complex_numIfEPS3_EEv13rocblas_fill_17rocblas_diagonal_T1_iil, .Lfunc_end35-_ZN9rocsolver6v33100L18trti2_kernel_smallILi36E19rocblas_complex_numIfEPS3_EEv13rocblas_fill_17rocblas_diagonal_T1_iil
                                        ; -- End function
	.set _ZN9rocsolver6v33100L18trti2_kernel_smallILi36E19rocblas_complex_numIfEPS3_EEv13rocblas_fill_17rocblas_diagonal_T1_iil.num_vgpr, 108
	.set _ZN9rocsolver6v33100L18trti2_kernel_smallILi36E19rocblas_complex_numIfEPS3_EEv13rocblas_fill_17rocblas_diagonal_T1_iil.num_agpr, 0
	.set _ZN9rocsolver6v33100L18trti2_kernel_smallILi36E19rocblas_complex_numIfEPS3_EEv13rocblas_fill_17rocblas_diagonal_T1_iil.numbered_sgpr, 25
	.set _ZN9rocsolver6v33100L18trti2_kernel_smallILi36E19rocblas_complex_numIfEPS3_EEv13rocblas_fill_17rocblas_diagonal_T1_iil.num_named_barrier, 0
	.set _ZN9rocsolver6v33100L18trti2_kernel_smallILi36E19rocblas_complex_numIfEPS3_EEv13rocblas_fill_17rocblas_diagonal_T1_iil.private_seg_size, 304
	.set _ZN9rocsolver6v33100L18trti2_kernel_smallILi36E19rocblas_complex_numIfEPS3_EEv13rocblas_fill_17rocblas_diagonal_T1_iil.uses_vcc, 1
	.set _ZN9rocsolver6v33100L18trti2_kernel_smallILi36E19rocblas_complex_numIfEPS3_EEv13rocblas_fill_17rocblas_diagonal_T1_iil.uses_flat_scratch, 1
	.set _ZN9rocsolver6v33100L18trti2_kernel_smallILi36E19rocblas_complex_numIfEPS3_EEv13rocblas_fill_17rocblas_diagonal_T1_iil.has_dyn_sized_stack, 0
	.set _ZN9rocsolver6v33100L18trti2_kernel_smallILi36E19rocblas_complex_numIfEPS3_EEv13rocblas_fill_17rocblas_diagonal_T1_iil.has_recursion, 0
	.set _ZN9rocsolver6v33100L18trti2_kernel_smallILi36E19rocblas_complex_numIfEPS3_EEv13rocblas_fill_17rocblas_diagonal_T1_iil.has_indirect_call, 0
	.section	.AMDGPU.csdata,"",@progbits
; Kernel info:
; codeLenInByte = 27192
; TotalNumSgprs: 27
; NumVgprs: 108
; ScratchSize: 304
; MemoryBound: 0
; FloatMode: 240
; IeeeMode: 1
; LDSByteSize: 576 bytes/workgroup (compile time only)
; SGPRBlocks: 0
; VGPRBlocks: 6
; NumSGPRsForWavesPerEU: 27
; NumVGPRsForWavesPerEU: 108
; NamedBarCnt: 0
; Occupancy: 9
; WaveLimiterHint : 0
; COMPUTE_PGM_RSRC2:SCRATCH_EN: 1
; COMPUTE_PGM_RSRC2:USER_SGPR: 2
; COMPUTE_PGM_RSRC2:TRAP_HANDLER: 0
; COMPUTE_PGM_RSRC2:TGID_X_EN: 1
; COMPUTE_PGM_RSRC2:TGID_Y_EN: 0
; COMPUTE_PGM_RSRC2:TGID_Z_EN: 0
; COMPUTE_PGM_RSRC2:TIDIG_COMP_CNT: 0
	.section	.text._ZN9rocsolver6v33100L18trti2_kernel_smallILi37E19rocblas_complex_numIfEPS3_EEv13rocblas_fill_17rocblas_diagonal_T1_iil,"axG",@progbits,_ZN9rocsolver6v33100L18trti2_kernel_smallILi37E19rocblas_complex_numIfEPS3_EEv13rocblas_fill_17rocblas_diagonal_T1_iil,comdat
	.globl	_ZN9rocsolver6v33100L18trti2_kernel_smallILi37E19rocblas_complex_numIfEPS3_EEv13rocblas_fill_17rocblas_diagonal_T1_iil ; -- Begin function _ZN9rocsolver6v33100L18trti2_kernel_smallILi37E19rocblas_complex_numIfEPS3_EEv13rocblas_fill_17rocblas_diagonal_T1_iil
	.p2align	8
	.type	_ZN9rocsolver6v33100L18trti2_kernel_smallILi37E19rocblas_complex_numIfEPS3_EEv13rocblas_fill_17rocblas_diagonal_T1_iil,@function
_ZN9rocsolver6v33100L18trti2_kernel_smallILi37E19rocblas_complex_numIfEPS3_EEv13rocblas_fill_17rocblas_diagonal_T1_iil: ; @_ZN9rocsolver6v33100L18trti2_kernel_smallILi37E19rocblas_complex_numIfEPS3_EEv13rocblas_fill_17rocblas_diagonal_T1_iil
; %bb.0:
	s_mov_b32 s2, exec_lo
	v_cmpx_gt_u32_e32 37, v0
	s_cbranch_execz .LBB36_724
; %bb.1:
	s_load_b256 s[4:11], s[0:1], 0x0
	s_wait_xcnt 0x0
	s_bfe_u32 s0, ttmp6, 0x4000c
	s_and_b32 s1, ttmp6, 15
	s_add_co_i32 s0, s0, 1
	s_getreg_b32 s2, hwreg(HW_REG_IB_STS2, 6, 4)
	s_mul_i32 s0, ttmp9, s0
	s_delay_alu instid0(SALU_CYCLE_1)
	s_add_co_i32 s0, s1, s0
	s_wait_kmcnt 0x0
	v_add3_u32 v4, s9, s9, v0
	s_ashr_i32 s1, s8, 31
	s_cmp_eq_u32 s2, 0
	s_cselect_b32 s2, ttmp9, s0
	s_delay_alu instid0(VALU_DEP_1)
	v_add_nc_u32_e32 v6, s9, v4
	s_ashr_i32 s3, s2, 31
	s_mov_b32 s0, s8
	s_mul_u64 s[2:3], s[10:11], s[2:3]
	s_lshl_b64 s[0:1], s[0:1], 3
	v_add_nc_u32_e32 v10, s9, v6
	s_lshl_b64 s[2:3], s[2:3], 3
	s_delay_alu instid0(SALU_CYCLE_1) | instskip(NEXT) | instid1(SALU_CYCLE_1)
	s_add_nc_u64 s[2:3], s[6:7], s[2:3]
	s_add_nc_u64 s[6:7], s[2:3], s[0:1]
	s_delay_alu instid0(VALU_DEP_1) | instskip(SKIP_3) | instid1(VALU_DEP_1)
	v_add_nc_u32_e32 v12, s9, v10
	s_mov_b32 s0, s9
	s_ashr_i32 s1, s9, 31
	s_cmp_lg_u32 s5, 0x84
	v_add_nc_u32_e32 v14, s9, v12
	v_lshlrev_b32_e32 v40, 3, v0
	s_cselect_b32 s3, -1, 0
	s_delay_alu instid0(SALU_CYCLE_1) | instskip(NEXT) | instid1(VALU_DEP_2)
	s_and_b32 vcc_lo, exec_lo, s3
	v_dual_mov_b32 v41, 0 :: v_dual_add_nc_u32 v16, s9, v14
	s_delay_alu instid0(VALU_DEP_1) | instskip(NEXT) | instid1(VALU_DEP_2)
	v_add_nc_u32_e32 v18, s9, v16
	v_add_nc_u64_e32 v[2:3], s[6:7], v[40:41]
	s_delay_alu instid0(VALU_DEP_2) | instskip(NEXT) | instid1(VALU_DEP_2)
	v_add_nc_u32_e32 v20, s9, v18
	v_lshl_add_u64 v[8:9], s[0:1], 3, v[2:3]
	s_clause 0x3
	global_load_b64 v[56:57], v10, s[6:7] scale_offset
	global_load_b64 v[58:59], v12, s[6:7] scale_offset
	;; [unrolled: 1-line block ×3, first 2 shown]
	global_load_b64 v[62:63], v[8:9], off
	v_add_nc_u32_e32 v22, s9, v20
	s_clause 0x3
	global_load_b64 v[64:65], v4, s[6:7] scale_offset
	global_load_b64 v[66:67], v6, s[6:7] scale_offset
	;; [unrolled: 1-line block ×4, first 2 shown]
	s_mov_b32 s0, -1
	v_add_nc_u32_e32 v24, s9, v22
	s_delay_alu instid0(VALU_DEP_1) | instskip(NEXT) | instid1(VALU_DEP_1)
	v_add_nc_u32_e32 v26, s9, v24
	v_add_nc_u32_e32 v28, s9, v26
	s_delay_alu instid0(VALU_DEP_1)
	v_add_nc_u32_e32 v30, s9, v28
	s_clause 0x3
	global_load_b64 v[72:73], v18, s[6:7] scale_offset
	global_load_b64 v[74:75], v20, s[6:7] scale_offset
	;; [unrolled: 1-line block ×4, first 2 shown]
	v_add_nc_u32_e32 v32, s9, v30
	s_delay_alu instid0(VALU_DEP_1) | instskip(NEXT) | instid1(VALU_DEP_1)
	v_add_nc_u32_e32 v34, s9, v32
	v_add_nc_u32_e32 v36, s9, v34
	s_delay_alu instid0(VALU_DEP_1)
	v_add_nc_u32_e32 v38, s9, v36
	s_clause 0x3
	global_load_b64 v[80:81], v26, s[6:7] scale_offset
	global_load_b64 v[82:83], v28, s[6:7] scale_offset
	global_load_b64 v[84:85], v30, s[6:7] scale_offset
	global_load_b64 v[86:87], v32, s[6:7] scale_offset
	v_add_nc_u32_e32 v42, s9, v38
	s_delay_alu instid0(VALU_DEP_1) | instskip(NEXT) | instid1(VALU_DEP_1)
	v_add_nc_u32_e32 v44, s9, v42
	v_add_nc_u32_e32 v46, s9, v44
	s_clause 0x1
	global_load_b64 v[88:89], v34, s[6:7] scale_offset
	global_load_b64 v[90:91], v36, s[6:7] scale_offset
	v_add_nc_u32_e32 v48, s9, v46
	s_delay_alu instid0(VALU_DEP_1) | instskip(NEXT) | instid1(VALU_DEP_1)
	v_add_nc_u32_e32 v50, s9, v48
	v_add_nc_u32_e32 v52, s9, v50
	s_delay_alu instid0(VALU_DEP_1)
	v_add_nc_u32_e32 v54, s9, v52
	s_wait_loadcnt 0x10
	scratch_store_b128 off, v[56:59], off offset:32
	s_wait_xcnt 0x0
	v_add_nc_u32_e32 v56, s9, v54
	s_wait_loadcnt 0xe
	scratch_store_b128 off, v[60:63], off
	s_clause 0x1
	global_load_b64 v[92:93], v38, s[6:7] scale_offset
	global_load_b64 v[94:95], v42, s[6:7] scale_offset
	s_wait_loadcnt 0xe
	scratch_store_b128 off, v[64:67], off offset:16
	s_wait_loadcnt 0xc
	scratch_store_b128 off, v[68:71], off offset:48
	v_add_nc_u32_e32 v58, s9, v56
	s_clause 0x1
	global_load_b64 v[96:97], v44, s[6:7] scale_offset
	global_load_b64 v[98:99], v46, s[6:7] scale_offset
	s_wait_xcnt 0x6
	v_add_nc_u32_e32 v60, s9, v58
	s_delay_alu instid0(VALU_DEP_1) | instskip(SKIP_1) | instid1(VALU_DEP_1)
	v_add_nc_u32_e32 v62, s9, v60
	s_wait_xcnt 0x3
	v_add_nc_u32_e32 v64, s9, v62
	s_wait_loadcnt 0xc
	scratch_store_b128 off, v[72:75], off offset:64
	s_clause 0x1
	global_load_b64 v[100:101], v48, s[6:7] scale_offset
	global_load_b64 v[102:103], v50, s[6:7] scale_offset
	s_wait_loadcnt 0xc
	scratch_store_b128 off, v[76:79], off offset:80
	s_wait_loadcnt 0xa
	scratch_store_b128 off, v[80:83], off offset:96
	s_clause 0x3
	global_load_b64 v[76:77], v52, s[6:7] scale_offset
	global_load_b64 v[78:79], v54, s[6:7] scale_offset
	;; [unrolled: 1-line block ×4, first 2 shown]
	s_wait_loadcnt 0xc
	scratch_store_b128 off, v[84:87], off offset:112
	v_add_nc_u32_e32 v66, s9, v64
	s_clause 0x1
	global_load_b64 v[84:85], v60, s[6:7] scale_offset
	global_load_b64 v[86:87], v62, s[6:7] scale_offset
	v_add_nc_u32_e32 v68, s9, v66
	s_delay_alu instid0(VALU_DEP_1) | instskip(SKIP_3) | instid1(VALU_DEP_1)
	v_add_nc_u32_e32 v70, s9, v68
	s_wait_loadcnt 0xc
	scratch_store_b128 off, v[88:91], off offset:128
	v_add_nc_u32_e32 v72, s9, v70
	v_add_nc_u32_e32 v74, s9, v72
	s_wait_loadcnt 0xa
	scratch_store_b128 off, v[92:95], off offset:144
	s_wait_loadcnt 0x8
	scratch_store_b128 off, v[96:99], off offset:160
	;; [unrolled: 2-line block ×3, first 2 shown]
	s_clause 0x1
	global_load_b64 v[88:89], v64, s[6:7] scale_offset
	global_load_b64 v[90:91], v66, s[6:7] scale_offset
	s_wait_loadcnt 0x6
	scratch_store_b128 off, v[76:79], off offset:192
	s_wait_xcnt 0x0
	v_add_nc_u32_e32 v76, s9, v74
	s_wait_loadcnt 0x4
	scratch_store_b128 off, v[80:83], off offset:208
	s_wait_loadcnt 0x2
	scratch_store_b128 off, v[84:87], off offset:224
	s_clause 0x4
	global_load_b64 v[78:79], v68, s[6:7] scale_offset
	global_load_b64 v[80:81], v70, s[6:7] scale_offset
	;; [unrolled: 1-line block ×5, first 2 shown]
	s_wait_loadcnt 0x5
	scratch_store_b128 off, v[88:91], off offset:240
	s_wait_loadcnt 0x3
	scratch_store_b128 off, v[78:81], off offset:256
	;; [unrolled: 2-line block ×3, first 2 shown]
	s_wait_loadcnt 0x0
	scratch_store_b64 off, v[86:87], off offset:288
	s_cbranch_vccz .LBB36_7
; %bb.2:
	scratch_load_b64 v[78:79], v0, off scale_offset
                                        ; implicit-def: $vgpr83
                                        ; implicit-def: $vgpr80
	s_wait_loadcnt 0x0
	v_cmp_ngt_f32_e64 s0, |v78|, |v79|
	s_wait_xcnt 0x0
	s_and_saveexec_b32 s1, s0
	s_delay_alu instid0(SALU_CYCLE_1)
	s_xor_b32 s0, exec_lo, s1
	s_cbranch_execz .LBB36_4
; %bb.3:
	v_div_scale_f32 v1, null, v79, v79, v78
	v_div_scale_f32 v11, vcc_lo, v78, v79, v78
	s_delay_alu instid0(VALU_DEP_2) | instskip(SKIP_1) | instid1(TRANS32_DEP_1)
	v_rcp_f32_e32 v5, v1
	v_nop
	v_fma_f32 v7, -v1, v5, 1.0
	s_delay_alu instid0(VALU_DEP_1) | instskip(NEXT) | instid1(VALU_DEP_1)
	v_fmac_f32_e32 v5, v7, v5
	v_mul_f32_e32 v7, v11, v5
	s_delay_alu instid0(VALU_DEP_1) | instskip(NEXT) | instid1(VALU_DEP_1)
	v_fma_f32 v13, -v1, v7, v11
	v_fmac_f32_e32 v7, v13, v5
	s_delay_alu instid0(VALU_DEP_1) | instskip(NEXT) | instid1(VALU_DEP_1)
	v_fma_f32 v1, -v1, v7, v11
	v_div_fmas_f32 v1, v1, v5, v7
	s_delay_alu instid0(VALU_DEP_1) | instskip(NEXT) | instid1(VALU_DEP_1)
	v_div_fixup_f32 v1, v1, v79, v78
	v_fmac_f32_e32 v79, v78, v1
	s_delay_alu instid0(VALU_DEP_1) | instskip(NEXT) | instid1(VALU_DEP_1)
	v_div_scale_f32 v5, null, v79, v79, -1.0
	v_rcp_f32_e32 v7, v5
	v_nop
	s_delay_alu instid0(TRANS32_DEP_1) | instskip(NEXT) | instid1(VALU_DEP_1)
	v_fma_f32 v11, -v5, v7, 1.0
	v_fmac_f32_e32 v7, v11, v7
	v_div_scale_f32 v11, vcc_lo, -1.0, v79, -1.0
	s_delay_alu instid0(VALU_DEP_1) | instskip(NEXT) | instid1(VALU_DEP_1)
	v_mul_f32_e32 v13, v11, v7
	v_fma_f32 v15, -v5, v13, v11
	s_delay_alu instid0(VALU_DEP_1) | instskip(NEXT) | instid1(VALU_DEP_1)
	v_fmac_f32_e32 v13, v15, v7
	v_fma_f32 v5, -v5, v13, v11
	s_delay_alu instid0(VALU_DEP_1) | instskip(NEXT) | instid1(VALU_DEP_1)
	v_div_fmas_f32 v5, v5, v7, v13
	v_div_fixup_f32 v83, v5, v79, -1.0
                                        ; implicit-def: $vgpr78_vgpr79
	s_delay_alu instid0(VALU_DEP_1) | instskip(NEXT) | instid1(VALU_DEP_1)
	v_mul_f32_e32 v80, v1, v83
	v_xor_b32_e32 v82, 0x80000000, v80
.LBB36_4:
	s_or_saveexec_b32 s0, s0
	v_lshl_add_u32 v1, v0, 3, 0
	s_xor_b32 exec_lo, exec_lo, s0
	s_cbranch_execz .LBB36_6
; %bb.5:
	v_div_scale_f32 v5, null, v78, v78, v79
	v_div_scale_f32 v13, vcc_lo, v79, v78, v79
	s_delay_alu instid0(VALU_DEP_2) | instskip(SKIP_1) | instid1(TRANS32_DEP_1)
	v_rcp_f32_e32 v7, v5
	v_nop
	v_fma_f32 v11, -v5, v7, 1.0
	s_delay_alu instid0(VALU_DEP_1) | instskip(NEXT) | instid1(VALU_DEP_1)
	v_fmac_f32_e32 v7, v11, v7
	v_mul_f32_e32 v11, v13, v7
	s_delay_alu instid0(VALU_DEP_1) | instskip(NEXT) | instid1(VALU_DEP_1)
	v_fma_f32 v15, -v5, v11, v13
	v_fmac_f32_e32 v11, v15, v7
	s_delay_alu instid0(VALU_DEP_1) | instskip(NEXT) | instid1(VALU_DEP_1)
	v_fma_f32 v5, -v5, v11, v13
	v_div_fmas_f32 v5, v5, v7, v11
	s_delay_alu instid0(VALU_DEP_1) | instskip(NEXT) | instid1(VALU_DEP_1)
	v_div_fixup_f32 v5, v5, v78, v79
	v_fmac_f32_e32 v78, v79, v5
	s_delay_alu instid0(VALU_DEP_1) | instskip(SKIP_1) | instid1(VALU_DEP_2)
	v_div_scale_f32 v7, null, v78, v78, 1.0
	v_div_scale_f32 v15, vcc_lo, 1.0, v78, 1.0
	v_rcp_f32_e32 v11, v7
	v_nop
	s_delay_alu instid0(TRANS32_DEP_1) | instskip(NEXT) | instid1(VALU_DEP_1)
	v_fma_f32 v13, -v7, v11, 1.0
	v_fmac_f32_e32 v11, v13, v11
	s_delay_alu instid0(VALU_DEP_1) | instskip(NEXT) | instid1(VALU_DEP_1)
	v_mul_f32_e32 v13, v15, v11
	v_fma_f32 v17, -v7, v13, v15
	s_delay_alu instid0(VALU_DEP_1) | instskip(NEXT) | instid1(VALU_DEP_1)
	v_fmac_f32_e32 v13, v17, v11
	v_fma_f32 v7, -v7, v13, v15
	s_delay_alu instid0(VALU_DEP_1) | instskip(NEXT) | instid1(VALU_DEP_1)
	v_div_fmas_f32 v7, v7, v11, v13
	v_div_fixup_f32 v82, v7, v78, 1.0
	s_delay_alu instid0(VALU_DEP_1)
	v_xor_b32_e32 v80, 0x80000000, v82
	v_mul_f32_e64 v83, v5, -v82
.LBB36_6:
	s_or_b32 exec_lo, exec_lo, s0
	s_delay_alu instid0(VALU_DEP_1)
	v_xor_b32_e32 v81, 0x80000000, v83
	s_mov_b32 s0, 0
	scratch_store_b64 v1, v[82:83], off
	ds_store_b64 v40, v[80:81]
.LBB36_7:
	s_and_b32 vcc_lo, exec_lo, s0
	s_cbranch_vccz .LBB36_9
; %bb.8:
	s_mov_b64 s[0:1], 0xbf800000
	s_wait_xcnt 0x2
	v_mov_b64_e32 v[78:79], s[0:1]
	ds_store_b64 v40, v[78:79]
.LBB36_9:
	v_dual_ashrrev_i32 v5, 31, v4 :: v_dual_ashrrev_i32 v7, 31, v6
	v_dual_ashrrev_i32 v11, 31, v10 :: v_dual_ashrrev_i32 v13, 31, v12
	;; [unrolled: 1-line block ×17, first 2 shown]
	v_dual_ashrrev_i32 v75, 31, v74 :: v_dual_mov_b32 v41, v40
	s_wait_xcnt 0x0
	v_add_nc_u32_e32 v1, 0x130, v40
	s_cmp_eq_u32 s4, 0x79
	s_cbranch_scc1 .LBB36_13
; %bb.10:
	scratch_load_b64 v[78:79], off, off offset:280
	v_cmp_eq_u32_e64 s0, 36, v0
	s_movk_i32 s1, 0x50
	s_movk_i32 s2, 0x60
	s_movk_i32 s12, 0x70
	s_movk_i32 s13, 0x80
	s_movk_i32 s14, 0x90
	s_movk_i32 s15, 0xa0
	s_movk_i32 s16, 0xb0
	s_movk_i32 s17, 0xc0
	s_movk_i32 s18, 0xd0
	s_movk_i32 s19, 0xe0
	s_movk_i32 s20, 0xf0
	s_movk_i32 s21, 0x100
	s_movk_i32 s22, 0x110
	s_wait_loadcnt 0x0
	ds_store_b64 v1, v[78:79]
	s_wait_storecnt_dscnt 0x0
	s_barrier_signal -1
	s_barrier_wait -1
	s_wait_xcnt 0x0
	s_and_saveexec_b32 s4, s0
	s_cbranch_execz .LBB36_17
; %bb.11:
	s_and_b32 vcc_lo, exec_lo, s3
	s_cbranch_vccz .LBB36_14
; %bb.12:
	scratch_load_b64 v[78:79], v41, off
	ds_load_b64 v[80:81], v1
	s_wait_loadcnt_dscnt 0x0
	v_pk_mul_f32 v[82:83], v[80:81], v[78:79] op_sel:[1,1] op_sel_hi:[0,1]
	v_pk_mul_f32 v[84:85], v[80:81], v[78:79] op_sel_hi:[1,0]
	s_delay_alu instid0(VALU_DEP_2) | instskip(NEXT) | instid1(VALU_DEP_2)
	v_pk_fma_f32 v[78:79], v[80:81], v[78:79], v[82:83] op_sel_hi:[1,0,1]
	v_sub_f32_e32 v78, v84, v82
	s_cbranch_execz .LBB36_15
	s_branch .LBB36_16
.LBB36_13:
	s_mov_b32 s1, 0
                                        ; implicit-def: $vgpr102
                                        ; implicit-def: $sgpr4
	s_cbranch_execnz .LBB36_366
	s_branch .LBB36_721
.LBB36_14:
                                        ; implicit-def: $vgpr79
.LBB36_15:
	ds_load_b64 v[78:79], v1
.LBB36_16:
	s_wait_dscnt 0x0
	v_dual_mov_b32 v80, 0 :: v_dual_mov_b32 v82, v79
	v_mov_b32_e32 v83, v78
	ds_load_b64 v[80:81], v80 offset:280
	s_wait_dscnt 0x0
	v_pk_mul_f32 v[82:83], v[82:83], v[80:81] op_sel:[0,1]
	s_delay_alu instid0(VALU_DEP_1) | instskip(SKIP_1) | instid1(VALU_DEP_2)
	v_pk_fma_f32 v[84:85], v[78:79], v[80:81], v[82:83] op_sel_hi:[1,0,1]
	v_pk_fma_f32 v[78:79], v[78:79], v[80:81], v[82:83] neg_lo:[0,0,1] neg_hi:[0,0,1]
	v_mov_b32_e32 v79, v85
	scratch_store_b64 off, v[78:79], off offset:280
.LBB36_17:
	s_wait_xcnt 0x0
	s_or_b32 exec_lo, exec_lo, s4
	scratch_load_b64 v[78:79], off, off offset:272
	s_mov_b32 s11, s2
	v_cmp_lt_u32_e64 s2, 34, v0
	s_mov_b32 s4, 16
	s_mov_b32 s5, 32
	s_mov_b32 s8, 48
	s_mov_b32 s9, 64
	s_mov_b32 s10, s1
	s_wait_loadcnt 0x0
	ds_store_b64 v1, v[78:79]
	s_wait_storecnt_dscnt 0x0
	s_barrier_signal -1
	s_barrier_wait -1
	s_wait_xcnt 0x0
	s_and_saveexec_b32 s1, s2
	s_cbranch_execz .LBB36_25
; %bb.18:
	s_and_not1_b32 vcc_lo, exec_lo, s3
	s_cbranch_vccnz .LBB36_20
; %bb.19:
	scratch_load_b64 v[78:79], v41, off
	ds_load_b64 v[80:81], v1
	s_wait_loadcnt_dscnt 0x0
	v_pk_mul_f32 v[82:83], v[80:81], v[78:79] op_sel:[1,1] op_sel_hi:[0,1]
	s_delay_alu instid0(VALU_DEP_1) | instskip(SKIP_1) | instid1(VALU_DEP_2)
	v_pk_fma_f32 v[84:85], v[80:81], v[78:79], v[82:83] op_sel_hi:[1,0,1]
	v_pk_fma_f32 v[78:79], v[80:81], v[78:79], v[82:83] neg_lo:[0,0,1] neg_hi:[0,0,1]
	v_mov_b32_e32 v79, v85
	s_cbranch_execz .LBB36_21
	s_branch .LBB36_22
.LBB36_20:
                                        ; implicit-def: $vgpr78_vgpr79
.LBB36_21:
	ds_load_b64 v[78:79], v1
.LBB36_22:
	s_and_saveexec_b32 s23, s0
	s_cbranch_execz .LBB36_24
; %bb.23:
	scratch_load_b64 v[80:81], off, off offset:280
	v_mov_b32_e32 v82, 0
	ds_load_b64 v[82:83], v82 offset:584
	s_wait_loadcnt_dscnt 0x0
	v_pk_mul_f32 v[84:85], v[82:83], v[80:81] op_sel:[1,1] op_sel_hi:[0,1]
	s_delay_alu instid0(VALU_DEP_1) | instskip(SKIP_1) | instid1(VALU_DEP_2)
	v_pk_fma_f32 v[86:87], v[82:83], v[80:81], v[84:85] op_sel_hi:[1,0,1]
	v_pk_fma_f32 v[80:81], v[82:83], v[80:81], v[84:85] neg_lo:[0,0,1] neg_hi:[0,0,1]
	v_mov_b32_e32 v81, v87
	s_delay_alu instid0(VALU_DEP_1)
	v_pk_add_f32 v[78:79], v[78:79], v[80:81]
.LBB36_24:
	s_or_b32 exec_lo, exec_lo, s23
	v_mov_b32_e32 v80, 0
	ds_load_b64 v[80:81], v80 offset:272
	s_wait_dscnt 0x0
	v_pk_mul_f32 v[82:83], v[78:79], v[80:81] op_sel:[1,1] op_sel_hi:[0,1]
	s_delay_alu instid0(VALU_DEP_1) | instskip(SKIP_1) | instid1(VALU_DEP_2)
	v_pk_fma_f32 v[84:85], v[78:79], v[80:81], v[82:83] op_sel_hi:[1,0,1]
	v_pk_fma_f32 v[78:79], v[78:79], v[80:81], v[82:83] neg_lo:[0,0,1] neg_hi:[0,0,1]
	v_mov_b32_e32 v79, v85
	scratch_store_b64 off, v[78:79], off offset:272
.LBB36_25:
	s_wait_xcnt 0x0
	s_or_b32 exec_lo, exec_lo, s1
	scratch_load_b64 v[78:79], off, off offset:264
	v_cmp_lt_u32_e64 s1, 33, v0
	s_wait_loadcnt 0x0
	ds_store_b64 v1, v[78:79]
	s_wait_storecnt_dscnt 0x0
	s_barrier_signal -1
	s_barrier_wait -1
	s_wait_xcnt 0x0
	s_and_saveexec_b32 s0, s1
	s_cbranch_execz .LBB36_35
; %bb.26:
	s_and_not1_b32 vcc_lo, exec_lo, s3
	s_cbranch_vccnz .LBB36_28
; %bb.27:
	scratch_load_b64 v[78:79], v41, off
	ds_load_b64 v[80:81], v1
	s_wait_loadcnt_dscnt 0x0
	v_pk_mul_f32 v[82:83], v[80:81], v[78:79] op_sel:[1,1] op_sel_hi:[0,1]
	s_delay_alu instid0(VALU_DEP_1) | instskip(SKIP_1) | instid1(VALU_DEP_2)
	v_pk_fma_f32 v[84:85], v[80:81], v[78:79], v[82:83] op_sel_hi:[1,0,1]
	v_pk_fma_f32 v[78:79], v[80:81], v[78:79], v[82:83] neg_lo:[0,0,1] neg_hi:[0,0,1]
	v_mov_b32_e32 v79, v85
	s_cbranch_execz .LBB36_29
	s_branch .LBB36_30
.LBB36_28:
                                        ; implicit-def: $vgpr78_vgpr79
.LBB36_29:
	ds_load_b64 v[78:79], v1
.LBB36_30:
	s_and_saveexec_b32 s23, s2
	s_cbranch_execz .LBB36_34
; %bb.31:
	v_subrev_nc_u32_e32 v80, 34, v0
	s_movk_i32 s24, 0x240
	s_mov_b32 s2, 0
.LBB36_32:                              ; =>This Inner Loop Header: Depth=1
	scratch_load_b64 v[82:83], off, s22
	v_dual_mov_b32 v81, s24 :: v_dual_add_nc_u32 v80, -1, v80
	s_add_co_i32 s24, s24, 8
	s_wait_xcnt 0x0
	s_add_co_i32 s22, s22, 8
	ds_load_b64 v[84:85], v81
	v_cmp_eq_u32_e32 vcc_lo, 0, v80
	s_or_b32 s2, vcc_lo, s2
	s_wait_loadcnt_dscnt 0x0
	v_pk_mul_f32 v[86:87], v[84:85], v[82:83] op_sel:[1,1] op_sel_hi:[0,1]
	s_delay_alu instid0(VALU_DEP_1) | instskip(SKIP_1) | instid1(VALU_DEP_2)
	v_pk_fma_f32 v[88:89], v[84:85], v[82:83], v[86:87] op_sel_hi:[1,0,1]
	v_pk_fma_f32 v[82:83], v[84:85], v[82:83], v[86:87] neg_lo:[0,0,1] neg_hi:[0,0,1]
	v_mov_b32_e32 v83, v89
	s_delay_alu instid0(VALU_DEP_1)
	v_pk_add_f32 v[78:79], v[78:79], v[82:83]
	s_and_not1_b32 exec_lo, exec_lo, s2
	s_cbranch_execnz .LBB36_32
; %bb.33:
	s_or_b32 exec_lo, exec_lo, s2
.LBB36_34:
	s_delay_alu instid0(SALU_CYCLE_1) | instskip(SKIP_4) | instid1(VALU_DEP_1)
	s_or_b32 exec_lo, exec_lo, s23
	v_mov_b32_e32 v80, 0
	ds_load_b64 v[80:81], v80 offset:264
	s_wait_dscnt 0x0
	v_pk_mul_f32 v[82:83], v[78:79], v[80:81] op_sel:[1,1] op_sel_hi:[0,1]
	v_pk_fma_f32 v[84:85], v[78:79], v[80:81], v[82:83] op_sel_hi:[1,0,1]
	v_pk_fma_f32 v[78:79], v[78:79], v[80:81], v[82:83] neg_lo:[0,0,1] neg_hi:[0,0,1]
	s_delay_alu instid0(VALU_DEP_2)
	v_mov_b32_e32 v79, v85
	scratch_store_b64 off, v[78:79], off offset:264
.LBB36_35:
	s_wait_xcnt 0x0
	s_or_b32 exec_lo, exec_lo, s0
	scratch_load_b64 v[78:79], off, off offset:256
	v_cmp_lt_u32_e64 s0, 32, v0
	s_wait_loadcnt 0x0
	ds_store_b64 v1, v[78:79]
	s_wait_storecnt_dscnt 0x0
	s_barrier_signal -1
	s_barrier_wait -1
	s_wait_xcnt 0x0
	s_and_saveexec_b32 s2, s0
	s_cbranch_execz .LBB36_45
; %bb.36:
	s_and_not1_b32 vcc_lo, exec_lo, s3
	s_cbranch_vccnz .LBB36_38
; %bb.37:
	scratch_load_b64 v[78:79], v41, off
	ds_load_b64 v[80:81], v1
	s_wait_loadcnt_dscnt 0x0
	v_pk_mul_f32 v[82:83], v[80:81], v[78:79] op_sel:[1,1] op_sel_hi:[0,1]
	s_delay_alu instid0(VALU_DEP_1) | instskip(SKIP_1) | instid1(VALU_DEP_2)
	v_pk_fma_f32 v[84:85], v[80:81], v[78:79], v[82:83] op_sel_hi:[1,0,1]
	v_pk_fma_f32 v[78:79], v[80:81], v[78:79], v[82:83] neg_lo:[0,0,1] neg_hi:[0,0,1]
	v_mov_b32_e32 v79, v85
	s_cbranch_execz .LBB36_39
	s_branch .LBB36_40
.LBB36_38:
                                        ; implicit-def: $vgpr78_vgpr79
.LBB36_39:
	ds_load_b64 v[78:79], v1
.LBB36_40:
	s_and_saveexec_b32 s22, s1
	s_cbranch_execz .LBB36_44
; %bb.41:
	v_subrev_nc_u32_e32 v80, 33, v0
	s_movk_i32 s1, 0x108
	s_movk_i32 s24, 0x238
	s_mov_b32 s23, 0
.LBB36_42:                              ; =>This Inner Loop Header: Depth=1
	scratch_load_b64 v[82:83], off, s1
	v_dual_mov_b32 v81, s24 :: v_dual_add_nc_u32 v80, -1, v80
	s_add_co_i32 s24, s24, 8
	s_wait_xcnt 0x0
	s_add_co_i32 s1, s1, 8
	ds_load_b64 v[84:85], v81
	v_cmp_eq_u32_e32 vcc_lo, 0, v80
	s_or_b32 s23, vcc_lo, s23
	s_wait_loadcnt_dscnt 0x0
	v_pk_mul_f32 v[86:87], v[84:85], v[82:83] op_sel:[1,1] op_sel_hi:[0,1]
	s_delay_alu instid0(VALU_DEP_1) | instskip(SKIP_1) | instid1(VALU_DEP_2)
	v_pk_fma_f32 v[88:89], v[84:85], v[82:83], v[86:87] op_sel_hi:[1,0,1]
	v_pk_fma_f32 v[82:83], v[84:85], v[82:83], v[86:87] neg_lo:[0,0,1] neg_hi:[0,0,1]
	v_mov_b32_e32 v83, v89
	s_delay_alu instid0(VALU_DEP_1)
	v_pk_add_f32 v[78:79], v[78:79], v[82:83]
	s_and_not1_b32 exec_lo, exec_lo, s23
	s_cbranch_execnz .LBB36_42
; %bb.43:
	s_or_b32 exec_lo, exec_lo, s23
.LBB36_44:
	s_delay_alu instid0(SALU_CYCLE_1) | instskip(SKIP_4) | instid1(VALU_DEP_1)
	s_or_b32 exec_lo, exec_lo, s22
	v_mov_b32_e32 v80, 0
	ds_load_b64 v[80:81], v80 offset:256
	s_wait_dscnt 0x0
	v_pk_mul_f32 v[82:83], v[78:79], v[80:81] op_sel:[1,1] op_sel_hi:[0,1]
	v_pk_fma_f32 v[84:85], v[78:79], v[80:81], v[82:83] op_sel_hi:[1,0,1]
	v_pk_fma_f32 v[78:79], v[78:79], v[80:81], v[82:83] neg_lo:[0,0,1] neg_hi:[0,0,1]
	s_delay_alu instid0(VALU_DEP_2)
	v_mov_b32_e32 v79, v85
	scratch_store_b64 off, v[78:79], off offset:256
.LBB36_45:
	s_wait_xcnt 0x0
	s_or_b32 exec_lo, exec_lo, s2
	scratch_load_b64 v[78:79], off, off offset:248
	v_cmp_lt_u32_e64 s1, 31, v0
	s_wait_loadcnt 0x0
	ds_store_b64 v1, v[78:79]
	s_wait_storecnt_dscnt 0x0
	s_barrier_signal -1
	s_barrier_wait -1
	s_wait_xcnt 0x0
	s_and_saveexec_b32 s2, s1
	s_cbranch_execz .LBB36_55
; %bb.46:
	s_and_not1_b32 vcc_lo, exec_lo, s3
	s_cbranch_vccnz .LBB36_48
; %bb.47:
	scratch_load_b64 v[78:79], v41, off
	ds_load_b64 v[80:81], v1
	s_wait_loadcnt_dscnt 0x0
	v_pk_mul_f32 v[82:83], v[80:81], v[78:79] op_sel:[1,1] op_sel_hi:[0,1]
	s_delay_alu instid0(VALU_DEP_1) | instskip(SKIP_1) | instid1(VALU_DEP_2)
	v_pk_fma_f32 v[84:85], v[80:81], v[78:79], v[82:83] op_sel_hi:[1,0,1]
	v_pk_fma_f32 v[78:79], v[80:81], v[78:79], v[82:83] neg_lo:[0,0,1] neg_hi:[0,0,1]
	v_mov_b32_e32 v79, v85
	s_cbranch_execz .LBB36_49
	s_branch .LBB36_50
.LBB36_48:
                                        ; implicit-def: $vgpr78_vgpr79
.LBB36_49:
	ds_load_b64 v[78:79], v1
.LBB36_50:
	s_and_saveexec_b32 s22, s0
	s_cbranch_execz .LBB36_54
; %bb.51:
	v_subrev_nc_u32_e32 v80, 32, v0
	s_movk_i32 s23, 0x230
	s_mov_b32 s0, 0
.LBB36_52:                              ; =>This Inner Loop Header: Depth=1
	scratch_load_b64 v[82:83], off, s21
	v_dual_mov_b32 v81, s23 :: v_dual_add_nc_u32 v80, -1, v80
	s_add_co_i32 s23, s23, 8
	s_wait_xcnt 0x0
	s_add_co_i32 s21, s21, 8
	ds_load_b64 v[84:85], v81
	v_cmp_eq_u32_e32 vcc_lo, 0, v80
	s_or_b32 s0, vcc_lo, s0
	s_wait_loadcnt_dscnt 0x0
	v_pk_mul_f32 v[86:87], v[84:85], v[82:83] op_sel:[1,1] op_sel_hi:[0,1]
	s_delay_alu instid0(VALU_DEP_1) | instskip(SKIP_1) | instid1(VALU_DEP_2)
	v_pk_fma_f32 v[88:89], v[84:85], v[82:83], v[86:87] op_sel_hi:[1,0,1]
	v_pk_fma_f32 v[82:83], v[84:85], v[82:83], v[86:87] neg_lo:[0,0,1] neg_hi:[0,0,1]
	v_mov_b32_e32 v83, v89
	s_delay_alu instid0(VALU_DEP_1)
	v_pk_add_f32 v[78:79], v[78:79], v[82:83]
	s_and_not1_b32 exec_lo, exec_lo, s0
	s_cbranch_execnz .LBB36_52
; %bb.53:
	s_or_b32 exec_lo, exec_lo, s0
.LBB36_54:
	s_delay_alu instid0(SALU_CYCLE_1) | instskip(SKIP_4) | instid1(VALU_DEP_1)
	s_or_b32 exec_lo, exec_lo, s22
	v_mov_b32_e32 v80, 0
	ds_load_b64 v[80:81], v80 offset:248
	s_wait_dscnt 0x0
	v_pk_mul_f32 v[82:83], v[78:79], v[80:81] op_sel:[1,1] op_sel_hi:[0,1]
	v_pk_fma_f32 v[84:85], v[78:79], v[80:81], v[82:83] op_sel_hi:[1,0,1]
	v_pk_fma_f32 v[78:79], v[78:79], v[80:81], v[82:83] neg_lo:[0,0,1] neg_hi:[0,0,1]
	s_delay_alu instid0(VALU_DEP_2)
	v_mov_b32_e32 v79, v85
	scratch_store_b64 off, v[78:79], off offset:248
.LBB36_55:
	s_wait_xcnt 0x0
	s_or_b32 exec_lo, exec_lo, s2
	scratch_load_b64 v[78:79], off, off offset:240
	v_cmp_lt_u32_e64 s0, 30, v0
	s_wait_loadcnt 0x0
	ds_store_b64 v1, v[78:79]
	s_wait_storecnt_dscnt 0x0
	s_barrier_signal -1
	s_barrier_wait -1
	s_wait_xcnt 0x0
	s_and_saveexec_b32 s2, s0
	s_cbranch_execz .LBB36_65
; %bb.56:
	s_and_not1_b32 vcc_lo, exec_lo, s3
	s_cbranch_vccnz .LBB36_58
; %bb.57:
	scratch_load_b64 v[78:79], v41, off
	ds_load_b64 v[80:81], v1
	s_wait_loadcnt_dscnt 0x0
	v_pk_mul_f32 v[82:83], v[80:81], v[78:79] op_sel:[1,1] op_sel_hi:[0,1]
	s_delay_alu instid0(VALU_DEP_1) | instskip(SKIP_1) | instid1(VALU_DEP_2)
	v_pk_fma_f32 v[84:85], v[80:81], v[78:79], v[82:83] op_sel_hi:[1,0,1]
	v_pk_fma_f32 v[78:79], v[80:81], v[78:79], v[82:83] neg_lo:[0,0,1] neg_hi:[0,0,1]
	v_mov_b32_e32 v79, v85
	s_cbranch_execz .LBB36_59
	s_branch .LBB36_60
.LBB36_58:
                                        ; implicit-def: $vgpr78_vgpr79
.LBB36_59:
	ds_load_b64 v[78:79], v1
.LBB36_60:
	s_and_saveexec_b32 s21, s1
	s_cbranch_execz .LBB36_64
; %bb.61:
	v_subrev_nc_u32_e32 v80, 31, v0
	s_movk_i32 s1, 0xf8
	s_movk_i32 s23, 0x228
	s_mov_b32 s22, 0
.LBB36_62:                              ; =>This Inner Loop Header: Depth=1
	scratch_load_b64 v[82:83], off, s1
	v_dual_mov_b32 v81, s23 :: v_dual_add_nc_u32 v80, -1, v80
	s_add_co_i32 s23, s23, 8
	s_wait_xcnt 0x0
	s_add_co_i32 s1, s1, 8
	ds_load_b64 v[84:85], v81
	v_cmp_eq_u32_e32 vcc_lo, 0, v80
	s_or_b32 s22, vcc_lo, s22
	s_wait_loadcnt_dscnt 0x0
	v_pk_mul_f32 v[86:87], v[84:85], v[82:83] op_sel:[1,1] op_sel_hi:[0,1]
	s_delay_alu instid0(VALU_DEP_1) | instskip(SKIP_1) | instid1(VALU_DEP_2)
	v_pk_fma_f32 v[88:89], v[84:85], v[82:83], v[86:87] op_sel_hi:[1,0,1]
	v_pk_fma_f32 v[82:83], v[84:85], v[82:83], v[86:87] neg_lo:[0,0,1] neg_hi:[0,0,1]
	v_mov_b32_e32 v83, v89
	s_delay_alu instid0(VALU_DEP_1)
	v_pk_add_f32 v[78:79], v[78:79], v[82:83]
	s_and_not1_b32 exec_lo, exec_lo, s22
	s_cbranch_execnz .LBB36_62
; %bb.63:
	s_or_b32 exec_lo, exec_lo, s22
.LBB36_64:
	s_delay_alu instid0(SALU_CYCLE_1) | instskip(SKIP_4) | instid1(VALU_DEP_1)
	s_or_b32 exec_lo, exec_lo, s21
	v_mov_b32_e32 v80, 0
	ds_load_b64 v[80:81], v80 offset:240
	s_wait_dscnt 0x0
	v_pk_mul_f32 v[82:83], v[78:79], v[80:81] op_sel:[1,1] op_sel_hi:[0,1]
	v_pk_fma_f32 v[84:85], v[78:79], v[80:81], v[82:83] op_sel_hi:[1,0,1]
	v_pk_fma_f32 v[78:79], v[78:79], v[80:81], v[82:83] neg_lo:[0,0,1] neg_hi:[0,0,1]
	s_delay_alu instid0(VALU_DEP_2)
	v_mov_b32_e32 v79, v85
	scratch_store_b64 off, v[78:79], off offset:240
.LBB36_65:
	s_wait_xcnt 0x0
	s_or_b32 exec_lo, exec_lo, s2
	scratch_load_b64 v[78:79], off, off offset:232
	v_cmp_lt_u32_e64 s1, 29, v0
	s_wait_loadcnt 0x0
	ds_store_b64 v1, v[78:79]
	s_wait_storecnt_dscnt 0x0
	s_barrier_signal -1
	s_barrier_wait -1
	s_wait_xcnt 0x0
	s_and_saveexec_b32 s2, s1
	s_cbranch_execz .LBB36_75
; %bb.66:
	s_and_not1_b32 vcc_lo, exec_lo, s3
	s_cbranch_vccnz .LBB36_68
; %bb.67:
	scratch_load_b64 v[78:79], v41, off
	ds_load_b64 v[80:81], v1
	s_wait_loadcnt_dscnt 0x0
	v_pk_mul_f32 v[82:83], v[80:81], v[78:79] op_sel:[1,1] op_sel_hi:[0,1]
	s_delay_alu instid0(VALU_DEP_1) | instskip(SKIP_1) | instid1(VALU_DEP_2)
	v_pk_fma_f32 v[84:85], v[80:81], v[78:79], v[82:83] op_sel_hi:[1,0,1]
	v_pk_fma_f32 v[78:79], v[80:81], v[78:79], v[82:83] neg_lo:[0,0,1] neg_hi:[0,0,1]
	v_mov_b32_e32 v79, v85
	s_cbranch_execz .LBB36_69
	s_branch .LBB36_70
.LBB36_68:
                                        ; implicit-def: $vgpr78_vgpr79
.LBB36_69:
	ds_load_b64 v[78:79], v1
.LBB36_70:
	s_and_saveexec_b32 s21, s0
	s_cbranch_execz .LBB36_74
; %bb.71:
	v_subrev_nc_u32_e32 v80, 30, v0
	s_movk_i32 s22, 0x220
	s_mov_b32 s0, 0
.LBB36_72:                              ; =>This Inner Loop Header: Depth=1
	scratch_load_b64 v[82:83], off, s20
	v_dual_mov_b32 v81, s22 :: v_dual_add_nc_u32 v80, -1, v80
	s_add_co_i32 s22, s22, 8
	s_wait_xcnt 0x0
	s_add_co_i32 s20, s20, 8
	ds_load_b64 v[84:85], v81
	v_cmp_eq_u32_e32 vcc_lo, 0, v80
	s_or_b32 s0, vcc_lo, s0
	s_wait_loadcnt_dscnt 0x0
	v_pk_mul_f32 v[86:87], v[84:85], v[82:83] op_sel:[1,1] op_sel_hi:[0,1]
	s_delay_alu instid0(VALU_DEP_1) | instskip(SKIP_1) | instid1(VALU_DEP_2)
	v_pk_fma_f32 v[88:89], v[84:85], v[82:83], v[86:87] op_sel_hi:[1,0,1]
	v_pk_fma_f32 v[82:83], v[84:85], v[82:83], v[86:87] neg_lo:[0,0,1] neg_hi:[0,0,1]
	v_mov_b32_e32 v83, v89
	s_delay_alu instid0(VALU_DEP_1)
	v_pk_add_f32 v[78:79], v[78:79], v[82:83]
	s_and_not1_b32 exec_lo, exec_lo, s0
	s_cbranch_execnz .LBB36_72
; %bb.73:
	s_or_b32 exec_lo, exec_lo, s0
.LBB36_74:
	s_delay_alu instid0(SALU_CYCLE_1) | instskip(SKIP_4) | instid1(VALU_DEP_1)
	s_or_b32 exec_lo, exec_lo, s21
	v_mov_b32_e32 v80, 0
	ds_load_b64 v[80:81], v80 offset:232
	s_wait_dscnt 0x0
	v_pk_mul_f32 v[82:83], v[78:79], v[80:81] op_sel:[1,1] op_sel_hi:[0,1]
	v_pk_fma_f32 v[84:85], v[78:79], v[80:81], v[82:83] op_sel_hi:[1,0,1]
	v_pk_fma_f32 v[78:79], v[78:79], v[80:81], v[82:83] neg_lo:[0,0,1] neg_hi:[0,0,1]
	s_delay_alu instid0(VALU_DEP_2)
	v_mov_b32_e32 v79, v85
	scratch_store_b64 off, v[78:79], off offset:232
.LBB36_75:
	s_wait_xcnt 0x0
	s_or_b32 exec_lo, exec_lo, s2
	scratch_load_b64 v[78:79], off, off offset:224
	v_cmp_lt_u32_e64 s0, 28, v0
	s_wait_loadcnt 0x0
	ds_store_b64 v1, v[78:79]
	s_wait_storecnt_dscnt 0x0
	s_barrier_signal -1
	s_barrier_wait -1
	s_wait_xcnt 0x0
	s_and_saveexec_b32 s2, s0
	s_cbranch_execz .LBB36_85
; %bb.76:
	s_and_not1_b32 vcc_lo, exec_lo, s3
	s_cbranch_vccnz .LBB36_78
; %bb.77:
	scratch_load_b64 v[78:79], v41, off
	ds_load_b64 v[80:81], v1
	s_wait_loadcnt_dscnt 0x0
	v_pk_mul_f32 v[82:83], v[80:81], v[78:79] op_sel:[1,1] op_sel_hi:[0,1]
	s_delay_alu instid0(VALU_DEP_1) | instskip(SKIP_1) | instid1(VALU_DEP_2)
	v_pk_fma_f32 v[84:85], v[80:81], v[78:79], v[82:83] op_sel_hi:[1,0,1]
	v_pk_fma_f32 v[78:79], v[80:81], v[78:79], v[82:83] neg_lo:[0,0,1] neg_hi:[0,0,1]
	v_mov_b32_e32 v79, v85
	s_cbranch_execz .LBB36_79
	s_branch .LBB36_80
.LBB36_78:
                                        ; implicit-def: $vgpr78_vgpr79
.LBB36_79:
	ds_load_b64 v[78:79], v1
.LBB36_80:
	s_and_saveexec_b32 s20, s1
	s_cbranch_execz .LBB36_84
; %bb.81:
	v_subrev_nc_u32_e32 v80, 29, v0
	s_movk_i32 s1, 0xe8
	s_movk_i32 s22, 0x218
	s_mov_b32 s21, 0
.LBB36_82:                              ; =>This Inner Loop Header: Depth=1
	scratch_load_b64 v[82:83], off, s1
	v_dual_mov_b32 v81, s22 :: v_dual_add_nc_u32 v80, -1, v80
	s_add_co_i32 s22, s22, 8
	s_wait_xcnt 0x0
	s_add_co_i32 s1, s1, 8
	ds_load_b64 v[84:85], v81
	v_cmp_eq_u32_e32 vcc_lo, 0, v80
	s_or_b32 s21, vcc_lo, s21
	s_wait_loadcnt_dscnt 0x0
	v_pk_mul_f32 v[86:87], v[84:85], v[82:83] op_sel:[1,1] op_sel_hi:[0,1]
	s_delay_alu instid0(VALU_DEP_1) | instskip(SKIP_1) | instid1(VALU_DEP_2)
	v_pk_fma_f32 v[88:89], v[84:85], v[82:83], v[86:87] op_sel_hi:[1,0,1]
	v_pk_fma_f32 v[82:83], v[84:85], v[82:83], v[86:87] neg_lo:[0,0,1] neg_hi:[0,0,1]
	v_mov_b32_e32 v83, v89
	s_delay_alu instid0(VALU_DEP_1)
	v_pk_add_f32 v[78:79], v[78:79], v[82:83]
	s_and_not1_b32 exec_lo, exec_lo, s21
	s_cbranch_execnz .LBB36_82
; %bb.83:
	s_or_b32 exec_lo, exec_lo, s21
.LBB36_84:
	s_delay_alu instid0(SALU_CYCLE_1) | instskip(SKIP_4) | instid1(VALU_DEP_1)
	s_or_b32 exec_lo, exec_lo, s20
	v_mov_b32_e32 v80, 0
	ds_load_b64 v[80:81], v80 offset:224
	s_wait_dscnt 0x0
	v_pk_mul_f32 v[82:83], v[78:79], v[80:81] op_sel:[1,1] op_sel_hi:[0,1]
	v_pk_fma_f32 v[84:85], v[78:79], v[80:81], v[82:83] op_sel_hi:[1,0,1]
	v_pk_fma_f32 v[78:79], v[78:79], v[80:81], v[82:83] neg_lo:[0,0,1] neg_hi:[0,0,1]
	s_delay_alu instid0(VALU_DEP_2)
	v_mov_b32_e32 v79, v85
	scratch_store_b64 off, v[78:79], off offset:224
.LBB36_85:
	s_wait_xcnt 0x0
	s_or_b32 exec_lo, exec_lo, s2
	scratch_load_b64 v[78:79], off, off offset:216
	v_cmp_lt_u32_e64 s1, 27, v0
	s_wait_loadcnt 0x0
	ds_store_b64 v1, v[78:79]
	s_wait_storecnt_dscnt 0x0
	s_barrier_signal -1
	s_barrier_wait -1
	s_wait_xcnt 0x0
	s_and_saveexec_b32 s2, s1
	s_cbranch_execz .LBB36_95
; %bb.86:
	s_and_not1_b32 vcc_lo, exec_lo, s3
	s_cbranch_vccnz .LBB36_88
; %bb.87:
	scratch_load_b64 v[78:79], v41, off
	ds_load_b64 v[80:81], v1
	s_wait_loadcnt_dscnt 0x0
	v_pk_mul_f32 v[82:83], v[80:81], v[78:79] op_sel:[1,1] op_sel_hi:[0,1]
	s_delay_alu instid0(VALU_DEP_1) | instskip(SKIP_1) | instid1(VALU_DEP_2)
	v_pk_fma_f32 v[84:85], v[80:81], v[78:79], v[82:83] op_sel_hi:[1,0,1]
	v_pk_fma_f32 v[78:79], v[80:81], v[78:79], v[82:83] neg_lo:[0,0,1] neg_hi:[0,0,1]
	v_mov_b32_e32 v79, v85
	s_cbranch_execz .LBB36_89
	s_branch .LBB36_90
.LBB36_88:
                                        ; implicit-def: $vgpr78_vgpr79
.LBB36_89:
	ds_load_b64 v[78:79], v1
.LBB36_90:
	s_and_saveexec_b32 s20, s0
	s_cbranch_execz .LBB36_94
; %bb.91:
	v_subrev_nc_u32_e32 v80, 28, v0
	s_movk_i32 s21, 0x210
	s_mov_b32 s0, 0
.LBB36_92:                              ; =>This Inner Loop Header: Depth=1
	scratch_load_b64 v[82:83], off, s19
	v_dual_mov_b32 v81, s21 :: v_dual_add_nc_u32 v80, -1, v80
	s_add_co_i32 s21, s21, 8
	s_wait_xcnt 0x0
	s_add_co_i32 s19, s19, 8
	ds_load_b64 v[84:85], v81
	v_cmp_eq_u32_e32 vcc_lo, 0, v80
	s_or_b32 s0, vcc_lo, s0
	s_wait_loadcnt_dscnt 0x0
	v_pk_mul_f32 v[86:87], v[84:85], v[82:83] op_sel:[1,1] op_sel_hi:[0,1]
	s_delay_alu instid0(VALU_DEP_1) | instskip(SKIP_1) | instid1(VALU_DEP_2)
	v_pk_fma_f32 v[88:89], v[84:85], v[82:83], v[86:87] op_sel_hi:[1,0,1]
	v_pk_fma_f32 v[82:83], v[84:85], v[82:83], v[86:87] neg_lo:[0,0,1] neg_hi:[0,0,1]
	v_mov_b32_e32 v83, v89
	s_delay_alu instid0(VALU_DEP_1)
	v_pk_add_f32 v[78:79], v[78:79], v[82:83]
	s_and_not1_b32 exec_lo, exec_lo, s0
	s_cbranch_execnz .LBB36_92
; %bb.93:
	s_or_b32 exec_lo, exec_lo, s0
.LBB36_94:
	s_delay_alu instid0(SALU_CYCLE_1) | instskip(SKIP_4) | instid1(VALU_DEP_1)
	s_or_b32 exec_lo, exec_lo, s20
	v_mov_b32_e32 v80, 0
	ds_load_b64 v[80:81], v80 offset:216
	s_wait_dscnt 0x0
	v_pk_mul_f32 v[82:83], v[78:79], v[80:81] op_sel:[1,1] op_sel_hi:[0,1]
	v_pk_fma_f32 v[84:85], v[78:79], v[80:81], v[82:83] op_sel_hi:[1,0,1]
	v_pk_fma_f32 v[78:79], v[78:79], v[80:81], v[82:83] neg_lo:[0,0,1] neg_hi:[0,0,1]
	s_delay_alu instid0(VALU_DEP_2)
	v_mov_b32_e32 v79, v85
	scratch_store_b64 off, v[78:79], off offset:216
.LBB36_95:
	s_wait_xcnt 0x0
	s_or_b32 exec_lo, exec_lo, s2
	scratch_load_b64 v[78:79], off, off offset:208
	v_cmp_lt_u32_e64 s0, 26, v0
	s_wait_loadcnt 0x0
	ds_store_b64 v1, v[78:79]
	s_wait_storecnt_dscnt 0x0
	s_barrier_signal -1
	s_barrier_wait -1
	s_wait_xcnt 0x0
	s_and_saveexec_b32 s2, s0
	s_cbranch_execz .LBB36_105
; %bb.96:
	s_and_not1_b32 vcc_lo, exec_lo, s3
	s_cbranch_vccnz .LBB36_98
; %bb.97:
	scratch_load_b64 v[78:79], v41, off
	ds_load_b64 v[80:81], v1
	s_wait_loadcnt_dscnt 0x0
	v_pk_mul_f32 v[82:83], v[80:81], v[78:79] op_sel:[1,1] op_sel_hi:[0,1]
	s_delay_alu instid0(VALU_DEP_1) | instskip(SKIP_1) | instid1(VALU_DEP_2)
	v_pk_fma_f32 v[84:85], v[80:81], v[78:79], v[82:83] op_sel_hi:[1,0,1]
	v_pk_fma_f32 v[78:79], v[80:81], v[78:79], v[82:83] neg_lo:[0,0,1] neg_hi:[0,0,1]
	v_mov_b32_e32 v79, v85
	s_cbranch_execz .LBB36_99
	s_branch .LBB36_100
.LBB36_98:
                                        ; implicit-def: $vgpr78_vgpr79
.LBB36_99:
	ds_load_b64 v[78:79], v1
.LBB36_100:
	s_and_saveexec_b32 s19, s1
	s_cbranch_execz .LBB36_104
; %bb.101:
	v_subrev_nc_u32_e32 v80, 27, v0
	s_movk_i32 s1, 0xd8
	s_movk_i32 s21, 0x208
	s_mov_b32 s20, 0
.LBB36_102:                             ; =>This Inner Loop Header: Depth=1
	scratch_load_b64 v[82:83], off, s1
	v_dual_mov_b32 v81, s21 :: v_dual_add_nc_u32 v80, -1, v80
	s_add_co_i32 s21, s21, 8
	s_wait_xcnt 0x0
	s_add_co_i32 s1, s1, 8
	ds_load_b64 v[84:85], v81
	v_cmp_eq_u32_e32 vcc_lo, 0, v80
	s_or_b32 s20, vcc_lo, s20
	s_wait_loadcnt_dscnt 0x0
	v_pk_mul_f32 v[86:87], v[84:85], v[82:83] op_sel:[1,1] op_sel_hi:[0,1]
	s_delay_alu instid0(VALU_DEP_1) | instskip(SKIP_1) | instid1(VALU_DEP_2)
	v_pk_fma_f32 v[88:89], v[84:85], v[82:83], v[86:87] op_sel_hi:[1,0,1]
	v_pk_fma_f32 v[82:83], v[84:85], v[82:83], v[86:87] neg_lo:[0,0,1] neg_hi:[0,0,1]
	v_mov_b32_e32 v83, v89
	s_delay_alu instid0(VALU_DEP_1)
	v_pk_add_f32 v[78:79], v[78:79], v[82:83]
	s_and_not1_b32 exec_lo, exec_lo, s20
	s_cbranch_execnz .LBB36_102
; %bb.103:
	s_or_b32 exec_lo, exec_lo, s20
.LBB36_104:
	s_delay_alu instid0(SALU_CYCLE_1) | instskip(SKIP_4) | instid1(VALU_DEP_1)
	s_or_b32 exec_lo, exec_lo, s19
	v_mov_b32_e32 v80, 0
	ds_load_b64 v[80:81], v80 offset:208
	s_wait_dscnt 0x0
	v_pk_mul_f32 v[82:83], v[78:79], v[80:81] op_sel:[1,1] op_sel_hi:[0,1]
	v_pk_fma_f32 v[84:85], v[78:79], v[80:81], v[82:83] op_sel_hi:[1,0,1]
	v_pk_fma_f32 v[78:79], v[78:79], v[80:81], v[82:83] neg_lo:[0,0,1] neg_hi:[0,0,1]
	s_delay_alu instid0(VALU_DEP_2)
	v_mov_b32_e32 v79, v85
	scratch_store_b64 off, v[78:79], off offset:208
.LBB36_105:
	s_wait_xcnt 0x0
	s_or_b32 exec_lo, exec_lo, s2
	scratch_load_b64 v[78:79], off, off offset:200
	v_cmp_lt_u32_e64 s1, 25, v0
	s_wait_loadcnt 0x0
	ds_store_b64 v1, v[78:79]
	s_wait_storecnt_dscnt 0x0
	s_barrier_signal -1
	s_barrier_wait -1
	s_wait_xcnt 0x0
	s_and_saveexec_b32 s2, s1
	s_cbranch_execz .LBB36_115
; %bb.106:
	s_and_not1_b32 vcc_lo, exec_lo, s3
	s_cbranch_vccnz .LBB36_108
; %bb.107:
	scratch_load_b64 v[78:79], v41, off
	ds_load_b64 v[80:81], v1
	s_wait_loadcnt_dscnt 0x0
	v_pk_mul_f32 v[82:83], v[80:81], v[78:79] op_sel:[1,1] op_sel_hi:[0,1]
	s_delay_alu instid0(VALU_DEP_1) | instskip(SKIP_1) | instid1(VALU_DEP_2)
	v_pk_fma_f32 v[84:85], v[80:81], v[78:79], v[82:83] op_sel_hi:[1,0,1]
	v_pk_fma_f32 v[78:79], v[80:81], v[78:79], v[82:83] neg_lo:[0,0,1] neg_hi:[0,0,1]
	v_mov_b32_e32 v79, v85
	s_cbranch_execz .LBB36_109
	s_branch .LBB36_110
.LBB36_108:
                                        ; implicit-def: $vgpr78_vgpr79
.LBB36_109:
	ds_load_b64 v[78:79], v1
.LBB36_110:
	s_and_saveexec_b32 s19, s0
	s_cbranch_execz .LBB36_114
; %bb.111:
	v_subrev_nc_u32_e32 v80, 26, v0
	s_movk_i32 s20, 0x200
	s_mov_b32 s0, 0
.LBB36_112:                             ; =>This Inner Loop Header: Depth=1
	scratch_load_b64 v[82:83], off, s18
	v_dual_mov_b32 v81, s20 :: v_dual_add_nc_u32 v80, -1, v80
	s_add_co_i32 s20, s20, 8
	s_wait_xcnt 0x0
	s_add_co_i32 s18, s18, 8
	ds_load_b64 v[84:85], v81
	v_cmp_eq_u32_e32 vcc_lo, 0, v80
	s_or_b32 s0, vcc_lo, s0
	s_wait_loadcnt_dscnt 0x0
	v_pk_mul_f32 v[86:87], v[84:85], v[82:83] op_sel:[1,1] op_sel_hi:[0,1]
	s_delay_alu instid0(VALU_DEP_1) | instskip(SKIP_1) | instid1(VALU_DEP_2)
	v_pk_fma_f32 v[88:89], v[84:85], v[82:83], v[86:87] op_sel_hi:[1,0,1]
	v_pk_fma_f32 v[82:83], v[84:85], v[82:83], v[86:87] neg_lo:[0,0,1] neg_hi:[0,0,1]
	v_mov_b32_e32 v83, v89
	s_delay_alu instid0(VALU_DEP_1)
	v_pk_add_f32 v[78:79], v[78:79], v[82:83]
	s_and_not1_b32 exec_lo, exec_lo, s0
	s_cbranch_execnz .LBB36_112
; %bb.113:
	s_or_b32 exec_lo, exec_lo, s0
.LBB36_114:
	s_delay_alu instid0(SALU_CYCLE_1) | instskip(SKIP_4) | instid1(VALU_DEP_1)
	s_or_b32 exec_lo, exec_lo, s19
	v_mov_b32_e32 v80, 0
	ds_load_b64 v[80:81], v80 offset:200
	s_wait_dscnt 0x0
	v_pk_mul_f32 v[82:83], v[78:79], v[80:81] op_sel:[1,1] op_sel_hi:[0,1]
	v_pk_fma_f32 v[84:85], v[78:79], v[80:81], v[82:83] op_sel_hi:[1,0,1]
	v_pk_fma_f32 v[78:79], v[78:79], v[80:81], v[82:83] neg_lo:[0,0,1] neg_hi:[0,0,1]
	s_delay_alu instid0(VALU_DEP_2)
	v_mov_b32_e32 v79, v85
	scratch_store_b64 off, v[78:79], off offset:200
.LBB36_115:
	s_wait_xcnt 0x0
	s_or_b32 exec_lo, exec_lo, s2
	scratch_load_b64 v[78:79], off, off offset:192
	v_cmp_lt_u32_e64 s0, 24, v0
	s_wait_loadcnt 0x0
	ds_store_b64 v1, v[78:79]
	s_wait_storecnt_dscnt 0x0
	s_barrier_signal -1
	s_barrier_wait -1
	s_wait_xcnt 0x0
	s_and_saveexec_b32 s2, s0
	s_cbranch_execz .LBB36_125
; %bb.116:
	s_and_not1_b32 vcc_lo, exec_lo, s3
	s_cbranch_vccnz .LBB36_118
; %bb.117:
	scratch_load_b64 v[78:79], v41, off
	ds_load_b64 v[80:81], v1
	s_wait_loadcnt_dscnt 0x0
	v_pk_mul_f32 v[82:83], v[80:81], v[78:79] op_sel:[1,1] op_sel_hi:[0,1]
	s_delay_alu instid0(VALU_DEP_1) | instskip(SKIP_1) | instid1(VALU_DEP_2)
	v_pk_fma_f32 v[84:85], v[80:81], v[78:79], v[82:83] op_sel_hi:[1,0,1]
	v_pk_fma_f32 v[78:79], v[80:81], v[78:79], v[82:83] neg_lo:[0,0,1] neg_hi:[0,0,1]
	v_mov_b32_e32 v79, v85
	s_cbranch_execz .LBB36_119
	s_branch .LBB36_120
.LBB36_118:
                                        ; implicit-def: $vgpr78_vgpr79
.LBB36_119:
	ds_load_b64 v[78:79], v1
.LBB36_120:
	s_and_saveexec_b32 s18, s1
	s_cbranch_execz .LBB36_124
; %bb.121:
	v_subrev_nc_u32_e32 v80, 25, v0
	s_movk_i32 s1, 0xc8
	s_movk_i32 s20, 0x1f8
	s_mov_b32 s19, 0
.LBB36_122:                             ; =>This Inner Loop Header: Depth=1
	scratch_load_b64 v[82:83], off, s1
	v_dual_mov_b32 v81, s20 :: v_dual_add_nc_u32 v80, -1, v80
	s_add_co_i32 s20, s20, 8
	s_wait_xcnt 0x0
	s_add_co_i32 s1, s1, 8
	ds_load_b64 v[84:85], v81
	v_cmp_eq_u32_e32 vcc_lo, 0, v80
	s_or_b32 s19, vcc_lo, s19
	s_wait_loadcnt_dscnt 0x0
	v_pk_mul_f32 v[86:87], v[84:85], v[82:83] op_sel:[1,1] op_sel_hi:[0,1]
	s_delay_alu instid0(VALU_DEP_1) | instskip(SKIP_1) | instid1(VALU_DEP_2)
	v_pk_fma_f32 v[88:89], v[84:85], v[82:83], v[86:87] op_sel_hi:[1,0,1]
	v_pk_fma_f32 v[82:83], v[84:85], v[82:83], v[86:87] neg_lo:[0,0,1] neg_hi:[0,0,1]
	v_mov_b32_e32 v83, v89
	s_delay_alu instid0(VALU_DEP_1)
	v_pk_add_f32 v[78:79], v[78:79], v[82:83]
	s_and_not1_b32 exec_lo, exec_lo, s19
	s_cbranch_execnz .LBB36_122
; %bb.123:
	s_or_b32 exec_lo, exec_lo, s19
.LBB36_124:
	s_delay_alu instid0(SALU_CYCLE_1) | instskip(SKIP_4) | instid1(VALU_DEP_1)
	s_or_b32 exec_lo, exec_lo, s18
	v_mov_b32_e32 v80, 0
	ds_load_b64 v[80:81], v80 offset:192
	s_wait_dscnt 0x0
	v_pk_mul_f32 v[82:83], v[78:79], v[80:81] op_sel:[1,1] op_sel_hi:[0,1]
	v_pk_fma_f32 v[84:85], v[78:79], v[80:81], v[82:83] op_sel_hi:[1,0,1]
	v_pk_fma_f32 v[78:79], v[78:79], v[80:81], v[82:83] neg_lo:[0,0,1] neg_hi:[0,0,1]
	s_delay_alu instid0(VALU_DEP_2)
	v_mov_b32_e32 v79, v85
	scratch_store_b64 off, v[78:79], off offset:192
.LBB36_125:
	s_wait_xcnt 0x0
	s_or_b32 exec_lo, exec_lo, s2
	scratch_load_b64 v[78:79], off, off offset:184
	v_cmp_lt_u32_e64 s1, 23, v0
	s_wait_loadcnt 0x0
	ds_store_b64 v1, v[78:79]
	s_wait_storecnt_dscnt 0x0
	s_barrier_signal -1
	s_barrier_wait -1
	s_wait_xcnt 0x0
	s_and_saveexec_b32 s2, s1
	s_cbranch_execz .LBB36_135
; %bb.126:
	s_and_not1_b32 vcc_lo, exec_lo, s3
	s_cbranch_vccnz .LBB36_128
; %bb.127:
	scratch_load_b64 v[78:79], v41, off
	ds_load_b64 v[80:81], v1
	s_wait_loadcnt_dscnt 0x0
	v_pk_mul_f32 v[82:83], v[80:81], v[78:79] op_sel:[1,1] op_sel_hi:[0,1]
	s_delay_alu instid0(VALU_DEP_1) | instskip(SKIP_1) | instid1(VALU_DEP_2)
	v_pk_fma_f32 v[84:85], v[80:81], v[78:79], v[82:83] op_sel_hi:[1,0,1]
	v_pk_fma_f32 v[78:79], v[80:81], v[78:79], v[82:83] neg_lo:[0,0,1] neg_hi:[0,0,1]
	v_mov_b32_e32 v79, v85
	s_cbranch_execz .LBB36_129
	s_branch .LBB36_130
.LBB36_128:
                                        ; implicit-def: $vgpr78_vgpr79
.LBB36_129:
	ds_load_b64 v[78:79], v1
.LBB36_130:
	s_and_saveexec_b32 s18, s0
	s_cbranch_execz .LBB36_134
; %bb.131:
	v_subrev_nc_u32_e32 v80, 24, v0
	s_movk_i32 s19, 0x1f0
	s_mov_b32 s0, 0
.LBB36_132:                             ; =>This Inner Loop Header: Depth=1
	scratch_load_b64 v[82:83], off, s17
	v_dual_mov_b32 v81, s19 :: v_dual_add_nc_u32 v80, -1, v80
	s_add_co_i32 s19, s19, 8
	s_wait_xcnt 0x0
	s_add_co_i32 s17, s17, 8
	ds_load_b64 v[84:85], v81
	v_cmp_eq_u32_e32 vcc_lo, 0, v80
	s_or_b32 s0, vcc_lo, s0
	s_wait_loadcnt_dscnt 0x0
	v_pk_mul_f32 v[86:87], v[84:85], v[82:83] op_sel:[1,1] op_sel_hi:[0,1]
	s_delay_alu instid0(VALU_DEP_1) | instskip(SKIP_1) | instid1(VALU_DEP_2)
	v_pk_fma_f32 v[88:89], v[84:85], v[82:83], v[86:87] op_sel_hi:[1,0,1]
	v_pk_fma_f32 v[82:83], v[84:85], v[82:83], v[86:87] neg_lo:[0,0,1] neg_hi:[0,0,1]
	v_mov_b32_e32 v83, v89
	s_delay_alu instid0(VALU_DEP_1)
	v_pk_add_f32 v[78:79], v[78:79], v[82:83]
	s_and_not1_b32 exec_lo, exec_lo, s0
	s_cbranch_execnz .LBB36_132
; %bb.133:
	s_or_b32 exec_lo, exec_lo, s0
.LBB36_134:
	s_delay_alu instid0(SALU_CYCLE_1) | instskip(SKIP_4) | instid1(VALU_DEP_1)
	s_or_b32 exec_lo, exec_lo, s18
	v_mov_b32_e32 v80, 0
	ds_load_b64 v[80:81], v80 offset:184
	s_wait_dscnt 0x0
	v_pk_mul_f32 v[82:83], v[78:79], v[80:81] op_sel:[1,1] op_sel_hi:[0,1]
	v_pk_fma_f32 v[84:85], v[78:79], v[80:81], v[82:83] op_sel_hi:[1,0,1]
	v_pk_fma_f32 v[78:79], v[78:79], v[80:81], v[82:83] neg_lo:[0,0,1] neg_hi:[0,0,1]
	s_delay_alu instid0(VALU_DEP_2)
	v_mov_b32_e32 v79, v85
	scratch_store_b64 off, v[78:79], off offset:184
.LBB36_135:
	s_wait_xcnt 0x0
	s_or_b32 exec_lo, exec_lo, s2
	scratch_load_b64 v[78:79], off, off offset:176
	v_cmp_lt_u32_e64 s0, 22, v0
	s_wait_loadcnt 0x0
	ds_store_b64 v1, v[78:79]
	s_wait_storecnt_dscnt 0x0
	s_barrier_signal -1
	s_barrier_wait -1
	s_wait_xcnt 0x0
	s_and_saveexec_b32 s2, s0
	s_cbranch_execz .LBB36_145
; %bb.136:
	s_and_not1_b32 vcc_lo, exec_lo, s3
	s_cbranch_vccnz .LBB36_138
; %bb.137:
	scratch_load_b64 v[78:79], v41, off
	ds_load_b64 v[80:81], v1
	s_wait_loadcnt_dscnt 0x0
	v_pk_mul_f32 v[82:83], v[80:81], v[78:79] op_sel:[1,1] op_sel_hi:[0,1]
	s_delay_alu instid0(VALU_DEP_1) | instskip(SKIP_1) | instid1(VALU_DEP_2)
	v_pk_fma_f32 v[84:85], v[80:81], v[78:79], v[82:83] op_sel_hi:[1,0,1]
	v_pk_fma_f32 v[78:79], v[80:81], v[78:79], v[82:83] neg_lo:[0,0,1] neg_hi:[0,0,1]
	v_mov_b32_e32 v79, v85
	s_cbranch_execz .LBB36_139
	s_branch .LBB36_140
.LBB36_138:
                                        ; implicit-def: $vgpr78_vgpr79
.LBB36_139:
	ds_load_b64 v[78:79], v1
.LBB36_140:
	s_and_saveexec_b32 s17, s1
	s_cbranch_execz .LBB36_144
; %bb.141:
	v_subrev_nc_u32_e32 v80, 23, v0
	s_movk_i32 s1, 0xb8
	s_movk_i32 s19, 0x1e8
	s_mov_b32 s18, 0
.LBB36_142:                             ; =>This Inner Loop Header: Depth=1
	scratch_load_b64 v[82:83], off, s1
	v_dual_mov_b32 v81, s19 :: v_dual_add_nc_u32 v80, -1, v80
	s_add_co_i32 s19, s19, 8
	s_wait_xcnt 0x0
	s_add_co_i32 s1, s1, 8
	ds_load_b64 v[84:85], v81
	v_cmp_eq_u32_e32 vcc_lo, 0, v80
	s_or_b32 s18, vcc_lo, s18
	s_wait_loadcnt_dscnt 0x0
	v_pk_mul_f32 v[86:87], v[84:85], v[82:83] op_sel:[1,1] op_sel_hi:[0,1]
	s_delay_alu instid0(VALU_DEP_1) | instskip(SKIP_1) | instid1(VALU_DEP_2)
	v_pk_fma_f32 v[88:89], v[84:85], v[82:83], v[86:87] op_sel_hi:[1,0,1]
	v_pk_fma_f32 v[82:83], v[84:85], v[82:83], v[86:87] neg_lo:[0,0,1] neg_hi:[0,0,1]
	v_mov_b32_e32 v83, v89
	s_delay_alu instid0(VALU_DEP_1)
	v_pk_add_f32 v[78:79], v[78:79], v[82:83]
	s_and_not1_b32 exec_lo, exec_lo, s18
	s_cbranch_execnz .LBB36_142
; %bb.143:
	s_or_b32 exec_lo, exec_lo, s18
.LBB36_144:
	s_delay_alu instid0(SALU_CYCLE_1) | instskip(SKIP_4) | instid1(VALU_DEP_1)
	s_or_b32 exec_lo, exec_lo, s17
	v_mov_b32_e32 v80, 0
	ds_load_b64 v[80:81], v80 offset:176
	s_wait_dscnt 0x0
	v_pk_mul_f32 v[82:83], v[78:79], v[80:81] op_sel:[1,1] op_sel_hi:[0,1]
	v_pk_fma_f32 v[84:85], v[78:79], v[80:81], v[82:83] op_sel_hi:[1,0,1]
	v_pk_fma_f32 v[78:79], v[78:79], v[80:81], v[82:83] neg_lo:[0,0,1] neg_hi:[0,0,1]
	s_delay_alu instid0(VALU_DEP_2)
	v_mov_b32_e32 v79, v85
	scratch_store_b64 off, v[78:79], off offset:176
.LBB36_145:
	s_wait_xcnt 0x0
	s_or_b32 exec_lo, exec_lo, s2
	scratch_load_b64 v[78:79], off, off offset:168
	v_cmp_lt_u32_e64 s1, 21, v0
	s_wait_loadcnt 0x0
	ds_store_b64 v1, v[78:79]
	s_wait_storecnt_dscnt 0x0
	s_barrier_signal -1
	s_barrier_wait -1
	s_wait_xcnt 0x0
	s_and_saveexec_b32 s2, s1
	s_cbranch_execz .LBB36_155
; %bb.146:
	s_and_not1_b32 vcc_lo, exec_lo, s3
	s_cbranch_vccnz .LBB36_148
; %bb.147:
	scratch_load_b64 v[78:79], v41, off
	ds_load_b64 v[80:81], v1
	s_wait_loadcnt_dscnt 0x0
	v_pk_mul_f32 v[82:83], v[80:81], v[78:79] op_sel:[1,1] op_sel_hi:[0,1]
	s_delay_alu instid0(VALU_DEP_1) | instskip(SKIP_1) | instid1(VALU_DEP_2)
	v_pk_fma_f32 v[84:85], v[80:81], v[78:79], v[82:83] op_sel_hi:[1,0,1]
	v_pk_fma_f32 v[78:79], v[80:81], v[78:79], v[82:83] neg_lo:[0,0,1] neg_hi:[0,0,1]
	v_mov_b32_e32 v79, v85
	s_cbranch_execz .LBB36_149
	s_branch .LBB36_150
.LBB36_148:
                                        ; implicit-def: $vgpr78_vgpr79
.LBB36_149:
	ds_load_b64 v[78:79], v1
.LBB36_150:
	s_and_saveexec_b32 s17, s0
	s_cbranch_execz .LBB36_154
; %bb.151:
	v_subrev_nc_u32_e32 v80, 22, v0
	s_movk_i32 s18, 0x1e0
	s_mov_b32 s0, 0
.LBB36_152:                             ; =>This Inner Loop Header: Depth=1
	scratch_load_b64 v[82:83], off, s16
	v_dual_mov_b32 v81, s18 :: v_dual_add_nc_u32 v80, -1, v80
	s_add_co_i32 s18, s18, 8
	s_wait_xcnt 0x0
	s_add_co_i32 s16, s16, 8
	ds_load_b64 v[84:85], v81
	v_cmp_eq_u32_e32 vcc_lo, 0, v80
	s_or_b32 s0, vcc_lo, s0
	s_wait_loadcnt_dscnt 0x0
	v_pk_mul_f32 v[86:87], v[84:85], v[82:83] op_sel:[1,1] op_sel_hi:[0,1]
	s_delay_alu instid0(VALU_DEP_1) | instskip(SKIP_1) | instid1(VALU_DEP_2)
	v_pk_fma_f32 v[88:89], v[84:85], v[82:83], v[86:87] op_sel_hi:[1,0,1]
	v_pk_fma_f32 v[82:83], v[84:85], v[82:83], v[86:87] neg_lo:[0,0,1] neg_hi:[0,0,1]
	v_mov_b32_e32 v83, v89
	s_delay_alu instid0(VALU_DEP_1)
	v_pk_add_f32 v[78:79], v[78:79], v[82:83]
	s_and_not1_b32 exec_lo, exec_lo, s0
	s_cbranch_execnz .LBB36_152
; %bb.153:
	s_or_b32 exec_lo, exec_lo, s0
.LBB36_154:
	s_delay_alu instid0(SALU_CYCLE_1) | instskip(SKIP_4) | instid1(VALU_DEP_1)
	s_or_b32 exec_lo, exec_lo, s17
	v_mov_b32_e32 v80, 0
	ds_load_b64 v[80:81], v80 offset:168
	s_wait_dscnt 0x0
	v_pk_mul_f32 v[82:83], v[78:79], v[80:81] op_sel:[1,1] op_sel_hi:[0,1]
	v_pk_fma_f32 v[84:85], v[78:79], v[80:81], v[82:83] op_sel_hi:[1,0,1]
	v_pk_fma_f32 v[78:79], v[78:79], v[80:81], v[82:83] neg_lo:[0,0,1] neg_hi:[0,0,1]
	s_delay_alu instid0(VALU_DEP_2)
	v_mov_b32_e32 v79, v85
	scratch_store_b64 off, v[78:79], off offset:168
.LBB36_155:
	s_wait_xcnt 0x0
	s_or_b32 exec_lo, exec_lo, s2
	scratch_load_b64 v[78:79], off, off offset:160
	v_cmp_lt_u32_e64 s0, 20, v0
	s_wait_loadcnt 0x0
	ds_store_b64 v1, v[78:79]
	s_wait_storecnt_dscnt 0x0
	s_barrier_signal -1
	s_barrier_wait -1
	s_wait_xcnt 0x0
	s_and_saveexec_b32 s2, s0
	s_cbranch_execz .LBB36_165
; %bb.156:
	s_and_not1_b32 vcc_lo, exec_lo, s3
	s_cbranch_vccnz .LBB36_158
; %bb.157:
	scratch_load_b64 v[78:79], v41, off
	ds_load_b64 v[80:81], v1
	s_wait_loadcnt_dscnt 0x0
	v_pk_mul_f32 v[82:83], v[80:81], v[78:79] op_sel:[1,1] op_sel_hi:[0,1]
	s_delay_alu instid0(VALU_DEP_1) | instskip(SKIP_1) | instid1(VALU_DEP_2)
	v_pk_fma_f32 v[84:85], v[80:81], v[78:79], v[82:83] op_sel_hi:[1,0,1]
	v_pk_fma_f32 v[78:79], v[80:81], v[78:79], v[82:83] neg_lo:[0,0,1] neg_hi:[0,0,1]
	v_mov_b32_e32 v79, v85
	s_cbranch_execz .LBB36_159
	s_branch .LBB36_160
.LBB36_158:
                                        ; implicit-def: $vgpr78_vgpr79
.LBB36_159:
	ds_load_b64 v[78:79], v1
.LBB36_160:
	s_and_saveexec_b32 s16, s1
	s_cbranch_execz .LBB36_164
; %bb.161:
	v_subrev_nc_u32_e32 v80, 21, v0
	s_movk_i32 s1, 0xa8
	s_movk_i32 s18, 0x1d8
	s_mov_b32 s17, 0
.LBB36_162:                             ; =>This Inner Loop Header: Depth=1
	scratch_load_b64 v[82:83], off, s1
	v_dual_mov_b32 v81, s18 :: v_dual_add_nc_u32 v80, -1, v80
	s_add_co_i32 s18, s18, 8
	s_wait_xcnt 0x0
	s_add_co_i32 s1, s1, 8
	ds_load_b64 v[84:85], v81
	v_cmp_eq_u32_e32 vcc_lo, 0, v80
	s_or_b32 s17, vcc_lo, s17
	s_wait_loadcnt_dscnt 0x0
	v_pk_mul_f32 v[86:87], v[84:85], v[82:83] op_sel:[1,1] op_sel_hi:[0,1]
	s_delay_alu instid0(VALU_DEP_1) | instskip(SKIP_1) | instid1(VALU_DEP_2)
	v_pk_fma_f32 v[88:89], v[84:85], v[82:83], v[86:87] op_sel_hi:[1,0,1]
	v_pk_fma_f32 v[82:83], v[84:85], v[82:83], v[86:87] neg_lo:[0,0,1] neg_hi:[0,0,1]
	v_mov_b32_e32 v83, v89
	s_delay_alu instid0(VALU_DEP_1)
	v_pk_add_f32 v[78:79], v[78:79], v[82:83]
	s_and_not1_b32 exec_lo, exec_lo, s17
	s_cbranch_execnz .LBB36_162
; %bb.163:
	s_or_b32 exec_lo, exec_lo, s17
.LBB36_164:
	s_delay_alu instid0(SALU_CYCLE_1) | instskip(SKIP_4) | instid1(VALU_DEP_1)
	s_or_b32 exec_lo, exec_lo, s16
	v_mov_b32_e32 v80, 0
	ds_load_b64 v[80:81], v80 offset:160
	s_wait_dscnt 0x0
	v_pk_mul_f32 v[82:83], v[78:79], v[80:81] op_sel:[1,1] op_sel_hi:[0,1]
	v_pk_fma_f32 v[84:85], v[78:79], v[80:81], v[82:83] op_sel_hi:[1,0,1]
	v_pk_fma_f32 v[78:79], v[78:79], v[80:81], v[82:83] neg_lo:[0,0,1] neg_hi:[0,0,1]
	s_delay_alu instid0(VALU_DEP_2)
	v_mov_b32_e32 v79, v85
	scratch_store_b64 off, v[78:79], off offset:160
.LBB36_165:
	s_wait_xcnt 0x0
	s_or_b32 exec_lo, exec_lo, s2
	scratch_load_b64 v[78:79], off, off offset:152
	v_cmp_lt_u32_e64 s1, 19, v0
	s_wait_loadcnt 0x0
	ds_store_b64 v1, v[78:79]
	s_wait_storecnt_dscnt 0x0
	s_barrier_signal -1
	s_barrier_wait -1
	s_wait_xcnt 0x0
	s_and_saveexec_b32 s2, s1
	s_cbranch_execz .LBB36_175
; %bb.166:
	s_and_not1_b32 vcc_lo, exec_lo, s3
	s_cbranch_vccnz .LBB36_168
; %bb.167:
	scratch_load_b64 v[78:79], v41, off
	ds_load_b64 v[80:81], v1
	s_wait_loadcnt_dscnt 0x0
	v_pk_mul_f32 v[82:83], v[80:81], v[78:79] op_sel:[1,1] op_sel_hi:[0,1]
	s_delay_alu instid0(VALU_DEP_1) | instskip(SKIP_1) | instid1(VALU_DEP_2)
	v_pk_fma_f32 v[84:85], v[80:81], v[78:79], v[82:83] op_sel_hi:[1,0,1]
	v_pk_fma_f32 v[78:79], v[80:81], v[78:79], v[82:83] neg_lo:[0,0,1] neg_hi:[0,0,1]
	v_mov_b32_e32 v79, v85
	s_cbranch_execz .LBB36_169
	s_branch .LBB36_170
.LBB36_168:
                                        ; implicit-def: $vgpr78_vgpr79
.LBB36_169:
	ds_load_b64 v[78:79], v1
.LBB36_170:
	s_and_saveexec_b32 s16, s0
	s_cbranch_execz .LBB36_174
; %bb.171:
	v_subrev_nc_u32_e32 v80, 20, v0
	s_movk_i32 s17, 0x1d0
	s_mov_b32 s0, 0
.LBB36_172:                             ; =>This Inner Loop Header: Depth=1
	scratch_load_b64 v[82:83], off, s15
	v_dual_mov_b32 v81, s17 :: v_dual_add_nc_u32 v80, -1, v80
	s_add_co_i32 s17, s17, 8
	s_wait_xcnt 0x0
	s_add_co_i32 s15, s15, 8
	ds_load_b64 v[84:85], v81
	v_cmp_eq_u32_e32 vcc_lo, 0, v80
	s_or_b32 s0, vcc_lo, s0
	s_wait_loadcnt_dscnt 0x0
	v_pk_mul_f32 v[86:87], v[84:85], v[82:83] op_sel:[1,1] op_sel_hi:[0,1]
	s_delay_alu instid0(VALU_DEP_1) | instskip(SKIP_1) | instid1(VALU_DEP_2)
	v_pk_fma_f32 v[88:89], v[84:85], v[82:83], v[86:87] op_sel_hi:[1,0,1]
	v_pk_fma_f32 v[82:83], v[84:85], v[82:83], v[86:87] neg_lo:[0,0,1] neg_hi:[0,0,1]
	v_mov_b32_e32 v83, v89
	s_delay_alu instid0(VALU_DEP_1)
	v_pk_add_f32 v[78:79], v[78:79], v[82:83]
	s_and_not1_b32 exec_lo, exec_lo, s0
	s_cbranch_execnz .LBB36_172
; %bb.173:
	s_or_b32 exec_lo, exec_lo, s0
.LBB36_174:
	s_delay_alu instid0(SALU_CYCLE_1) | instskip(SKIP_4) | instid1(VALU_DEP_1)
	s_or_b32 exec_lo, exec_lo, s16
	v_mov_b32_e32 v80, 0
	ds_load_b64 v[80:81], v80 offset:152
	s_wait_dscnt 0x0
	v_pk_mul_f32 v[82:83], v[78:79], v[80:81] op_sel:[1,1] op_sel_hi:[0,1]
	v_pk_fma_f32 v[84:85], v[78:79], v[80:81], v[82:83] op_sel_hi:[1,0,1]
	v_pk_fma_f32 v[78:79], v[78:79], v[80:81], v[82:83] neg_lo:[0,0,1] neg_hi:[0,0,1]
	s_delay_alu instid0(VALU_DEP_2)
	v_mov_b32_e32 v79, v85
	scratch_store_b64 off, v[78:79], off offset:152
.LBB36_175:
	s_wait_xcnt 0x0
	s_or_b32 exec_lo, exec_lo, s2
	scratch_load_b64 v[78:79], off, off offset:144
	v_cmp_lt_u32_e64 s0, 18, v0
	s_wait_loadcnt 0x0
	ds_store_b64 v1, v[78:79]
	s_wait_storecnt_dscnt 0x0
	s_barrier_signal -1
	s_barrier_wait -1
	s_wait_xcnt 0x0
	s_and_saveexec_b32 s2, s0
	s_cbranch_execz .LBB36_185
; %bb.176:
	s_and_not1_b32 vcc_lo, exec_lo, s3
	s_cbranch_vccnz .LBB36_178
; %bb.177:
	scratch_load_b64 v[78:79], v41, off
	ds_load_b64 v[80:81], v1
	s_wait_loadcnt_dscnt 0x0
	v_pk_mul_f32 v[82:83], v[80:81], v[78:79] op_sel:[1,1] op_sel_hi:[0,1]
	s_delay_alu instid0(VALU_DEP_1) | instskip(SKIP_1) | instid1(VALU_DEP_2)
	v_pk_fma_f32 v[84:85], v[80:81], v[78:79], v[82:83] op_sel_hi:[1,0,1]
	v_pk_fma_f32 v[78:79], v[80:81], v[78:79], v[82:83] neg_lo:[0,0,1] neg_hi:[0,0,1]
	v_mov_b32_e32 v79, v85
	s_cbranch_execz .LBB36_179
	s_branch .LBB36_180
.LBB36_178:
                                        ; implicit-def: $vgpr78_vgpr79
.LBB36_179:
	ds_load_b64 v[78:79], v1
.LBB36_180:
	s_and_saveexec_b32 s15, s1
	s_cbranch_execz .LBB36_184
; %bb.181:
	v_subrev_nc_u32_e32 v80, 19, v0
	s_movk_i32 s1, 0x98
	s_movk_i32 s17, 0x1c8
	s_mov_b32 s16, 0
.LBB36_182:                             ; =>This Inner Loop Header: Depth=1
	scratch_load_b64 v[82:83], off, s1
	v_dual_mov_b32 v81, s17 :: v_dual_add_nc_u32 v80, -1, v80
	s_add_co_i32 s17, s17, 8
	s_wait_xcnt 0x0
	s_add_co_i32 s1, s1, 8
	ds_load_b64 v[84:85], v81
	v_cmp_eq_u32_e32 vcc_lo, 0, v80
	s_or_b32 s16, vcc_lo, s16
	s_wait_loadcnt_dscnt 0x0
	v_pk_mul_f32 v[86:87], v[84:85], v[82:83] op_sel:[1,1] op_sel_hi:[0,1]
	s_delay_alu instid0(VALU_DEP_1) | instskip(SKIP_1) | instid1(VALU_DEP_2)
	v_pk_fma_f32 v[88:89], v[84:85], v[82:83], v[86:87] op_sel_hi:[1,0,1]
	v_pk_fma_f32 v[82:83], v[84:85], v[82:83], v[86:87] neg_lo:[0,0,1] neg_hi:[0,0,1]
	v_mov_b32_e32 v83, v89
	s_delay_alu instid0(VALU_DEP_1)
	v_pk_add_f32 v[78:79], v[78:79], v[82:83]
	s_and_not1_b32 exec_lo, exec_lo, s16
	s_cbranch_execnz .LBB36_182
; %bb.183:
	s_or_b32 exec_lo, exec_lo, s16
.LBB36_184:
	s_delay_alu instid0(SALU_CYCLE_1) | instskip(SKIP_4) | instid1(VALU_DEP_1)
	s_or_b32 exec_lo, exec_lo, s15
	v_mov_b32_e32 v80, 0
	ds_load_b64 v[80:81], v80 offset:144
	s_wait_dscnt 0x0
	v_pk_mul_f32 v[82:83], v[78:79], v[80:81] op_sel:[1,1] op_sel_hi:[0,1]
	v_pk_fma_f32 v[84:85], v[78:79], v[80:81], v[82:83] op_sel_hi:[1,0,1]
	v_pk_fma_f32 v[78:79], v[78:79], v[80:81], v[82:83] neg_lo:[0,0,1] neg_hi:[0,0,1]
	s_delay_alu instid0(VALU_DEP_2)
	v_mov_b32_e32 v79, v85
	scratch_store_b64 off, v[78:79], off offset:144
.LBB36_185:
	s_wait_xcnt 0x0
	s_or_b32 exec_lo, exec_lo, s2
	scratch_load_b64 v[78:79], off, off offset:136
	v_cmp_lt_u32_e64 s1, 17, v0
	s_wait_loadcnt 0x0
	ds_store_b64 v1, v[78:79]
	s_wait_storecnt_dscnt 0x0
	s_barrier_signal -1
	s_barrier_wait -1
	s_wait_xcnt 0x0
	s_and_saveexec_b32 s2, s1
	s_cbranch_execz .LBB36_195
; %bb.186:
	s_and_not1_b32 vcc_lo, exec_lo, s3
	s_cbranch_vccnz .LBB36_188
; %bb.187:
	scratch_load_b64 v[78:79], v41, off
	ds_load_b64 v[80:81], v1
	s_wait_loadcnt_dscnt 0x0
	v_pk_mul_f32 v[82:83], v[80:81], v[78:79] op_sel:[1,1] op_sel_hi:[0,1]
	s_delay_alu instid0(VALU_DEP_1) | instskip(SKIP_1) | instid1(VALU_DEP_2)
	v_pk_fma_f32 v[84:85], v[80:81], v[78:79], v[82:83] op_sel_hi:[1,0,1]
	v_pk_fma_f32 v[78:79], v[80:81], v[78:79], v[82:83] neg_lo:[0,0,1] neg_hi:[0,0,1]
	v_mov_b32_e32 v79, v85
	s_cbranch_execz .LBB36_189
	s_branch .LBB36_190
.LBB36_188:
                                        ; implicit-def: $vgpr78_vgpr79
.LBB36_189:
	ds_load_b64 v[78:79], v1
.LBB36_190:
	s_and_saveexec_b32 s15, s0
	s_cbranch_execz .LBB36_194
; %bb.191:
	v_subrev_nc_u32_e32 v80, 18, v0
	s_movk_i32 s16, 0x1c0
	s_mov_b32 s0, 0
.LBB36_192:                             ; =>This Inner Loop Header: Depth=1
	scratch_load_b64 v[82:83], off, s14
	v_dual_mov_b32 v81, s16 :: v_dual_add_nc_u32 v80, -1, v80
	s_add_co_i32 s16, s16, 8
	s_wait_xcnt 0x0
	s_add_co_i32 s14, s14, 8
	ds_load_b64 v[84:85], v81
	v_cmp_eq_u32_e32 vcc_lo, 0, v80
	s_or_b32 s0, vcc_lo, s0
	s_wait_loadcnt_dscnt 0x0
	v_pk_mul_f32 v[86:87], v[84:85], v[82:83] op_sel:[1,1] op_sel_hi:[0,1]
	s_delay_alu instid0(VALU_DEP_1) | instskip(SKIP_1) | instid1(VALU_DEP_2)
	v_pk_fma_f32 v[88:89], v[84:85], v[82:83], v[86:87] op_sel_hi:[1,0,1]
	v_pk_fma_f32 v[82:83], v[84:85], v[82:83], v[86:87] neg_lo:[0,0,1] neg_hi:[0,0,1]
	v_mov_b32_e32 v83, v89
	s_delay_alu instid0(VALU_DEP_1)
	v_pk_add_f32 v[78:79], v[78:79], v[82:83]
	s_and_not1_b32 exec_lo, exec_lo, s0
	s_cbranch_execnz .LBB36_192
; %bb.193:
	s_or_b32 exec_lo, exec_lo, s0
.LBB36_194:
	s_delay_alu instid0(SALU_CYCLE_1) | instskip(SKIP_4) | instid1(VALU_DEP_1)
	s_or_b32 exec_lo, exec_lo, s15
	v_mov_b32_e32 v80, 0
	ds_load_b64 v[80:81], v80 offset:136
	s_wait_dscnt 0x0
	v_pk_mul_f32 v[82:83], v[78:79], v[80:81] op_sel:[1,1] op_sel_hi:[0,1]
	v_pk_fma_f32 v[84:85], v[78:79], v[80:81], v[82:83] op_sel_hi:[1,0,1]
	v_pk_fma_f32 v[78:79], v[78:79], v[80:81], v[82:83] neg_lo:[0,0,1] neg_hi:[0,0,1]
	s_delay_alu instid0(VALU_DEP_2)
	v_mov_b32_e32 v79, v85
	scratch_store_b64 off, v[78:79], off offset:136
.LBB36_195:
	s_wait_xcnt 0x0
	s_or_b32 exec_lo, exec_lo, s2
	scratch_load_b64 v[78:79], off, off offset:128
	v_cmp_lt_u32_e64 s0, 16, v0
	s_wait_loadcnt 0x0
	ds_store_b64 v1, v[78:79]
	s_wait_storecnt_dscnt 0x0
	s_barrier_signal -1
	s_barrier_wait -1
	s_wait_xcnt 0x0
	s_and_saveexec_b32 s2, s0
	s_cbranch_execz .LBB36_205
; %bb.196:
	s_and_not1_b32 vcc_lo, exec_lo, s3
	s_cbranch_vccnz .LBB36_198
; %bb.197:
	scratch_load_b64 v[78:79], v41, off
	ds_load_b64 v[80:81], v1
	s_wait_loadcnt_dscnt 0x0
	v_pk_mul_f32 v[82:83], v[80:81], v[78:79] op_sel:[1,1] op_sel_hi:[0,1]
	s_delay_alu instid0(VALU_DEP_1) | instskip(SKIP_1) | instid1(VALU_DEP_2)
	v_pk_fma_f32 v[84:85], v[80:81], v[78:79], v[82:83] op_sel_hi:[1,0,1]
	v_pk_fma_f32 v[78:79], v[80:81], v[78:79], v[82:83] neg_lo:[0,0,1] neg_hi:[0,0,1]
	v_mov_b32_e32 v79, v85
	s_cbranch_execz .LBB36_199
	s_branch .LBB36_200
.LBB36_198:
                                        ; implicit-def: $vgpr78_vgpr79
.LBB36_199:
	ds_load_b64 v[78:79], v1
.LBB36_200:
	s_and_saveexec_b32 s14, s1
	s_cbranch_execz .LBB36_204
; %bb.201:
	v_subrev_nc_u32_e32 v80, 17, v0
	s_movk_i32 s1, 0x88
	s_movk_i32 s16, 0x1b8
	s_mov_b32 s15, 0
.LBB36_202:                             ; =>This Inner Loop Header: Depth=1
	scratch_load_b64 v[82:83], off, s1
	v_dual_mov_b32 v81, s16 :: v_dual_add_nc_u32 v80, -1, v80
	s_add_co_i32 s16, s16, 8
	s_wait_xcnt 0x0
	s_add_co_i32 s1, s1, 8
	ds_load_b64 v[84:85], v81
	v_cmp_eq_u32_e32 vcc_lo, 0, v80
	s_or_b32 s15, vcc_lo, s15
	s_wait_loadcnt_dscnt 0x0
	v_pk_mul_f32 v[86:87], v[84:85], v[82:83] op_sel:[1,1] op_sel_hi:[0,1]
	s_delay_alu instid0(VALU_DEP_1) | instskip(SKIP_1) | instid1(VALU_DEP_2)
	v_pk_fma_f32 v[88:89], v[84:85], v[82:83], v[86:87] op_sel_hi:[1,0,1]
	v_pk_fma_f32 v[82:83], v[84:85], v[82:83], v[86:87] neg_lo:[0,0,1] neg_hi:[0,0,1]
	v_mov_b32_e32 v83, v89
	s_delay_alu instid0(VALU_DEP_1)
	v_pk_add_f32 v[78:79], v[78:79], v[82:83]
	s_and_not1_b32 exec_lo, exec_lo, s15
	s_cbranch_execnz .LBB36_202
; %bb.203:
	s_or_b32 exec_lo, exec_lo, s15
.LBB36_204:
	s_delay_alu instid0(SALU_CYCLE_1) | instskip(SKIP_4) | instid1(VALU_DEP_1)
	s_or_b32 exec_lo, exec_lo, s14
	v_mov_b32_e32 v80, 0
	ds_load_b64 v[80:81], v80 offset:128
	s_wait_dscnt 0x0
	v_pk_mul_f32 v[82:83], v[78:79], v[80:81] op_sel:[1,1] op_sel_hi:[0,1]
	v_pk_fma_f32 v[84:85], v[78:79], v[80:81], v[82:83] op_sel_hi:[1,0,1]
	v_pk_fma_f32 v[78:79], v[78:79], v[80:81], v[82:83] neg_lo:[0,0,1] neg_hi:[0,0,1]
	s_delay_alu instid0(VALU_DEP_2)
	v_mov_b32_e32 v79, v85
	scratch_store_b64 off, v[78:79], off offset:128
.LBB36_205:
	s_wait_xcnt 0x0
	s_or_b32 exec_lo, exec_lo, s2
	scratch_load_b64 v[78:79], off, off offset:120
	v_cmp_lt_u32_e64 s1, 15, v0
	s_wait_loadcnt 0x0
	ds_store_b64 v1, v[78:79]
	s_wait_storecnt_dscnt 0x0
	s_barrier_signal -1
	s_barrier_wait -1
	s_wait_xcnt 0x0
	s_and_saveexec_b32 s2, s1
	s_cbranch_execz .LBB36_215
; %bb.206:
	s_and_not1_b32 vcc_lo, exec_lo, s3
	s_cbranch_vccnz .LBB36_208
; %bb.207:
	scratch_load_b64 v[78:79], v41, off
	ds_load_b64 v[80:81], v1
	s_wait_loadcnt_dscnt 0x0
	v_pk_mul_f32 v[82:83], v[80:81], v[78:79] op_sel:[1,1] op_sel_hi:[0,1]
	s_delay_alu instid0(VALU_DEP_1) | instskip(SKIP_1) | instid1(VALU_DEP_2)
	v_pk_fma_f32 v[84:85], v[80:81], v[78:79], v[82:83] op_sel_hi:[1,0,1]
	v_pk_fma_f32 v[78:79], v[80:81], v[78:79], v[82:83] neg_lo:[0,0,1] neg_hi:[0,0,1]
	v_mov_b32_e32 v79, v85
	s_cbranch_execz .LBB36_209
	s_branch .LBB36_210
.LBB36_208:
                                        ; implicit-def: $vgpr78_vgpr79
.LBB36_209:
	ds_load_b64 v[78:79], v1
.LBB36_210:
	s_and_saveexec_b32 s14, s0
	s_cbranch_execz .LBB36_214
; %bb.211:
	v_add_nc_u32_e32 v80, -16, v0
	s_movk_i32 s15, 0x1b0
	s_mov_b32 s0, 0
.LBB36_212:                             ; =>This Inner Loop Header: Depth=1
	scratch_load_b64 v[82:83], off, s13
	v_dual_mov_b32 v81, s15 :: v_dual_add_nc_u32 v80, -1, v80
	s_add_co_i32 s15, s15, 8
	s_wait_xcnt 0x0
	s_add_co_i32 s13, s13, 8
	ds_load_b64 v[84:85], v81
	v_cmp_eq_u32_e32 vcc_lo, 0, v80
	s_or_b32 s0, vcc_lo, s0
	s_wait_loadcnt_dscnt 0x0
	v_pk_mul_f32 v[86:87], v[84:85], v[82:83] op_sel:[1,1] op_sel_hi:[0,1]
	s_delay_alu instid0(VALU_DEP_1) | instskip(SKIP_1) | instid1(VALU_DEP_2)
	v_pk_fma_f32 v[88:89], v[84:85], v[82:83], v[86:87] op_sel_hi:[1,0,1]
	v_pk_fma_f32 v[82:83], v[84:85], v[82:83], v[86:87] neg_lo:[0,0,1] neg_hi:[0,0,1]
	v_mov_b32_e32 v83, v89
	s_delay_alu instid0(VALU_DEP_1)
	v_pk_add_f32 v[78:79], v[78:79], v[82:83]
	s_and_not1_b32 exec_lo, exec_lo, s0
	s_cbranch_execnz .LBB36_212
; %bb.213:
	s_or_b32 exec_lo, exec_lo, s0
.LBB36_214:
	s_delay_alu instid0(SALU_CYCLE_1) | instskip(SKIP_4) | instid1(VALU_DEP_1)
	s_or_b32 exec_lo, exec_lo, s14
	v_mov_b32_e32 v80, 0
	ds_load_b64 v[80:81], v80 offset:120
	s_wait_dscnt 0x0
	v_pk_mul_f32 v[82:83], v[78:79], v[80:81] op_sel:[1,1] op_sel_hi:[0,1]
	v_pk_fma_f32 v[84:85], v[78:79], v[80:81], v[82:83] op_sel_hi:[1,0,1]
	v_pk_fma_f32 v[78:79], v[78:79], v[80:81], v[82:83] neg_lo:[0,0,1] neg_hi:[0,0,1]
	s_delay_alu instid0(VALU_DEP_2)
	v_mov_b32_e32 v79, v85
	scratch_store_b64 off, v[78:79], off offset:120
.LBB36_215:
	s_wait_xcnt 0x0
	s_or_b32 exec_lo, exec_lo, s2
	scratch_load_b64 v[78:79], off, off offset:112
	v_cmp_lt_u32_e64 s0, 14, v0
	s_wait_loadcnt 0x0
	ds_store_b64 v1, v[78:79]
	s_wait_storecnt_dscnt 0x0
	s_barrier_signal -1
	s_barrier_wait -1
	s_wait_xcnt 0x0
	s_and_saveexec_b32 s2, s0
	s_cbranch_execz .LBB36_225
; %bb.216:
	s_and_not1_b32 vcc_lo, exec_lo, s3
	s_cbranch_vccnz .LBB36_218
; %bb.217:
	scratch_load_b64 v[78:79], v41, off
	ds_load_b64 v[80:81], v1
	s_wait_loadcnt_dscnt 0x0
	v_pk_mul_f32 v[82:83], v[80:81], v[78:79] op_sel:[1,1] op_sel_hi:[0,1]
	s_delay_alu instid0(VALU_DEP_1) | instskip(SKIP_1) | instid1(VALU_DEP_2)
	v_pk_fma_f32 v[84:85], v[80:81], v[78:79], v[82:83] op_sel_hi:[1,0,1]
	v_pk_fma_f32 v[78:79], v[80:81], v[78:79], v[82:83] neg_lo:[0,0,1] neg_hi:[0,0,1]
	v_mov_b32_e32 v79, v85
	s_cbranch_execz .LBB36_219
	s_branch .LBB36_220
.LBB36_218:
                                        ; implicit-def: $vgpr78_vgpr79
.LBB36_219:
	ds_load_b64 v[78:79], v1
.LBB36_220:
	s_and_saveexec_b32 s13, s1
	s_cbranch_execz .LBB36_224
; %bb.221:
	v_add_nc_u32_e32 v80, -15, v0
	s_movk_i32 s1, 0x78
	s_movk_i32 s15, 0x1a8
	s_mov_b32 s14, 0
.LBB36_222:                             ; =>This Inner Loop Header: Depth=1
	scratch_load_b64 v[82:83], off, s1
	v_dual_mov_b32 v81, s15 :: v_dual_add_nc_u32 v80, -1, v80
	s_add_co_i32 s15, s15, 8
	s_wait_xcnt 0x0
	s_add_co_i32 s1, s1, 8
	ds_load_b64 v[84:85], v81
	v_cmp_eq_u32_e32 vcc_lo, 0, v80
	s_or_b32 s14, vcc_lo, s14
	s_wait_loadcnt_dscnt 0x0
	v_pk_mul_f32 v[86:87], v[84:85], v[82:83] op_sel:[1,1] op_sel_hi:[0,1]
	s_delay_alu instid0(VALU_DEP_1) | instskip(SKIP_1) | instid1(VALU_DEP_2)
	v_pk_fma_f32 v[88:89], v[84:85], v[82:83], v[86:87] op_sel_hi:[1,0,1]
	v_pk_fma_f32 v[82:83], v[84:85], v[82:83], v[86:87] neg_lo:[0,0,1] neg_hi:[0,0,1]
	v_mov_b32_e32 v83, v89
	s_delay_alu instid0(VALU_DEP_1)
	v_pk_add_f32 v[78:79], v[78:79], v[82:83]
	s_and_not1_b32 exec_lo, exec_lo, s14
	s_cbranch_execnz .LBB36_222
; %bb.223:
	s_or_b32 exec_lo, exec_lo, s14
.LBB36_224:
	s_delay_alu instid0(SALU_CYCLE_1) | instskip(SKIP_4) | instid1(VALU_DEP_1)
	s_or_b32 exec_lo, exec_lo, s13
	v_mov_b32_e32 v80, 0
	ds_load_b64 v[80:81], v80 offset:112
	s_wait_dscnt 0x0
	v_pk_mul_f32 v[82:83], v[78:79], v[80:81] op_sel:[1,1] op_sel_hi:[0,1]
	v_pk_fma_f32 v[84:85], v[78:79], v[80:81], v[82:83] op_sel_hi:[1,0,1]
	v_pk_fma_f32 v[78:79], v[78:79], v[80:81], v[82:83] neg_lo:[0,0,1] neg_hi:[0,0,1]
	s_delay_alu instid0(VALU_DEP_2)
	v_mov_b32_e32 v79, v85
	scratch_store_b64 off, v[78:79], off offset:112
.LBB36_225:
	s_wait_xcnt 0x0
	s_or_b32 exec_lo, exec_lo, s2
	scratch_load_b64 v[78:79], off, off offset:104
	v_cmp_lt_u32_e64 s1, 13, v0
	s_wait_loadcnt 0x0
	ds_store_b64 v1, v[78:79]
	s_wait_storecnt_dscnt 0x0
	s_barrier_signal -1
	s_barrier_wait -1
	s_wait_xcnt 0x0
	s_and_saveexec_b32 s2, s1
	s_cbranch_execz .LBB36_235
; %bb.226:
	s_and_not1_b32 vcc_lo, exec_lo, s3
	s_cbranch_vccnz .LBB36_228
; %bb.227:
	scratch_load_b64 v[78:79], v41, off
	ds_load_b64 v[80:81], v1
	s_wait_loadcnt_dscnt 0x0
	v_pk_mul_f32 v[82:83], v[80:81], v[78:79] op_sel:[1,1] op_sel_hi:[0,1]
	s_delay_alu instid0(VALU_DEP_1) | instskip(SKIP_1) | instid1(VALU_DEP_2)
	v_pk_fma_f32 v[84:85], v[80:81], v[78:79], v[82:83] op_sel_hi:[1,0,1]
	v_pk_fma_f32 v[78:79], v[80:81], v[78:79], v[82:83] neg_lo:[0,0,1] neg_hi:[0,0,1]
	v_mov_b32_e32 v79, v85
	s_cbranch_execz .LBB36_229
	s_branch .LBB36_230
.LBB36_228:
                                        ; implicit-def: $vgpr78_vgpr79
.LBB36_229:
	ds_load_b64 v[78:79], v1
.LBB36_230:
	s_and_saveexec_b32 s13, s0
	s_cbranch_execz .LBB36_234
; %bb.231:
	v_add_nc_u32_e32 v80, -14, v0
	s_movk_i32 s14, 0x1a0
	s_mov_b32 s0, 0
.LBB36_232:                             ; =>This Inner Loop Header: Depth=1
	scratch_load_b64 v[82:83], off, s12
	v_dual_mov_b32 v81, s14 :: v_dual_add_nc_u32 v80, -1, v80
	s_add_co_i32 s14, s14, 8
	s_wait_xcnt 0x0
	s_add_co_i32 s12, s12, 8
	ds_load_b64 v[84:85], v81
	v_cmp_eq_u32_e32 vcc_lo, 0, v80
	s_or_b32 s0, vcc_lo, s0
	s_wait_loadcnt_dscnt 0x0
	v_pk_mul_f32 v[86:87], v[84:85], v[82:83] op_sel:[1,1] op_sel_hi:[0,1]
	s_delay_alu instid0(VALU_DEP_1) | instskip(SKIP_1) | instid1(VALU_DEP_2)
	v_pk_fma_f32 v[88:89], v[84:85], v[82:83], v[86:87] op_sel_hi:[1,0,1]
	v_pk_fma_f32 v[82:83], v[84:85], v[82:83], v[86:87] neg_lo:[0,0,1] neg_hi:[0,0,1]
	v_mov_b32_e32 v83, v89
	s_delay_alu instid0(VALU_DEP_1)
	v_pk_add_f32 v[78:79], v[78:79], v[82:83]
	s_and_not1_b32 exec_lo, exec_lo, s0
	s_cbranch_execnz .LBB36_232
; %bb.233:
	s_or_b32 exec_lo, exec_lo, s0
.LBB36_234:
	s_delay_alu instid0(SALU_CYCLE_1) | instskip(SKIP_4) | instid1(VALU_DEP_1)
	s_or_b32 exec_lo, exec_lo, s13
	v_mov_b32_e32 v80, 0
	ds_load_b64 v[80:81], v80 offset:104
	s_wait_dscnt 0x0
	v_pk_mul_f32 v[82:83], v[78:79], v[80:81] op_sel:[1,1] op_sel_hi:[0,1]
	v_pk_fma_f32 v[84:85], v[78:79], v[80:81], v[82:83] op_sel_hi:[1,0,1]
	v_pk_fma_f32 v[78:79], v[78:79], v[80:81], v[82:83] neg_lo:[0,0,1] neg_hi:[0,0,1]
	s_delay_alu instid0(VALU_DEP_2)
	v_mov_b32_e32 v79, v85
	scratch_store_b64 off, v[78:79], off offset:104
.LBB36_235:
	s_wait_xcnt 0x0
	s_or_b32 exec_lo, exec_lo, s2
	scratch_load_b64 v[78:79], off, off offset:96
	v_cmp_lt_u32_e64 s0, 12, v0
	s_wait_loadcnt 0x0
	ds_store_b64 v1, v[78:79]
	s_wait_storecnt_dscnt 0x0
	s_barrier_signal -1
	s_barrier_wait -1
	s_wait_xcnt 0x0
	s_and_saveexec_b32 s2, s0
	s_cbranch_execz .LBB36_245
; %bb.236:
	s_and_not1_b32 vcc_lo, exec_lo, s3
	s_cbranch_vccnz .LBB36_238
; %bb.237:
	scratch_load_b64 v[78:79], v41, off
	ds_load_b64 v[80:81], v1
	s_wait_loadcnt_dscnt 0x0
	v_pk_mul_f32 v[82:83], v[80:81], v[78:79] op_sel:[1,1] op_sel_hi:[0,1]
	s_delay_alu instid0(VALU_DEP_1) | instskip(SKIP_1) | instid1(VALU_DEP_2)
	v_pk_fma_f32 v[84:85], v[80:81], v[78:79], v[82:83] op_sel_hi:[1,0,1]
	v_pk_fma_f32 v[78:79], v[80:81], v[78:79], v[82:83] neg_lo:[0,0,1] neg_hi:[0,0,1]
	v_mov_b32_e32 v79, v85
	s_cbranch_execz .LBB36_239
	s_branch .LBB36_240
.LBB36_238:
                                        ; implicit-def: $vgpr78_vgpr79
.LBB36_239:
	ds_load_b64 v[78:79], v1
.LBB36_240:
	s_and_saveexec_b32 s12, s1
	s_cbranch_execz .LBB36_244
; %bb.241:
	v_add_nc_u32_e32 v80, -13, v0
	s_movk_i32 s1, 0x68
	s_movk_i32 s14, 0x198
	s_mov_b32 s13, 0
.LBB36_242:                             ; =>This Inner Loop Header: Depth=1
	scratch_load_b64 v[82:83], off, s1
	v_dual_mov_b32 v81, s14 :: v_dual_add_nc_u32 v80, -1, v80
	s_add_co_i32 s14, s14, 8
	s_wait_xcnt 0x0
	s_add_co_i32 s1, s1, 8
	ds_load_b64 v[84:85], v81
	v_cmp_eq_u32_e32 vcc_lo, 0, v80
	s_or_b32 s13, vcc_lo, s13
	s_wait_loadcnt_dscnt 0x0
	v_pk_mul_f32 v[86:87], v[84:85], v[82:83] op_sel:[1,1] op_sel_hi:[0,1]
	s_delay_alu instid0(VALU_DEP_1) | instskip(SKIP_1) | instid1(VALU_DEP_2)
	v_pk_fma_f32 v[88:89], v[84:85], v[82:83], v[86:87] op_sel_hi:[1,0,1]
	v_pk_fma_f32 v[82:83], v[84:85], v[82:83], v[86:87] neg_lo:[0,0,1] neg_hi:[0,0,1]
	v_mov_b32_e32 v83, v89
	s_delay_alu instid0(VALU_DEP_1)
	v_pk_add_f32 v[78:79], v[78:79], v[82:83]
	s_and_not1_b32 exec_lo, exec_lo, s13
	s_cbranch_execnz .LBB36_242
; %bb.243:
	s_or_b32 exec_lo, exec_lo, s13
.LBB36_244:
	s_delay_alu instid0(SALU_CYCLE_1) | instskip(SKIP_4) | instid1(VALU_DEP_1)
	s_or_b32 exec_lo, exec_lo, s12
	v_mov_b32_e32 v80, 0
	ds_load_b64 v[80:81], v80 offset:96
	s_wait_dscnt 0x0
	v_pk_mul_f32 v[82:83], v[78:79], v[80:81] op_sel:[1,1] op_sel_hi:[0,1]
	v_pk_fma_f32 v[84:85], v[78:79], v[80:81], v[82:83] op_sel_hi:[1,0,1]
	v_pk_fma_f32 v[78:79], v[78:79], v[80:81], v[82:83] neg_lo:[0,0,1] neg_hi:[0,0,1]
	s_delay_alu instid0(VALU_DEP_2)
	v_mov_b32_e32 v79, v85
	scratch_store_b64 off, v[78:79], off offset:96
.LBB36_245:
	s_wait_xcnt 0x0
	s_or_b32 exec_lo, exec_lo, s2
	scratch_load_b64 v[78:79], off, off offset:88
	v_cmp_lt_u32_e64 s1, 11, v0
	s_wait_loadcnt 0x0
	ds_store_b64 v1, v[78:79]
	s_wait_storecnt_dscnt 0x0
	s_barrier_signal -1
	s_barrier_wait -1
	s_wait_xcnt 0x0
	s_and_saveexec_b32 s2, s1
	s_cbranch_execz .LBB36_255
; %bb.246:
	s_and_not1_b32 vcc_lo, exec_lo, s3
	s_cbranch_vccnz .LBB36_248
; %bb.247:
	scratch_load_b64 v[78:79], v41, off
	ds_load_b64 v[80:81], v1
	s_wait_loadcnt_dscnt 0x0
	v_pk_mul_f32 v[82:83], v[80:81], v[78:79] op_sel:[1,1] op_sel_hi:[0,1]
	s_delay_alu instid0(VALU_DEP_1) | instskip(SKIP_1) | instid1(VALU_DEP_2)
	v_pk_fma_f32 v[84:85], v[80:81], v[78:79], v[82:83] op_sel_hi:[1,0,1]
	v_pk_fma_f32 v[78:79], v[80:81], v[78:79], v[82:83] neg_lo:[0,0,1] neg_hi:[0,0,1]
	v_mov_b32_e32 v79, v85
	s_cbranch_execz .LBB36_249
	s_branch .LBB36_250
.LBB36_248:
                                        ; implicit-def: $vgpr78_vgpr79
.LBB36_249:
	ds_load_b64 v[78:79], v1
.LBB36_250:
	s_and_saveexec_b32 s12, s0
	s_cbranch_execz .LBB36_254
; %bb.251:
	v_add_nc_u32_e32 v80, -12, v0
	s_movk_i32 s13, 0x190
	s_mov_b32 s0, 0
.LBB36_252:                             ; =>This Inner Loop Header: Depth=1
	scratch_load_b64 v[82:83], off, s11
	v_dual_mov_b32 v81, s13 :: v_dual_add_nc_u32 v80, -1, v80
	s_add_co_i32 s13, s13, 8
	s_wait_xcnt 0x0
	s_add_co_i32 s11, s11, 8
	ds_load_b64 v[84:85], v81
	v_cmp_eq_u32_e32 vcc_lo, 0, v80
	s_or_b32 s0, vcc_lo, s0
	s_wait_loadcnt_dscnt 0x0
	v_pk_mul_f32 v[86:87], v[84:85], v[82:83] op_sel:[1,1] op_sel_hi:[0,1]
	s_delay_alu instid0(VALU_DEP_1) | instskip(SKIP_1) | instid1(VALU_DEP_2)
	v_pk_fma_f32 v[88:89], v[84:85], v[82:83], v[86:87] op_sel_hi:[1,0,1]
	v_pk_fma_f32 v[82:83], v[84:85], v[82:83], v[86:87] neg_lo:[0,0,1] neg_hi:[0,0,1]
	v_mov_b32_e32 v83, v89
	s_delay_alu instid0(VALU_DEP_1)
	v_pk_add_f32 v[78:79], v[78:79], v[82:83]
	s_and_not1_b32 exec_lo, exec_lo, s0
	s_cbranch_execnz .LBB36_252
; %bb.253:
	s_or_b32 exec_lo, exec_lo, s0
.LBB36_254:
	s_delay_alu instid0(SALU_CYCLE_1) | instskip(SKIP_4) | instid1(VALU_DEP_1)
	s_or_b32 exec_lo, exec_lo, s12
	v_mov_b32_e32 v80, 0
	ds_load_b64 v[80:81], v80 offset:88
	s_wait_dscnt 0x0
	v_pk_mul_f32 v[82:83], v[78:79], v[80:81] op_sel:[1,1] op_sel_hi:[0,1]
	v_pk_fma_f32 v[84:85], v[78:79], v[80:81], v[82:83] op_sel_hi:[1,0,1]
	v_pk_fma_f32 v[78:79], v[78:79], v[80:81], v[82:83] neg_lo:[0,0,1] neg_hi:[0,0,1]
	s_delay_alu instid0(VALU_DEP_2)
	v_mov_b32_e32 v79, v85
	scratch_store_b64 off, v[78:79], off offset:88
.LBB36_255:
	s_wait_xcnt 0x0
	s_or_b32 exec_lo, exec_lo, s2
	scratch_load_b64 v[78:79], off, off offset:80
	v_cmp_lt_u32_e64 s0, 10, v0
	s_wait_loadcnt 0x0
	ds_store_b64 v1, v[78:79]
	s_wait_storecnt_dscnt 0x0
	s_barrier_signal -1
	s_barrier_wait -1
	s_wait_xcnt 0x0
	s_and_saveexec_b32 s2, s0
	s_cbranch_execz .LBB36_265
; %bb.256:
	s_and_not1_b32 vcc_lo, exec_lo, s3
	s_cbranch_vccnz .LBB36_258
; %bb.257:
	scratch_load_b64 v[78:79], v41, off
	ds_load_b64 v[80:81], v1
	s_wait_loadcnt_dscnt 0x0
	v_pk_mul_f32 v[82:83], v[80:81], v[78:79] op_sel:[1,1] op_sel_hi:[0,1]
	s_delay_alu instid0(VALU_DEP_1) | instskip(SKIP_1) | instid1(VALU_DEP_2)
	v_pk_fma_f32 v[84:85], v[80:81], v[78:79], v[82:83] op_sel_hi:[1,0,1]
	v_pk_fma_f32 v[78:79], v[80:81], v[78:79], v[82:83] neg_lo:[0,0,1] neg_hi:[0,0,1]
	v_mov_b32_e32 v79, v85
	s_cbranch_execz .LBB36_259
	s_branch .LBB36_260
.LBB36_258:
                                        ; implicit-def: $vgpr78_vgpr79
.LBB36_259:
	ds_load_b64 v[78:79], v1
.LBB36_260:
	s_and_saveexec_b32 s11, s1
	s_cbranch_execz .LBB36_264
; %bb.261:
	v_add_nc_u32_e32 v80, -11, v0
	s_movk_i32 s1, 0x58
	s_movk_i32 s13, 0x188
	s_mov_b32 s12, 0
.LBB36_262:                             ; =>This Inner Loop Header: Depth=1
	scratch_load_b64 v[82:83], off, s1
	v_dual_mov_b32 v81, s13 :: v_dual_add_nc_u32 v80, -1, v80
	s_add_co_i32 s13, s13, 8
	s_wait_xcnt 0x0
	s_add_co_i32 s1, s1, 8
	ds_load_b64 v[84:85], v81
	v_cmp_eq_u32_e32 vcc_lo, 0, v80
	s_or_b32 s12, vcc_lo, s12
	s_wait_loadcnt_dscnt 0x0
	v_pk_mul_f32 v[86:87], v[84:85], v[82:83] op_sel:[1,1] op_sel_hi:[0,1]
	s_delay_alu instid0(VALU_DEP_1) | instskip(SKIP_1) | instid1(VALU_DEP_2)
	v_pk_fma_f32 v[88:89], v[84:85], v[82:83], v[86:87] op_sel_hi:[1,0,1]
	v_pk_fma_f32 v[82:83], v[84:85], v[82:83], v[86:87] neg_lo:[0,0,1] neg_hi:[0,0,1]
	v_mov_b32_e32 v83, v89
	s_delay_alu instid0(VALU_DEP_1)
	v_pk_add_f32 v[78:79], v[78:79], v[82:83]
	s_and_not1_b32 exec_lo, exec_lo, s12
	s_cbranch_execnz .LBB36_262
; %bb.263:
	s_or_b32 exec_lo, exec_lo, s12
.LBB36_264:
	s_delay_alu instid0(SALU_CYCLE_1) | instskip(SKIP_4) | instid1(VALU_DEP_1)
	s_or_b32 exec_lo, exec_lo, s11
	v_mov_b32_e32 v80, 0
	ds_load_b64 v[80:81], v80 offset:80
	s_wait_dscnt 0x0
	v_pk_mul_f32 v[82:83], v[78:79], v[80:81] op_sel:[1,1] op_sel_hi:[0,1]
	v_pk_fma_f32 v[84:85], v[78:79], v[80:81], v[82:83] op_sel_hi:[1,0,1]
	v_pk_fma_f32 v[78:79], v[78:79], v[80:81], v[82:83] neg_lo:[0,0,1] neg_hi:[0,0,1]
	s_delay_alu instid0(VALU_DEP_2)
	v_mov_b32_e32 v79, v85
	scratch_store_b64 off, v[78:79], off offset:80
.LBB36_265:
	s_wait_xcnt 0x0
	s_or_b32 exec_lo, exec_lo, s2
	scratch_load_b64 v[78:79], off, off offset:72
	v_cmp_lt_u32_e64 s1, 9, v0
	s_wait_loadcnt 0x0
	ds_store_b64 v1, v[78:79]
	s_wait_storecnt_dscnt 0x0
	s_barrier_signal -1
	s_barrier_wait -1
	s_wait_xcnt 0x0
	s_and_saveexec_b32 s2, s1
	s_cbranch_execz .LBB36_275
; %bb.266:
	s_and_not1_b32 vcc_lo, exec_lo, s3
	s_cbranch_vccnz .LBB36_268
; %bb.267:
	scratch_load_b64 v[78:79], v41, off
	ds_load_b64 v[80:81], v1
	s_wait_loadcnt_dscnt 0x0
	v_pk_mul_f32 v[82:83], v[80:81], v[78:79] op_sel:[1,1] op_sel_hi:[0,1]
	s_delay_alu instid0(VALU_DEP_1) | instskip(SKIP_1) | instid1(VALU_DEP_2)
	v_pk_fma_f32 v[84:85], v[80:81], v[78:79], v[82:83] op_sel_hi:[1,0,1]
	v_pk_fma_f32 v[78:79], v[80:81], v[78:79], v[82:83] neg_lo:[0,0,1] neg_hi:[0,0,1]
	v_mov_b32_e32 v79, v85
	s_cbranch_execz .LBB36_269
	s_branch .LBB36_270
.LBB36_268:
                                        ; implicit-def: $vgpr78_vgpr79
.LBB36_269:
	ds_load_b64 v[78:79], v1
.LBB36_270:
	s_and_saveexec_b32 s11, s0
	s_cbranch_execz .LBB36_274
; %bb.271:
	v_add_nc_u32_e32 v80, -10, v0
	s_movk_i32 s12, 0x180
	s_mov_b32 s0, 0
.LBB36_272:                             ; =>This Inner Loop Header: Depth=1
	scratch_load_b64 v[82:83], off, s10
	v_dual_mov_b32 v81, s12 :: v_dual_add_nc_u32 v80, -1, v80
	s_add_co_i32 s12, s12, 8
	s_wait_xcnt 0x0
	s_add_co_i32 s10, s10, 8
	ds_load_b64 v[84:85], v81
	v_cmp_eq_u32_e32 vcc_lo, 0, v80
	s_or_b32 s0, vcc_lo, s0
	s_wait_loadcnt_dscnt 0x0
	v_pk_mul_f32 v[86:87], v[84:85], v[82:83] op_sel:[1,1] op_sel_hi:[0,1]
	s_delay_alu instid0(VALU_DEP_1) | instskip(SKIP_1) | instid1(VALU_DEP_2)
	v_pk_fma_f32 v[88:89], v[84:85], v[82:83], v[86:87] op_sel_hi:[1,0,1]
	v_pk_fma_f32 v[82:83], v[84:85], v[82:83], v[86:87] neg_lo:[0,0,1] neg_hi:[0,0,1]
	v_mov_b32_e32 v83, v89
	s_delay_alu instid0(VALU_DEP_1)
	v_pk_add_f32 v[78:79], v[78:79], v[82:83]
	s_and_not1_b32 exec_lo, exec_lo, s0
	s_cbranch_execnz .LBB36_272
; %bb.273:
	s_or_b32 exec_lo, exec_lo, s0
.LBB36_274:
	s_delay_alu instid0(SALU_CYCLE_1) | instskip(SKIP_4) | instid1(VALU_DEP_1)
	s_or_b32 exec_lo, exec_lo, s11
	v_mov_b32_e32 v80, 0
	ds_load_b64 v[80:81], v80 offset:72
	s_wait_dscnt 0x0
	v_pk_mul_f32 v[82:83], v[78:79], v[80:81] op_sel:[1,1] op_sel_hi:[0,1]
	v_pk_fma_f32 v[84:85], v[78:79], v[80:81], v[82:83] op_sel_hi:[1,0,1]
	v_pk_fma_f32 v[78:79], v[78:79], v[80:81], v[82:83] neg_lo:[0,0,1] neg_hi:[0,0,1]
	s_delay_alu instid0(VALU_DEP_2)
	v_mov_b32_e32 v79, v85
	scratch_store_b64 off, v[78:79], off offset:72
.LBB36_275:
	s_wait_xcnt 0x0
	s_or_b32 exec_lo, exec_lo, s2
	scratch_load_b64 v[78:79], off, off offset:64
	v_cmp_lt_u32_e64 s0, 8, v0
	s_wait_loadcnt 0x0
	ds_store_b64 v1, v[78:79]
	s_wait_storecnt_dscnt 0x0
	s_barrier_signal -1
	s_barrier_wait -1
	s_wait_xcnt 0x0
	s_and_saveexec_b32 s2, s0
	s_cbranch_execz .LBB36_285
; %bb.276:
	s_and_not1_b32 vcc_lo, exec_lo, s3
	s_cbranch_vccnz .LBB36_278
; %bb.277:
	scratch_load_b64 v[78:79], v41, off
	ds_load_b64 v[80:81], v1
	s_wait_loadcnt_dscnt 0x0
	v_pk_mul_f32 v[82:83], v[80:81], v[78:79] op_sel:[1,1] op_sel_hi:[0,1]
	s_delay_alu instid0(VALU_DEP_1) | instskip(SKIP_1) | instid1(VALU_DEP_2)
	v_pk_fma_f32 v[84:85], v[80:81], v[78:79], v[82:83] op_sel_hi:[1,0,1]
	v_pk_fma_f32 v[78:79], v[80:81], v[78:79], v[82:83] neg_lo:[0,0,1] neg_hi:[0,0,1]
	v_mov_b32_e32 v79, v85
	s_cbranch_execz .LBB36_279
	s_branch .LBB36_280
.LBB36_278:
                                        ; implicit-def: $vgpr78_vgpr79
.LBB36_279:
	ds_load_b64 v[78:79], v1
.LBB36_280:
	s_and_saveexec_b32 s10, s1
	s_cbranch_execz .LBB36_284
; %bb.281:
	v_add_nc_u32_e32 v80, -9, v0
	s_movk_i32 s1, 0x48
	s_movk_i32 s12, 0x178
	s_mov_b32 s11, 0
.LBB36_282:                             ; =>This Inner Loop Header: Depth=1
	scratch_load_b64 v[82:83], off, s1
	v_dual_mov_b32 v81, s12 :: v_dual_add_nc_u32 v80, -1, v80
	s_add_co_i32 s12, s12, 8
	s_wait_xcnt 0x0
	s_add_co_i32 s1, s1, 8
	ds_load_b64 v[84:85], v81
	v_cmp_eq_u32_e32 vcc_lo, 0, v80
	s_or_b32 s11, vcc_lo, s11
	s_wait_loadcnt_dscnt 0x0
	v_pk_mul_f32 v[86:87], v[84:85], v[82:83] op_sel:[1,1] op_sel_hi:[0,1]
	s_delay_alu instid0(VALU_DEP_1) | instskip(SKIP_1) | instid1(VALU_DEP_2)
	v_pk_fma_f32 v[88:89], v[84:85], v[82:83], v[86:87] op_sel_hi:[1,0,1]
	v_pk_fma_f32 v[82:83], v[84:85], v[82:83], v[86:87] neg_lo:[0,0,1] neg_hi:[0,0,1]
	v_mov_b32_e32 v83, v89
	s_delay_alu instid0(VALU_DEP_1)
	v_pk_add_f32 v[78:79], v[78:79], v[82:83]
	s_and_not1_b32 exec_lo, exec_lo, s11
	s_cbranch_execnz .LBB36_282
; %bb.283:
	s_or_b32 exec_lo, exec_lo, s11
.LBB36_284:
	s_delay_alu instid0(SALU_CYCLE_1) | instskip(SKIP_4) | instid1(VALU_DEP_1)
	s_or_b32 exec_lo, exec_lo, s10
	v_mov_b32_e32 v80, 0
	ds_load_b64 v[80:81], v80 offset:64
	s_wait_dscnt 0x0
	v_pk_mul_f32 v[82:83], v[78:79], v[80:81] op_sel:[1,1] op_sel_hi:[0,1]
	v_pk_fma_f32 v[84:85], v[78:79], v[80:81], v[82:83] op_sel_hi:[1,0,1]
	v_pk_fma_f32 v[78:79], v[78:79], v[80:81], v[82:83] neg_lo:[0,0,1] neg_hi:[0,0,1]
	s_delay_alu instid0(VALU_DEP_2)
	v_mov_b32_e32 v79, v85
	scratch_store_b64 off, v[78:79], off offset:64
.LBB36_285:
	s_wait_xcnt 0x0
	s_or_b32 exec_lo, exec_lo, s2
	scratch_load_b64 v[78:79], off, off offset:56
	v_cmp_lt_u32_e64 s1, 7, v0
	s_wait_loadcnt 0x0
	ds_store_b64 v1, v[78:79]
	s_wait_storecnt_dscnt 0x0
	s_barrier_signal -1
	s_barrier_wait -1
	s_wait_xcnt 0x0
	s_and_saveexec_b32 s2, s1
	s_cbranch_execz .LBB36_295
; %bb.286:
	s_and_not1_b32 vcc_lo, exec_lo, s3
	s_cbranch_vccnz .LBB36_288
; %bb.287:
	scratch_load_b64 v[78:79], v41, off
	ds_load_b64 v[80:81], v1
	s_wait_loadcnt_dscnt 0x0
	v_pk_mul_f32 v[82:83], v[80:81], v[78:79] op_sel:[1,1] op_sel_hi:[0,1]
	s_delay_alu instid0(VALU_DEP_1) | instskip(SKIP_1) | instid1(VALU_DEP_2)
	v_pk_fma_f32 v[84:85], v[80:81], v[78:79], v[82:83] op_sel_hi:[1,0,1]
	v_pk_fma_f32 v[78:79], v[80:81], v[78:79], v[82:83] neg_lo:[0,0,1] neg_hi:[0,0,1]
	v_mov_b32_e32 v79, v85
	s_cbranch_execz .LBB36_289
	s_branch .LBB36_290
.LBB36_288:
                                        ; implicit-def: $vgpr78_vgpr79
.LBB36_289:
	ds_load_b64 v[78:79], v1
.LBB36_290:
	s_and_saveexec_b32 s10, s0
	s_cbranch_execz .LBB36_294
; %bb.291:
	v_add_nc_u32_e32 v80, -8, v0
	s_movk_i32 s11, 0x170
	s_mov_b32 s0, 0
.LBB36_292:                             ; =>This Inner Loop Header: Depth=1
	scratch_load_b64 v[82:83], off, s9
	v_dual_mov_b32 v81, s11 :: v_dual_add_nc_u32 v80, -1, v80
	s_add_co_i32 s11, s11, 8
	s_wait_xcnt 0x0
	s_add_co_i32 s9, s9, 8
	ds_load_b64 v[84:85], v81
	v_cmp_eq_u32_e32 vcc_lo, 0, v80
	s_or_b32 s0, vcc_lo, s0
	s_wait_loadcnt_dscnt 0x0
	v_pk_mul_f32 v[86:87], v[84:85], v[82:83] op_sel:[1,1] op_sel_hi:[0,1]
	s_delay_alu instid0(VALU_DEP_1) | instskip(SKIP_1) | instid1(VALU_DEP_2)
	v_pk_fma_f32 v[88:89], v[84:85], v[82:83], v[86:87] op_sel_hi:[1,0,1]
	v_pk_fma_f32 v[82:83], v[84:85], v[82:83], v[86:87] neg_lo:[0,0,1] neg_hi:[0,0,1]
	v_mov_b32_e32 v83, v89
	s_delay_alu instid0(VALU_DEP_1)
	v_pk_add_f32 v[78:79], v[78:79], v[82:83]
	s_and_not1_b32 exec_lo, exec_lo, s0
	s_cbranch_execnz .LBB36_292
; %bb.293:
	s_or_b32 exec_lo, exec_lo, s0
.LBB36_294:
	s_delay_alu instid0(SALU_CYCLE_1) | instskip(SKIP_4) | instid1(VALU_DEP_1)
	s_or_b32 exec_lo, exec_lo, s10
	v_mov_b32_e32 v80, 0
	ds_load_b64 v[80:81], v80 offset:56
	s_wait_dscnt 0x0
	v_pk_mul_f32 v[82:83], v[78:79], v[80:81] op_sel:[1,1] op_sel_hi:[0,1]
	v_pk_fma_f32 v[84:85], v[78:79], v[80:81], v[82:83] op_sel_hi:[1,0,1]
	v_pk_fma_f32 v[78:79], v[78:79], v[80:81], v[82:83] neg_lo:[0,0,1] neg_hi:[0,0,1]
	s_delay_alu instid0(VALU_DEP_2)
	v_mov_b32_e32 v79, v85
	scratch_store_b64 off, v[78:79], off offset:56
.LBB36_295:
	s_wait_xcnt 0x0
	s_or_b32 exec_lo, exec_lo, s2
	scratch_load_b64 v[78:79], off, off offset:48
	v_cmp_lt_u32_e64 s0, 6, v0
	s_wait_loadcnt 0x0
	ds_store_b64 v1, v[78:79]
	s_wait_storecnt_dscnt 0x0
	s_barrier_signal -1
	s_barrier_wait -1
	s_wait_xcnt 0x0
	s_and_saveexec_b32 s2, s0
	s_cbranch_execz .LBB36_305
; %bb.296:
	s_and_not1_b32 vcc_lo, exec_lo, s3
	s_cbranch_vccnz .LBB36_298
; %bb.297:
	scratch_load_b64 v[78:79], v41, off
	ds_load_b64 v[80:81], v1
	s_wait_loadcnt_dscnt 0x0
	v_pk_mul_f32 v[82:83], v[80:81], v[78:79] op_sel:[1,1] op_sel_hi:[0,1]
	s_delay_alu instid0(VALU_DEP_1) | instskip(SKIP_1) | instid1(VALU_DEP_2)
	v_pk_fma_f32 v[84:85], v[80:81], v[78:79], v[82:83] op_sel_hi:[1,0,1]
	v_pk_fma_f32 v[78:79], v[80:81], v[78:79], v[82:83] neg_lo:[0,0,1] neg_hi:[0,0,1]
	v_mov_b32_e32 v79, v85
	s_cbranch_execz .LBB36_299
	s_branch .LBB36_300
.LBB36_298:
                                        ; implicit-def: $vgpr78_vgpr79
.LBB36_299:
	ds_load_b64 v[78:79], v1
.LBB36_300:
	s_and_saveexec_b32 s9, s1
	s_cbranch_execz .LBB36_304
; %bb.301:
	v_add_nc_u32_e32 v80, -7, v0
	s_mov_b32 s1, 56
	s_movk_i32 s11, 0x168
	s_mov_b32 s10, 0
.LBB36_302:                             ; =>This Inner Loop Header: Depth=1
	scratch_load_b64 v[82:83], off, s1
	v_dual_mov_b32 v81, s11 :: v_dual_add_nc_u32 v80, -1, v80
	s_add_co_i32 s11, s11, 8
	s_wait_xcnt 0x0
	s_add_co_i32 s1, s1, 8
	ds_load_b64 v[84:85], v81
	v_cmp_eq_u32_e32 vcc_lo, 0, v80
	s_or_b32 s10, vcc_lo, s10
	s_wait_loadcnt_dscnt 0x0
	v_pk_mul_f32 v[86:87], v[84:85], v[82:83] op_sel:[1,1] op_sel_hi:[0,1]
	s_delay_alu instid0(VALU_DEP_1) | instskip(SKIP_1) | instid1(VALU_DEP_2)
	v_pk_fma_f32 v[88:89], v[84:85], v[82:83], v[86:87] op_sel_hi:[1,0,1]
	v_pk_fma_f32 v[82:83], v[84:85], v[82:83], v[86:87] neg_lo:[0,0,1] neg_hi:[0,0,1]
	v_mov_b32_e32 v83, v89
	s_delay_alu instid0(VALU_DEP_1)
	v_pk_add_f32 v[78:79], v[78:79], v[82:83]
	s_and_not1_b32 exec_lo, exec_lo, s10
	s_cbranch_execnz .LBB36_302
; %bb.303:
	s_or_b32 exec_lo, exec_lo, s10
.LBB36_304:
	s_delay_alu instid0(SALU_CYCLE_1) | instskip(SKIP_4) | instid1(VALU_DEP_1)
	s_or_b32 exec_lo, exec_lo, s9
	v_mov_b32_e32 v80, 0
	ds_load_b64 v[80:81], v80 offset:48
	s_wait_dscnt 0x0
	v_pk_mul_f32 v[82:83], v[78:79], v[80:81] op_sel:[1,1] op_sel_hi:[0,1]
	v_pk_fma_f32 v[84:85], v[78:79], v[80:81], v[82:83] op_sel_hi:[1,0,1]
	v_pk_fma_f32 v[78:79], v[78:79], v[80:81], v[82:83] neg_lo:[0,0,1] neg_hi:[0,0,1]
	s_delay_alu instid0(VALU_DEP_2)
	v_mov_b32_e32 v79, v85
	scratch_store_b64 off, v[78:79], off offset:48
.LBB36_305:
	s_wait_xcnt 0x0
	s_or_b32 exec_lo, exec_lo, s2
	scratch_load_b64 v[78:79], off, off offset:40
	v_cmp_lt_u32_e64 s1, 5, v0
	s_wait_loadcnt 0x0
	ds_store_b64 v1, v[78:79]
	s_wait_storecnt_dscnt 0x0
	s_barrier_signal -1
	s_barrier_wait -1
	s_wait_xcnt 0x0
	s_and_saveexec_b32 s2, s1
	s_cbranch_execz .LBB36_315
; %bb.306:
	s_and_not1_b32 vcc_lo, exec_lo, s3
	s_cbranch_vccnz .LBB36_308
; %bb.307:
	scratch_load_b64 v[78:79], v41, off
	ds_load_b64 v[80:81], v1
	s_wait_loadcnt_dscnt 0x0
	v_pk_mul_f32 v[82:83], v[80:81], v[78:79] op_sel:[1,1] op_sel_hi:[0,1]
	s_delay_alu instid0(VALU_DEP_1) | instskip(SKIP_1) | instid1(VALU_DEP_2)
	v_pk_fma_f32 v[84:85], v[80:81], v[78:79], v[82:83] op_sel_hi:[1,0,1]
	v_pk_fma_f32 v[78:79], v[80:81], v[78:79], v[82:83] neg_lo:[0,0,1] neg_hi:[0,0,1]
	v_mov_b32_e32 v79, v85
	s_cbranch_execz .LBB36_309
	s_branch .LBB36_310
.LBB36_308:
                                        ; implicit-def: $vgpr78_vgpr79
.LBB36_309:
	ds_load_b64 v[78:79], v1
.LBB36_310:
	s_and_saveexec_b32 s9, s0
	s_cbranch_execz .LBB36_314
; %bb.311:
	v_add_nc_u32_e32 v80, -6, v0
	s_movk_i32 s10, 0x160
	s_mov_b32 s0, 0
.LBB36_312:                             ; =>This Inner Loop Header: Depth=1
	scratch_load_b64 v[82:83], off, s8
	v_dual_mov_b32 v81, s10 :: v_dual_add_nc_u32 v80, -1, v80
	s_add_co_i32 s10, s10, 8
	s_wait_xcnt 0x0
	s_add_co_i32 s8, s8, 8
	ds_load_b64 v[84:85], v81
	v_cmp_eq_u32_e32 vcc_lo, 0, v80
	s_or_b32 s0, vcc_lo, s0
	s_wait_loadcnt_dscnt 0x0
	v_pk_mul_f32 v[86:87], v[84:85], v[82:83] op_sel:[1,1] op_sel_hi:[0,1]
	s_delay_alu instid0(VALU_DEP_1) | instskip(SKIP_1) | instid1(VALU_DEP_2)
	v_pk_fma_f32 v[88:89], v[84:85], v[82:83], v[86:87] op_sel_hi:[1,0,1]
	v_pk_fma_f32 v[82:83], v[84:85], v[82:83], v[86:87] neg_lo:[0,0,1] neg_hi:[0,0,1]
	v_mov_b32_e32 v83, v89
	s_delay_alu instid0(VALU_DEP_1)
	v_pk_add_f32 v[78:79], v[78:79], v[82:83]
	s_and_not1_b32 exec_lo, exec_lo, s0
	s_cbranch_execnz .LBB36_312
; %bb.313:
	s_or_b32 exec_lo, exec_lo, s0
.LBB36_314:
	s_delay_alu instid0(SALU_CYCLE_1) | instskip(SKIP_4) | instid1(VALU_DEP_1)
	s_or_b32 exec_lo, exec_lo, s9
	v_mov_b32_e32 v80, 0
	ds_load_b64 v[80:81], v80 offset:40
	s_wait_dscnt 0x0
	v_pk_mul_f32 v[82:83], v[78:79], v[80:81] op_sel:[1,1] op_sel_hi:[0,1]
	v_pk_fma_f32 v[84:85], v[78:79], v[80:81], v[82:83] op_sel_hi:[1,0,1]
	v_pk_fma_f32 v[78:79], v[78:79], v[80:81], v[82:83] neg_lo:[0,0,1] neg_hi:[0,0,1]
	s_delay_alu instid0(VALU_DEP_2)
	v_mov_b32_e32 v79, v85
	scratch_store_b64 off, v[78:79], off offset:40
.LBB36_315:
	s_wait_xcnt 0x0
	s_or_b32 exec_lo, exec_lo, s2
	scratch_load_b64 v[78:79], off, off offset:32
	v_cmp_lt_u32_e64 s0, 4, v0
	s_wait_loadcnt 0x0
	ds_store_b64 v1, v[78:79]
	s_wait_storecnt_dscnt 0x0
	s_barrier_signal -1
	s_barrier_wait -1
	s_wait_xcnt 0x0
	s_and_saveexec_b32 s2, s0
	s_cbranch_execz .LBB36_325
; %bb.316:
	s_and_not1_b32 vcc_lo, exec_lo, s3
	s_cbranch_vccnz .LBB36_318
; %bb.317:
	scratch_load_b64 v[78:79], v41, off
	ds_load_b64 v[80:81], v1
	s_wait_loadcnt_dscnt 0x0
	v_pk_mul_f32 v[82:83], v[80:81], v[78:79] op_sel:[1,1] op_sel_hi:[0,1]
	s_delay_alu instid0(VALU_DEP_1) | instskip(SKIP_1) | instid1(VALU_DEP_2)
	v_pk_fma_f32 v[84:85], v[80:81], v[78:79], v[82:83] op_sel_hi:[1,0,1]
	v_pk_fma_f32 v[78:79], v[80:81], v[78:79], v[82:83] neg_lo:[0,0,1] neg_hi:[0,0,1]
	v_mov_b32_e32 v79, v85
	s_cbranch_execz .LBB36_319
	s_branch .LBB36_320
.LBB36_318:
                                        ; implicit-def: $vgpr78_vgpr79
.LBB36_319:
	ds_load_b64 v[78:79], v1
.LBB36_320:
	s_and_saveexec_b32 s8, s1
	s_cbranch_execz .LBB36_324
; %bb.321:
	v_add_nc_u32_e32 v80, -5, v0
	s_mov_b32 s1, 40
	s_movk_i32 s10, 0x158
	s_mov_b32 s9, 0
.LBB36_322:                             ; =>This Inner Loop Header: Depth=1
	scratch_load_b64 v[82:83], off, s1
	v_dual_mov_b32 v81, s10 :: v_dual_add_nc_u32 v80, -1, v80
	s_add_co_i32 s10, s10, 8
	s_wait_xcnt 0x0
	s_add_co_i32 s1, s1, 8
	ds_load_b64 v[84:85], v81
	v_cmp_eq_u32_e32 vcc_lo, 0, v80
	s_or_b32 s9, vcc_lo, s9
	s_wait_loadcnt_dscnt 0x0
	v_pk_mul_f32 v[86:87], v[84:85], v[82:83] op_sel:[1,1] op_sel_hi:[0,1]
	s_delay_alu instid0(VALU_DEP_1) | instskip(SKIP_1) | instid1(VALU_DEP_2)
	v_pk_fma_f32 v[88:89], v[84:85], v[82:83], v[86:87] op_sel_hi:[1,0,1]
	v_pk_fma_f32 v[82:83], v[84:85], v[82:83], v[86:87] neg_lo:[0,0,1] neg_hi:[0,0,1]
	v_mov_b32_e32 v83, v89
	s_delay_alu instid0(VALU_DEP_1)
	v_pk_add_f32 v[78:79], v[78:79], v[82:83]
	s_and_not1_b32 exec_lo, exec_lo, s9
	s_cbranch_execnz .LBB36_322
; %bb.323:
	s_or_b32 exec_lo, exec_lo, s9
.LBB36_324:
	s_delay_alu instid0(SALU_CYCLE_1) | instskip(SKIP_4) | instid1(VALU_DEP_1)
	s_or_b32 exec_lo, exec_lo, s8
	v_mov_b32_e32 v80, 0
	ds_load_b64 v[80:81], v80 offset:32
	s_wait_dscnt 0x0
	v_pk_mul_f32 v[82:83], v[78:79], v[80:81] op_sel:[1,1] op_sel_hi:[0,1]
	v_pk_fma_f32 v[84:85], v[78:79], v[80:81], v[82:83] op_sel_hi:[1,0,1]
	v_pk_fma_f32 v[78:79], v[78:79], v[80:81], v[82:83] neg_lo:[0,0,1] neg_hi:[0,0,1]
	s_delay_alu instid0(VALU_DEP_2)
	v_mov_b32_e32 v79, v85
	scratch_store_b64 off, v[78:79], off offset:32
.LBB36_325:
	s_wait_xcnt 0x0
	s_or_b32 exec_lo, exec_lo, s2
	scratch_load_b64 v[78:79], off, off offset:24
	v_cmp_lt_u32_e64 s2, 3, v0
	s_wait_loadcnt 0x0
	ds_store_b64 v1, v[78:79]
	s_wait_storecnt_dscnt 0x0
	s_barrier_signal -1
	s_barrier_wait -1
	s_wait_xcnt 0x0
	s_and_saveexec_b32 s1, s2
	s_cbranch_execz .LBB36_335
; %bb.326:
	s_and_not1_b32 vcc_lo, exec_lo, s3
	s_cbranch_vccnz .LBB36_328
; %bb.327:
	scratch_load_b64 v[78:79], v41, off
	ds_load_b64 v[80:81], v1
	s_wait_loadcnt_dscnt 0x0
	v_pk_mul_f32 v[82:83], v[80:81], v[78:79] op_sel:[1,1] op_sel_hi:[0,1]
	s_delay_alu instid0(VALU_DEP_1) | instskip(SKIP_1) | instid1(VALU_DEP_2)
	v_pk_fma_f32 v[84:85], v[80:81], v[78:79], v[82:83] op_sel_hi:[1,0,1]
	v_pk_fma_f32 v[78:79], v[80:81], v[78:79], v[82:83] neg_lo:[0,0,1] neg_hi:[0,0,1]
	v_mov_b32_e32 v79, v85
	s_cbranch_execz .LBB36_329
	s_branch .LBB36_330
.LBB36_328:
                                        ; implicit-def: $vgpr78_vgpr79
.LBB36_329:
	ds_load_b64 v[78:79], v1
.LBB36_330:
	s_and_saveexec_b32 s8, s0
	s_cbranch_execz .LBB36_334
; %bb.331:
	v_add_nc_u32_e32 v80, -4, v0
	s_movk_i32 s9, 0x150
	s_mov_b32 s0, 0
.LBB36_332:                             ; =>This Inner Loop Header: Depth=1
	scratch_load_b64 v[82:83], off, s5
	v_dual_mov_b32 v81, s9 :: v_dual_add_nc_u32 v80, -1, v80
	s_add_co_i32 s9, s9, 8
	s_wait_xcnt 0x0
	s_add_co_i32 s5, s5, 8
	ds_load_b64 v[84:85], v81
	v_cmp_eq_u32_e32 vcc_lo, 0, v80
	s_or_b32 s0, vcc_lo, s0
	s_wait_loadcnt_dscnt 0x0
	v_pk_mul_f32 v[86:87], v[84:85], v[82:83] op_sel:[1,1] op_sel_hi:[0,1]
	s_delay_alu instid0(VALU_DEP_1) | instskip(SKIP_1) | instid1(VALU_DEP_2)
	v_pk_fma_f32 v[88:89], v[84:85], v[82:83], v[86:87] op_sel_hi:[1,0,1]
	v_pk_fma_f32 v[82:83], v[84:85], v[82:83], v[86:87] neg_lo:[0,0,1] neg_hi:[0,0,1]
	v_mov_b32_e32 v83, v89
	s_delay_alu instid0(VALU_DEP_1)
	v_pk_add_f32 v[78:79], v[78:79], v[82:83]
	s_and_not1_b32 exec_lo, exec_lo, s0
	s_cbranch_execnz .LBB36_332
; %bb.333:
	s_or_b32 exec_lo, exec_lo, s0
.LBB36_334:
	s_delay_alu instid0(SALU_CYCLE_1) | instskip(SKIP_4) | instid1(VALU_DEP_1)
	s_or_b32 exec_lo, exec_lo, s8
	v_mov_b32_e32 v80, 0
	ds_load_b64 v[80:81], v80 offset:24
	s_wait_dscnt 0x0
	v_pk_mul_f32 v[82:83], v[78:79], v[80:81] op_sel:[1,1] op_sel_hi:[0,1]
	v_pk_fma_f32 v[84:85], v[78:79], v[80:81], v[82:83] op_sel_hi:[1,0,1]
	v_pk_fma_f32 v[78:79], v[78:79], v[80:81], v[82:83] neg_lo:[0,0,1] neg_hi:[0,0,1]
	s_delay_alu instid0(VALU_DEP_2)
	v_mov_b32_e32 v79, v85
	scratch_store_b64 off, v[78:79], off offset:24
.LBB36_335:
	s_wait_xcnt 0x0
	s_or_b32 exec_lo, exec_lo, s1
	scratch_load_b64 v[78:79], off, off offset:16
	v_cmp_lt_u32_e64 s1, 2, v0
	s_wait_loadcnt 0x0
	ds_store_b64 v1, v[78:79]
	s_wait_storecnt_dscnt 0x0
	s_barrier_signal -1
	s_barrier_wait -1
	s_wait_xcnt 0x0
	s_and_saveexec_b32 s0, s1
	s_cbranch_execz .LBB36_345
; %bb.336:
	s_and_not1_b32 vcc_lo, exec_lo, s3
	s_cbranch_vccnz .LBB36_338
; %bb.337:
	scratch_load_b64 v[78:79], v41, off
	ds_load_b64 v[80:81], v1
	s_wait_loadcnt_dscnt 0x0
	v_pk_mul_f32 v[82:83], v[80:81], v[78:79] op_sel:[1,1] op_sel_hi:[0,1]
	s_delay_alu instid0(VALU_DEP_1) | instskip(SKIP_1) | instid1(VALU_DEP_2)
	v_pk_fma_f32 v[84:85], v[80:81], v[78:79], v[82:83] op_sel_hi:[1,0,1]
	v_pk_fma_f32 v[78:79], v[80:81], v[78:79], v[82:83] neg_lo:[0,0,1] neg_hi:[0,0,1]
	v_mov_b32_e32 v79, v85
	s_cbranch_execz .LBB36_339
	s_branch .LBB36_340
.LBB36_338:
                                        ; implicit-def: $vgpr78_vgpr79
.LBB36_339:
	ds_load_b64 v[78:79], v1
.LBB36_340:
	s_and_saveexec_b32 s5, s2
	s_cbranch_execz .LBB36_344
; %bb.341:
	v_add_nc_u32_e32 v80, -3, v0
	s_mov_b32 s2, 24
	s_movk_i32 s9, 0x148
	s_mov_b32 s8, 0
.LBB36_342:                             ; =>This Inner Loop Header: Depth=1
	scratch_load_b64 v[82:83], off, s2
	v_dual_mov_b32 v81, s9 :: v_dual_add_nc_u32 v80, -1, v80
	s_add_co_i32 s9, s9, 8
	s_wait_xcnt 0x0
	s_add_co_i32 s2, s2, 8
	ds_load_b64 v[84:85], v81
	v_cmp_eq_u32_e32 vcc_lo, 0, v80
	s_or_b32 s8, vcc_lo, s8
	s_wait_loadcnt_dscnt 0x0
	v_pk_mul_f32 v[86:87], v[84:85], v[82:83] op_sel:[1,1] op_sel_hi:[0,1]
	s_delay_alu instid0(VALU_DEP_1) | instskip(SKIP_1) | instid1(VALU_DEP_2)
	v_pk_fma_f32 v[88:89], v[84:85], v[82:83], v[86:87] op_sel_hi:[1,0,1]
	v_pk_fma_f32 v[82:83], v[84:85], v[82:83], v[86:87] neg_lo:[0,0,1] neg_hi:[0,0,1]
	v_mov_b32_e32 v83, v89
	s_delay_alu instid0(VALU_DEP_1)
	v_pk_add_f32 v[78:79], v[78:79], v[82:83]
	s_and_not1_b32 exec_lo, exec_lo, s8
	s_cbranch_execnz .LBB36_342
; %bb.343:
	s_or_b32 exec_lo, exec_lo, s8
.LBB36_344:
	s_delay_alu instid0(SALU_CYCLE_1) | instskip(SKIP_4) | instid1(VALU_DEP_1)
	s_or_b32 exec_lo, exec_lo, s5
	v_mov_b32_e32 v80, 0
	ds_load_b64 v[80:81], v80 offset:16
	s_wait_dscnt 0x0
	v_pk_mul_f32 v[82:83], v[78:79], v[80:81] op_sel:[1,1] op_sel_hi:[0,1]
	v_pk_fma_f32 v[84:85], v[78:79], v[80:81], v[82:83] op_sel_hi:[1,0,1]
	v_pk_fma_f32 v[78:79], v[78:79], v[80:81], v[82:83] neg_lo:[0,0,1] neg_hi:[0,0,1]
	s_delay_alu instid0(VALU_DEP_2)
	v_mov_b32_e32 v79, v85
	scratch_store_b64 off, v[78:79], off offset:16
.LBB36_345:
	s_wait_xcnt 0x0
	s_or_b32 exec_lo, exec_lo, s0
	scratch_load_b64 v[78:79], off, off offset:8
	v_cmp_lt_u32_e64 s0, 1, v0
	s_wait_loadcnt 0x0
	ds_store_b64 v1, v[78:79]
	s_wait_storecnt_dscnt 0x0
	s_barrier_signal -1
	s_barrier_wait -1
	s_wait_xcnt 0x0
	s_and_saveexec_b32 s2, s0
	s_cbranch_execz .LBB36_355
; %bb.346:
	s_and_not1_b32 vcc_lo, exec_lo, s3
	s_cbranch_vccnz .LBB36_348
; %bb.347:
	scratch_load_b64 v[78:79], v41, off
	ds_load_b64 v[80:81], v1
	s_wait_loadcnt_dscnt 0x0
	v_pk_mul_f32 v[82:83], v[80:81], v[78:79] op_sel:[1,1] op_sel_hi:[0,1]
	s_delay_alu instid0(VALU_DEP_1) | instskip(SKIP_1) | instid1(VALU_DEP_2)
	v_pk_fma_f32 v[84:85], v[80:81], v[78:79], v[82:83] op_sel_hi:[1,0,1]
	v_pk_fma_f32 v[78:79], v[80:81], v[78:79], v[82:83] neg_lo:[0,0,1] neg_hi:[0,0,1]
	v_mov_b32_e32 v79, v85
	s_cbranch_execz .LBB36_349
	s_branch .LBB36_350
.LBB36_348:
                                        ; implicit-def: $vgpr78_vgpr79
.LBB36_349:
	ds_load_b64 v[78:79], v1
.LBB36_350:
	s_and_saveexec_b32 s5, s1
	s_cbranch_execz .LBB36_354
; %bb.351:
	v_add_nc_u32_e32 v80, -2, v0
	s_movk_i32 s8, 0x140
	s_mov_b32 s1, 0
.LBB36_352:                             ; =>This Inner Loop Header: Depth=1
	scratch_load_b64 v[82:83], off, s4
	v_dual_mov_b32 v81, s8 :: v_dual_add_nc_u32 v80, -1, v80
	s_add_co_i32 s8, s8, 8
	s_wait_xcnt 0x0
	s_add_co_i32 s4, s4, 8
	ds_load_b64 v[84:85], v81
	v_cmp_eq_u32_e32 vcc_lo, 0, v80
	s_or_b32 s1, vcc_lo, s1
	s_wait_loadcnt_dscnt 0x0
	v_pk_mul_f32 v[86:87], v[84:85], v[82:83] op_sel:[1,1] op_sel_hi:[0,1]
	s_delay_alu instid0(VALU_DEP_1) | instskip(SKIP_1) | instid1(VALU_DEP_2)
	v_pk_fma_f32 v[88:89], v[84:85], v[82:83], v[86:87] op_sel_hi:[1,0,1]
	v_pk_fma_f32 v[82:83], v[84:85], v[82:83], v[86:87] neg_lo:[0,0,1] neg_hi:[0,0,1]
	v_mov_b32_e32 v83, v89
	s_delay_alu instid0(VALU_DEP_1)
	v_pk_add_f32 v[78:79], v[78:79], v[82:83]
	s_and_not1_b32 exec_lo, exec_lo, s1
	s_cbranch_execnz .LBB36_352
; %bb.353:
	s_or_b32 exec_lo, exec_lo, s1
.LBB36_354:
	s_delay_alu instid0(SALU_CYCLE_1) | instskip(SKIP_4) | instid1(VALU_DEP_1)
	s_or_b32 exec_lo, exec_lo, s5
	v_mov_b32_e32 v80, 0
	ds_load_b64 v[80:81], v80 offset:8
	s_wait_dscnt 0x0
	v_pk_mul_f32 v[82:83], v[78:79], v[80:81] op_sel:[1,1] op_sel_hi:[0,1]
	v_pk_fma_f32 v[84:85], v[78:79], v[80:81], v[82:83] op_sel_hi:[1,0,1]
	v_pk_fma_f32 v[78:79], v[78:79], v[80:81], v[82:83] neg_lo:[0,0,1] neg_hi:[0,0,1]
	s_delay_alu instid0(VALU_DEP_2)
	v_mov_b32_e32 v79, v85
	scratch_store_b64 off, v[78:79], off offset:8
.LBB36_355:
	s_wait_xcnt 0x0
	s_or_b32 exec_lo, exec_lo, s2
	scratch_load_b64 v[78:79], off, off
	s_mov_b32 s2, 0
	s_mov_b32 s1, 0
	s_mov_b32 s5, exec_lo
                                        ; implicit-def: $vgpr102
                                        ; implicit-def: $sgpr4
	s_wait_loadcnt 0x0
	ds_store_b64 v1, v[78:79]
	s_wait_storecnt_dscnt 0x0
	s_barrier_signal -1
	s_barrier_wait -1
	s_wait_xcnt 0x0
	v_cmpx_ne_u32_e32 0, v0
	s_cbranch_execz .LBB36_365
; %bb.356:
	s_and_not1_b32 vcc_lo, exec_lo, s3
	s_cbranch_vccnz .LBB36_358
; %bb.357:
	scratch_load_b64 v[80:81], v41, off
	ds_load_b64 v[82:83], v1
	s_wait_loadcnt_dscnt 0x0
	v_dual_mul_f32 v78, v83, v81 :: v_dual_mul_f32 v79, v82, v81
	s_delay_alu instid0(VALU_DEP_1)
	v_dual_fma_f32 v78, v82, v80, -v78 :: v_dual_fmac_f32 v79, v83, v80
	s_and_not1_b32 vcc_lo, exec_lo, s1
	s_cbranch_vccz .LBB36_359
	s_branch .LBB36_360
.LBB36_358:
                                        ; implicit-def: $vgpr78
.LBB36_359:
	ds_load_b64 v[78:79], v1
.LBB36_360:
	s_and_saveexec_b32 s1, s0
	s_cbranch_execz .LBB36_364
; %bb.361:
	v_add_nc_u32_e32 v80, -1, v0
	s_or_b32 s0, 0, 8
	s_movk_i32 s8, 0x138
	s_mov_b32 s4, 0
.LBB36_362:                             ; =>This Inner Loop Header: Depth=1
	scratch_load_b64 v[82:83], off, s0
	v_mov_b32_e32 v81, s8
	s_add_co_i32 s8, s8, 8
	s_wait_xcnt 0x0
	s_add_co_i32 s0, s0, 8
	v_add_nc_u32_e32 v80, -1, v80
	ds_load_b64 v[84:85], v81
	v_cmp_eq_u32_e32 vcc_lo, 0, v80
	s_or_b32 s4, vcc_lo, s4
	s_wait_loadcnt_dscnt 0x0
	v_dual_mul_f32 v81, v85, v83 :: v_dual_mul_f32 v83, v84, v83
	s_delay_alu instid0(VALU_DEP_1) | instskip(NEXT) | instid1(VALU_DEP_1)
	v_dual_fma_f32 v81, v84, v82, -v81 :: v_dual_fmac_f32 v83, v85, v82
	v_dual_add_f32 v78, v78, v81 :: v_dual_add_f32 v79, v79, v83
	s_and_not1_b32 exec_lo, exec_lo, s4
	s_cbranch_execnz .LBB36_362
; %bb.363:
	s_or_b32 exec_lo, exec_lo, s4
.LBB36_364:
	s_delay_alu instid0(SALU_CYCLE_1)
	s_or_b32 exec_lo, exec_lo, s1
	v_mov_b32_e32 v80, 0
	s_mov_b32 s1, exec_lo
	s_or_b32 s4, 0, 4
	ds_load_b64 v[80:81], v80
	s_wait_dscnt 0x0
	v_dual_mul_f32 v82, v79, v81 :: v_dual_mul_f32 v102, v78, v81
	s_delay_alu instid0(VALU_DEP_1) | instskip(NEXT) | instid1(VALU_DEP_2)
	v_fma_f32 v78, v78, v80, -v82
	v_fmac_f32_e32 v102, v79, v80
	scratch_store_b32 off, v78, off
.LBB36_365:
	s_wait_xcnt 0x0
	s_or_b32 exec_lo, exec_lo, s5
	s_delay_alu instid0(SALU_CYCLE_1)
	s_and_b32 vcc_lo, exec_lo, s2
	s_cbranch_vccz .LBB36_721
.LBB36_366:
	scratch_load_b64 v[78:79], off, off offset:8
	v_cmp_eq_u32_e64 s0, 0, v0
	s_wait_loadcnt 0x0
	ds_store_b64 v1, v[78:79]
	s_wait_storecnt_dscnt 0x0
	s_barrier_signal -1
	s_barrier_wait -1
	s_wait_xcnt 0x0
	s_and_saveexec_b32 s2, s0
	s_cbranch_execz .LBB36_372
; %bb.367:
	s_and_b32 vcc_lo, exec_lo, s3
	s_cbranch_vccz .LBB36_369
; %bb.368:
	scratch_load_b64 v[78:79], v41, off
	ds_load_b64 v[80:81], v1
	s_wait_loadcnt_dscnt 0x0
	v_pk_mul_f32 v[82:83], v[80:81], v[78:79] op_sel:[1,1] op_sel_hi:[0,1]
	v_pk_mul_f32 v[84:85], v[80:81], v[78:79] op_sel_hi:[1,0]
	s_delay_alu instid0(VALU_DEP_2) | instskip(NEXT) | instid1(VALU_DEP_2)
	v_pk_fma_f32 v[78:79], v[80:81], v[78:79], v[82:83] op_sel_hi:[1,0,1]
	v_sub_f32_e32 v78, v84, v82
	s_cbranch_execz .LBB36_370
	s_branch .LBB36_371
.LBB36_369:
                                        ; implicit-def: $vgpr79
.LBB36_370:
	ds_load_b64 v[78:79], v1
.LBB36_371:
	s_wait_dscnt 0x0
	v_dual_mov_b32 v80, 0 :: v_dual_mov_b32 v82, v79
	v_mov_b32_e32 v83, v78
	ds_load_b64 v[80:81], v80 offset:8
	s_wait_dscnt 0x0
	v_pk_mul_f32 v[82:83], v[82:83], v[80:81] op_sel:[0,1]
	s_delay_alu instid0(VALU_DEP_1) | instskip(SKIP_1) | instid1(VALU_DEP_2)
	v_pk_fma_f32 v[84:85], v[78:79], v[80:81], v[82:83] op_sel_hi:[1,0,1]
	v_pk_fma_f32 v[78:79], v[78:79], v[80:81], v[82:83] neg_lo:[0,0,1] neg_hi:[0,0,1]
	v_mov_b32_e32 v79, v85
	scratch_store_b64 off, v[78:79], off offset:8
.LBB36_372:
	s_wait_xcnt 0x0
	s_or_b32 exec_lo, exec_lo, s2
	scratch_load_b64 v[78:79], off, off offset:16
	v_cndmask_b32_e64 v80, 0, 1, s3
	s_mov_b32 s2, exec_lo
	s_wait_loadcnt 0x0
	ds_store_b64 v1, v[78:79]
	s_wait_storecnt_dscnt 0x0
	s_barrier_signal -1
	s_barrier_wait -1
	s_wait_xcnt 0x0
	v_cmpx_gt_u32_e32 2, v0
	s_cbranch_execz .LBB36_380
; %bb.373:
	s_and_not1_b32 vcc_lo, exec_lo, s3
	s_cbranch_vccnz .LBB36_375
; %bb.374:
	scratch_load_b64 v[78:79], v41, off
	ds_load_b64 v[82:83], v1
	s_wait_loadcnt_dscnt 0x0
	v_pk_mul_f32 v[84:85], v[82:83], v[78:79] op_sel:[1,1] op_sel_hi:[0,1]
	s_delay_alu instid0(VALU_DEP_1) | instskip(SKIP_1) | instid1(VALU_DEP_2)
	v_pk_fma_f32 v[86:87], v[82:83], v[78:79], v[84:85] op_sel_hi:[1,0,1]
	v_pk_fma_f32 v[78:79], v[82:83], v[78:79], v[84:85] neg_lo:[0,0,1] neg_hi:[0,0,1]
	v_mov_b32_e32 v79, v87
	s_cbranch_execz .LBB36_376
	s_branch .LBB36_377
.LBB36_375:
                                        ; implicit-def: $vgpr78_vgpr79
.LBB36_376:
	ds_load_b64 v[78:79], v1
.LBB36_377:
	s_and_saveexec_b32 s3, s0
	s_cbranch_execz .LBB36_379
; %bb.378:
	scratch_load_b64 v[82:83], off, off offset:8
	v_mov_b32_e32 v81, 0
	ds_load_b64 v[84:85], v81 offset:312
	s_wait_loadcnt_dscnt 0x0
	v_pk_mul_f32 v[86:87], v[84:85], v[82:83] op_sel:[1,1] op_sel_hi:[0,1]
	s_delay_alu instid0(VALU_DEP_1) | instskip(SKIP_1) | instid1(VALU_DEP_2)
	v_pk_fma_f32 v[88:89], v[84:85], v[82:83], v[86:87] op_sel_hi:[1,0,1]
	v_pk_fma_f32 v[82:83], v[84:85], v[82:83], v[86:87] neg_lo:[0,0,1] neg_hi:[0,0,1]
	v_mov_b32_e32 v83, v89
	s_delay_alu instid0(VALU_DEP_1)
	v_pk_add_f32 v[78:79], v[78:79], v[82:83]
.LBB36_379:
	s_or_b32 exec_lo, exec_lo, s3
	v_mov_b32_e32 v81, 0
	ds_load_b64 v[82:83], v81 offset:16
	s_wait_dscnt 0x0
	v_pk_mul_f32 v[84:85], v[78:79], v[82:83] op_sel:[1,1] op_sel_hi:[0,1]
	s_delay_alu instid0(VALU_DEP_1) | instskip(SKIP_1) | instid1(VALU_DEP_2)
	v_pk_fma_f32 v[86:87], v[78:79], v[82:83], v[84:85] op_sel_hi:[1,0,1]
	v_pk_fma_f32 v[78:79], v[78:79], v[82:83], v[84:85] neg_lo:[0,0,1] neg_hi:[0,0,1]
	v_mov_b32_e32 v79, v87
	scratch_store_b64 off, v[78:79], off offset:16
.LBB36_380:
	s_wait_xcnt 0x0
	s_or_b32 exec_lo, exec_lo, s2
	scratch_load_b64 v[78:79], off, off offset:24
	s_mov_b32 s2, exec_lo
	s_wait_loadcnt 0x0
	ds_store_b64 v1, v[78:79]
	s_wait_storecnt_dscnt 0x0
	s_barrier_signal -1
	s_barrier_wait -1
	s_wait_xcnt 0x0
	v_cmpx_gt_u32_e32 3, v0
	s_cbranch_execz .LBB36_390
; %bb.381:
	v_cmp_ne_u32_e32 vcc_lo, 1, v80
	s_cbranch_vccnz .LBB36_383
; %bb.382:
	scratch_load_b64 v[78:79], v41, off
	ds_load_b64 v[82:83], v1
	s_wait_loadcnt_dscnt 0x0
	v_pk_mul_f32 v[84:85], v[82:83], v[78:79] op_sel:[1,1] op_sel_hi:[0,1]
	s_delay_alu instid0(VALU_DEP_1) | instskip(SKIP_1) | instid1(VALU_DEP_2)
	v_pk_fma_f32 v[86:87], v[82:83], v[78:79], v[84:85] op_sel_hi:[1,0,1]
	v_pk_fma_f32 v[78:79], v[82:83], v[78:79], v[84:85] neg_lo:[0,0,1] neg_hi:[0,0,1]
	v_mov_b32_e32 v79, v87
	s_cbranch_execz .LBB36_384
	s_branch .LBB36_385
.LBB36_383:
                                        ; implicit-def: $vgpr78_vgpr79
.LBB36_384:
	ds_load_b64 v[78:79], v1
.LBB36_385:
	s_mov_b32 s3, exec_lo
	v_cmpx_ne_u32_e32 2, v0
	s_cbranch_execz .LBB36_389
; %bb.386:
	scratch_load_b64 v[82:83], v41, off offset:8
	ds_load_b64 v[84:85], v1 offset:8
	s_wait_loadcnt_dscnt 0x0
	v_pk_mul_f32 v[86:87], v[84:85], v[82:83] op_sel:[1,1] op_sel_hi:[0,1]
	s_delay_alu instid0(VALU_DEP_1) | instskip(SKIP_1) | instid1(VALU_DEP_2)
	v_pk_fma_f32 v[88:89], v[84:85], v[82:83], v[86:87] op_sel_hi:[1,0,1]
	v_pk_fma_f32 v[82:83], v[84:85], v[82:83], v[86:87] neg_lo:[0,0,1] neg_hi:[0,0,1]
	v_mov_b32_e32 v83, v89
	s_delay_alu instid0(VALU_DEP_1)
	v_pk_add_f32 v[78:79], v[78:79], v[82:83]
	s_and_saveexec_b32 s4, s0
	s_cbranch_execz .LBB36_388
; %bb.387:
	scratch_load_b64 v[82:83], off, off offset:16
	v_mov_b32_e32 v81, 0
	ds_load_b64 v[84:85], v81 offset:320
	s_wait_loadcnt_dscnt 0x0
	v_pk_mul_f32 v[86:87], v[84:85], v[82:83] op_sel:[1,1] op_sel_hi:[0,1]
	s_delay_alu instid0(VALU_DEP_1) | instskip(SKIP_1) | instid1(VALU_DEP_2)
	v_pk_fma_f32 v[88:89], v[84:85], v[82:83], v[86:87] op_sel_hi:[1,0,1]
	v_pk_fma_f32 v[82:83], v[84:85], v[82:83], v[86:87] neg_lo:[0,0,1] neg_hi:[0,0,1]
	v_mov_b32_e32 v83, v89
	s_delay_alu instid0(VALU_DEP_1)
	v_pk_add_f32 v[78:79], v[78:79], v[82:83]
.LBB36_388:
	s_or_b32 exec_lo, exec_lo, s4
.LBB36_389:
	s_delay_alu instid0(SALU_CYCLE_1) | instskip(SKIP_4) | instid1(VALU_DEP_1)
	s_or_b32 exec_lo, exec_lo, s3
	v_mov_b32_e32 v81, 0
	ds_load_b64 v[82:83], v81 offset:24
	s_wait_dscnt 0x0
	v_pk_mul_f32 v[84:85], v[78:79], v[82:83] op_sel:[1,1] op_sel_hi:[0,1]
	v_pk_fma_f32 v[86:87], v[78:79], v[82:83], v[84:85] op_sel_hi:[1,0,1]
	v_pk_fma_f32 v[78:79], v[78:79], v[82:83], v[84:85] neg_lo:[0,0,1] neg_hi:[0,0,1]
	s_delay_alu instid0(VALU_DEP_2)
	v_mov_b32_e32 v79, v87
	scratch_store_b64 off, v[78:79], off offset:24
.LBB36_390:
	s_wait_xcnt 0x0
	s_or_b32 exec_lo, exec_lo, s2
	scratch_load_b64 v[78:79], off, off offset:32
	s_mov_b32 s0, exec_lo
	s_wait_loadcnt 0x0
	ds_store_b64 v1, v[78:79]
	s_wait_storecnt_dscnt 0x0
	s_barrier_signal -1
	s_barrier_wait -1
	s_wait_xcnt 0x0
	v_cmpx_gt_u32_e32 4, v0
	s_cbranch_execz .LBB36_400
; %bb.391:
	v_cmp_ne_u32_e32 vcc_lo, 1, v80
	s_cbranch_vccnz .LBB36_393
; %bb.392:
	scratch_load_b64 v[78:79], v41, off
	ds_load_b64 v[82:83], v1
	s_wait_loadcnt_dscnt 0x0
	v_pk_mul_f32 v[84:85], v[82:83], v[78:79] op_sel:[1,1] op_sel_hi:[0,1]
	s_delay_alu instid0(VALU_DEP_1) | instskip(SKIP_1) | instid1(VALU_DEP_2)
	v_pk_fma_f32 v[86:87], v[82:83], v[78:79], v[84:85] op_sel_hi:[1,0,1]
	v_pk_fma_f32 v[78:79], v[82:83], v[78:79], v[84:85] neg_lo:[0,0,1] neg_hi:[0,0,1]
	v_mov_b32_e32 v79, v87
	s_cbranch_execz .LBB36_394
	s_branch .LBB36_395
.LBB36_393:
                                        ; implicit-def: $vgpr78_vgpr79
.LBB36_394:
	ds_load_b64 v[78:79], v1
.LBB36_395:
	s_mov_b32 s2, exec_lo
	v_cmpx_ne_u32_e32 3, v0
	s_cbranch_execz .LBB36_399
; %bb.396:
	v_add_nc_u32_e32 v81, 0x138, v40
	v_add3_u32 v82, 0, v40, 8
	v_mov_b32_e32 v83, v0
	s_mov_b32 s3, 0
.LBB36_397:                             ; =>This Inner Loop Header: Depth=1
	scratch_load_b64 v[84:85], v82, off
	ds_load_b64 v[86:87], v81
	s_wait_xcnt 0x0
	v_dual_add_nc_u32 v81, 8, v81 :: v_dual_add_nc_u32 v82, 8, v82
	s_wait_loadcnt_dscnt 0x0
	v_pk_mul_f32 v[88:89], v[86:87], v[84:85] op_sel:[1,1] op_sel_hi:[0,1]
	s_delay_alu instid0(VALU_DEP_1) | instskip(SKIP_2) | instid1(VALU_DEP_3)
	v_pk_fma_f32 v[90:91], v[86:87], v[84:85], v[88:89] op_sel_hi:[1,0,1]
	v_add_nc_u32_e32 v83, 1, v83
	v_pk_fma_f32 v[84:85], v[86:87], v[84:85], v[88:89] neg_lo:[0,0,1] neg_hi:[0,0,1]
	v_mov_b32_e32 v85, v91
	s_delay_alu instid0(VALU_DEP_3) | instskip(NEXT) | instid1(VALU_DEP_2)
	v_cmp_lt_u32_e32 vcc_lo, 2, v83
	v_pk_add_f32 v[78:79], v[78:79], v[84:85]
	s_or_b32 s3, vcc_lo, s3
	s_delay_alu instid0(SALU_CYCLE_1)
	s_and_not1_b32 exec_lo, exec_lo, s3
	s_cbranch_execnz .LBB36_397
; %bb.398:
	s_or_b32 exec_lo, exec_lo, s3
.LBB36_399:
	s_delay_alu instid0(SALU_CYCLE_1) | instskip(SKIP_4) | instid1(VALU_DEP_1)
	s_or_b32 exec_lo, exec_lo, s2
	v_mov_b32_e32 v81, 0
	ds_load_b64 v[82:83], v81 offset:32
	s_wait_dscnt 0x0
	v_pk_mul_f32 v[84:85], v[78:79], v[82:83] op_sel:[1,1] op_sel_hi:[0,1]
	v_pk_fma_f32 v[86:87], v[78:79], v[82:83], v[84:85] op_sel_hi:[1,0,1]
	v_pk_fma_f32 v[78:79], v[78:79], v[82:83], v[84:85] neg_lo:[0,0,1] neg_hi:[0,0,1]
	s_delay_alu instid0(VALU_DEP_2)
	v_mov_b32_e32 v79, v87
	scratch_store_b64 off, v[78:79], off offset:32
.LBB36_400:
	s_wait_xcnt 0x0
	s_or_b32 exec_lo, exec_lo, s0
	scratch_load_b64 v[78:79], off, off offset:40
	s_mov_b32 s0, exec_lo
	s_wait_loadcnt 0x0
	ds_store_b64 v1, v[78:79]
	s_wait_storecnt_dscnt 0x0
	s_barrier_signal -1
	s_barrier_wait -1
	s_wait_xcnt 0x0
	v_cmpx_gt_u32_e32 5, v0
	s_cbranch_execz .LBB36_410
; %bb.401:
	v_cmp_ne_u32_e32 vcc_lo, 1, v80
	s_cbranch_vccnz .LBB36_403
; %bb.402:
	scratch_load_b64 v[78:79], v41, off
	ds_load_b64 v[82:83], v1
	s_wait_loadcnt_dscnt 0x0
	v_pk_mul_f32 v[84:85], v[82:83], v[78:79] op_sel:[1,1] op_sel_hi:[0,1]
	s_delay_alu instid0(VALU_DEP_1) | instskip(SKIP_1) | instid1(VALU_DEP_2)
	v_pk_fma_f32 v[86:87], v[82:83], v[78:79], v[84:85] op_sel_hi:[1,0,1]
	v_pk_fma_f32 v[78:79], v[82:83], v[78:79], v[84:85] neg_lo:[0,0,1] neg_hi:[0,0,1]
	v_mov_b32_e32 v79, v87
	s_cbranch_execz .LBB36_404
	s_branch .LBB36_405
.LBB36_403:
                                        ; implicit-def: $vgpr78_vgpr79
.LBB36_404:
	ds_load_b64 v[78:79], v1
.LBB36_405:
	s_mov_b32 s2, exec_lo
	v_cmpx_ne_u32_e32 4, v0
	s_cbranch_execz .LBB36_409
; %bb.406:
	v_add_nc_u32_e32 v81, 0x138, v40
	v_add3_u32 v82, 0, v40, 8
	v_mov_b32_e32 v83, v0
	s_mov_b32 s3, 0
.LBB36_407:                             ; =>This Inner Loop Header: Depth=1
	scratch_load_b64 v[84:85], v82, off
	ds_load_b64 v[86:87], v81
	s_wait_xcnt 0x0
	v_dual_add_nc_u32 v81, 8, v81 :: v_dual_add_nc_u32 v82, 8, v82
	s_wait_loadcnt_dscnt 0x0
	v_pk_mul_f32 v[88:89], v[86:87], v[84:85] op_sel:[1,1] op_sel_hi:[0,1]
	s_delay_alu instid0(VALU_DEP_1) | instskip(SKIP_2) | instid1(VALU_DEP_3)
	v_pk_fma_f32 v[90:91], v[86:87], v[84:85], v[88:89] op_sel_hi:[1,0,1]
	v_add_nc_u32_e32 v83, 1, v83
	v_pk_fma_f32 v[84:85], v[86:87], v[84:85], v[88:89] neg_lo:[0,0,1] neg_hi:[0,0,1]
	v_mov_b32_e32 v85, v91
	s_delay_alu instid0(VALU_DEP_3) | instskip(NEXT) | instid1(VALU_DEP_2)
	v_cmp_lt_u32_e32 vcc_lo, 3, v83
	v_pk_add_f32 v[78:79], v[78:79], v[84:85]
	s_or_b32 s3, vcc_lo, s3
	s_delay_alu instid0(SALU_CYCLE_1)
	s_and_not1_b32 exec_lo, exec_lo, s3
	s_cbranch_execnz .LBB36_407
; %bb.408:
	s_or_b32 exec_lo, exec_lo, s3
.LBB36_409:
	s_delay_alu instid0(SALU_CYCLE_1) | instskip(SKIP_4) | instid1(VALU_DEP_1)
	s_or_b32 exec_lo, exec_lo, s2
	v_mov_b32_e32 v81, 0
	ds_load_b64 v[82:83], v81 offset:40
	s_wait_dscnt 0x0
	v_pk_mul_f32 v[84:85], v[78:79], v[82:83] op_sel:[1,1] op_sel_hi:[0,1]
	v_pk_fma_f32 v[86:87], v[78:79], v[82:83], v[84:85] op_sel_hi:[1,0,1]
	v_pk_fma_f32 v[78:79], v[78:79], v[82:83], v[84:85] neg_lo:[0,0,1] neg_hi:[0,0,1]
	s_delay_alu instid0(VALU_DEP_2)
	v_mov_b32_e32 v79, v87
	scratch_store_b64 off, v[78:79], off offset:40
.LBB36_410:
	s_wait_xcnt 0x0
	s_or_b32 exec_lo, exec_lo, s0
	scratch_load_b64 v[78:79], off, off offset:48
	s_mov_b32 s0, exec_lo
	s_wait_loadcnt 0x0
	ds_store_b64 v1, v[78:79]
	s_wait_storecnt_dscnt 0x0
	s_barrier_signal -1
	s_barrier_wait -1
	s_wait_xcnt 0x0
	v_cmpx_gt_u32_e32 6, v0
	s_cbranch_execz .LBB36_420
; %bb.411:
	v_cmp_ne_u32_e32 vcc_lo, 1, v80
	s_cbranch_vccnz .LBB36_413
; %bb.412:
	scratch_load_b64 v[78:79], v41, off
	ds_load_b64 v[82:83], v1
	s_wait_loadcnt_dscnt 0x0
	v_pk_mul_f32 v[84:85], v[82:83], v[78:79] op_sel:[1,1] op_sel_hi:[0,1]
	s_delay_alu instid0(VALU_DEP_1) | instskip(SKIP_1) | instid1(VALU_DEP_2)
	v_pk_fma_f32 v[86:87], v[82:83], v[78:79], v[84:85] op_sel_hi:[1,0,1]
	v_pk_fma_f32 v[78:79], v[82:83], v[78:79], v[84:85] neg_lo:[0,0,1] neg_hi:[0,0,1]
	v_mov_b32_e32 v79, v87
	s_cbranch_execz .LBB36_414
	s_branch .LBB36_415
.LBB36_413:
                                        ; implicit-def: $vgpr78_vgpr79
.LBB36_414:
	ds_load_b64 v[78:79], v1
.LBB36_415:
	s_mov_b32 s2, exec_lo
	v_cmpx_ne_u32_e32 5, v0
	s_cbranch_execz .LBB36_419
; %bb.416:
	v_add_nc_u32_e32 v81, 0x138, v40
	v_add3_u32 v82, 0, v40, 8
	v_mov_b32_e32 v83, v0
	s_mov_b32 s3, 0
.LBB36_417:                             ; =>This Inner Loop Header: Depth=1
	scratch_load_b64 v[84:85], v82, off
	ds_load_b64 v[86:87], v81
	s_wait_xcnt 0x0
	v_dual_add_nc_u32 v81, 8, v81 :: v_dual_add_nc_u32 v82, 8, v82
	s_wait_loadcnt_dscnt 0x0
	v_pk_mul_f32 v[88:89], v[86:87], v[84:85] op_sel:[1,1] op_sel_hi:[0,1]
	s_delay_alu instid0(VALU_DEP_1) | instskip(SKIP_2) | instid1(VALU_DEP_3)
	v_pk_fma_f32 v[90:91], v[86:87], v[84:85], v[88:89] op_sel_hi:[1,0,1]
	v_add_nc_u32_e32 v83, 1, v83
	v_pk_fma_f32 v[84:85], v[86:87], v[84:85], v[88:89] neg_lo:[0,0,1] neg_hi:[0,0,1]
	v_mov_b32_e32 v85, v91
	s_delay_alu instid0(VALU_DEP_3) | instskip(NEXT) | instid1(VALU_DEP_2)
	v_cmp_lt_u32_e32 vcc_lo, 4, v83
	v_pk_add_f32 v[78:79], v[78:79], v[84:85]
	s_or_b32 s3, vcc_lo, s3
	s_delay_alu instid0(SALU_CYCLE_1)
	s_and_not1_b32 exec_lo, exec_lo, s3
	s_cbranch_execnz .LBB36_417
; %bb.418:
	s_or_b32 exec_lo, exec_lo, s3
.LBB36_419:
	s_delay_alu instid0(SALU_CYCLE_1) | instskip(SKIP_4) | instid1(VALU_DEP_1)
	s_or_b32 exec_lo, exec_lo, s2
	v_mov_b32_e32 v81, 0
	ds_load_b64 v[82:83], v81 offset:48
	s_wait_dscnt 0x0
	v_pk_mul_f32 v[84:85], v[78:79], v[82:83] op_sel:[1,1] op_sel_hi:[0,1]
	v_pk_fma_f32 v[86:87], v[78:79], v[82:83], v[84:85] op_sel_hi:[1,0,1]
	v_pk_fma_f32 v[78:79], v[78:79], v[82:83], v[84:85] neg_lo:[0,0,1] neg_hi:[0,0,1]
	s_delay_alu instid0(VALU_DEP_2)
	v_mov_b32_e32 v79, v87
	scratch_store_b64 off, v[78:79], off offset:48
.LBB36_420:
	s_wait_xcnt 0x0
	s_or_b32 exec_lo, exec_lo, s0
	scratch_load_b64 v[78:79], off, off offset:56
	s_mov_b32 s0, exec_lo
	s_wait_loadcnt 0x0
	ds_store_b64 v1, v[78:79]
	s_wait_storecnt_dscnt 0x0
	s_barrier_signal -1
	s_barrier_wait -1
	s_wait_xcnt 0x0
	v_cmpx_gt_u32_e32 7, v0
	s_cbranch_execz .LBB36_430
; %bb.421:
	v_cmp_ne_u32_e32 vcc_lo, 1, v80
	s_cbranch_vccnz .LBB36_423
; %bb.422:
	scratch_load_b64 v[78:79], v41, off
	ds_load_b64 v[82:83], v1
	s_wait_loadcnt_dscnt 0x0
	v_pk_mul_f32 v[84:85], v[82:83], v[78:79] op_sel:[1,1] op_sel_hi:[0,1]
	s_delay_alu instid0(VALU_DEP_1) | instskip(SKIP_1) | instid1(VALU_DEP_2)
	v_pk_fma_f32 v[86:87], v[82:83], v[78:79], v[84:85] op_sel_hi:[1,0,1]
	v_pk_fma_f32 v[78:79], v[82:83], v[78:79], v[84:85] neg_lo:[0,0,1] neg_hi:[0,0,1]
	v_mov_b32_e32 v79, v87
	s_cbranch_execz .LBB36_424
	s_branch .LBB36_425
.LBB36_423:
                                        ; implicit-def: $vgpr78_vgpr79
.LBB36_424:
	ds_load_b64 v[78:79], v1
.LBB36_425:
	s_mov_b32 s2, exec_lo
	v_cmpx_ne_u32_e32 6, v0
	s_cbranch_execz .LBB36_429
; %bb.426:
	v_add_nc_u32_e32 v81, 0x138, v40
	v_add3_u32 v82, 0, v40, 8
	v_mov_b32_e32 v83, v0
	s_mov_b32 s3, 0
.LBB36_427:                             ; =>This Inner Loop Header: Depth=1
	scratch_load_b64 v[84:85], v82, off
	ds_load_b64 v[86:87], v81
	s_wait_xcnt 0x0
	v_dual_add_nc_u32 v81, 8, v81 :: v_dual_add_nc_u32 v82, 8, v82
	s_wait_loadcnt_dscnt 0x0
	v_pk_mul_f32 v[88:89], v[86:87], v[84:85] op_sel:[1,1] op_sel_hi:[0,1]
	s_delay_alu instid0(VALU_DEP_1) | instskip(SKIP_2) | instid1(VALU_DEP_3)
	v_pk_fma_f32 v[90:91], v[86:87], v[84:85], v[88:89] op_sel_hi:[1,0,1]
	v_add_nc_u32_e32 v83, 1, v83
	v_pk_fma_f32 v[84:85], v[86:87], v[84:85], v[88:89] neg_lo:[0,0,1] neg_hi:[0,0,1]
	v_mov_b32_e32 v85, v91
	s_delay_alu instid0(VALU_DEP_3) | instskip(NEXT) | instid1(VALU_DEP_2)
	v_cmp_lt_u32_e32 vcc_lo, 5, v83
	v_pk_add_f32 v[78:79], v[78:79], v[84:85]
	s_or_b32 s3, vcc_lo, s3
	s_delay_alu instid0(SALU_CYCLE_1)
	s_and_not1_b32 exec_lo, exec_lo, s3
	s_cbranch_execnz .LBB36_427
; %bb.428:
	s_or_b32 exec_lo, exec_lo, s3
.LBB36_429:
	s_delay_alu instid0(SALU_CYCLE_1) | instskip(SKIP_4) | instid1(VALU_DEP_1)
	s_or_b32 exec_lo, exec_lo, s2
	v_mov_b32_e32 v81, 0
	ds_load_b64 v[82:83], v81 offset:56
	s_wait_dscnt 0x0
	v_pk_mul_f32 v[84:85], v[78:79], v[82:83] op_sel:[1,1] op_sel_hi:[0,1]
	v_pk_fma_f32 v[86:87], v[78:79], v[82:83], v[84:85] op_sel_hi:[1,0,1]
	v_pk_fma_f32 v[78:79], v[78:79], v[82:83], v[84:85] neg_lo:[0,0,1] neg_hi:[0,0,1]
	s_delay_alu instid0(VALU_DEP_2)
	v_mov_b32_e32 v79, v87
	scratch_store_b64 off, v[78:79], off offset:56
.LBB36_430:
	s_wait_xcnt 0x0
	s_or_b32 exec_lo, exec_lo, s0
	scratch_load_b64 v[78:79], off, off offset:64
	s_mov_b32 s0, exec_lo
	s_wait_loadcnt 0x0
	ds_store_b64 v1, v[78:79]
	s_wait_storecnt_dscnt 0x0
	s_barrier_signal -1
	s_barrier_wait -1
	s_wait_xcnt 0x0
	v_cmpx_gt_u32_e32 8, v0
	s_cbranch_execz .LBB36_440
; %bb.431:
	v_cmp_ne_u32_e32 vcc_lo, 1, v80
	s_cbranch_vccnz .LBB36_433
; %bb.432:
	scratch_load_b64 v[78:79], v41, off
	ds_load_b64 v[82:83], v1
	s_wait_loadcnt_dscnt 0x0
	v_pk_mul_f32 v[84:85], v[82:83], v[78:79] op_sel:[1,1] op_sel_hi:[0,1]
	s_delay_alu instid0(VALU_DEP_1) | instskip(SKIP_1) | instid1(VALU_DEP_2)
	v_pk_fma_f32 v[86:87], v[82:83], v[78:79], v[84:85] op_sel_hi:[1,0,1]
	v_pk_fma_f32 v[78:79], v[82:83], v[78:79], v[84:85] neg_lo:[0,0,1] neg_hi:[0,0,1]
	v_mov_b32_e32 v79, v87
	s_cbranch_execz .LBB36_434
	s_branch .LBB36_435
.LBB36_433:
                                        ; implicit-def: $vgpr78_vgpr79
.LBB36_434:
	ds_load_b64 v[78:79], v1
.LBB36_435:
	s_mov_b32 s2, exec_lo
	v_cmpx_ne_u32_e32 7, v0
	s_cbranch_execz .LBB36_439
; %bb.436:
	v_add_nc_u32_e32 v81, 0x138, v40
	v_add3_u32 v82, 0, v40, 8
	v_mov_b32_e32 v83, v0
	s_mov_b32 s3, 0
.LBB36_437:                             ; =>This Inner Loop Header: Depth=1
	scratch_load_b64 v[84:85], v82, off
	ds_load_b64 v[86:87], v81
	s_wait_xcnt 0x0
	v_dual_add_nc_u32 v81, 8, v81 :: v_dual_add_nc_u32 v82, 8, v82
	s_wait_loadcnt_dscnt 0x0
	v_pk_mul_f32 v[88:89], v[86:87], v[84:85] op_sel:[1,1] op_sel_hi:[0,1]
	s_delay_alu instid0(VALU_DEP_1) | instskip(SKIP_2) | instid1(VALU_DEP_3)
	v_pk_fma_f32 v[90:91], v[86:87], v[84:85], v[88:89] op_sel_hi:[1,0,1]
	v_add_nc_u32_e32 v83, 1, v83
	v_pk_fma_f32 v[84:85], v[86:87], v[84:85], v[88:89] neg_lo:[0,0,1] neg_hi:[0,0,1]
	v_mov_b32_e32 v85, v91
	s_delay_alu instid0(VALU_DEP_3) | instskip(NEXT) | instid1(VALU_DEP_2)
	v_cmp_lt_u32_e32 vcc_lo, 6, v83
	v_pk_add_f32 v[78:79], v[78:79], v[84:85]
	s_or_b32 s3, vcc_lo, s3
	s_delay_alu instid0(SALU_CYCLE_1)
	s_and_not1_b32 exec_lo, exec_lo, s3
	s_cbranch_execnz .LBB36_437
; %bb.438:
	s_or_b32 exec_lo, exec_lo, s3
.LBB36_439:
	s_delay_alu instid0(SALU_CYCLE_1) | instskip(SKIP_4) | instid1(VALU_DEP_1)
	s_or_b32 exec_lo, exec_lo, s2
	v_mov_b32_e32 v81, 0
	ds_load_b64 v[82:83], v81 offset:64
	s_wait_dscnt 0x0
	v_pk_mul_f32 v[84:85], v[78:79], v[82:83] op_sel:[1,1] op_sel_hi:[0,1]
	v_pk_fma_f32 v[86:87], v[78:79], v[82:83], v[84:85] op_sel_hi:[1,0,1]
	v_pk_fma_f32 v[78:79], v[78:79], v[82:83], v[84:85] neg_lo:[0,0,1] neg_hi:[0,0,1]
	s_delay_alu instid0(VALU_DEP_2)
	v_mov_b32_e32 v79, v87
	scratch_store_b64 off, v[78:79], off offset:64
.LBB36_440:
	s_wait_xcnt 0x0
	s_or_b32 exec_lo, exec_lo, s0
	scratch_load_b64 v[78:79], off, off offset:72
	s_mov_b32 s0, exec_lo
	s_wait_loadcnt 0x0
	ds_store_b64 v1, v[78:79]
	s_wait_storecnt_dscnt 0x0
	s_barrier_signal -1
	s_barrier_wait -1
	s_wait_xcnt 0x0
	v_cmpx_gt_u32_e32 9, v0
	s_cbranch_execz .LBB36_450
; %bb.441:
	v_cmp_ne_u32_e32 vcc_lo, 1, v80
	s_cbranch_vccnz .LBB36_443
; %bb.442:
	scratch_load_b64 v[78:79], v41, off
	ds_load_b64 v[82:83], v1
	s_wait_loadcnt_dscnt 0x0
	v_pk_mul_f32 v[84:85], v[82:83], v[78:79] op_sel:[1,1] op_sel_hi:[0,1]
	s_delay_alu instid0(VALU_DEP_1) | instskip(SKIP_1) | instid1(VALU_DEP_2)
	v_pk_fma_f32 v[86:87], v[82:83], v[78:79], v[84:85] op_sel_hi:[1,0,1]
	v_pk_fma_f32 v[78:79], v[82:83], v[78:79], v[84:85] neg_lo:[0,0,1] neg_hi:[0,0,1]
	v_mov_b32_e32 v79, v87
	s_cbranch_execz .LBB36_444
	s_branch .LBB36_445
.LBB36_443:
                                        ; implicit-def: $vgpr78_vgpr79
.LBB36_444:
	ds_load_b64 v[78:79], v1
.LBB36_445:
	s_mov_b32 s2, exec_lo
	v_cmpx_ne_u32_e32 8, v0
	s_cbranch_execz .LBB36_449
; %bb.446:
	v_add_nc_u32_e32 v81, 0x138, v40
	v_add3_u32 v82, 0, v40, 8
	v_mov_b32_e32 v83, v0
	s_mov_b32 s3, 0
.LBB36_447:                             ; =>This Inner Loop Header: Depth=1
	scratch_load_b64 v[84:85], v82, off
	ds_load_b64 v[86:87], v81
	s_wait_xcnt 0x0
	v_dual_add_nc_u32 v81, 8, v81 :: v_dual_add_nc_u32 v82, 8, v82
	s_wait_loadcnt_dscnt 0x0
	v_pk_mul_f32 v[88:89], v[86:87], v[84:85] op_sel:[1,1] op_sel_hi:[0,1]
	s_delay_alu instid0(VALU_DEP_1) | instskip(SKIP_2) | instid1(VALU_DEP_3)
	v_pk_fma_f32 v[90:91], v[86:87], v[84:85], v[88:89] op_sel_hi:[1,0,1]
	v_add_nc_u32_e32 v83, 1, v83
	v_pk_fma_f32 v[84:85], v[86:87], v[84:85], v[88:89] neg_lo:[0,0,1] neg_hi:[0,0,1]
	v_mov_b32_e32 v85, v91
	s_delay_alu instid0(VALU_DEP_3) | instskip(NEXT) | instid1(VALU_DEP_2)
	v_cmp_lt_u32_e32 vcc_lo, 7, v83
	v_pk_add_f32 v[78:79], v[78:79], v[84:85]
	s_or_b32 s3, vcc_lo, s3
	s_delay_alu instid0(SALU_CYCLE_1)
	s_and_not1_b32 exec_lo, exec_lo, s3
	s_cbranch_execnz .LBB36_447
; %bb.448:
	s_or_b32 exec_lo, exec_lo, s3
.LBB36_449:
	s_delay_alu instid0(SALU_CYCLE_1) | instskip(SKIP_4) | instid1(VALU_DEP_1)
	s_or_b32 exec_lo, exec_lo, s2
	v_mov_b32_e32 v81, 0
	ds_load_b64 v[82:83], v81 offset:72
	s_wait_dscnt 0x0
	v_pk_mul_f32 v[84:85], v[78:79], v[82:83] op_sel:[1,1] op_sel_hi:[0,1]
	v_pk_fma_f32 v[86:87], v[78:79], v[82:83], v[84:85] op_sel_hi:[1,0,1]
	v_pk_fma_f32 v[78:79], v[78:79], v[82:83], v[84:85] neg_lo:[0,0,1] neg_hi:[0,0,1]
	s_delay_alu instid0(VALU_DEP_2)
	v_mov_b32_e32 v79, v87
	scratch_store_b64 off, v[78:79], off offset:72
.LBB36_450:
	s_wait_xcnt 0x0
	s_or_b32 exec_lo, exec_lo, s0
	scratch_load_b64 v[78:79], off, off offset:80
	s_mov_b32 s0, exec_lo
	s_wait_loadcnt 0x0
	ds_store_b64 v1, v[78:79]
	s_wait_storecnt_dscnt 0x0
	s_barrier_signal -1
	s_barrier_wait -1
	s_wait_xcnt 0x0
	v_cmpx_gt_u32_e32 10, v0
	s_cbranch_execz .LBB36_460
; %bb.451:
	v_cmp_ne_u32_e32 vcc_lo, 1, v80
	s_cbranch_vccnz .LBB36_453
; %bb.452:
	scratch_load_b64 v[78:79], v41, off
	ds_load_b64 v[82:83], v1
	s_wait_loadcnt_dscnt 0x0
	v_pk_mul_f32 v[84:85], v[82:83], v[78:79] op_sel:[1,1] op_sel_hi:[0,1]
	s_delay_alu instid0(VALU_DEP_1) | instskip(SKIP_1) | instid1(VALU_DEP_2)
	v_pk_fma_f32 v[86:87], v[82:83], v[78:79], v[84:85] op_sel_hi:[1,0,1]
	v_pk_fma_f32 v[78:79], v[82:83], v[78:79], v[84:85] neg_lo:[0,0,1] neg_hi:[0,0,1]
	v_mov_b32_e32 v79, v87
	s_cbranch_execz .LBB36_454
	s_branch .LBB36_455
.LBB36_453:
                                        ; implicit-def: $vgpr78_vgpr79
.LBB36_454:
	ds_load_b64 v[78:79], v1
.LBB36_455:
	s_mov_b32 s2, exec_lo
	v_cmpx_ne_u32_e32 9, v0
	s_cbranch_execz .LBB36_459
; %bb.456:
	v_add_nc_u32_e32 v81, 0x138, v40
	v_add3_u32 v82, 0, v40, 8
	v_mov_b32_e32 v83, v0
	s_mov_b32 s3, 0
.LBB36_457:                             ; =>This Inner Loop Header: Depth=1
	scratch_load_b64 v[84:85], v82, off
	ds_load_b64 v[86:87], v81
	s_wait_xcnt 0x0
	v_dual_add_nc_u32 v81, 8, v81 :: v_dual_add_nc_u32 v82, 8, v82
	s_wait_loadcnt_dscnt 0x0
	v_pk_mul_f32 v[88:89], v[86:87], v[84:85] op_sel:[1,1] op_sel_hi:[0,1]
	s_delay_alu instid0(VALU_DEP_1) | instskip(SKIP_2) | instid1(VALU_DEP_3)
	v_pk_fma_f32 v[90:91], v[86:87], v[84:85], v[88:89] op_sel_hi:[1,0,1]
	v_add_nc_u32_e32 v83, 1, v83
	v_pk_fma_f32 v[84:85], v[86:87], v[84:85], v[88:89] neg_lo:[0,0,1] neg_hi:[0,0,1]
	v_mov_b32_e32 v85, v91
	s_delay_alu instid0(VALU_DEP_3) | instskip(NEXT) | instid1(VALU_DEP_2)
	v_cmp_lt_u32_e32 vcc_lo, 8, v83
	v_pk_add_f32 v[78:79], v[78:79], v[84:85]
	s_or_b32 s3, vcc_lo, s3
	s_delay_alu instid0(SALU_CYCLE_1)
	s_and_not1_b32 exec_lo, exec_lo, s3
	s_cbranch_execnz .LBB36_457
; %bb.458:
	s_or_b32 exec_lo, exec_lo, s3
.LBB36_459:
	s_delay_alu instid0(SALU_CYCLE_1) | instskip(SKIP_4) | instid1(VALU_DEP_1)
	s_or_b32 exec_lo, exec_lo, s2
	v_mov_b32_e32 v81, 0
	ds_load_b64 v[82:83], v81 offset:80
	s_wait_dscnt 0x0
	v_pk_mul_f32 v[84:85], v[78:79], v[82:83] op_sel:[1,1] op_sel_hi:[0,1]
	v_pk_fma_f32 v[86:87], v[78:79], v[82:83], v[84:85] op_sel_hi:[1,0,1]
	v_pk_fma_f32 v[78:79], v[78:79], v[82:83], v[84:85] neg_lo:[0,0,1] neg_hi:[0,0,1]
	s_delay_alu instid0(VALU_DEP_2)
	v_mov_b32_e32 v79, v87
	scratch_store_b64 off, v[78:79], off offset:80
.LBB36_460:
	s_wait_xcnt 0x0
	s_or_b32 exec_lo, exec_lo, s0
	scratch_load_b64 v[78:79], off, off offset:88
	s_mov_b32 s0, exec_lo
	s_wait_loadcnt 0x0
	ds_store_b64 v1, v[78:79]
	s_wait_storecnt_dscnt 0x0
	s_barrier_signal -1
	s_barrier_wait -1
	s_wait_xcnt 0x0
	v_cmpx_gt_u32_e32 11, v0
	s_cbranch_execz .LBB36_470
; %bb.461:
	v_cmp_ne_u32_e32 vcc_lo, 1, v80
	s_cbranch_vccnz .LBB36_463
; %bb.462:
	scratch_load_b64 v[78:79], v41, off
	ds_load_b64 v[82:83], v1
	s_wait_loadcnt_dscnt 0x0
	v_pk_mul_f32 v[84:85], v[82:83], v[78:79] op_sel:[1,1] op_sel_hi:[0,1]
	s_delay_alu instid0(VALU_DEP_1) | instskip(SKIP_1) | instid1(VALU_DEP_2)
	v_pk_fma_f32 v[86:87], v[82:83], v[78:79], v[84:85] op_sel_hi:[1,0,1]
	v_pk_fma_f32 v[78:79], v[82:83], v[78:79], v[84:85] neg_lo:[0,0,1] neg_hi:[0,0,1]
	v_mov_b32_e32 v79, v87
	s_cbranch_execz .LBB36_464
	s_branch .LBB36_465
.LBB36_463:
                                        ; implicit-def: $vgpr78_vgpr79
.LBB36_464:
	ds_load_b64 v[78:79], v1
.LBB36_465:
	s_mov_b32 s2, exec_lo
	v_cmpx_ne_u32_e32 10, v0
	s_cbranch_execz .LBB36_469
; %bb.466:
	v_add_nc_u32_e32 v81, 0x138, v40
	v_add3_u32 v82, 0, v40, 8
	v_mov_b32_e32 v83, v0
	s_mov_b32 s3, 0
.LBB36_467:                             ; =>This Inner Loop Header: Depth=1
	scratch_load_b64 v[84:85], v82, off
	ds_load_b64 v[86:87], v81
	s_wait_xcnt 0x0
	v_dual_add_nc_u32 v81, 8, v81 :: v_dual_add_nc_u32 v82, 8, v82
	s_wait_loadcnt_dscnt 0x0
	v_pk_mul_f32 v[88:89], v[86:87], v[84:85] op_sel:[1,1] op_sel_hi:[0,1]
	s_delay_alu instid0(VALU_DEP_1) | instskip(SKIP_2) | instid1(VALU_DEP_3)
	v_pk_fma_f32 v[90:91], v[86:87], v[84:85], v[88:89] op_sel_hi:[1,0,1]
	v_add_nc_u32_e32 v83, 1, v83
	v_pk_fma_f32 v[84:85], v[86:87], v[84:85], v[88:89] neg_lo:[0,0,1] neg_hi:[0,0,1]
	v_mov_b32_e32 v85, v91
	s_delay_alu instid0(VALU_DEP_3) | instskip(NEXT) | instid1(VALU_DEP_2)
	v_cmp_lt_u32_e32 vcc_lo, 9, v83
	v_pk_add_f32 v[78:79], v[78:79], v[84:85]
	s_or_b32 s3, vcc_lo, s3
	s_delay_alu instid0(SALU_CYCLE_1)
	s_and_not1_b32 exec_lo, exec_lo, s3
	s_cbranch_execnz .LBB36_467
; %bb.468:
	s_or_b32 exec_lo, exec_lo, s3
.LBB36_469:
	s_delay_alu instid0(SALU_CYCLE_1) | instskip(SKIP_4) | instid1(VALU_DEP_1)
	s_or_b32 exec_lo, exec_lo, s2
	v_mov_b32_e32 v81, 0
	ds_load_b64 v[82:83], v81 offset:88
	s_wait_dscnt 0x0
	v_pk_mul_f32 v[84:85], v[78:79], v[82:83] op_sel:[1,1] op_sel_hi:[0,1]
	v_pk_fma_f32 v[86:87], v[78:79], v[82:83], v[84:85] op_sel_hi:[1,0,1]
	v_pk_fma_f32 v[78:79], v[78:79], v[82:83], v[84:85] neg_lo:[0,0,1] neg_hi:[0,0,1]
	s_delay_alu instid0(VALU_DEP_2)
	v_mov_b32_e32 v79, v87
	scratch_store_b64 off, v[78:79], off offset:88
.LBB36_470:
	s_wait_xcnt 0x0
	s_or_b32 exec_lo, exec_lo, s0
	scratch_load_b64 v[78:79], off, off offset:96
	s_mov_b32 s0, exec_lo
	s_wait_loadcnt 0x0
	ds_store_b64 v1, v[78:79]
	s_wait_storecnt_dscnt 0x0
	s_barrier_signal -1
	s_barrier_wait -1
	s_wait_xcnt 0x0
	v_cmpx_gt_u32_e32 12, v0
	s_cbranch_execz .LBB36_480
; %bb.471:
	v_cmp_ne_u32_e32 vcc_lo, 1, v80
	s_cbranch_vccnz .LBB36_473
; %bb.472:
	scratch_load_b64 v[78:79], v41, off
	ds_load_b64 v[82:83], v1
	s_wait_loadcnt_dscnt 0x0
	v_pk_mul_f32 v[84:85], v[82:83], v[78:79] op_sel:[1,1] op_sel_hi:[0,1]
	s_delay_alu instid0(VALU_DEP_1) | instskip(SKIP_1) | instid1(VALU_DEP_2)
	v_pk_fma_f32 v[86:87], v[82:83], v[78:79], v[84:85] op_sel_hi:[1,0,1]
	v_pk_fma_f32 v[78:79], v[82:83], v[78:79], v[84:85] neg_lo:[0,0,1] neg_hi:[0,0,1]
	v_mov_b32_e32 v79, v87
	s_cbranch_execz .LBB36_474
	s_branch .LBB36_475
.LBB36_473:
                                        ; implicit-def: $vgpr78_vgpr79
.LBB36_474:
	ds_load_b64 v[78:79], v1
.LBB36_475:
	s_mov_b32 s2, exec_lo
	v_cmpx_ne_u32_e32 11, v0
	s_cbranch_execz .LBB36_479
; %bb.476:
	v_add_nc_u32_e32 v81, 0x138, v40
	v_add3_u32 v82, 0, v40, 8
	v_mov_b32_e32 v83, v0
	s_mov_b32 s3, 0
.LBB36_477:                             ; =>This Inner Loop Header: Depth=1
	scratch_load_b64 v[84:85], v82, off
	ds_load_b64 v[86:87], v81
	s_wait_xcnt 0x0
	v_dual_add_nc_u32 v81, 8, v81 :: v_dual_add_nc_u32 v82, 8, v82
	s_wait_loadcnt_dscnt 0x0
	v_pk_mul_f32 v[88:89], v[86:87], v[84:85] op_sel:[1,1] op_sel_hi:[0,1]
	s_delay_alu instid0(VALU_DEP_1) | instskip(SKIP_2) | instid1(VALU_DEP_3)
	v_pk_fma_f32 v[90:91], v[86:87], v[84:85], v[88:89] op_sel_hi:[1,0,1]
	v_add_nc_u32_e32 v83, 1, v83
	v_pk_fma_f32 v[84:85], v[86:87], v[84:85], v[88:89] neg_lo:[0,0,1] neg_hi:[0,0,1]
	v_mov_b32_e32 v85, v91
	s_delay_alu instid0(VALU_DEP_3) | instskip(NEXT) | instid1(VALU_DEP_2)
	v_cmp_lt_u32_e32 vcc_lo, 10, v83
	v_pk_add_f32 v[78:79], v[78:79], v[84:85]
	s_or_b32 s3, vcc_lo, s3
	s_delay_alu instid0(SALU_CYCLE_1)
	s_and_not1_b32 exec_lo, exec_lo, s3
	s_cbranch_execnz .LBB36_477
; %bb.478:
	s_or_b32 exec_lo, exec_lo, s3
.LBB36_479:
	s_delay_alu instid0(SALU_CYCLE_1) | instskip(SKIP_4) | instid1(VALU_DEP_1)
	s_or_b32 exec_lo, exec_lo, s2
	v_mov_b32_e32 v81, 0
	ds_load_b64 v[82:83], v81 offset:96
	s_wait_dscnt 0x0
	v_pk_mul_f32 v[84:85], v[78:79], v[82:83] op_sel:[1,1] op_sel_hi:[0,1]
	v_pk_fma_f32 v[86:87], v[78:79], v[82:83], v[84:85] op_sel_hi:[1,0,1]
	v_pk_fma_f32 v[78:79], v[78:79], v[82:83], v[84:85] neg_lo:[0,0,1] neg_hi:[0,0,1]
	s_delay_alu instid0(VALU_DEP_2)
	v_mov_b32_e32 v79, v87
	scratch_store_b64 off, v[78:79], off offset:96
.LBB36_480:
	s_wait_xcnt 0x0
	s_or_b32 exec_lo, exec_lo, s0
	scratch_load_b64 v[78:79], off, off offset:104
	s_mov_b32 s0, exec_lo
	s_wait_loadcnt 0x0
	ds_store_b64 v1, v[78:79]
	s_wait_storecnt_dscnt 0x0
	s_barrier_signal -1
	s_barrier_wait -1
	s_wait_xcnt 0x0
	v_cmpx_gt_u32_e32 13, v0
	s_cbranch_execz .LBB36_490
; %bb.481:
	v_cmp_ne_u32_e32 vcc_lo, 1, v80
	s_cbranch_vccnz .LBB36_483
; %bb.482:
	scratch_load_b64 v[78:79], v41, off
	ds_load_b64 v[82:83], v1
	s_wait_loadcnt_dscnt 0x0
	v_pk_mul_f32 v[84:85], v[82:83], v[78:79] op_sel:[1,1] op_sel_hi:[0,1]
	s_delay_alu instid0(VALU_DEP_1) | instskip(SKIP_1) | instid1(VALU_DEP_2)
	v_pk_fma_f32 v[86:87], v[82:83], v[78:79], v[84:85] op_sel_hi:[1,0,1]
	v_pk_fma_f32 v[78:79], v[82:83], v[78:79], v[84:85] neg_lo:[0,0,1] neg_hi:[0,0,1]
	v_mov_b32_e32 v79, v87
	s_cbranch_execz .LBB36_484
	s_branch .LBB36_485
.LBB36_483:
                                        ; implicit-def: $vgpr78_vgpr79
.LBB36_484:
	ds_load_b64 v[78:79], v1
.LBB36_485:
	s_mov_b32 s2, exec_lo
	v_cmpx_ne_u32_e32 12, v0
	s_cbranch_execz .LBB36_489
; %bb.486:
	v_add_nc_u32_e32 v81, 0x138, v40
	v_add3_u32 v82, 0, v40, 8
	v_mov_b32_e32 v83, v0
	s_mov_b32 s3, 0
.LBB36_487:                             ; =>This Inner Loop Header: Depth=1
	scratch_load_b64 v[84:85], v82, off
	ds_load_b64 v[86:87], v81
	s_wait_xcnt 0x0
	v_dual_add_nc_u32 v81, 8, v81 :: v_dual_add_nc_u32 v82, 8, v82
	s_wait_loadcnt_dscnt 0x0
	v_pk_mul_f32 v[88:89], v[86:87], v[84:85] op_sel:[1,1] op_sel_hi:[0,1]
	s_delay_alu instid0(VALU_DEP_1) | instskip(SKIP_2) | instid1(VALU_DEP_3)
	v_pk_fma_f32 v[90:91], v[86:87], v[84:85], v[88:89] op_sel_hi:[1,0,1]
	v_add_nc_u32_e32 v83, 1, v83
	v_pk_fma_f32 v[84:85], v[86:87], v[84:85], v[88:89] neg_lo:[0,0,1] neg_hi:[0,0,1]
	v_mov_b32_e32 v85, v91
	s_delay_alu instid0(VALU_DEP_3) | instskip(NEXT) | instid1(VALU_DEP_2)
	v_cmp_lt_u32_e32 vcc_lo, 11, v83
	v_pk_add_f32 v[78:79], v[78:79], v[84:85]
	s_or_b32 s3, vcc_lo, s3
	s_delay_alu instid0(SALU_CYCLE_1)
	s_and_not1_b32 exec_lo, exec_lo, s3
	s_cbranch_execnz .LBB36_487
; %bb.488:
	s_or_b32 exec_lo, exec_lo, s3
.LBB36_489:
	s_delay_alu instid0(SALU_CYCLE_1) | instskip(SKIP_4) | instid1(VALU_DEP_1)
	s_or_b32 exec_lo, exec_lo, s2
	v_mov_b32_e32 v81, 0
	ds_load_b64 v[82:83], v81 offset:104
	s_wait_dscnt 0x0
	v_pk_mul_f32 v[84:85], v[78:79], v[82:83] op_sel:[1,1] op_sel_hi:[0,1]
	v_pk_fma_f32 v[86:87], v[78:79], v[82:83], v[84:85] op_sel_hi:[1,0,1]
	v_pk_fma_f32 v[78:79], v[78:79], v[82:83], v[84:85] neg_lo:[0,0,1] neg_hi:[0,0,1]
	s_delay_alu instid0(VALU_DEP_2)
	v_mov_b32_e32 v79, v87
	scratch_store_b64 off, v[78:79], off offset:104
.LBB36_490:
	s_wait_xcnt 0x0
	s_or_b32 exec_lo, exec_lo, s0
	scratch_load_b64 v[78:79], off, off offset:112
	s_mov_b32 s0, exec_lo
	s_wait_loadcnt 0x0
	ds_store_b64 v1, v[78:79]
	s_wait_storecnt_dscnt 0x0
	s_barrier_signal -1
	s_barrier_wait -1
	s_wait_xcnt 0x0
	v_cmpx_gt_u32_e32 14, v0
	s_cbranch_execz .LBB36_500
; %bb.491:
	v_cmp_ne_u32_e32 vcc_lo, 1, v80
	s_cbranch_vccnz .LBB36_493
; %bb.492:
	scratch_load_b64 v[78:79], v41, off
	ds_load_b64 v[82:83], v1
	s_wait_loadcnt_dscnt 0x0
	v_pk_mul_f32 v[84:85], v[82:83], v[78:79] op_sel:[1,1] op_sel_hi:[0,1]
	s_delay_alu instid0(VALU_DEP_1) | instskip(SKIP_1) | instid1(VALU_DEP_2)
	v_pk_fma_f32 v[86:87], v[82:83], v[78:79], v[84:85] op_sel_hi:[1,0,1]
	v_pk_fma_f32 v[78:79], v[82:83], v[78:79], v[84:85] neg_lo:[0,0,1] neg_hi:[0,0,1]
	v_mov_b32_e32 v79, v87
	s_cbranch_execz .LBB36_494
	s_branch .LBB36_495
.LBB36_493:
                                        ; implicit-def: $vgpr78_vgpr79
.LBB36_494:
	ds_load_b64 v[78:79], v1
.LBB36_495:
	s_mov_b32 s2, exec_lo
	v_cmpx_ne_u32_e32 13, v0
	s_cbranch_execz .LBB36_499
; %bb.496:
	v_add_nc_u32_e32 v81, 0x138, v40
	v_add3_u32 v82, 0, v40, 8
	v_mov_b32_e32 v83, v0
	s_mov_b32 s3, 0
.LBB36_497:                             ; =>This Inner Loop Header: Depth=1
	scratch_load_b64 v[84:85], v82, off
	ds_load_b64 v[86:87], v81
	s_wait_xcnt 0x0
	v_dual_add_nc_u32 v81, 8, v81 :: v_dual_add_nc_u32 v82, 8, v82
	s_wait_loadcnt_dscnt 0x0
	v_pk_mul_f32 v[88:89], v[86:87], v[84:85] op_sel:[1,1] op_sel_hi:[0,1]
	s_delay_alu instid0(VALU_DEP_1) | instskip(SKIP_2) | instid1(VALU_DEP_3)
	v_pk_fma_f32 v[90:91], v[86:87], v[84:85], v[88:89] op_sel_hi:[1,0,1]
	v_add_nc_u32_e32 v83, 1, v83
	v_pk_fma_f32 v[84:85], v[86:87], v[84:85], v[88:89] neg_lo:[0,0,1] neg_hi:[0,0,1]
	v_mov_b32_e32 v85, v91
	s_delay_alu instid0(VALU_DEP_3) | instskip(NEXT) | instid1(VALU_DEP_2)
	v_cmp_lt_u32_e32 vcc_lo, 12, v83
	v_pk_add_f32 v[78:79], v[78:79], v[84:85]
	s_or_b32 s3, vcc_lo, s3
	s_delay_alu instid0(SALU_CYCLE_1)
	s_and_not1_b32 exec_lo, exec_lo, s3
	s_cbranch_execnz .LBB36_497
; %bb.498:
	s_or_b32 exec_lo, exec_lo, s3
.LBB36_499:
	s_delay_alu instid0(SALU_CYCLE_1) | instskip(SKIP_4) | instid1(VALU_DEP_1)
	s_or_b32 exec_lo, exec_lo, s2
	v_mov_b32_e32 v81, 0
	ds_load_b64 v[82:83], v81 offset:112
	s_wait_dscnt 0x0
	v_pk_mul_f32 v[84:85], v[78:79], v[82:83] op_sel:[1,1] op_sel_hi:[0,1]
	v_pk_fma_f32 v[86:87], v[78:79], v[82:83], v[84:85] op_sel_hi:[1,0,1]
	v_pk_fma_f32 v[78:79], v[78:79], v[82:83], v[84:85] neg_lo:[0,0,1] neg_hi:[0,0,1]
	s_delay_alu instid0(VALU_DEP_2)
	v_mov_b32_e32 v79, v87
	scratch_store_b64 off, v[78:79], off offset:112
.LBB36_500:
	s_wait_xcnt 0x0
	s_or_b32 exec_lo, exec_lo, s0
	scratch_load_b64 v[78:79], off, off offset:120
	s_mov_b32 s0, exec_lo
	s_wait_loadcnt 0x0
	ds_store_b64 v1, v[78:79]
	s_wait_storecnt_dscnt 0x0
	s_barrier_signal -1
	s_barrier_wait -1
	s_wait_xcnt 0x0
	v_cmpx_gt_u32_e32 15, v0
	s_cbranch_execz .LBB36_510
; %bb.501:
	v_cmp_ne_u32_e32 vcc_lo, 1, v80
	s_cbranch_vccnz .LBB36_503
; %bb.502:
	scratch_load_b64 v[78:79], v41, off
	ds_load_b64 v[82:83], v1
	s_wait_loadcnt_dscnt 0x0
	v_pk_mul_f32 v[84:85], v[82:83], v[78:79] op_sel:[1,1] op_sel_hi:[0,1]
	s_delay_alu instid0(VALU_DEP_1) | instskip(SKIP_1) | instid1(VALU_DEP_2)
	v_pk_fma_f32 v[86:87], v[82:83], v[78:79], v[84:85] op_sel_hi:[1,0,1]
	v_pk_fma_f32 v[78:79], v[82:83], v[78:79], v[84:85] neg_lo:[0,0,1] neg_hi:[0,0,1]
	v_mov_b32_e32 v79, v87
	s_cbranch_execz .LBB36_504
	s_branch .LBB36_505
.LBB36_503:
                                        ; implicit-def: $vgpr78_vgpr79
.LBB36_504:
	ds_load_b64 v[78:79], v1
.LBB36_505:
	s_mov_b32 s2, exec_lo
	v_cmpx_ne_u32_e32 14, v0
	s_cbranch_execz .LBB36_509
; %bb.506:
	v_add_nc_u32_e32 v81, 0x138, v40
	v_add3_u32 v82, 0, v40, 8
	v_mov_b32_e32 v83, v0
	s_mov_b32 s3, 0
.LBB36_507:                             ; =>This Inner Loop Header: Depth=1
	scratch_load_b64 v[84:85], v82, off
	ds_load_b64 v[86:87], v81
	s_wait_xcnt 0x0
	v_dual_add_nc_u32 v81, 8, v81 :: v_dual_add_nc_u32 v82, 8, v82
	s_wait_loadcnt_dscnt 0x0
	v_pk_mul_f32 v[88:89], v[86:87], v[84:85] op_sel:[1,1] op_sel_hi:[0,1]
	s_delay_alu instid0(VALU_DEP_1) | instskip(SKIP_2) | instid1(VALU_DEP_3)
	v_pk_fma_f32 v[90:91], v[86:87], v[84:85], v[88:89] op_sel_hi:[1,0,1]
	v_add_nc_u32_e32 v83, 1, v83
	v_pk_fma_f32 v[84:85], v[86:87], v[84:85], v[88:89] neg_lo:[0,0,1] neg_hi:[0,0,1]
	v_mov_b32_e32 v85, v91
	s_delay_alu instid0(VALU_DEP_3) | instskip(NEXT) | instid1(VALU_DEP_2)
	v_cmp_lt_u32_e32 vcc_lo, 13, v83
	v_pk_add_f32 v[78:79], v[78:79], v[84:85]
	s_or_b32 s3, vcc_lo, s3
	s_delay_alu instid0(SALU_CYCLE_1)
	s_and_not1_b32 exec_lo, exec_lo, s3
	s_cbranch_execnz .LBB36_507
; %bb.508:
	s_or_b32 exec_lo, exec_lo, s3
.LBB36_509:
	s_delay_alu instid0(SALU_CYCLE_1) | instskip(SKIP_4) | instid1(VALU_DEP_1)
	s_or_b32 exec_lo, exec_lo, s2
	v_mov_b32_e32 v81, 0
	ds_load_b64 v[82:83], v81 offset:120
	s_wait_dscnt 0x0
	v_pk_mul_f32 v[84:85], v[78:79], v[82:83] op_sel:[1,1] op_sel_hi:[0,1]
	v_pk_fma_f32 v[86:87], v[78:79], v[82:83], v[84:85] op_sel_hi:[1,0,1]
	v_pk_fma_f32 v[78:79], v[78:79], v[82:83], v[84:85] neg_lo:[0,0,1] neg_hi:[0,0,1]
	s_delay_alu instid0(VALU_DEP_2)
	v_mov_b32_e32 v79, v87
	scratch_store_b64 off, v[78:79], off offset:120
.LBB36_510:
	s_wait_xcnt 0x0
	s_or_b32 exec_lo, exec_lo, s0
	scratch_load_b64 v[78:79], off, off offset:128
	s_mov_b32 s0, exec_lo
	s_wait_loadcnt 0x0
	ds_store_b64 v1, v[78:79]
	s_wait_storecnt_dscnt 0x0
	s_barrier_signal -1
	s_barrier_wait -1
	s_wait_xcnt 0x0
	v_cmpx_gt_u32_e32 16, v0
	s_cbranch_execz .LBB36_520
; %bb.511:
	v_cmp_ne_u32_e32 vcc_lo, 1, v80
	s_cbranch_vccnz .LBB36_513
; %bb.512:
	scratch_load_b64 v[78:79], v41, off
	ds_load_b64 v[82:83], v1
	s_wait_loadcnt_dscnt 0x0
	v_pk_mul_f32 v[84:85], v[82:83], v[78:79] op_sel:[1,1] op_sel_hi:[0,1]
	s_delay_alu instid0(VALU_DEP_1) | instskip(SKIP_1) | instid1(VALU_DEP_2)
	v_pk_fma_f32 v[86:87], v[82:83], v[78:79], v[84:85] op_sel_hi:[1,0,1]
	v_pk_fma_f32 v[78:79], v[82:83], v[78:79], v[84:85] neg_lo:[0,0,1] neg_hi:[0,0,1]
	v_mov_b32_e32 v79, v87
	s_cbranch_execz .LBB36_514
	s_branch .LBB36_515
.LBB36_513:
                                        ; implicit-def: $vgpr78_vgpr79
.LBB36_514:
	ds_load_b64 v[78:79], v1
.LBB36_515:
	s_mov_b32 s2, exec_lo
	v_cmpx_ne_u32_e32 15, v0
	s_cbranch_execz .LBB36_519
; %bb.516:
	v_add_nc_u32_e32 v81, 0x138, v40
	v_add3_u32 v82, 0, v40, 8
	v_mov_b32_e32 v83, v0
	s_mov_b32 s3, 0
.LBB36_517:                             ; =>This Inner Loop Header: Depth=1
	scratch_load_b64 v[84:85], v82, off
	ds_load_b64 v[86:87], v81
	s_wait_xcnt 0x0
	v_dual_add_nc_u32 v81, 8, v81 :: v_dual_add_nc_u32 v82, 8, v82
	s_wait_loadcnt_dscnt 0x0
	v_pk_mul_f32 v[88:89], v[86:87], v[84:85] op_sel:[1,1] op_sel_hi:[0,1]
	s_delay_alu instid0(VALU_DEP_1) | instskip(SKIP_2) | instid1(VALU_DEP_3)
	v_pk_fma_f32 v[90:91], v[86:87], v[84:85], v[88:89] op_sel_hi:[1,0,1]
	v_add_nc_u32_e32 v83, 1, v83
	v_pk_fma_f32 v[84:85], v[86:87], v[84:85], v[88:89] neg_lo:[0,0,1] neg_hi:[0,0,1]
	v_mov_b32_e32 v85, v91
	s_delay_alu instid0(VALU_DEP_3) | instskip(NEXT) | instid1(VALU_DEP_2)
	v_cmp_lt_u32_e32 vcc_lo, 14, v83
	v_pk_add_f32 v[78:79], v[78:79], v[84:85]
	s_or_b32 s3, vcc_lo, s3
	s_delay_alu instid0(SALU_CYCLE_1)
	s_and_not1_b32 exec_lo, exec_lo, s3
	s_cbranch_execnz .LBB36_517
; %bb.518:
	s_or_b32 exec_lo, exec_lo, s3
.LBB36_519:
	s_delay_alu instid0(SALU_CYCLE_1) | instskip(SKIP_4) | instid1(VALU_DEP_1)
	s_or_b32 exec_lo, exec_lo, s2
	v_mov_b32_e32 v81, 0
	ds_load_b64 v[82:83], v81 offset:128
	s_wait_dscnt 0x0
	v_pk_mul_f32 v[84:85], v[78:79], v[82:83] op_sel:[1,1] op_sel_hi:[0,1]
	v_pk_fma_f32 v[86:87], v[78:79], v[82:83], v[84:85] op_sel_hi:[1,0,1]
	v_pk_fma_f32 v[78:79], v[78:79], v[82:83], v[84:85] neg_lo:[0,0,1] neg_hi:[0,0,1]
	s_delay_alu instid0(VALU_DEP_2)
	v_mov_b32_e32 v79, v87
	scratch_store_b64 off, v[78:79], off offset:128
.LBB36_520:
	s_wait_xcnt 0x0
	s_or_b32 exec_lo, exec_lo, s0
	scratch_load_b64 v[78:79], off, off offset:136
	s_mov_b32 s0, exec_lo
	s_wait_loadcnt 0x0
	ds_store_b64 v1, v[78:79]
	s_wait_storecnt_dscnt 0x0
	s_barrier_signal -1
	s_barrier_wait -1
	s_wait_xcnt 0x0
	v_cmpx_gt_u32_e32 17, v0
	s_cbranch_execz .LBB36_530
; %bb.521:
	v_cmp_ne_u32_e32 vcc_lo, 1, v80
	s_cbranch_vccnz .LBB36_523
; %bb.522:
	scratch_load_b64 v[78:79], v41, off
	ds_load_b64 v[82:83], v1
	s_wait_loadcnt_dscnt 0x0
	v_pk_mul_f32 v[84:85], v[82:83], v[78:79] op_sel:[1,1] op_sel_hi:[0,1]
	s_delay_alu instid0(VALU_DEP_1) | instskip(SKIP_1) | instid1(VALU_DEP_2)
	v_pk_fma_f32 v[86:87], v[82:83], v[78:79], v[84:85] op_sel_hi:[1,0,1]
	v_pk_fma_f32 v[78:79], v[82:83], v[78:79], v[84:85] neg_lo:[0,0,1] neg_hi:[0,0,1]
	v_mov_b32_e32 v79, v87
	s_cbranch_execz .LBB36_524
	s_branch .LBB36_525
.LBB36_523:
                                        ; implicit-def: $vgpr78_vgpr79
.LBB36_524:
	ds_load_b64 v[78:79], v1
.LBB36_525:
	s_mov_b32 s2, exec_lo
	v_cmpx_ne_u32_e32 16, v0
	s_cbranch_execz .LBB36_529
; %bb.526:
	v_add_nc_u32_e32 v81, 0x138, v40
	v_add3_u32 v82, 0, v40, 8
	v_mov_b32_e32 v83, v0
	s_mov_b32 s3, 0
.LBB36_527:                             ; =>This Inner Loop Header: Depth=1
	scratch_load_b64 v[84:85], v82, off
	ds_load_b64 v[86:87], v81
	s_wait_xcnt 0x0
	v_dual_add_nc_u32 v81, 8, v81 :: v_dual_add_nc_u32 v82, 8, v82
	s_wait_loadcnt_dscnt 0x0
	v_pk_mul_f32 v[88:89], v[86:87], v[84:85] op_sel:[1,1] op_sel_hi:[0,1]
	s_delay_alu instid0(VALU_DEP_1) | instskip(SKIP_2) | instid1(VALU_DEP_3)
	v_pk_fma_f32 v[90:91], v[86:87], v[84:85], v[88:89] op_sel_hi:[1,0,1]
	v_add_nc_u32_e32 v83, 1, v83
	v_pk_fma_f32 v[84:85], v[86:87], v[84:85], v[88:89] neg_lo:[0,0,1] neg_hi:[0,0,1]
	v_mov_b32_e32 v85, v91
	s_delay_alu instid0(VALU_DEP_3) | instskip(NEXT) | instid1(VALU_DEP_2)
	v_cmp_lt_u32_e32 vcc_lo, 15, v83
	v_pk_add_f32 v[78:79], v[78:79], v[84:85]
	s_or_b32 s3, vcc_lo, s3
	s_delay_alu instid0(SALU_CYCLE_1)
	s_and_not1_b32 exec_lo, exec_lo, s3
	s_cbranch_execnz .LBB36_527
; %bb.528:
	s_or_b32 exec_lo, exec_lo, s3
.LBB36_529:
	s_delay_alu instid0(SALU_CYCLE_1) | instskip(SKIP_4) | instid1(VALU_DEP_1)
	s_or_b32 exec_lo, exec_lo, s2
	v_mov_b32_e32 v81, 0
	ds_load_b64 v[82:83], v81 offset:136
	s_wait_dscnt 0x0
	v_pk_mul_f32 v[84:85], v[78:79], v[82:83] op_sel:[1,1] op_sel_hi:[0,1]
	v_pk_fma_f32 v[86:87], v[78:79], v[82:83], v[84:85] op_sel_hi:[1,0,1]
	v_pk_fma_f32 v[78:79], v[78:79], v[82:83], v[84:85] neg_lo:[0,0,1] neg_hi:[0,0,1]
	s_delay_alu instid0(VALU_DEP_2)
	v_mov_b32_e32 v79, v87
	scratch_store_b64 off, v[78:79], off offset:136
.LBB36_530:
	s_wait_xcnt 0x0
	s_or_b32 exec_lo, exec_lo, s0
	scratch_load_b64 v[78:79], off, off offset:144
	s_mov_b32 s0, exec_lo
	s_wait_loadcnt 0x0
	ds_store_b64 v1, v[78:79]
	s_wait_storecnt_dscnt 0x0
	s_barrier_signal -1
	s_barrier_wait -1
	s_wait_xcnt 0x0
	v_cmpx_gt_u32_e32 18, v0
	s_cbranch_execz .LBB36_540
; %bb.531:
	v_cmp_ne_u32_e32 vcc_lo, 1, v80
	s_cbranch_vccnz .LBB36_533
; %bb.532:
	scratch_load_b64 v[78:79], v41, off
	ds_load_b64 v[82:83], v1
	s_wait_loadcnt_dscnt 0x0
	v_pk_mul_f32 v[84:85], v[82:83], v[78:79] op_sel:[1,1] op_sel_hi:[0,1]
	s_delay_alu instid0(VALU_DEP_1) | instskip(SKIP_1) | instid1(VALU_DEP_2)
	v_pk_fma_f32 v[86:87], v[82:83], v[78:79], v[84:85] op_sel_hi:[1,0,1]
	v_pk_fma_f32 v[78:79], v[82:83], v[78:79], v[84:85] neg_lo:[0,0,1] neg_hi:[0,0,1]
	v_mov_b32_e32 v79, v87
	s_cbranch_execz .LBB36_534
	s_branch .LBB36_535
.LBB36_533:
                                        ; implicit-def: $vgpr78_vgpr79
.LBB36_534:
	ds_load_b64 v[78:79], v1
.LBB36_535:
	s_mov_b32 s2, exec_lo
	v_cmpx_ne_u32_e32 17, v0
	s_cbranch_execz .LBB36_539
; %bb.536:
	v_add_nc_u32_e32 v81, 0x138, v40
	v_add3_u32 v82, 0, v40, 8
	v_mov_b32_e32 v83, v0
	s_mov_b32 s3, 0
.LBB36_537:                             ; =>This Inner Loop Header: Depth=1
	scratch_load_b64 v[84:85], v82, off
	ds_load_b64 v[86:87], v81
	s_wait_xcnt 0x0
	v_dual_add_nc_u32 v81, 8, v81 :: v_dual_add_nc_u32 v82, 8, v82
	s_wait_loadcnt_dscnt 0x0
	v_pk_mul_f32 v[88:89], v[86:87], v[84:85] op_sel:[1,1] op_sel_hi:[0,1]
	s_delay_alu instid0(VALU_DEP_1) | instskip(SKIP_2) | instid1(VALU_DEP_3)
	v_pk_fma_f32 v[90:91], v[86:87], v[84:85], v[88:89] op_sel_hi:[1,0,1]
	v_add_nc_u32_e32 v83, 1, v83
	v_pk_fma_f32 v[84:85], v[86:87], v[84:85], v[88:89] neg_lo:[0,0,1] neg_hi:[0,0,1]
	v_mov_b32_e32 v85, v91
	s_delay_alu instid0(VALU_DEP_3) | instskip(NEXT) | instid1(VALU_DEP_2)
	v_cmp_lt_u32_e32 vcc_lo, 16, v83
	v_pk_add_f32 v[78:79], v[78:79], v[84:85]
	s_or_b32 s3, vcc_lo, s3
	s_delay_alu instid0(SALU_CYCLE_1)
	s_and_not1_b32 exec_lo, exec_lo, s3
	s_cbranch_execnz .LBB36_537
; %bb.538:
	s_or_b32 exec_lo, exec_lo, s3
.LBB36_539:
	s_delay_alu instid0(SALU_CYCLE_1) | instskip(SKIP_4) | instid1(VALU_DEP_1)
	s_or_b32 exec_lo, exec_lo, s2
	v_mov_b32_e32 v81, 0
	ds_load_b64 v[82:83], v81 offset:144
	s_wait_dscnt 0x0
	v_pk_mul_f32 v[84:85], v[78:79], v[82:83] op_sel:[1,1] op_sel_hi:[0,1]
	v_pk_fma_f32 v[86:87], v[78:79], v[82:83], v[84:85] op_sel_hi:[1,0,1]
	v_pk_fma_f32 v[78:79], v[78:79], v[82:83], v[84:85] neg_lo:[0,0,1] neg_hi:[0,0,1]
	s_delay_alu instid0(VALU_DEP_2)
	v_mov_b32_e32 v79, v87
	scratch_store_b64 off, v[78:79], off offset:144
.LBB36_540:
	s_wait_xcnt 0x0
	s_or_b32 exec_lo, exec_lo, s0
	scratch_load_b64 v[78:79], off, off offset:152
	s_mov_b32 s0, exec_lo
	s_wait_loadcnt 0x0
	ds_store_b64 v1, v[78:79]
	s_wait_storecnt_dscnt 0x0
	s_barrier_signal -1
	s_barrier_wait -1
	s_wait_xcnt 0x0
	v_cmpx_gt_u32_e32 19, v0
	s_cbranch_execz .LBB36_550
; %bb.541:
	v_cmp_ne_u32_e32 vcc_lo, 1, v80
	s_cbranch_vccnz .LBB36_543
; %bb.542:
	scratch_load_b64 v[78:79], v41, off
	ds_load_b64 v[82:83], v1
	s_wait_loadcnt_dscnt 0x0
	v_pk_mul_f32 v[84:85], v[82:83], v[78:79] op_sel:[1,1] op_sel_hi:[0,1]
	s_delay_alu instid0(VALU_DEP_1) | instskip(SKIP_1) | instid1(VALU_DEP_2)
	v_pk_fma_f32 v[86:87], v[82:83], v[78:79], v[84:85] op_sel_hi:[1,0,1]
	v_pk_fma_f32 v[78:79], v[82:83], v[78:79], v[84:85] neg_lo:[0,0,1] neg_hi:[0,0,1]
	v_mov_b32_e32 v79, v87
	s_cbranch_execz .LBB36_544
	s_branch .LBB36_545
.LBB36_543:
                                        ; implicit-def: $vgpr78_vgpr79
.LBB36_544:
	ds_load_b64 v[78:79], v1
.LBB36_545:
	s_mov_b32 s2, exec_lo
	v_cmpx_ne_u32_e32 18, v0
	s_cbranch_execz .LBB36_549
; %bb.546:
	v_add_nc_u32_e32 v81, 0x138, v40
	v_add3_u32 v82, 0, v40, 8
	v_mov_b32_e32 v83, v0
	s_mov_b32 s3, 0
.LBB36_547:                             ; =>This Inner Loop Header: Depth=1
	scratch_load_b64 v[84:85], v82, off
	ds_load_b64 v[86:87], v81
	s_wait_xcnt 0x0
	v_dual_add_nc_u32 v81, 8, v81 :: v_dual_add_nc_u32 v82, 8, v82
	s_wait_loadcnt_dscnt 0x0
	v_pk_mul_f32 v[88:89], v[86:87], v[84:85] op_sel:[1,1] op_sel_hi:[0,1]
	s_delay_alu instid0(VALU_DEP_1) | instskip(SKIP_2) | instid1(VALU_DEP_3)
	v_pk_fma_f32 v[90:91], v[86:87], v[84:85], v[88:89] op_sel_hi:[1,0,1]
	v_add_nc_u32_e32 v83, 1, v83
	v_pk_fma_f32 v[84:85], v[86:87], v[84:85], v[88:89] neg_lo:[0,0,1] neg_hi:[0,0,1]
	v_mov_b32_e32 v85, v91
	s_delay_alu instid0(VALU_DEP_3) | instskip(NEXT) | instid1(VALU_DEP_2)
	v_cmp_lt_u32_e32 vcc_lo, 17, v83
	v_pk_add_f32 v[78:79], v[78:79], v[84:85]
	s_or_b32 s3, vcc_lo, s3
	s_delay_alu instid0(SALU_CYCLE_1)
	s_and_not1_b32 exec_lo, exec_lo, s3
	s_cbranch_execnz .LBB36_547
; %bb.548:
	s_or_b32 exec_lo, exec_lo, s3
.LBB36_549:
	s_delay_alu instid0(SALU_CYCLE_1) | instskip(SKIP_4) | instid1(VALU_DEP_1)
	s_or_b32 exec_lo, exec_lo, s2
	v_mov_b32_e32 v81, 0
	ds_load_b64 v[82:83], v81 offset:152
	s_wait_dscnt 0x0
	v_pk_mul_f32 v[84:85], v[78:79], v[82:83] op_sel:[1,1] op_sel_hi:[0,1]
	v_pk_fma_f32 v[86:87], v[78:79], v[82:83], v[84:85] op_sel_hi:[1,0,1]
	v_pk_fma_f32 v[78:79], v[78:79], v[82:83], v[84:85] neg_lo:[0,0,1] neg_hi:[0,0,1]
	s_delay_alu instid0(VALU_DEP_2)
	v_mov_b32_e32 v79, v87
	scratch_store_b64 off, v[78:79], off offset:152
.LBB36_550:
	s_wait_xcnt 0x0
	s_or_b32 exec_lo, exec_lo, s0
	scratch_load_b64 v[78:79], off, off offset:160
	s_mov_b32 s0, exec_lo
	s_wait_loadcnt 0x0
	ds_store_b64 v1, v[78:79]
	s_wait_storecnt_dscnt 0x0
	s_barrier_signal -1
	s_barrier_wait -1
	s_wait_xcnt 0x0
	v_cmpx_gt_u32_e32 20, v0
	s_cbranch_execz .LBB36_560
; %bb.551:
	v_cmp_ne_u32_e32 vcc_lo, 1, v80
	s_cbranch_vccnz .LBB36_553
; %bb.552:
	scratch_load_b64 v[78:79], v41, off
	ds_load_b64 v[82:83], v1
	s_wait_loadcnt_dscnt 0x0
	v_pk_mul_f32 v[84:85], v[82:83], v[78:79] op_sel:[1,1] op_sel_hi:[0,1]
	s_delay_alu instid0(VALU_DEP_1) | instskip(SKIP_1) | instid1(VALU_DEP_2)
	v_pk_fma_f32 v[86:87], v[82:83], v[78:79], v[84:85] op_sel_hi:[1,0,1]
	v_pk_fma_f32 v[78:79], v[82:83], v[78:79], v[84:85] neg_lo:[0,0,1] neg_hi:[0,0,1]
	v_mov_b32_e32 v79, v87
	s_cbranch_execz .LBB36_554
	s_branch .LBB36_555
.LBB36_553:
                                        ; implicit-def: $vgpr78_vgpr79
.LBB36_554:
	ds_load_b64 v[78:79], v1
.LBB36_555:
	s_mov_b32 s2, exec_lo
	v_cmpx_ne_u32_e32 19, v0
	s_cbranch_execz .LBB36_559
; %bb.556:
	v_add_nc_u32_e32 v81, 0x138, v40
	v_add3_u32 v82, 0, v40, 8
	v_mov_b32_e32 v83, v0
	s_mov_b32 s3, 0
.LBB36_557:                             ; =>This Inner Loop Header: Depth=1
	scratch_load_b64 v[84:85], v82, off
	ds_load_b64 v[86:87], v81
	s_wait_xcnt 0x0
	v_dual_add_nc_u32 v81, 8, v81 :: v_dual_add_nc_u32 v82, 8, v82
	s_wait_loadcnt_dscnt 0x0
	v_pk_mul_f32 v[88:89], v[86:87], v[84:85] op_sel:[1,1] op_sel_hi:[0,1]
	s_delay_alu instid0(VALU_DEP_1) | instskip(SKIP_2) | instid1(VALU_DEP_3)
	v_pk_fma_f32 v[90:91], v[86:87], v[84:85], v[88:89] op_sel_hi:[1,0,1]
	v_add_nc_u32_e32 v83, 1, v83
	v_pk_fma_f32 v[84:85], v[86:87], v[84:85], v[88:89] neg_lo:[0,0,1] neg_hi:[0,0,1]
	v_mov_b32_e32 v85, v91
	s_delay_alu instid0(VALU_DEP_3) | instskip(NEXT) | instid1(VALU_DEP_2)
	v_cmp_lt_u32_e32 vcc_lo, 18, v83
	v_pk_add_f32 v[78:79], v[78:79], v[84:85]
	s_or_b32 s3, vcc_lo, s3
	s_delay_alu instid0(SALU_CYCLE_1)
	s_and_not1_b32 exec_lo, exec_lo, s3
	s_cbranch_execnz .LBB36_557
; %bb.558:
	s_or_b32 exec_lo, exec_lo, s3
.LBB36_559:
	s_delay_alu instid0(SALU_CYCLE_1) | instskip(SKIP_4) | instid1(VALU_DEP_1)
	s_or_b32 exec_lo, exec_lo, s2
	v_mov_b32_e32 v81, 0
	ds_load_b64 v[82:83], v81 offset:160
	s_wait_dscnt 0x0
	v_pk_mul_f32 v[84:85], v[78:79], v[82:83] op_sel:[1,1] op_sel_hi:[0,1]
	v_pk_fma_f32 v[86:87], v[78:79], v[82:83], v[84:85] op_sel_hi:[1,0,1]
	v_pk_fma_f32 v[78:79], v[78:79], v[82:83], v[84:85] neg_lo:[0,0,1] neg_hi:[0,0,1]
	s_delay_alu instid0(VALU_DEP_2)
	v_mov_b32_e32 v79, v87
	scratch_store_b64 off, v[78:79], off offset:160
.LBB36_560:
	s_wait_xcnt 0x0
	s_or_b32 exec_lo, exec_lo, s0
	scratch_load_b64 v[78:79], off, off offset:168
	s_mov_b32 s0, exec_lo
	s_wait_loadcnt 0x0
	ds_store_b64 v1, v[78:79]
	s_wait_storecnt_dscnt 0x0
	s_barrier_signal -1
	s_barrier_wait -1
	s_wait_xcnt 0x0
	v_cmpx_gt_u32_e32 21, v0
	s_cbranch_execz .LBB36_570
; %bb.561:
	v_cmp_ne_u32_e32 vcc_lo, 1, v80
	s_cbranch_vccnz .LBB36_563
; %bb.562:
	scratch_load_b64 v[78:79], v41, off
	ds_load_b64 v[82:83], v1
	s_wait_loadcnt_dscnt 0x0
	v_pk_mul_f32 v[84:85], v[82:83], v[78:79] op_sel:[1,1] op_sel_hi:[0,1]
	s_delay_alu instid0(VALU_DEP_1) | instskip(SKIP_1) | instid1(VALU_DEP_2)
	v_pk_fma_f32 v[86:87], v[82:83], v[78:79], v[84:85] op_sel_hi:[1,0,1]
	v_pk_fma_f32 v[78:79], v[82:83], v[78:79], v[84:85] neg_lo:[0,0,1] neg_hi:[0,0,1]
	v_mov_b32_e32 v79, v87
	s_cbranch_execz .LBB36_564
	s_branch .LBB36_565
.LBB36_563:
                                        ; implicit-def: $vgpr78_vgpr79
.LBB36_564:
	ds_load_b64 v[78:79], v1
.LBB36_565:
	s_mov_b32 s2, exec_lo
	v_cmpx_ne_u32_e32 20, v0
	s_cbranch_execz .LBB36_569
; %bb.566:
	v_add_nc_u32_e32 v81, 0x138, v40
	v_add3_u32 v82, 0, v40, 8
	v_mov_b32_e32 v83, v0
	s_mov_b32 s3, 0
.LBB36_567:                             ; =>This Inner Loop Header: Depth=1
	scratch_load_b64 v[84:85], v82, off
	ds_load_b64 v[86:87], v81
	s_wait_xcnt 0x0
	v_dual_add_nc_u32 v81, 8, v81 :: v_dual_add_nc_u32 v82, 8, v82
	s_wait_loadcnt_dscnt 0x0
	v_pk_mul_f32 v[88:89], v[86:87], v[84:85] op_sel:[1,1] op_sel_hi:[0,1]
	s_delay_alu instid0(VALU_DEP_1) | instskip(SKIP_2) | instid1(VALU_DEP_3)
	v_pk_fma_f32 v[90:91], v[86:87], v[84:85], v[88:89] op_sel_hi:[1,0,1]
	v_add_nc_u32_e32 v83, 1, v83
	v_pk_fma_f32 v[84:85], v[86:87], v[84:85], v[88:89] neg_lo:[0,0,1] neg_hi:[0,0,1]
	v_mov_b32_e32 v85, v91
	s_delay_alu instid0(VALU_DEP_3) | instskip(NEXT) | instid1(VALU_DEP_2)
	v_cmp_lt_u32_e32 vcc_lo, 19, v83
	v_pk_add_f32 v[78:79], v[78:79], v[84:85]
	s_or_b32 s3, vcc_lo, s3
	s_delay_alu instid0(SALU_CYCLE_1)
	s_and_not1_b32 exec_lo, exec_lo, s3
	s_cbranch_execnz .LBB36_567
; %bb.568:
	s_or_b32 exec_lo, exec_lo, s3
.LBB36_569:
	s_delay_alu instid0(SALU_CYCLE_1) | instskip(SKIP_4) | instid1(VALU_DEP_1)
	s_or_b32 exec_lo, exec_lo, s2
	v_mov_b32_e32 v81, 0
	ds_load_b64 v[82:83], v81 offset:168
	s_wait_dscnt 0x0
	v_pk_mul_f32 v[84:85], v[78:79], v[82:83] op_sel:[1,1] op_sel_hi:[0,1]
	v_pk_fma_f32 v[86:87], v[78:79], v[82:83], v[84:85] op_sel_hi:[1,0,1]
	v_pk_fma_f32 v[78:79], v[78:79], v[82:83], v[84:85] neg_lo:[0,0,1] neg_hi:[0,0,1]
	s_delay_alu instid0(VALU_DEP_2)
	v_mov_b32_e32 v79, v87
	scratch_store_b64 off, v[78:79], off offset:168
.LBB36_570:
	s_wait_xcnt 0x0
	s_or_b32 exec_lo, exec_lo, s0
	scratch_load_b64 v[78:79], off, off offset:176
	s_mov_b32 s0, exec_lo
	s_wait_loadcnt 0x0
	ds_store_b64 v1, v[78:79]
	s_wait_storecnt_dscnt 0x0
	s_barrier_signal -1
	s_barrier_wait -1
	s_wait_xcnt 0x0
	v_cmpx_gt_u32_e32 22, v0
	s_cbranch_execz .LBB36_580
; %bb.571:
	v_cmp_ne_u32_e32 vcc_lo, 1, v80
	s_cbranch_vccnz .LBB36_573
; %bb.572:
	scratch_load_b64 v[78:79], v41, off
	ds_load_b64 v[82:83], v1
	s_wait_loadcnt_dscnt 0x0
	v_pk_mul_f32 v[84:85], v[82:83], v[78:79] op_sel:[1,1] op_sel_hi:[0,1]
	s_delay_alu instid0(VALU_DEP_1) | instskip(SKIP_1) | instid1(VALU_DEP_2)
	v_pk_fma_f32 v[86:87], v[82:83], v[78:79], v[84:85] op_sel_hi:[1,0,1]
	v_pk_fma_f32 v[78:79], v[82:83], v[78:79], v[84:85] neg_lo:[0,0,1] neg_hi:[0,0,1]
	v_mov_b32_e32 v79, v87
	s_cbranch_execz .LBB36_574
	s_branch .LBB36_575
.LBB36_573:
                                        ; implicit-def: $vgpr78_vgpr79
.LBB36_574:
	ds_load_b64 v[78:79], v1
.LBB36_575:
	s_mov_b32 s2, exec_lo
	v_cmpx_ne_u32_e32 21, v0
	s_cbranch_execz .LBB36_579
; %bb.576:
	v_add_nc_u32_e32 v81, 0x138, v40
	v_add3_u32 v82, 0, v40, 8
	v_mov_b32_e32 v83, v0
	s_mov_b32 s3, 0
.LBB36_577:                             ; =>This Inner Loop Header: Depth=1
	scratch_load_b64 v[84:85], v82, off
	ds_load_b64 v[86:87], v81
	s_wait_xcnt 0x0
	v_dual_add_nc_u32 v81, 8, v81 :: v_dual_add_nc_u32 v82, 8, v82
	s_wait_loadcnt_dscnt 0x0
	v_pk_mul_f32 v[88:89], v[86:87], v[84:85] op_sel:[1,1] op_sel_hi:[0,1]
	s_delay_alu instid0(VALU_DEP_1) | instskip(SKIP_2) | instid1(VALU_DEP_3)
	v_pk_fma_f32 v[90:91], v[86:87], v[84:85], v[88:89] op_sel_hi:[1,0,1]
	v_add_nc_u32_e32 v83, 1, v83
	v_pk_fma_f32 v[84:85], v[86:87], v[84:85], v[88:89] neg_lo:[0,0,1] neg_hi:[0,0,1]
	v_mov_b32_e32 v85, v91
	s_delay_alu instid0(VALU_DEP_3) | instskip(NEXT) | instid1(VALU_DEP_2)
	v_cmp_lt_u32_e32 vcc_lo, 20, v83
	v_pk_add_f32 v[78:79], v[78:79], v[84:85]
	s_or_b32 s3, vcc_lo, s3
	s_delay_alu instid0(SALU_CYCLE_1)
	s_and_not1_b32 exec_lo, exec_lo, s3
	s_cbranch_execnz .LBB36_577
; %bb.578:
	s_or_b32 exec_lo, exec_lo, s3
.LBB36_579:
	s_delay_alu instid0(SALU_CYCLE_1) | instskip(SKIP_4) | instid1(VALU_DEP_1)
	s_or_b32 exec_lo, exec_lo, s2
	v_mov_b32_e32 v81, 0
	ds_load_b64 v[82:83], v81 offset:176
	s_wait_dscnt 0x0
	v_pk_mul_f32 v[84:85], v[78:79], v[82:83] op_sel:[1,1] op_sel_hi:[0,1]
	v_pk_fma_f32 v[86:87], v[78:79], v[82:83], v[84:85] op_sel_hi:[1,0,1]
	v_pk_fma_f32 v[78:79], v[78:79], v[82:83], v[84:85] neg_lo:[0,0,1] neg_hi:[0,0,1]
	s_delay_alu instid0(VALU_DEP_2)
	v_mov_b32_e32 v79, v87
	scratch_store_b64 off, v[78:79], off offset:176
.LBB36_580:
	s_wait_xcnt 0x0
	s_or_b32 exec_lo, exec_lo, s0
	scratch_load_b64 v[78:79], off, off offset:184
	s_mov_b32 s0, exec_lo
	s_wait_loadcnt 0x0
	ds_store_b64 v1, v[78:79]
	s_wait_storecnt_dscnt 0x0
	s_barrier_signal -1
	s_barrier_wait -1
	s_wait_xcnt 0x0
	v_cmpx_gt_u32_e32 23, v0
	s_cbranch_execz .LBB36_590
; %bb.581:
	v_cmp_ne_u32_e32 vcc_lo, 1, v80
	s_cbranch_vccnz .LBB36_583
; %bb.582:
	scratch_load_b64 v[78:79], v41, off
	ds_load_b64 v[82:83], v1
	s_wait_loadcnt_dscnt 0x0
	v_pk_mul_f32 v[84:85], v[82:83], v[78:79] op_sel:[1,1] op_sel_hi:[0,1]
	s_delay_alu instid0(VALU_DEP_1) | instskip(SKIP_1) | instid1(VALU_DEP_2)
	v_pk_fma_f32 v[86:87], v[82:83], v[78:79], v[84:85] op_sel_hi:[1,0,1]
	v_pk_fma_f32 v[78:79], v[82:83], v[78:79], v[84:85] neg_lo:[0,0,1] neg_hi:[0,0,1]
	v_mov_b32_e32 v79, v87
	s_cbranch_execz .LBB36_584
	s_branch .LBB36_585
.LBB36_583:
                                        ; implicit-def: $vgpr78_vgpr79
.LBB36_584:
	ds_load_b64 v[78:79], v1
.LBB36_585:
	s_mov_b32 s2, exec_lo
	v_cmpx_ne_u32_e32 22, v0
	s_cbranch_execz .LBB36_589
; %bb.586:
	v_add_nc_u32_e32 v81, 0x138, v40
	v_add3_u32 v82, 0, v40, 8
	v_mov_b32_e32 v83, v0
	s_mov_b32 s3, 0
.LBB36_587:                             ; =>This Inner Loop Header: Depth=1
	scratch_load_b64 v[84:85], v82, off
	ds_load_b64 v[86:87], v81
	s_wait_xcnt 0x0
	v_dual_add_nc_u32 v81, 8, v81 :: v_dual_add_nc_u32 v82, 8, v82
	s_wait_loadcnt_dscnt 0x0
	v_pk_mul_f32 v[88:89], v[86:87], v[84:85] op_sel:[1,1] op_sel_hi:[0,1]
	s_delay_alu instid0(VALU_DEP_1) | instskip(SKIP_2) | instid1(VALU_DEP_3)
	v_pk_fma_f32 v[90:91], v[86:87], v[84:85], v[88:89] op_sel_hi:[1,0,1]
	v_add_nc_u32_e32 v83, 1, v83
	v_pk_fma_f32 v[84:85], v[86:87], v[84:85], v[88:89] neg_lo:[0,0,1] neg_hi:[0,0,1]
	v_mov_b32_e32 v85, v91
	s_delay_alu instid0(VALU_DEP_3) | instskip(NEXT) | instid1(VALU_DEP_2)
	v_cmp_lt_u32_e32 vcc_lo, 21, v83
	v_pk_add_f32 v[78:79], v[78:79], v[84:85]
	s_or_b32 s3, vcc_lo, s3
	s_delay_alu instid0(SALU_CYCLE_1)
	s_and_not1_b32 exec_lo, exec_lo, s3
	s_cbranch_execnz .LBB36_587
; %bb.588:
	s_or_b32 exec_lo, exec_lo, s3
.LBB36_589:
	s_delay_alu instid0(SALU_CYCLE_1) | instskip(SKIP_4) | instid1(VALU_DEP_1)
	s_or_b32 exec_lo, exec_lo, s2
	v_mov_b32_e32 v81, 0
	ds_load_b64 v[82:83], v81 offset:184
	s_wait_dscnt 0x0
	v_pk_mul_f32 v[84:85], v[78:79], v[82:83] op_sel:[1,1] op_sel_hi:[0,1]
	v_pk_fma_f32 v[86:87], v[78:79], v[82:83], v[84:85] op_sel_hi:[1,0,1]
	v_pk_fma_f32 v[78:79], v[78:79], v[82:83], v[84:85] neg_lo:[0,0,1] neg_hi:[0,0,1]
	s_delay_alu instid0(VALU_DEP_2)
	v_mov_b32_e32 v79, v87
	scratch_store_b64 off, v[78:79], off offset:184
.LBB36_590:
	s_wait_xcnt 0x0
	s_or_b32 exec_lo, exec_lo, s0
	scratch_load_b64 v[78:79], off, off offset:192
	s_mov_b32 s0, exec_lo
	s_wait_loadcnt 0x0
	ds_store_b64 v1, v[78:79]
	s_wait_storecnt_dscnt 0x0
	s_barrier_signal -1
	s_barrier_wait -1
	s_wait_xcnt 0x0
	v_cmpx_gt_u32_e32 24, v0
	s_cbranch_execz .LBB36_600
; %bb.591:
	v_cmp_ne_u32_e32 vcc_lo, 1, v80
	s_cbranch_vccnz .LBB36_593
; %bb.592:
	scratch_load_b64 v[78:79], v41, off
	ds_load_b64 v[82:83], v1
	s_wait_loadcnt_dscnt 0x0
	v_pk_mul_f32 v[84:85], v[82:83], v[78:79] op_sel:[1,1] op_sel_hi:[0,1]
	s_delay_alu instid0(VALU_DEP_1) | instskip(SKIP_1) | instid1(VALU_DEP_2)
	v_pk_fma_f32 v[86:87], v[82:83], v[78:79], v[84:85] op_sel_hi:[1,0,1]
	v_pk_fma_f32 v[78:79], v[82:83], v[78:79], v[84:85] neg_lo:[0,0,1] neg_hi:[0,0,1]
	v_mov_b32_e32 v79, v87
	s_cbranch_execz .LBB36_594
	s_branch .LBB36_595
.LBB36_593:
                                        ; implicit-def: $vgpr78_vgpr79
.LBB36_594:
	ds_load_b64 v[78:79], v1
.LBB36_595:
	s_mov_b32 s2, exec_lo
	v_cmpx_ne_u32_e32 23, v0
	s_cbranch_execz .LBB36_599
; %bb.596:
	v_add_nc_u32_e32 v81, 0x138, v40
	v_add3_u32 v82, 0, v40, 8
	v_mov_b32_e32 v83, v0
	s_mov_b32 s3, 0
.LBB36_597:                             ; =>This Inner Loop Header: Depth=1
	scratch_load_b64 v[84:85], v82, off
	ds_load_b64 v[86:87], v81
	s_wait_xcnt 0x0
	v_dual_add_nc_u32 v81, 8, v81 :: v_dual_add_nc_u32 v82, 8, v82
	s_wait_loadcnt_dscnt 0x0
	v_pk_mul_f32 v[88:89], v[86:87], v[84:85] op_sel:[1,1] op_sel_hi:[0,1]
	s_delay_alu instid0(VALU_DEP_1) | instskip(SKIP_2) | instid1(VALU_DEP_3)
	v_pk_fma_f32 v[90:91], v[86:87], v[84:85], v[88:89] op_sel_hi:[1,0,1]
	v_add_nc_u32_e32 v83, 1, v83
	v_pk_fma_f32 v[84:85], v[86:87], v[84:85], v[88:89] neg_lo:[0,0,1] neg_hi:[0,0,1]
	v_mov_b32_e32 v85, v91
	s_delay_alu instid0(VALU_DEP_3) | instskip(NEXT) | instid1(VALU_DEP_2)
	v_cmp_lt_u32_e32 vcc_lo, 22, v83
	v_pk_add_f32 v[78:79], v[78:79], v[84:85]
	s_or_b32 s3, vcc_lo, s3
	s_delay_alu instid0(SALU_CYCLE_1)
	s_and_not1_b32 exec_lo, exec_lo, s3
	s_cbranch_execnz .LBB36_597
; %bb.598:
	s_or_b32 exec_lo, exec_lo, s3
.LBB36_599:
	s_delay_alu instid0(SALU_CYCLE_1) | instskip(SKIP_4) | instid1(VALU_DEP_1)
	s_or_b32 exec_lo, exec_lo, s2
	v_mov_b32_e32 v81, 0
	ds_load_b64 v[82:83], v81 offset:192
	s_wait_dscnt 0x0
	v_pk_mul_f32 v[84:85], v[78:79], v[82:83] op_sel:[1,1] op_sel_hi:[0,1]
	v_pk_fma_f32 v[86:87], v[78:79], v[82:83], v[84:85] op_sel_hi:[1,0,1]
	v_pk_fma_f32 v[78:79], v[78:79], v[82:83], v[84:85] neg_lo:[0,0,1] neg_hi:[0,0,1]
	s_delay_alu instid0(VALU_DEP_2)
	v_mov_b32_e32 v79, v87
	scratch_store_b64 off, v[78:79], off offset:192
.LBB36_600:
	s_wait_xcnt 0x0
	s_or_b32 exec_lo, exec_lo, s0
	scratch_load_b64 v[78:79], off, off offset:200
	s_mov_b32 s0, exec_lo
	s_wait_loadcnt 0x0
	ds_store_b64 v1, v[78:79]
	s_wait_storecnt_dscnt 0x0
	s_barrier_signal -1
	s_barrier_wait -1
	s_wait_xcnt 0x0
	v_cmpx_gt_u32_e32 25, v0
	s_cbranch_execz .LBB36_610
; %bb.601:
	v_cmp_ne_u32_e32 vcc_lo, 1, v80
	s_cbranch_vccnz .LBB36_603
; %bb.602:
	scratch_load_b64 v[78:79], v41, off
	ds_load_b64 v[82:83], v1
	s_wait_loadcnt_dscnt 0x0
	v_pk_mul_f32 v[84:85], v[82:83], v[78:79] op_sel:[1,1] op_sel_hi:[0,1]
	s_delay_alu instid0(VALU_DEP_1) | instskip(SKIP_1) | instid1(VALU_DEP_2)
	v_pk_fma_f32 v[86:87], v[82:83], v[78:79], v[84:85] op_sel_hi:[1,0,1]
	v_pk_fma_f32 v[78:79], v[82:83], v[78:79], v[84:85] neg_lo:[0,0,1] neg_hi:[0,0,1]
	v_mov_b32_e32 v79, v87
	s_cbranch_execz .LBB36_604
	s_branch .LBB36_605
.LBB36_603:
                                        ; implicit-def: $vgpr78_vgpr79
.LBB36_604:
	ds_load_b64 v[78:79], v1
.LBB36_605:
	s_mov_b32 s2, exec_lo
	v_cmpx_ne_u32_e32 24, v0
	s_cbranch_execz .LBB36_609
; %bb.606:
	v_add_nc_u32_e32 v81, 0x138, v40
	v_add3_u32 v82, 0, v40, 8
	v_mov_b32_e32 v83, v0
	s_mov_b32 s3, 0
.LBB36_607:                             ; =>This Inner Loop Header: Depth=1
	scratch_load_b64 v[84:85], v82, off
	ds_load_b64 v[86:87], v81
	s_wait_xcnt 0x0
	v_dual_add_nc_u32 v81, 8, v81 :: v_dual_add_nc_u32 v82, 8, v82
	s_wait_loadcnt_dscnt 0x0
	v_pk_mul_f32 v[88:89], v[86:87], v[84:85] op_sel:[1,1] op_sel_hi:[0,1]
	s_delay_alu instid0(VALU_DEP_1) | instskip(SKIP_2) | instid1(VALU_DEP_3)
	v_pk_fma_f32 v[90:91], v[86:87], v[84:85], v[88:89] op_sel_hi:[1,0,1]
	v_add_nc_u32_e32 v83, 1, v83
	v_pk_fma_f32 v[84:85], v[86:87], v[84:85], v[88:89] neg_lo:[0,0,1] neg_hi:[0,0,1]
	v_mov_b32_e32 v85, v91
	s_delay_alu instid0(VALU_DEP_3) | instskip(NEXT) | instid1(VALU_DEP_2)
	v_cmp_lt_u32_e32 vcc_lo, 23, v83
	v_pk_add_f32 v[78:79], v[78:79], v[84:85]
	s_or_b32 s3, vcc_lo, s3
	s_delay_alu instid0(SALU_CYCLE_1)
	s_and_not1_b32 exec_lo, exec_lo, s3
	s_cbranch_execnz .LBB36_607
; %bb.608:
	s_or_b32 exec_lo, exec_lo, s3
.LBB36_609:
	s_delay_alu instid0(SALU_CYCLE_1) | instskip(SKIP_4) | instid1(VALU_DEP_1)
	s_or_b32 exec_lo, exec_lo, s2
	v_mov_b32_e32 v81, 0
	ds_load_b64 v[82:83], v81 offset:200
	s_wait_dscnt 0x0
	v_pk_mul_f32 v[84:85], v[78:79], v[82:83] op_sel:[1,1] op_sel_hi:[0,1]
	v_pk_fma_f32 v[86:87], v[78:79], v[82:83], v[84:85] op_sel_hi:[1,0,1]
	v_pk_fma_f32 v[78:79], v[78:79], v[82:83], v[84:85] neg_lo:[0,0,1] neg_hi:[0,0,1]
	s_delay_alu instid0(VALU_DEP_2)
	v_mov_b32_e32 v79, v87
	scratch_store_b64 off, v[78:79], off offset:200
.LBB36_610:
	s_wait_xcnt 0x0
	s_or_b32 exec_lo, exec_lo, s0
	scratch_load_b64 v[78:79], off, off offset:208
	s_mov_b32 s0, exec_lo
	s_wait_loadcnt 0x0
	ds_store_b64 v1, v[78:79]
	s_wait_storecnt_dscnt 0x0
	s_barrier_signal -1
	s_barrier_wait -1
	s_wait_xcnt 0x0
	v_cmpx_gt_u32_e32 26, v0
	s_cbranch_execz .LBB36_620
; %bb.611:
	v_cmp_ne_u32_e32 vcc_lo, 1, v80
	s_cbranch_vccnz .LBB36_613
; %bb.612:
	scratch_load_b64 v[78:79], v41, off
	ds_load_b64 v[82:83], v1
	s_wait_loadcnt_dscnt 0x0
	v_pk_mul_f32 v[84:85], v[82:83], v[78:79] op_sel:[1,1] op_sel_hi:[0,1]
	s_delay_alu instid0(VALU_DEP_1) | instskip(SKIP_1) | instid1(VALU_DEP_2)
	v_pk_fma_f32 v[86:87], v[82:83], v[78:79], v[84:85] op_sel_hi:[1,0,1]
	v_pk_fma_f32 v[78:79], v[82:83], v[78:79], v[84:85] neg_lo:[0,0,1] neg_hi:[0,0,1]
	v_mov_b32_e32 v79, v87
	s_cbranch_execz .LBB36_614
	s_branch .LBB36_615
.LBB36_613:
                                        ; implicit-def: $vgpr78_vgpr79
.LBB36_614:
	ds_load_b64 v[78:79], v1
.LBB36_615:
	s_mov_b32 s2, exec_lo
	v_cmpx_ne_u32_e32 25, v0
	s_cbranch_execz .LBB36_619
; %bb.616:
	v_add_nc_u32_e32 v81, 0x138, v40
	v_add3_u32 v82, 0, v40, 8
	v_mov_b32_e32 v83, v0
	s_mov_b32 s3, 0
.LBB36_617:                             ; =>This Inner Loop Header: Depth=1
	scratch_load_b64 v[84:85], v82, off
	ds_load_b64 v[86:87], v81
	s_wait_xcnt 0x0
	v_dual_add_nc_u32 v81, 8, v81 :: v_dual_add_nc_u32 v82, 8, v82
	s_wait_loadcnt_dscnt 0x0
	v_pk_mul_f32 v[88:89], v[86:87], v[84:85] op_sel:[1,1] op_sel_hi:[0,1]
	s_delay_alu instid0(VALU_DEP_1) | instskip(SKIP_2) | instid1(VALU_DEP_3)
	v_pk_fma_f32 v[90:91], v[86:87], v[84:85], v[88:89] op_sel_hi:[1,0,1]
	v_add_nc_u32_e32 v83, 1, v83
	v_pk_fma_f32 v[84:85], v[86:87], v[84:85], v[88:89] neg_lo:[0,0,1] neg_hi:[0,0,1]
	v_mov_b32_e32 v85, v91
	s_delay_alu instid0(VALU_DEP_3) | instskip(NEXT) | instid1(VALU_DEP_2)
	v_cmp_lt_u32_e32 vcc_lo, 24, v83
	v_pk_add_f32 v[78:79], v[78:79], v[84:85]
	s_or_b32 s3, vcc_lo, s3
	s_delay_alu instid0(SALU_CYCLE_1)
	s_and_not1_b32 exec_lo, exec_lo, s3
	s_cbranch_execnz .LBB36_617
; %bb.618:
	s_or_b32 exec_lo, exec_lo, s3
.LBB36_619:
	s_delay_alu instid0(SALU_CYCLE_1) | instskip(SKIP_4) | instid1(VALU_DEP_1)
	s_or_b32 exec_lo, exec_lo, s2
	v_mov_b32_e32 v81, 0
	ds_load_b64 v[82:83], v81 offset:208
	s_wait_dscnt 0x0
	v_pk_mul_f32 v[84:85], v[78:79], v[82:83] op_sel:[1,1] op_sel_hi:[0,1]
	v_pk_fma_f32 v[86:87], v[78:79], v[82:83], v[84:85] op_sel_hi:[1,0,1]
	v_pk_fma_f32 v[78:79], v[78:79], v[82:83], v[84:85] neg_lo:[0,0,1] neg_hi:[0,0,1]
	s_delay_alu instid0(VALU_DEP_2)
	v_mov_b32_e32 v79, v87
	scratch_store_b64 off, v[78:79], off offset:208
.LBB36_620:
	s_wait_xcnt 0x0
	s_or_b32 exec_lo, exec_lo, s0
	scratch_load_b64 v[78:79], off, off offset:216
	s_mov_b32 s0, exec_lo
	s_wait_loadcnt 0x0
	ds_store_b64 v1, v[78:79]
	s_wait_storecnt_dscnt 0x0
	s_barrier_signal -1
	s_barrier_wait -1
	s_wait_xcnt 0x0
	v_cmpx_gt_u32_e32 27, v0
	s_cbranch_execz .LBB36_630
; %bb.621:
	v_cmp_ne_u32_e32 vcc_lo, 1, v80
	s_cbranch_vccnz .LBB36_623
; %bb.622:
	scratch_load_b64 v[78:79], v41, off
	ds_load_b64 v[82:83], v1
	s_wait_loadcnt_dscnt 0x0
	v_pk_mul_f32 v[84:85], v[82:83], v[78:79] op_sel:[1,1] op_sel_hi:[0,1]
	s_delay_alu instid0(VALU_DEP_1) | instskip(SKIP_1) | instid1(VALU_DEP_2)
	v_pk_fma_f32 v[86:87], v[82:83], v[78:79], v[84:85] op_sel_hi:[1,0,1]
	v_pk_fma_f32 v[78:79], v[82:83], v[78:79], v[84:85] neg_lo:[0,0,1] neg_hi:[0,0,1]
	v_mov_b32_e32 v79, v87
	s_cbranch_execz .LBB36_624
	s_branch .LBB36_625
.LBB36_623:
                                        ; implicit-def: $vgpr78_vgpr79
.LBB36_624:
	ds_load_b64 v[78:79], v1
.LBB36_625:
	s_mov_b32 s2, exec_lo
	v_cmpx_ne_u32_e32 26, v0
	s_cbranch_execz .LBB36_629
; %bb.626:
	v_add_nc_u32_e32 v81, 0x138, v40
	v_add3_u32 v82, 0, v40, 8
	v_mov_b32_e32 v83, v0
	s_mov_b32 s3, 0
.LBB36_627:                             ; =>This Inner Loop Header: Depth=1
	scratch_load_b64 v[84:85], v82, off
	ds_load_b64 v[86:87], v81
	s_wait_xcnt 0x0
	v_dual_add_nc_u32 v81, 8, v81 :: v_dual_add_nc_u32 v82, 8, v82
	s_wait_loadcnt_dscnt 0x0
	v_pk_mul_f32 v[88:89], v[86:87], v[84:85] op_sel:[1,1] op_sel_hi:[0,1]
	s_delay_alu instid0(VALU_DEP_1) | instskip(SKIP_2) | instid1(VALU_DEP_3)
	v_pk_fma_f32 v[90:91], v[86:87], v[84:85], v[88:89] op_sel_hi:[1,0,1]
	v_add_nc_u32_e32 v83, 1, v83
	v_pk_fma_f32 v[84:85], v[86:87], v[84:85], v[88:89] neg_lo:[0,0,1] neg_hi:[0,0,1]
	v_mov_b32_e32 v85, v91
	s_delay_alu instid0(VALU_DEP_3) | instskip(NEXT) | instid1(VALU_DEP_2)
	v_cmp_lt_u32_e32 vcc_lo, 25, v83
	v_pk_add_f32 v[78:79], v[78:79], v[84:85]
	s_or_b32 s3, vcc_lo, s3
	s_delay_alu instid0(SALU_CYCLE_1)
	s_and_not1_b32 exec_lo, exec_lo, s3
	s_cbranch_execnz .LBB36_627
; %bb.628:
	s_or_b32 exec_lo, exec_lo, s3
.LBB36_629:
	s_delay_alu instid0(SALU_CYCLE_1) | instskip(SKIP_4) | instid1(VALU_DEP_1)
	s_or_b32 exec_lo, exec_lo, s2
	v_mov_b32_e32 v81, 0
	ds_load_b64 v[82:83], v81 offset:216
	s_wait_dscnt 0x0
	v_pk_mul_f32 v[84:85], v[78:79], v[82:83] op_sel:[1,1] op_sel_hi:[0,1]
	v_pk_fma_f32 v[86:87], v[78:79], v[82:83], v[84:85] op_sel_hi:[1,0,1]
	v_pk_fma_f32 v[78:79], v[78:79], v[82:83], v[84:85] neg_lo:[0,0,1] neg_hi:[0,0,1]
	s_delay_alu instid0(VALU_DEP_2)
	v_mov_b32_e32 v79, v87
	scratch_store_b64 off, v[78:79], off offset:216
.LBB36_630:
	s_wait_xcnt 0x0
	s_or_b32 exec_lo, exec_lo, s0
	scratch_load_b64 v[78:79], off, off offset:224
	s_mov_b32 s0, exec_lo
	s_wait_loadcnt 0x0
	ds_store_b64 v1, v[78:79]
	s_wait_storecnt_dscnt 0x0
	s_barrier_signal -1
	s_barrier_wait -1
	s_wait_xcnt 0x0
	v_cmpx_gt_u32_e32 28, v0
	s_cbranch_execz .LBB36_640
; %bb.631:
	v_cmp_ne_u32_e32 vcc_lo, 1, v80
	s_cbranch_vccnz .LBB36_633
; %bb.632:
	scratch_load_b64 v[78:79], v41, off
	ds_load_b64 v[82:83], v1
	s_wait_loadcnt_dscnt 0x0
	v_pk_mul_f32 v[84:85], v[82:83], v[78:79] op_sel:[1,1] op_sel_hi:[0,1]
	s_delay_alu instid0(VALU_DEP_1) | instskip(SKIP_1) | instid1(VALU_DEP_2)
	v_pk_fma_f32 v[86:87], v[82:83], v[78:79], v[84:85] op_sel_hi:[1,0,1]
	v_pk_fma_f32 v[78:79], v[82:83], v[78:79], v[84:85] neg_lo:[0,0,1] neg_hi:[0,0,1]
	v_mov_b32_e32 v79, v87
	s_cbranch_execz .LBB36_634
	s_branch .LBB36_635
.LBB36_633:
                                        ; implicit-def: $vgpr78_vgpr79
.LBB36_634:
	ds_load_b64 v[78:79], v1
.LBB36_635:
	s_mov_b32 s2, exec_lo
	v_cmpx_ne_u32_e32 27, v0
	s_cbranch_execz .LBB36_639
; %bb.636:
	v_add_nc_u32_e32 v81, 0x138, v40
	v_add3_u32 v82, 0, v40, 8
	v_mov_b32_e32 v83, v0
	s_mov_b32 s3, 0
.LBB36_637:                             ; =>This Inner Loop Header: Depth=1
	scratch_load_b64 v[84:85], v82, off
	ds_load_b64 v[86:87], v81
	s_wait_xcnt 0x0
	v_dual_add_nc_u32 v81, 8, v81 :: v_dual_add_nc_u32 v82, 8, v82
	s_wait_loadcnt_dscnt 0x0
	v_pk_mul_f32 v[88:89], v[86:87], v[84:85] op_sel:[1,1] op_sel_hi:[0,1]
	s_delay_alu instid0(VALU_DEP_1) | instskip(SKIP_2) | instid1(VALU_DEP_3)
	v_pk_fma_f32 v[90:91], v[86:87], v[84:85], v[88:89] op_sel_hi:[1,0,1]
	v_add_nc_u32_e32 v83, 1, v83
	v_pk_fma_f32 v[84:85], v[86:87], v[84:85], v[88:89] neg_lo:[0,0,1] neg_hi:[0,0,1]
	v_mov_b32_e32 v85, v91
	s_delay_alu instid0(VALU_DEP_3) | instskip(NEXT) | instid1(VALU_DEP_2)
	v_cmp_lt_u32_e32 vcc_lo, 26, v83
	v_pk_add_f32 v[78:79], v[78:79], v[84:85]
	s_or_b32 s3, vcc_lo, s3
	s_delay_alu instid0(SALU_CYCLE_1)
	s_and_not1_b32 exec_lo, exec_lo, s3
	s_cbranch_execnz .LBB36_637
; %bb.638:
	s_or_b32 exec_lo, exec_lo, s3
.LBB36_639:
	s_delay_alu instid0(SALU_CYCLE_1) | instskip(SKIP_4) | instid1(VALU_DEP_1)
	s_or_b32 exec_lo, exec_lo, s2
	v_mov_b32_e32 v81, 0
	ds_load_b64 v[82:83], v81 offset:224
	s_wait_dscnt 0x0
	v_pk_mul_f32 v[84:85], v[78:79], v[82:83] op_sel:[1,1] op_sel_hi:[0,1]
	v_pk_fma_f32 v[86:87], v[78:79], v[82:83], v[84:85] op_sel_hi:[1,0,1]
	v_pk_fma_f32 v[78:79], v[78:79], v[82:83], v[84:85] neg_lo:[0,0,1] neg_hi:[0,0,1]
	s_delay_alu instid0(VALU_DEP_2)
	v_mov_b32_e32 v79, v87
	scratch_store_b64 off, v[78:79], off offset:224
.LBB36_640:
	s_wait_xcnt 0x0
	s_or_b32 exec_lo, exec_lo, s0
	scratch_load_b64 v[78:79], off, off offset:232
	s_mov_b32 s0, exec_lo
	s_wait_loadcnt 0x0
	ds_store_b64 v1, v[78:79]
	s_wait_storecnt_dscnt 0x0
	s_barrier_signal -1
	s_barrier_wait -1
	s_wait_xcnt 0x0
	v_cmpx_gt_u32_e32 29, v0
	s_cbranch_execz .LBB36_650
; %bb.641:
	v_cmp_ne_u32_e32 vcc_lo, 1, v80
	s_cbranch_vccnz .LBB36_643
; %bb.642:
	scratch_load_b64 v[78:79], v41, off
	ds_load_b64 v[82:83], v1
	s_wait_loadcnt_dscnt 0x0
	v_pk_mul_f32 v[84:85], v[82:83], v[78:79] op_sel:[1,1] op_sel_hi:[0,1]
	s_delay_alu instid0(VALU_DEP_1) | instskip(SKIP_1) | instid1(VALU_DEP_2)
	v_pk_fma_f32 v[86:87], v[82:83], v[78:79], v[84:85] op_sel_hi:[1,0,1]
	v_pk_fma_f32 v[78:79], v[82:83], v[78:79], v[84:85] neg_lo:[0,0,1] neg_hi:[0,0,1]
	v_mov_b32_e32 v79, v87
	s_cbranch_execz .LBB36_644
	s_branch .LBB36_645
.LBB36_643:
                                        ; implicit-def: $vgpr78_vgpr79
.LBB36_644:
	ds_load_b64 v[78:79], v1
.LBB36_645:
	s_mov_b32 s2, exec_lo
	v_cmpx_ne_u32_e32 28, v0
	s_cbranch_execz .LBB36_649
; %bb.646:
	v_add_nc_u32_e32 v81, 0x138, v40
	v_add3_u32 v82, 0, v40, 8
	v_mov_b32_e32 v83, v0
	s_mov_b32 s3, 0
.LBB36_647:                             ; =>This Inner Loop Header: Depth=1
	scratch_load_b64 v[84:85], v82, off
	ds_load_b64 v[86:87], v81
	s_wait_xcnt 0x0
	v_dual_add_nc_u32 v81, 8, v81 :: v_dual_add_nc_u32 v82, 8, v82
	s_wait_loadcnt_dscnt 0x0
	v_pk_mul_f32 v[88:89], v[86:87], v[84:85] op_sel:[1,1] op_sel_hi:[0,1]
	s_delay_alu instid0(VALU_DEP_1) | instskip(SKIP_2) | instid1(VALU_DEP_3)
	v_pk_fma_f32 v[90:91], v[86:87], v[84:85], v[88:89] op_sel_hi:[1,0,1]
	v_add_nc_u32_e32 v83, 1, v83
	v_pk_fma_f32 v[84:85], v[86:87], v[84:85], v[88:89] neg_lo:[0,0,1] neg_hi:[0,0,1]
	v_mov_b32_e32 v85, v91
	s_delay_alu instid0(VALU_DEP_3) | instskip(NEXT) | instid1(VALU_DEP_2)
	v_cmp_lt_u32_e32 vcc_lo, 27, v83
	v_pk_add_f32 v[78:79], v[78:79], v[84:85]
	s_or_b32 s3, vcc_lo, s3
	s_delay_alu instid0(SALU_CYCLE_1)
	s_and_not1_b32 exec_lo, exec_lo, s3
	s_cbranch_execnz .LBB36_647
; %bb.648:
	s_or_b32 exec_lo, exec_lo, s3
.LBB36_649:
	s_delay_alu instid0(SALU_CYCLE_1) | instskip(SKIP_4) | instid1(VALU_DEP_1)
	s_or_b32 exec_lo, exec_lo, s2
	v_mov_b32_e32 v81, 0
	ds_load_b64 v[82:83], v81 offset:232
	s_wait_dscnt 0x0
	v_pk_mul_f32 v[84:85], v[78:79], v[82:83] op_sel:[1,1] op_sel_hi:[0,1]
	v_pk_fma_f32 v[86:87], v[78:79], v[82:83], v[84:85] op_sel_hi:[1,0,1]
	v_pk_fma_f32 v[78:79], v[78:79], v[82:83], v[84:85] neg_lo:[0,0,1] neg_hi:[0,0,1]
	s_delay_alu instid0(VALU_DEP_2)
	v_mov_b32_e32 v79, v87
	scratch_store_b64 off, v[78:79], off offset:232
.LBB36_650:
	s_wait_xcnt 0x0
	s_or_b32 exec_lo, exec_lo, s0
	scratch_load_b64 v[78:79], off, off offset:240
	s_mov_b32 s0, exec_lo
	s_wait_loadcnt 0x0
	ds_store_b64 v1, v[78:79]
	s_wait_storecnt_dscnt 0x0
	s_barrier_signal -1
	s_barrier_wait -1
	s_wait_xcnt 0x0
	v_cmpx_gt_u32_e32 30, v0
	s_cbranch_execz .LBB36_660
; %bb.651:
	v_cmp_ne_u32_e32 vcc_lo, 1, v80
	s_cbranch_vccnz .LBB36_653
; %bb.652:
	scratch_load_b64 v[78:79], v41, off
	ds_load_b64 v[82:83], v1
	s_wait_loadcnt_dscnt 0x0
	v_pk_mul_f32 v[84:85], v[82:83], v[78:79] op_sel:[1,1] op_sel_hi:[0,1]
	s_delay_alu instid0(VALU_DEP_1) | instskip(SKIP_1) | instid1(VALU_DEP_2)
	v_pk_fma_f32 v[86:87], v[82:83], v[78:79], v[84:85] op_sel_hi:[1,0,1]
	v_pk_fma_f32 v[78:79], v[82:83], v[78:79], v[84:85] neg_lo:[0,0,1] neg_hi:[0,0,1]
	v_mov_b32_e32 v79, v87
	s_cbranch_execz .LBB36_654
	s_branch .LBB36_655
.LBB36_653:
                                        ; implicit-def: $vgpr78_vgpr79
.LBB36_654:
	ds_load_b64 v[78:79], v1
.LBB36_655:
	s_mov_b32 s2, exec_lo
	v_cmpx_ne_u32_e32 29, v0
	s_cbranch_execz .LBB36_659
; %bb.656:
	v_add_nc_u32_e32 v81, 0x138, v40
	v_add3_u32 v82, 0, v40, 8
	v_mov_b32_e32 v83, v0
	s_mov_b32 s3, 0
.LBB36_657:                             ; =>This Inner Loop Header: Depth=1
	scratch_load_b64 v[84:85], v82, off
	ds_load_b64 v[86:87], v81
	s_wait_xcnt 0x0
	v_dual_add_nc_u32 v81, 8, v81 :: v_dual_add_nc_u32 v82, 8, v82
	s_wait_loadcnt_dscnt 0x0
	v_pk_mul_f32 v[88:89], v[86:87], v[84:85] op_sel:[1,1] op_sel_hi:[0,1]
	s_delay_alu instid0(VALU_DEP_1) | instskip(SKIP_2) | instid1(VALU_DEP_3)
	v_pk_fma_f32 v[90:91], v[86:87], v[84:85], v[88:89] op_sel_hi:[1,0,1]
	v_add_nc_u32_e32 v83, 1, v83
	v_pk_fma_f32 v[84:85], v[86:87], v[84:85], v[88:89] neg_lo:[0,0,1] neg_hi:[0,0,1]
	v_mov_b32_e32 v85, v91
	s_delay_alu instid0(VALU_DEP_3) | instskip(NEXT) | instid1(VALU_DEP_2)
	v_cmp_lt_u32_e32 vcc_lo, 28, v83
	v_pk_add_f32 v[78:79], v[78:79], v[84:85]
	s_or_b32 s3, vcc_lo, s3
	s_delay_alu instid0(SALU_CYCLE_1)
	s_and_not1_b32 exec_lo, exec_lo, s3
	s_cbranch_execnz .LBB36_657
; %bb.658:
	s_or_b32 exec_lo, exec_lo, s3
.LBB36_659:
	s_delay_alu instid0(SALU_CYCLE_1) | instskip(SKIP_4) | instid1(VALU_DEP_1)
	s_or_b32 exec_lo, exec_lo, s2
	v_mov_b32_e32 v81, 0
	ds_load_b64 v[82:83], v81 offset:240
	s_wait_dscnt 0x0
	v_pk_mul_f32 v[84:85], v[78:79], v[82:83] op_sel:[1,1] op_sel_hi:[0,1]
	v_pk_fma_f32 v[86:87], v[78:79], v[82:83], v[84:85] op_sel_hi:[1,0,1]
	v_pk_fma_f32 v[78:79], v[78:79], v[82:83], v[84:85] neg_lo:[0,0,1] neg_hi:[0,0,1]
	s_delay_alu instid0(VALU_DEP_2)
	v_mov_b32_e32 v79, v87
	scratch_store_b64 off, v[78:79], off offset:240
.LBB36_660:
	s_wait_xcnt 0x0
	s_or_b32 exec_lo, exec_lo, s0
	scratch_load_b64 v[78:79], off, off offset:248
	s_mov_b32 s0, exec_lo
	s_wait_loadcnt 0x0
	ds_store_b64 v1, v[78:79]
	s_wait_storecnt_dscnt 0x0
	s_barrier_signal -1
	s_barrier_wait -1
	s_wait_xcnt 0x0
	v_cmpx_gt_u32_e32 31, v0
	s_cbranch_execz .LBB36_670
; %bb.661:
	v_cmp_ne_u32_e32 vcc_lo, 1, v80
	s_cbranch_vccnz .LBB36_663
; %bb.662:
	scratch_load_b64 v[78:79], v41, off
	ds_load_b64 v[82:83], v1
	s_wait_loadcnt_dscnt 0x0
	v_pk_mul_f32 v[84:85], v[82:83], v[78:79] op_sel:[1,1] op_sel_hi:[0,1]
	s_delay_alu instid0(VALU_DEP_1) | instskip(SKIP_1) | instid1(VALU_DEP_2)
	v_pk_fma_f32 v[86:87], v[82:83], v[78:79], v[84:85] op_sel_hi:[1,0,1]
	v_pk_fma_f32 v[78:79], v[82:83], v[78:79], v[84:85] neg_lo:[0,0,1] neg_hi:[0,0,1]
	v_mov_b32_e32 v79, v87
	s_cbranch_execz .LBB36_664
	s_branch .LBB36_665
.LBB36_663:
                                        ; implicit-def: $vgpr78_vgpr79
.LBB36_664:
	ds_load_b64 v[78:79], v1
.LBB36_665:
	s_mov_b32 s2, exec_lo
	v_cmpx_ne_u32_e32 30, v0
	s_cbranch_execz .LBB36_669
; %bb.666:
	v_add_nc_u32_e32 v81, 0x138, v40
	v_add3_u32 v82, 0, v40, 8
	v_mov_b32_e32 v83, v0
	s_mov_b32 s3, 0
.LBB36_667:                             ; =>This Inner Loop Header: Depth=1
	scratch_load_b64 v[84:85], v82, off
	ds_load_b64 v[86:87], v81
	s_wait_xcnt 0x0
	v_dual_add_nc_u32 v81, 8, v81 :: v_dual_add_nc_u32 v82, 8, v82
	s_wait_loadcnt_dscnt 0x0
	v_pk_mul_f32 v[88:89], v[86:87], v[84:85] op_sel:[1,1] op_sel_hi:[0,1]
	s_delay_alu instid0(VALU_DEP_1) | instskip(SKIP_2) | instid1(VALU_DEP_3)
	v_pk_fma_f32 v[90:91], v[86:87], v[84:85], v[88:89] op_sel_hi:[1,0,1]
	v_add_nc_u32_e32 v83, 1, v83
	v_pk_fma_f32 v[84:85], v[86:87], v[84:85], v[88:89] neg_lo:[0,0,1] neg_hi:[0,0,1]
	v_mov_b32_e32 v85, v91
	s_delay_alu instid0(VALU_DEP_3) | instskip(NEXT) | instid1(VALU_DEP_2)
	v_cmp_lt_u32_e32 vcc_lo, 29, v83
	v_pk_add_f32 v[78:79], v[78:79], v[84:85]
	s_or_b32 s3, vcc_lo, s3
	s_delay_alu instid0(SALU_CYCLE_1)
	s_and_not1_b32 exec_lo, exec_lo, s3
	s_cbranch_execnz .LBB36_667
; %bb.668:
	s_or_b32 exec_lo, exec_lo, s3
.LBB36_669:
	s_delay_alu instid0(SALU_CYCLE_1) | instskip(SKIP_4) | instid1(VALU_DEP_1)
	s_or_b32 exec_lo, exec_lo, s2
	v_mov_b32_e32 v81, 0
	ds_load_b64 v[82:83], v81 offset:248
	s_wait_dscnt 0x0
	v_pk_mul_f32 v[84:85], v[78:79], v[82:83] op_sel:[1,1] op_sel_hi:[0,1]
	v_pk_fma_f32 v[86:87], v[78:79], v[82:83], v[84:85] op_sel_hi:[1,0,1]
	v_pk_fma_f32 v[78:79], v[78:79], v[82:83], v[84:85] neg_lo:[0,0,1] neg_hi:[0,0,1]
	s_delay_alu instid0(VALU_DEP_2)
	v_mov_b32_e32 v79, v87
	scratch_store_b64 off, v[78:79], off offset:248
.LBB36_670:
	s_wait_xcnt 0x0
	s_or_b32 exec_lo, exec_lo, s0
	scratch_load_b64 v[78:79], off, off offset:256
	s_mov_b32 s0, exec_lo
	s_wait_loadcnt 0x0
	ds_store_b64 v1, v[78:79]
	s_wait_storecnt_dscnt 0x0
	s_barrier_signal -1
	s_barrier_wait -1
	s_wait_xcnt 0x0
	v_cmpx_gt_u32_e32 32, v0
	s_cbranch_execz .LBB36_680
; %bb.671:
	v_cmp_ne_u32_e32 vcc_lo, 1, v80
	s_cbranch_vccnz .LBB36_673
; %bb.672:
	scratch_load_b64 v[78:79], v41, off
	ds_load_b64 v[82:83], v1
	s_wait_loadcnt_dscnt 0x0
	v_pk_mul_f32 v[84:85], v[82:83], v[78:79] op_sel:[1,1] op_sel_hi:[0,1]
	s_delay_alu instid0(VALU_DEP_1) | instskip(SKIP_1) | instid1(VALU_DEP_2)
	v_pk_fma_f32 v[86:87], v[82:83], v[78:79], v[84:85] op_sel_hi:[1,0,1]
	v_pk_fma_f32 v[78:79], v[82:83], v[78:79], v[84:85] neg_lo:[0,0,1] neg_hi:[0,0,1]
	v_mov_b32_e32 v79, v87
	s_cbranch_execz .LBB36_674
	s_branch .LBB36_675
.LBB36_673:
                                        ; implicit-def: $vgpr78_vgpr79
.LBB36_674:
	ds_load_b64 v[78:79], v1
.LBB36_675:
	s_mov_b32 s2, exec_lo
	v_cmpx_ne_u32_e32 31, v0
	s_cbranch_execz .LBB36_679
; %bb.676:
	v_add_nc_u32_e32 v81, 0x138, v40
	v_add3_u32 v82, 0, v40, 8
	v_mov_b32_e32 v83, v0
	s_mov_b32 s3, 0
.LBB36_677:                             ; =>This Inner Loop Header: Depth=1
	scratch_load_b64 v[84:85], v82, off
	ds_load_b64 v[86:87], v81
	s_wait_xcnt 0x0
	v_dual_add_nc_u32 v81, 8, v81 :: v_dual_add_nc_u32 v82, 8, v82
	s_wait_loadcnt_dscnt 0x0
	v_pk_mul_f32 v[88:89], v[86:87], v[84:85] op_sel:[1,1] op_sel_hi:[0,1]
	s_delay_alu instid0(VALU_DEP_1) | instskip(SKIP_2) | instid1(VALU_DEP_3)
	v_pk_fma_f32 v[90:91], v[86:87], v[84:85], v[88:89] op_sel_hi:[1,0,1]
	v_add_nc_u32_e32 v83, 1, v83
	v_pk_fma_f32 v[84:85], v[86:87], v[84:85], v[88:89] neg_lo:[0,0,1] neg_hi:[0,0,1]
	v_mov_b32_e32 v85, v91
	s_delay_alu instid0(VALU_DEP_3) | instskip(NEXT) | instid1(VALU_DEP_2)
	v_cmp_lt_u32_e32 vcc_lo, 30, v83
	v_pk_add_f32 v[78:79], v[78:79], v[84:85]
	s_or_b32 s3, vcc_lo, s3
	s_delay_alu instid0(SALU_CYCLE_1)
	s_and_not1_b32 exec_lo, exec_lo, s3
	s_cbranch_execnz .LBB36_677
; %bb.678:
	s_or_b32 exec_lo, exec_lo, s3
.LBB36_679:
	s_delay_alu instid0(SALU_CYCLE_1) | instskip(SKIP_4) | instid1(VALU_DEP_1)
	s_or_b32 exec_lo, exec_lo, s2
	v_mov_b32_e32 v81, 0
	ds_load_b64 v[82:83], v81 offset:256
	s_wait_dscnt 0x0
	v_pk_mul_f32 v[84:85], v[78:79], v[82:83] op_sel:[1,1] op_sel_hi:[0,1]
	v_pk_fma_f32 v[86:87], v[78:79], v[82:83], v[84:85] op_sel_hi:[1,0,1]
	v_pk_fma_f32 v[78:79], v[78:79], v[82:83], v[84:85] neg_lo:[0,0,1] neg_hi:[0,0,1]
	s_delay_alu instid0(VALU_DEP_2)
	v_mov_b32_e32 v79, v87
	scratch_store_b64 off, v[78:79], off offset:256
.LBB36_680:
	s_wait_xcnt 0x0
	s_or_b32 exec_lo, exec_lo, s0
	scratch_load_b64 v[78:79], off, off offset:264
	s_mov_b32 s0, exec_lo
	s_wait_loadcnt 0x0
	ds_store_b64 v1, v[78:79]
	s_wait_storecnt_dscnt 0x0
	s_barrier_signal -1
	s_barrier_wait -1
	s_wait_xcnt 0x0
	v_cmpx_gt_u32_e32 33, v0
	s_cbranch_execz .LBB36_690
; %bb.681:
	v_cmp_ne_u32_e32 vcc_lo, 1, v80
	s_cbranch_vccnz .LBB36_683
; %bb.682:
	scratch_load_b64 v[78:79], v41, off
	ds_load_b64 v[82:83], v1
	s_wait_loadcnt_dscnt 0x0
	v_pk_mul_f32 v[84:85], v[82:83], v[78:79] op_sel:[1,1] op_sel_hi:[0,1]
	s_delay_alu instid0(VALU_DEP_1) | instskip(SKIP_1) | instid1(VALU_DEP_2)
	v_pk_fma_f32 v[86:87], v[82:83], v[78:79], v[84:85] op_sel_hi:[1,0,1]
	v_pk_fma_f32 v[78:79], v[82:83], v[78:79], v[84:85] neg_lo:[0,0,1] neg_hi:[0,0,1]
	v_mov_b32_e32 v79, v87
	s_cbranch_execz .LBB36_684
	s_branch .LBB36_685
.LBB36_683:
                                        ; implicit-def: $vgpr78_vgpr79
.LBB36_684:
	ds_load_b64 v[78:79], v1
.LBB36_685:
	s_mov_b32 s2, exec_lo
	v_cmpx_ne_u32_e32 32, v0
	s_cbranch_execz .LBB36_689
; %bb.686:
	v_add_nc_u32_e32 v81, 0x138, v40
	v_add3_u32 v82, 0, v40, 8
	v_mov_b32_e32 v83, v0
	s_mov_b32 s3, 0
.LBB36_687:                             ; =>This Inner Loop Header: Depth=1
	scratch_load_b64 v[84:85], v82, off
	ds_load_b64 v[86:87], v81
	s_wait_xcnt 0x0
	v_dual_add_nc_u32 v81, 8, v81 :: v_dual_add_nc_u32 v82, 8, v82
	s_wait_loadcnt_dscnt 0x0
	v_pk_mul_f32 v[88:89], v[86:87], v[84:85] op_sel:[1,1] op_sel_hi:[0,1]
	s_delay_alu instid0(VALU_DEP_1) | instskip(SKIP_2) | instid1(VALU_DEP_3)
	v_pk_fma_f32 v[90:91], v[86:87], v[84:85], v[88:89] op_sel_hi:[1,0,1]
	v_add_nc_u32_e32 v83, 1, v83
	v_pk_fma_f32 v[84:85], v[86:87], v[84:85], v[88:89] neg_lo:[0,0,1] neg_hi:[0,0,1]
	v_mov_b32_e32 v85, v91
	s_delay_alu instid0(VALU_DEP_3) | instskip(NEXT) | instid1(VALU_DEP_2)
	v_cmp_lt_u32_e32 vcc_lo, 31, v83
	v_pk_add_f32 v[78:79], v[78:79], v[84:85]
	s_or_b32 s3, vcc_lo, s3
	s_delay_alu instid0(SALU_CYCLE_1)
	s_and_not1_b32 exec_lo, exec_lo, s3
	s_cbranch_execnz .LBB36_687
; %bb.688:
	s_or_b32 exec_lo, exec_lo, s3
.LBB36_689:
	s_delay_alu instid0(SALU_CYCLE_1) | instskip(SKIP_4) | instid1(VALU_DEP_1)
	s_or_b32 exec_lo, exec_lo, s2
	v_mov_b32_e32 v81, 0
	ds_load_b64 v[82:83], v81 offset:264
	s_wait_dscnt 0x0
	v_pk_mul_f32 v[84:85], v[78:79], v[82:83] op_sel:[1,1] op_sel_hi:[0,1]
	v_pk_fma_f32 v[86:87], v[78:79], v[82:83], v[84:85] op_sel_hi:[1,0,1]
	v_pk_fma_f32 v[78:79], v[78:79], v[82:83], v[84:85] neg_lo:[0,0,1] neg_hi:[0,0,1]
	s_delay_alu instid0(VALU_DEP_2)
	v_mov_b32_e32 v79, v87
	scratch_store_b64 off, v[78:79], off offset:264
.LBB36_690:
	s_wait_xcnt 0x0
	s_or_b32 exec_lo, exec_lo, s0
	scratch_load_b64 v[78:79], off, off offset:272
	s_mov_b32 s0, exec_lo
	s_wait_loadcnt 0x0
	ds_store_b64 v1, v[78:79]
	s_wait_storecnt_dscnt 0x0
	s_barrier_signal -1
	s_barrier_wait -1
	s_wait_xcnt 0x0
	v_cmpx_gt_u32_e32 34, v0
	s_cbranch_execz .LBB36_700
; %bb.691:
	v_cmp_ne_u32_e32 vcc_lo, 1, v80
	s_cbranch_vccnz .LBB36_693
; %bb.692:
	scratch_load_b64 v[78:79], v41, off
	ds_load_b64 v[82:83], v1
	s_wait_loadcnt_dscnt 0x0
	v_pk_mul_f32 v[84:85], v[82:83], v[78:79] op_sel:[1,1] op_sel_hi:[0,1]
	s_delay_alu instid0(VALU_DEP_1) | instskip(SKIP_1) | instid1(VALU_DEP_2)
	v_pk_fma_f32 v[86:87], v[82:83], v[78:79], v[84:85] op_sel_hi:[1,0,1]
	v_pk_fma_f32 v[78:79], v[82:83], v[78:79], v[84:85] neg_lo:[0,0,1] neg_hi:[0,0,1]
	v_mov_b32_e32 v79, v87
	s_cbranch_execz .LBB36_694
	s_branch .LBB36_695
.LBB36_693:
                                        ; implicit-def: $vgpr78_vgpr79
.LBB36_694:
	ds_load_b64 v[78:79], v1
.LBB36_695:
	s_mov_b32 s2, exec_lo
	v_cmpx_ne_u32_e32 33, v0
	s_cbranch_execz .LBB36_699
; %bb.696:
	v_add_nc_u32_e32 v81, 0x138, v40
	v_add3_u32 v82, 0, v40, 8
	v_mov_b32_e32 v83, v0
	s_mov_b32 s3, 0
.LBB36_697:                             ; =>This Inner Loop Header: Depth=1
	scratch_load_b64 v[84:85], v82, off
	ds_load_b64 v[86:87], v81
	s_wait_xcnt 0x0
	v_dual_add_nc_u32 v81, 8, v81 :: v_dual_add_nc_u32 v82, 8, v82
	s_wait_loadcnt_dscnt 0x0
	v_pk_mul_f32 v[88:89], v[86:87], v[84:85] op_sel:[1,1] op_sel_hi:[0,1]
	s_delay_alu instid0(VALU_DEP_1) | instskip(SKIP_2) | instid1(VALU_DEP_3)
	v_pk_fma_f32 v[90:91], v[86:87], v[84:85], v[88:89] op_sel_hi:[1,0,1]
	v_add_nc_u32_e32 v83, 1, v83
	v_pk_fma_f32 v[84:85], v[86:87], v[84:85], v[88:89] neg_lo:[0,0,1] neg_hi:[0,0,1]
	v_mov_b32_e32 v85, v91
	s_delay_alu instid0(VALU_DEP_3) | instskip(NEXT) | instid1(VALU_DEP_2)
	v_cmp_lt_u32_e32 vcc_lo, 32, v83
	v_pk_add_f32 v[78:79], v[78:79], v[84:85]
	s_or_b32 s3, vcc_lo, s3
	s_delay_alu instid0(SALU_CYCLE_1)
	s_and_not1_b32 exec_lo, exec_lo, s3
	s_cbranch_execnz .LBB36_697
; %bb.698:
	s_or_b32 exec_lo, exec_lo, s3
.LBB36_699:
	s_delay_alu instid0(SALU_CYCLE_1) | instskip(SKIP_4) | instid1(VALU_DEP_1)
	s_or_b32 exec_lo, exec_lo, s2
	v_mov_b32_e32 v81, 0
	ds_load_b64 v[82:83], v81 offset:272
	s_wait_dscnt 0x0
	v_pk_mul_f32 v[84:85], v[78:79], v[82:83] op_sel:[1,1] op_sel_hi:[0,1]
	v_pk_fma_f32 v[86:87], v[78:79], v[82:83], v[84:85] op_sel_hi:[1,0,1]
	v_pk_fma_f32 v[78:79], v[78:79], v[82:83], v[84:85] neg_lo:[0,0,1] neg_hi:[0,0,1]
	s_delay_alu instid0(VALU_DEP_2)
	v_mov_b32_e32 v79, v87
	scratch_store_b64 off, v[78:79], off offset:272
.LBB36_700:
	s_wait_xcnt 0x0
	s_or_b32 exec_lo, exec_lo, s0
	scratch_load_b64 v[78:79], off, off offset:280
	v_cmp_gt_u32_e64 s0, 35, v0
	s_wait_loadcnt 0x0
	ds_store_b64 v1, v[78:79]
	s_wait_storecnt_dscnt 0x0
	s_barrier_signal -1
	s_barrier_wait -1
	s_wait_xcnt 0x0
	s_and_saveexec_b32 s2, s0
	s_cbranch_execz .LBB36_710
; %bb.701:
	v_cmp_ne_u32_e32 vcc_lo, 1, v80
	s_cbranch_vccnz .LBB36_703
; %bb.702:
	scratch_load_b64 v[78:79], v41, off
	ds_load_b64 v[82:83], v1
	s_wait_loadcnt_dscnt 0x0
	v_pk_mul_f32 v[84:85], v[82:83], v[78:79] op_sel:[1,1] op_sel_hi:[0,1]
	s_delay_alu instid0(VALU_DEP_1) | instskip(SKIP_1) | instid1(VALU_DEP_2)
	v_pk_fma_f32 v[86:87], v[82:83], v[78:79], v[84:85] op_sel_hi:[1,0,1]
	v_pk_fma_f32 v[78:79], v[82:83], v[78:79], v[84:85] neg_lo:[0,0,1] neg_hi:[0,0,1]
	v_mov_b32_e32 v79, v87
	s_cbranch_execz .LBB36_704
	s_branch .LBB36_705
.LBB36_703:
                                        ; implicit-def: $vgpr78_vgpr79
.LBB36_704:
	ds_load_b64 v[78:79], v1
.LBB36_705:
	s_mov_b32 s3, exec_lo
	v_cmpx_ne_u32_e32 34, v0
	s_cbranch_execz .LBB36_709
; %bb.706:
	v_add_nc_u32_e32 v81, 0x138, v40
	v_add3_u32 v82, 0, v40, 8
	v_mov_b32_e32 v83, v0
	s_mov_b32 s4, 0
.LBB36_707:                             ; =>This Inner Loop Header: Depth=1
	scratch_load_b64 v[84:85], v82, off
	ds_load_b64 v[86:87], v81
	s_wait_xcnt 0x0
	v_dual_add_nc_u32 v81, 8, v81 :: v_dual_add_nc_u32 v82, 8, v82
	s_wait_loadcnt_dscnt 0x0
	v_pk_mul_f32 v[88:89], v[86:87], v[84:85] op_sel:[1,1] op_sel_hi:[0,1]
	s_delay_alu instid0(VALU_DEP_1) | instskip(SKIP_2) | instid1(VALU_DEP_3)
	v_pk_fma_f32 v[90:91], v[86:87], v[84:85], v[88:89] op_sel_hi:[1,0,1]
	v_add_nc_u32_e32 v83, 1, v83
	v_pk_fma_f32 v[84:85], v[86:87], v[84:85], v[88:89] neg_lo:[0,0,1] neg_hi:[0,0,1]
	v_mov_b32_e32 v85, v91
	s_delay_alu instid0(VALU_DEP_3) | instskip(NEXT) | instid1(VALU_DEP_2)
	v_cmp_lt_u32_e32 vcc_lo, 33, v83
	v_pk_add_f32 v[78:79], v[78:79], v[84:85]
	s_or_b32 s4, vcc_lo, s4
	s_delay_alu instid0(SALU_CYCLE_1)
	s_and_not1_b32 exec_lo, exec_lo, s4
	s_cbranch_execnz .LBB36_707
; %bb.708:
	s_or_b32 exec_lo, exec_lo, s4
.LBB36_709:
	s_delay_alu instid0(SALU_CYCLE_1) | instskip(SKIP_4) | instid1(VALU_DEP_1)
	s_or_b32 exec_lo, exec_lo, s3
	v_mov_b32_e32 v81, 0
	ds_load_b64 v[82:83], v81 offset:280
	s_wait_dscnt 0x0
	v_pk_mul_f32 v[84:85], v[78:79], v[82:83] op_sel:[1,1] op_sel_hi:[0,1]
	v_pk_fma_f32 v[86:87], v[78:79], v[82:83], v[84:85] op_sel_hi:[1,0,1]
	v_pk_fma_f32 v[78:79], v[78:79], v[82:83], v[84:85] neg_lo:[0,0,1] neg_hi:[0,0,1]
	s_delay_alu instid0(VALU_DEP_2)
	v_mov_b32_e32 v79, v87
	scratch_store_b64 off, v[78:79], off offset:280
.LBB36_710:
	s_wait_xcnt 0x0
	s_or_b32 exec_lo, exec_lo, s2
	scratch_load_b64 v[78:79], off, off offset:288
	s_mov_b32 s2, exec_lo
                                        ; implicit-def: $vgpr102
                                        ; implicit-def: $sgpr4
	s_wait_loadcnt 0x0
	ds_store_b64 v1, v[78:79]
	s_wait_storecnt_dscnt 0x0
	s_barrier_signal -1
	s_barrier_wait -1
	s_wait_xcnt 0x0
	v_cmpx_ne_u32_e32 36, v0
	s_cbranch_execz .LBB36_720
; %bb.711:
	v_cmp_ne_u32_e32 vcc_lo, 1, v80
	s_cbranch_vccnz .LBB36_713
; %bb.712:
	scratch_load_b64 v[80:81], v41, off
	ds_load_b64 v[82:83], v1
	s_wait_loadcnt_dscnt 0x0
	v_dual_mul_f32 v41, v83, v81 :: v_dual_mul_f32 v79, v82, v81
	s_delay_alu instid0(VALU_DEP_1)
	v_dual_fma_f32 v78, v82, v80, -v41 :: v_dual_fmac_f32 v79, v83, v80
	s_cbranch_execz .LBB36_714
	s_branch .LBB36_715
.LBB36_713:
                                        ; implicit-def: $vgpr79
.LBB36_714:
	ds_load_b64 v[78:79], v1
.LBB36_715:
	s_and_saveexec_b32 s3, s0
	s_cbranch_execz .LBB36_719
; %bb.716:
	v_add_nc_u32_e32 v1, 0x138, v40
	v_add3_u32 v40, 0, v40, 8
	s_mov_b32 s0, 0
.LBB36_717:                             ; =>This Inner Loop Header: Depth=1
	scratch_load_b64 v[80:81], v40, off
	ds_load_b64 v[82:83], v1
	v_dual_add_nc_u32 v0, 1, v0 :: v_dual_add_nc_u32 v1, 8, v1
	s_wait_xcnt 0x0
	v_add_nc_u32_e32 v40, 8, v40
	s_delay_alu instid0(VALU_DEP_2) | instskip(SKIP_3) | instid1(VALU_DEP_1)
	v_cmp_lt_u32_e32 vcc_lo, 34, v0
	s_or_b32 s0, vcc_lo, s0
	s_wait_loadcnt_dscnt 0x0
	v_dual_mul_f32 v41, v83, v81 :: v_dual_mul_f32 v81, v82, v81
	v_fmac_f32_e32 v81, v83, v80
	s_delay_alu instid0(VALU_DEP_1) | instskip(NEXT) | instid1(VALU_DEP_1)
	v_dual_fma_f32 v41, v82, v80, -v41 :: v_dual_add_f32 v79, v79, v81
	v_add_f32_e32 v78, v78, v41
	s_and_not1_b32 exec_lo, exec_lo, s0
	s_cbranch_execnz .LBB36_717
; %bb.718:
	s_or_b32 exec_lo, exec_lo, s0
.LBB36_719:
	s_delay_alu instid0(SALU_CYCLE_1)
	s_or_b32 exec_lo, exec_lo, s3
	v_mov_b32_e32 v0, 0
	s_movk_i32 s4, 0x124
	s_or_b32 s1, s1, exec_lo
	ds_load_b64 v[0:1], v0 offset:288
	s_wait_dscnt 0x0
	v_dual_mul_f32 v40, v79, v1 :: v_dual_mul_f32 v102, v78, v1
	s_delay_alu instid0(VALU_DEP_1)
	v_dual_fma_f32 v1, v78, v0, -v40 :: v_dual_fmac_f32 v102, v79, v0
	scratch_store_b32 off, v1, off offset:288
.LBB36_720:
	s_wait_xcnt 0x0
	s_or_b32 exec_lo, exec_lo, s2
.LBB36_721:
	v_lshl_add_u64 v[100:101], v[4:5], 3, s[6:7]
	v_lshl_add_u64 v[98:99], v[6:7], 3, s[6:7]
	;; [unrolled: 1-line block ×35, first 2 shown]
	s_and_saveexec_b32 s0, s1
	s_cbranch_execz .LBB36_723
; %bb.722:
	scratch_store_b32 off, v102, s4
.LBB36_723:
	s_wait_xcnt 0x0
	s_or_b32 exec_lo, exec_lo, s0
	s_clause 0x6
	scratch_load_b128 v[50:53], off, off
	scratch_load_b128 v[54:57], off, off offset:16
	scratch_load_b128 v[58:61], off, off offset:32
	;; [unrolled: 1-line block ×6, first 2 shown]
	s_wait_loadcnt 0x6
	s_clause 0x1
	global_store_b64 v[2:3], v[50:51], off
	global_store_b64 v[8:9], v[52:53], off
	scratch_load_b128 v[50:53], off, off offset:80
	s_wait_loadcnt 0x6
	s_clause 0x1
	global_store_b64 v[100:101], v[54:55], off
	global_store_b64 v[98:99], v[56:57], off
	scratch_load_b128 v[54:57], off, off offset:112
	s_wait_loadcnt 0x6
	s_clause 0x1
	global_store_b64 v[96:97], v[58:59], off
	global_store_b64 v[94:95], v[60:61], off
	s_wait_loadcnt 0x5
	s_clause 0x1
	global_store_b64 v[92:93], v[62:63], off
	global_store_b64 v[90:91], v[64:65], off
	;; [unrolled: 4-line block ×3, first 2 shown]
	s_clause 0x4
	scratch_load_b128 v[58:61], off, off offset:144
	scratch_load_b128 v[92:95], off, off offset:160
	;; [unrolled: 1-line block ×5, first 2 shown]
	s_wait_loadcnt 0x6
	s_clause 0x3
	global_store_b64 v[84:85], v[50:51], off
	global_store_b64 v[82:83], v[52:53], off
	;; [unrolled: 1-line block ×4, first 2 shown]
	s_clause 0x4
	scratch_load_b128 v[84:87], off, off offset:224
	scratch_load_b128 v[50:53], off, off offset:240
	;; [unrolled: 1-line block ×4, first 2 shown]
	scratch_load_b64 v[2:3], off, off offset:288
	s_wait_loadcnt 0xa
	s_clause 0x3
	global_store_b64 v[0:1], v[54:55], off
	global_store_b64 v[4:5], v[56:57], off
	;; [unrolled: 1-line block ×4, first 2 shown]
	s_wait_loadcnt 0x9
	s_clause 0x1
	global_store_b64 v[12:13], v[58:59], off
	global_store_b64 v[14:15], v[60:61], off
	s_wait_loadcnt 0x8
	s_clause 0x1
	global_store_b64 v[16:17], v[92:93], off
	global_store_b64 v[18:19], v[94:95], off
	s_wait_loadcnt 0x7
	s_clause 0x1
	global_store_b64 v[20:21], v[62:63], off
	global_store_b64 v[22:23], v[64:65], off
	s_wait_loadcnt 0x6
	s_clause 0x1
	global_store_b64 v[24:25], v[88:89], off
	global_store_b64 v[26:27], v[90:91], off
	s_wait_loadcnt 0x5
	s_clause 0x1
	global_store_b64 v[28:29], v[66:67], off
	global_store_b64 v[30:31], v[68:69], off
	s_wait_loadcnt 0x4
	s_clause 0x1
	global_store_b64 v[32:33], v[84:85], off
	global_store_b64 v[34:35], v[86:87], off
	s_wait_loadcnt 0x3
	s_clause 0x1
	global_store_b64 v[36:37], v[50:51], off
	global_store_b64 v[38:39], v[52:53], off
	s_wait_loadcnt 0x2
	s_clause 0x1
	global_store_b64 v[40:41], v[80:81], off
	global_store_b64 v[42:43], v[82:83], off
	s_wait_loadcnt 0x1
	s_clause 0x1
	global_store_b64 v[44:45], v[70:71], off
	global_store_b64 v[46:47], v[72:73], off
	s_wait_loadcnt 0x0
	global_store_b64 v[48:49], v[2:3], off
.LBB36_724:
	s_sendmsg sendmsg(MSG_DEALLOC_VGPRS)
	s_endpgm
	.section	.rodata,"a",@progbits
	.p2align	6, 0x0
	.amdhsa_kernel _ZN9rocsolver6v33100L18trti2_kernel_smallILi37E19rocblas_complex_numIfEPS3_EEv13rocblas_fill_17rocblas_diagonal_T1_iil
		.amdhsa_group_segment_fixed_size 600
		.amdhsa_private_segment_fixed_size 304
		.amdhsa_kernarg_size 32
		.amdhsa_user_sgpr_count 2
		.amdhsa_user_sgpr_dispatch_ptr 0
		.amdhsa_user_sgpr_queue_ptr 0
		.amdhsa_user_sgpr_kernarg_segment_ptr 1
		.amdhsa_user_sgpr_dispatch_id 0
		.amdhsa_user_sgpr_kernarg_preload_length 0
		.amdhsa_user_sgpr_kernarg_preload_offset 0
		.amdhsa_user_sgpr_private_segment_size 0
		.amdhsa_wavefront_size32 1
		.amdhsa_uses_dynamic_stack 0
		.amdhsa_enable_private_segment 1
		.amdhsa_system_sgpr_workgroup_id_x 1
		.amdhsa_system_sgpr_workgroup_id_y 0
		.amdhsa_system_sgpr_workgroup_id_z 0
		.amdhsa_system_sgpr_workgroup_info 0
		.amdhsa_system_vgpr_workitem_id 0
		.amdhsa_next_free_vgpr 104
		.amdhsa_next_free_sgpr 25
		.amdhsa_named_barrier_count 0
		.amdhsa_reserve_vcc 1
		.amdhsa_float_round_mode_32 0
		.amdhsa_float_round_mode_16_64 0
		.amdhsa_float_denorm_mode_32 3
		.amdhsa_float_denorm_mode_16_64 3
		.amdhsa_fp16_overflow 0
		.amdhsa_memory_ordered 1
		.amdhsa_forward_progress 1
		.amdhsa_inst_pref_size 219
		.amdhsa_round_robin_scheduling 0
		.amdhsa_exception_fp_ieee_invalid_op 0
		.amdhsa_exception_fp_denorm_src 0
		.amdhsa_exception_fp_ieee_div_zero 0
		.amdhsa_exception_fp_ieee_overflow 0
		.amdhsa_exception_fp_ieee_underflow 0
		.amdhsa_exception_fp_ieee_inexact 0
		.amdhsa_exception_int_div_zero 0
	.end_amdhsa_kernel
	.section	.text._ZN9rocsolver6v33100L18trti2_kernel_smallILi37E19rocblas_complex_numIfEPS3_EEv13rocblas_fill_17rocblas_diagonal_T1_iil,"axG",@progbits,_ZN9rocsolver6v33100L18trti2_kernel_smallILi37E19rocblas_complex_numIfEPS3_EEv13rocblas_fill_17rocblas_diagonal_T1_iil,comdat
.Lfunc_end36:
	.size	_ZN9rocsolver6v33100L18trti2_kernel_smallILi37E19rocblas_complex_numIfEPS3_EEv13rocblas_fill_17rocblas_diagonal_T1_iil, .Lfunc_end36-_ZN9rocsolver6v33100L18trti2_kernel_smallILi37E19rocblas_complex_numIfEPS3_EEv13rocblas_fill_17rocblas_diagonal_T1_iil
                                        ; -- End function
	.set _ZN9rocsolver6v33100L18trti2_kernel_smallILi37E19rocblas_complex_numIfEPS3_EEv13rocblas_fill_17rocblas_diagonal_T1_iil.num_vgpr, 104
	.set _ZN9rocsolver6v33100L18trti2_kernel_smallILi37E19rocblas_complex_numIfEPS3_EEv13rocblas_fill_17rocblas_diagonal_T1_iil.num_agpr, 0
	.set _ZN9rocsolver6v33100L18trti2_kernel_smallILi37E19rocblas_complex_numIfEPS3_EEv13rocblas_fill_17rocblas_diagonal_T1_iil.numbered_sgpr, 25
	.set _ZN9rocsolver6v33100L18trti2_kernel_smallILi37E19rocblas_complex_numIfEPS3_EEv13rocblas_fill_17rocblas_diagonal_T1_iil.num_named_barrier, 0
	.set _ZN9rocsolver6v33100L18trti2_kernel_smallILi37E19rocblas_complex_numIfEPS3_EEv13rocblas_fill_17rocblas_diagonal_T1_iil.private_seg_size, 304
	.set _ZN9rocsolver6v33100L18trti2_kernel_smallILi37E19rocblas_complex_numIfEPS3_EEv13rocblas_fill_17rocblas_diagonal_T1_iil.uses_vcc, 1
	.set _ZN9rocsolver6v33100L18trti2_kernel_smallILi37E19rocblas_complex_numIfEPS3_EEv13rocblas_fill_17rocblas_diagonal_T1_iil.uses_flat_scratch, 1
	.set _ZN9rocsolver6v33100L18trti2_kernel_smallILi37E19rocblas_complex_numIfEPS3_EEv13rocblas_fill_17rocblas_diagonal_T1_iil.has_dyn_sized_stack, 0
	.set _ZN9rocsolver6v33100L18trti2_kernel_smallILi37E19rocblas_complex_numIfEPS3_EEv13rocblas_fill_17rocblas_diagonal_T1_iil.has_recursion, 0
	.set _ZN9rocsolver6v33100L18trti2_kernel_smallILi37E19rocblas_complex_numIfEPS3_EEv13rocblas_fill_17rocblas_diagonal_T1_iil.has_indirect_call, 0
	.section	.AMDGPU.csdata,"",@progbits
; Kernel info:
; codeLenInByte = 27956
; TotalNumSgprs: 27
; NumVgprs: 104
; ScratchSize: 304
; MemoryBound: 0
; FloatMode: 240
; IeeeMode: 1
; LDSByteSize: 600 bytes/workgroup (compile time only)
; SGPRBlocks: 0
; VGPRBlocks: 6
; NumSGPRsForWavesPerEU: 27
; NumVGPRsForWavesPerEU: 104
; NamedBarCnt: 0
; Occupancy: 9
; WaveLimiterHint : 0
; COMPUTE_PGM_RSRC2:SCRATCH_EN: 1
; COMPUTE_PGM_RSRC2:USER_SGPR: 2
; COMPUTE_PGM_RSRC2:TRAP_HANDLER: 0
; COMPUTE_PGM_RSRC2:TGID_X_EN: 1
; COMPUTE_PGM_RSRC2:TGID_Y_EN: 0
; COMPUTE_PGM_RSRC2:TGID_Z_EN: 0
; COMPUTE_PGM_RSRC2:TIDIG_COMP_CNT: 0
	.section	.text._ZN9rocsolver6v33100L18trti2_kernel_smallILi38E19rocblas_complex_numIfEPS3_EEv13rocblas_fill_17rocblas_diagonal_T1_iil,"axG",@progbits,_ZN9rocsolver6v33100L18trti2_kernel_smallILi38E19rocblas_complex_numIfEPS3_EEv13rocblas_fill_17rocblas_diagonal_T1_iil,comdat
	.globl	_ZN9rocsolver6v33100L18trti2_kernel_smallILi38E19rocblas_complex_numIfEPS3_EEv13rocblas_fill_17rocblas_diagonal_T1_iil ; -- Begin function _ZN9rocsolver6v33100L18trti2_kernel_smallILi38E19rocblas_complex_numIfEPS3_EEv13rocblas_fill_17rocblas_diagonal_T1_iil
	.p2align	8
	.type	_ZN9rocsolver6v33100L18trti2_kernel_smallILi38E19rocblas_complex_numIfEPS3_EEv13rocblas_fill_17rocblas_diagonal_T1_iil,@function
_ZN9rocsolver6v33100L18trti2_kernel_smallILi38E19rocblas_complex_numIfEPS3_EEv13rocblas_fill_17rocblas_diagonal_T1_iil: ; @_ZN9rocsolver6v33100L18trti2_kernel_smallILi38E19rocblas_complex_numIfEPS3_EEv13rocblas_fill_17rocblas_diagonal_T1_iil
; %bb.0:
	s_mov_b32 s2, exec_lo
	v_cmpx_gt_u32_e32 38, v0
	s_cbranch_execz .LBB37_744
; %bb.1:
	s_load_b256 s[4:11], s[0:1], 0x0
	s_wait_xcnt 0x0
	s_bfe_u32 s0, ttmp6, 0x4000c
	s_and_b32 s1, ttmp6, 15
	s_add_co_i32 s0, s0, 1
	s_getreg_b32 s2, hwreg(HW_REG_IB_STS2, 6, 4)
	s_mul_i32 s0, ttmp9, s0
	v_lshlrev_b32_e32 v46, 3, v0
	s_add_co_i32 s0, s1, s0
	v_mov_b32_e32 v47, 0
	s_wait_kmcnt 0x0
	v_add3_u32 v2, s9, s9, v0
	s_ashr_i32 s1, s8, 31
	s_cmp_eq_u32 s2, 0
	s_cselect_b32 s2, ttmp9, s0
	s_delay_alu instid0(VALU_DEP_1)
	v_add_nc_u32_e32 v4, s9, v2
	s_ashr_i32 s3, s2, 31
	s_mov_b32 s0, s8
	s_mul_u64 s[2:3], s[10:11], s[2:3]
	s_lshl_b64 s[0:1], s[0:1], 3
	v_add_nc_u32_e32 v8, s9, v4
	s_lshl_b64 s[2:3], s[2:3], 3
	s_delay_alu instid0(SALU_CYCLE_1) | instskip(NEXT) | instid1(VALU_DEP_1)
	s_add_nc_u64 s[2:3], s[6:7], s[2:3]
	v_add_nc_u32_e32 v10, s9, v8
	s_add_nc_u64 s[6:7], s[2:3], s[0:1]
	s_mov_b32 s0, s9
	s_ashr_i32 s1, s9, 31
	s_cmp_lg_u32 s5, 0x84
	v_add_nc_u32_e32 v14, s9, v10
	s_clause 0x1
	global_load_b64 v[52:53], v8, s[6:7] scale_offset
	global_load_b64 v[54:55], v10, s[6:7] scale_offset
	s_cselect_b32 s3, -1, 0
	v_add_nc_u64_e32 v[6:7], s[6:7], v[46:47]
	s_and_b32 vcc_lo, exec_lo, s3
	v_add_nc_u32_e32 v16, s9, v14
	s_delay_alu instid0(VALU_DEP_1) | instskip(NEXT) | instid1(VALU_DEP_3)
	v_add_nc_u32_e32 v18, s9, v16
	v_lshl_add_u64 v[12:13], s[0:1], 3, v[6:7]
	s_mov_b32 s0, -1
	s_clause 0x1
	global_load_b64 v[56:57], v0, s[6:7] scale_offset
	global_load_b64 v[58:59], v[12:13], off
	v_add_nc_u32_e32 v20, s9, v18
	s_clause 0x3
	global_load_b64 v[60:61], v2, s[6:7] scale_offset
	global_load_b64 v[62:63], v4, s[6:7] scale_offset
	;; [unrolled: 1-line block ×4, first 2 shown]
	v_add_nc_u32_e32 v22, s9, v20
	s_delay_alu instid0(VALU_DEP_1) | instskip(NEXT) | instid1(VALU_DEP_1)
	v_add_nc_u32_e32 v24, s9, v22
	v_add_nc_u32_e32 v26, s9, v24
	s_clause 0x1
	global_load_b64 v[68:69], v18, s[6:7] scale_offset
	global_load_b64 v[70:71], v20, s[6:7] scale_offset
	v_add_nc_u32_e32 v28, s9, v26
	s_delay_alu instid0(VALU_DEP_1) | instskip(SKIP_4) | instid1(VALU_DEP_1)
	v_add_nc_u32_e32 v30, s9, v28
	s_clause 0x1
	global_load_b64 v[72:73], v22, s[6:7] scale_offset
	global_load_b64 v[74:75], v24, s[6:7] scale_offset
	v_add_nc_u32_e32 v32, s9, v30
	v_add_nc_u32_e32 v34, s9, v32
	s_delay_alu instid0(VALU_DEP_1) | instskip(NEXT) | instid1(VALU_DEP_1)
	v_add_nc_u32_e32 v36, s9, v34
	v_add_nc_u32_e32 v38, s9, v36
	s_delay_alu instid0(VALU_DEP_1) | instskip(NEXT) | instid1(VALU_DEP_1)
	v_add_nc_u32_e32 v40, s9, v38
	v_add_nc_u32_e32 v42, s9, v40
	s_clause 0x7
	global_load_b64 v[76:77], v26, s[6:7] scale_offset
	global_load_b64 v[78:79], v28, s[6:7] scale_offset
	;; [unrolled: 1-line block ×8, first 2 shown]
	v_add_nc_u32_e32 v44, s9, v42
	s_delay_alu instid0(VALU_DEP_1) | instskip(NEXT) | instid1(VALU_DEP_1)
	v_add_nc_u32_e32 v48, s9, v44
	v_add_nc_u32_e32 v50, s9, v48
	s_wait_loadcnt 0x12
	scratch_store_b128 off, v[52:55], off offset:32
	s_wait_xcnt 0x0
	v_add_nc_u32_e32 v52, s9, v50
	s_delay_alu instid0(VALU_DEP_1)
	v_add_nc_u32_e32 v54, s9, v52
	s_wait_loadcnt 0x10
	scratch_store_b128 off, v[56:59], off
	s_wait_xcnt 0x0
	v_add_nc_u32_e32 v56, s9, v54
	s_clause 0x1
	global_load_b64 v[92:93], v42, s[6:7] scale_offset
	global_load_b64 v[94:95], v44, s[6:7] scale_offset
	s_wait_loadcnt 0x10
	scratch_store_b128 off, v[60:63], off offset:16
	s_wait_loadcnt 0xe
	scratch_store_b128 off, v[64:67], off offset:48
	s_clause 0x1
	global_load_b64 v[96:97], v48, s[6:7] scale_offset
	global_load_b64 v[98:99], v50, s[6:7] scale_offset
	v_add_nc_u32_e32 v58, s9, v56
	s_wait_xcnt 0x3
	s_delay_alu instid0(VALU_DEP_1) | instskip(NEXT) | instid1(VALU_DEP_1)
	v_add_nc_u32_e32 v60, s9, v58
	v_add_nc_u32_e32 v62, s9, v60
	s_wait_loadcnt 0xe
	scratch_store_b128 off, v[68:71], off offset:64
	s_wait_xcnt 0x3
	v_add_nc_u32_e32 v64, s9, v62
	s_delay_alu instid0(VALU_DEP_1)
	v_add_nc_u32_e32 v66, s9, v64
	s_wait_loadcnt 0xc
	scratch_store_b128 off, v[72:75], off offset:80
	s_clause 0x1
	global_load_b64 v[100:101], v52, s[6:7] scale_offset
	global_load_b64 v[102:103], v54, s[6:7] scale_offset
	s_wait_xcnt 0x3
	v_add_nc_u32_e32 v68, s9, v66
	s_delay_alu instid0(VALU_DEP_1) | instskip(SKIP_1) | instid1(VALU_DEP_1)
	v_add_nc_u32_e32 v70, s9, v68
	s_wait_xcnt 0x2
	v_add_nc_u32_e32 v72, s9, v70
	s_delay_alu instid0(VALU_DEP_1)
	v_add_nc_u32_e32 v74, s9, v72
	s_wait_loadcnt 0xc
	scratch_store_b128 off, v[76:79], off offset:96
	s_wait_xcnt 0x0
	v_add_nc_u32_e32 v76, s9, v74
	s_wait_loadcnt 0xa
	scratch_store_b128 off, v[80:83], off offset:112
	s_clause 0x1
	global_load_b64 v[80:81], v56, s[6:7] scale_offset
	global_load_b64 v[82:83], v58, s[6:7] scale_offset
	s_wait_loadcnt 0xa
	scratch_store_b128 off, v[84:87], off offset:128
	s_clause 0x1
	global_load_b64 v[84:85], v60, s[6:7] scale_offset
	global_load_b64 v[86:87], v62, s[6:7] scale_offset
	;; [unrolled: 5-line block ×3, first 2 shown]
	v_add_nc_u32_e32 v78, s9, v76
	s_wait_loadcnt 0xa
	scratch_store_b128 off, v[92:95], off offset:160
	s_wait_loadcnt 0x8
	scratch_store_b128 off, v[96:99], off offset:176
	;; [unrolled: 2-line block ×5, first 2 shown]
	s_clause 0x3
	global_load_b64 v[80:81], v68, s[6:7] scale_offset
	global_load_b64 v[82:83], v70, s[6:7] scale_offset
	;; [unrolled: 1-line block ×4, first 2 shown]
	s_wait_loadcnt 0x4
	scratch_store_b128 off, v[88:91], off offset:240
	s_clause 0x1
	global_load_b64 v[88:89], v76, s[6:7] scale_offset
	global_load_b64 v[90:91], v78, s[6:7] scale_offset
	s_wait_loadcnt 0x4
	scratch_store_b128 off, v[80:83], off offset:256
	s_wait_loadcnt 0x2
	scratch_store_b128 off, v[84:87], off offset:272
	;; [unrolled: 2-line block ×3, first 2 shown]
	s_cbranch_vccz .LBB37_7
; %bb.2:
	scratch_load_b64 v[80:81], v0, off scale_offset
                                        ; implicit-def: $vgpr85
                                        ; implicit-def: $vgpr82
	s_wait_loadcnt 0x0
	v_cmp_ngt_f32_e64 s0, |v80|, |v81|
	s_wait_xcnt 0x0
	s_and_saveexec_b32 s1, s0
	s_delay_alu instid0(SALU_CYCLE_1)
	s_xor_b32 s0, exec_lo, s1
	s_cbranch_execz .LBB37_4
; %bb.3:
	v_div_scale_f32 v1, null, v81, v81, v80
	v_div_scale_f32 v9, vcc_lo, v80, v81, v80
	s_delay_alu instid0(VALU_DEP_2) | instskip(SKIP_1) | instid1(TRANS32_DEP_1)
	v_rcp_f32_e32 v3, v1
	v_nop
	v_fma_f32 v5, -v1, v3, 1.0
	s_delay_alu instid0(VALU_DEP_1) | instskip(NEXT) | instid1(VALU_DEP_1)
	v_fmac_f32_e32 v3, v5, v3
	v_mul_f32_e32 v5, v9, v3
	s_delay_alu instid0(VALU_DEP_1) | instskip(NEXT) | instid1(VALU_DEP_1)
	v_fma_f32 v11, -v1, v5, v9
	v_fmac_f32_e32 v5, v11, v3
	s_delay_alu instid0(VALU_DEP_1) | instskip(NEXT) | instid1(VALU_DEP_1)
	v_fma_f32 v1, -v1, v5, v9
	v_div_fmas_f32 v1, v1, v3, v5
	s_delay_alu instid0(VALU_DEP_1) | instskip(NEXT) | instid1(VALU_DEP_1)
	v_div_fixup_f32 v1, v1, v81, v80
	v_fmac_f32_e32 v81, v80, v1
	s_delay_alu instid0(VALU_DEP_1) | instskip(NEXT) | instid1(VALU_DEP_1)
	v_div_scale_f32 v3, null, v81, v81, -1.0
	v_rcp_f32_e32 v5, v3
	v_nop
	s_delay_alu instid0(TRANS32_DEP_1) | instskip(NEXT) | instid1(VALU_DEP_1)
	v_fma_f32 v9, -v3, v5, 1.0
	v_fmac_f32_e32 v5, v9, v5
	v_div_scale_f32 v9, vcc_lo, -1.0, v81, -1.0
	s_delay_alu instid0(VALU_DEP_1) | instskip(NEXT) | instid1(VALU_DEP_1)
	v_mul_f32_e32 v11, v9, v5
	v_fma_f32 v15, -v3, v11, v9
	s_delay_alu instid0(VALU_DEP_1) | instskip(NEXT) | instid1(VALU_DEP_1)
	v_fmac_f32_e32 v11, v15, v5
	v_fma_f32 v3, -v3, v11, v9
	s_delay_alu instid0(VALU_DEP_1) | instskip(NEXT) | instid1(VALU_DEP_1)
	v_div_fmas_f32 v3, v3, v5, v11
	v_div_fixup_f32 v85, v3, v81, -1.0
                                        ; implicit-def: $vgpr80_vgpr81
	s_delay_alu instid0(VALU_DEP_1) | instskip(NEXT) | instid1(VALU_DEP_1)
	v_mul_f32_e32 v82, v1, v85
	v_xor_b32_e32 v84, 0x80000000, v82
.LBB37_4:
	s_or_saveexec_b32 s0, s0
	v_lshl_add_u32 v1, v0, 3, 0
	s_xor_b32 exec_lo, exec_lo, s0
	s_cbranch_execz .LBB37_6
; %bb.5:
	v_div_scale_f32 v3, null, v80, v80, v81
	v_div_scale_f32 v11, vcc_lo, v81, v80, v81
	s_delay_alu instid0(VALU_DEP_2) | instskip(SKIP_1) | instid1(TRANS32_DEP_1)
	v_rcp_f32_e32 v5, v3
	v_nop
	v_fma_f32 v9, -v3, v5, 1.0
	s_delay_alu instid0(VALU_DEP_1) | instskip(NEXT) | instid1(VALU_DEP_1)
	v_fmac_f32_e32 v5, v9, v5
	v_mul_f32_e32 v9, v11, v5
	s_delay_alu instid0(VALU_DEP_1) | instskip(NEXT) | instid1(VALU_DEP_1)
	v_fma_f32 v15, -v3, v9, v11
	v_fmac_f32_e32 v9, v15, v5
	s_delay_alu instid0(VALU_DEP_1) | instskip(NEXT) | instid1(VALU_DEP_1)
	v_fma_f32 v3, -v3, v9, v11
	v_div_fmas_f32 v3, v3, v5, v9
	s_delay_alu instid0(VALU_DEP_1) | instskip(NEXT) | instid1(VALU_DEP_1)
	v_div_fixup_f32 v3, v3, v80, v81
	v_fmac_f32_e32 v80, v81, v3
	s_delay_alu instid0(VALU_DEP_1) | instskip(SKIP_1) | instid1(VALU_DEP_2)
	v_div_scale_f32 v5, null, v80, v80, 1.0
	v_div_scale_f32 v15, vcc_lo, 1.0, v80, 1.0
	v_rcp_f32_e32 v9, v5
	v_nop
	s_delay_alu instid0(TRANS32_DEP_1) | instskip(NEXT) | instid1(VALU_DEP_1)
	v_fma_f32 v11, -v5, v9, 1.0
	v_fmac_f32_e32 v9, v11, v9
	s_delay_alu instid0(VALU_DEP_1) | instskip(NEXT) | instid1(VALU_DEP_1)
	v_mul_f32_e32 v11, v15, v9
	v_fma_f32 v17, -v5, v11, v15
	s_delay_alu instid0(VALU_DEP_1) | instskip(NEXT) | instid1(VALU_DEP_1)
	v_fmac_f32_e32 v11, v17, v9
	v_fma_f32 v5, -v5, v11, v15
	s_delay_alu instid0(VALU_DEP_1) | instskip(NEXT) | instid1(VALU_DEP_1)
	v_div_fmas_f32 v5, v5, v9, v11
	v_div_fixup_f32 v84, v5, v80, 1.0
	s_delay_alu instid0(VALU_DEP_1)
	v_xor_b32_e32 v82, 0x80000000, v84
	v_mul_f32_e64 v85, v3, -v84
.LBB37_6:
	s_or_b32 exec_lo, exec_lo, s0
	s_delay_alu instid0(VALU_DEP_1)
	v_xor_b32_e32 v83, 0x80000000, v85
	s_mov_b32 s0, 0
	scratch_store_b64 v1, v[84:85], off
	ds_store_b64 v46, v[82:83]
.LBB37_7:
	s_and_b32 vcc_lo, exec_lo, s0
	s_cbranch_vccz .LBB37_9
; %bb.8:
	s_mov_b64 s[0:1], 0xbf800000
	s_wait_xcnt 0x2
	v_mov_b64_e32 v[80:81], s[0:1]
	ds_store_b64 v46, v[80:81]
.LBB37_9:
	v_dual_ashrrev_i32 v3, 31, v2 :: v_dual_ashrrev_i32 v5, 31, v4
	v_dual_ashrrev_i32 v9, 31, v8 :: v_dual_ashrrev_i32 v11, 31, v10
	;; [unrolled: 1-line block ×18, first 2 shown]
	s_wait_xcnt 0x0
	v_add_nc_u32_e32 v1, 0x130, v46
	v_mov_b32_e32 v47, v46
	s_cmp_eq_u32 s4, 0x79
	s_cbranch_scc1 .LBB37_13
; %bb.10:
	scratch_load_b64 v[80:81], off, off offset:288
	v_cmp_eq_u32_e64 s0, 37, v0
	s_movk_i32 s1, 0x50
	s_movk_i32 s10, 0x60
	;; [unrolled: 1-line block ×13, first 2 shown]
	s_wait_loadcnt 0x0
	ds_store_b64 v1, v[80:81]
	s_wait_storecnt_dscnt 0x0
	s_barrier_signal -1
	s_barrier_wait -1
	s_wait_xcnt 0x0
	s_and_saveexec_b32 s2, s0
	s_cbranch_execz .LBB37_17
; %bb.11:
	s_and_b32 vcc_lo, exec_lo, s3
	s_cbranch_vccz .LBB37_14
; %bb.12:
	scratch_load_b64 v[80:81], v47, off
	ds_load_b64 v[82:83], v1
	s_wait_loadcnt_dscnt 0x0
	v_pk_mul_f32 v[84:85], v[82:83], v[80:81] op_sel:[1,1] op_sel_hi:[0,1]
	v_pk_mul_f32 v[86:87], v[82:83], v[80:81] op_sel_hi:[1,0]
	s_delay_alu instid0(VALU_DEP_2) | instskip(NEXT) | instid1(VALU_DEP_2)
	v_pk_fma_f32 v[80:81], v[82:83], v[80:81], v[84:85] op_sel_hi:[1,0,1]
	v_sub_f32_e32 v80, v86, v84
	s_cbranch_execz .LBB37_15
	s_branch .LBB37_16
.LBB37_13:
	s_mov_b32 s1, 0
                                        ; implicit-def: $vgpr108
                                        ; implicit-def: $sgpr4
	s_cbranch_execnz .LBB37_376
	s_branch .LBB37_741
.LBB37_14:
                                        ; implicit-def: $vgpr81
.LBB37_15:
	ds_load_b64 v[80:81], v1
.LBB37_16:
	s_wait_dscnt 0x0
	v_dual_mov_b32 v82, 0 :: v_dual_mov_b32 v84, v81
	v_mov_b32_e32 v85, v80
	ds_load_b64 v[82:83], v82 offset:288
	s_wait_dscnt 0x0
	v_pk_mul_f32 v[84:85], v[84:85], v[82:83] op_sel:[0,1]
	s_delay_alu instid0(VALU_DEP_1) | instskip(SKIP_1) | instid1(VALU_DEP_2)
	v_pk_fma_f32 v[86:87], v[80:81], v[82:83], v[84:85] op_sel_hi:[1,0,1]
	v_pk_fma_f32 v[80:81], v[80:81], v[82:83], v[84:85] neg_lo:[0,0,1] neg_hi:[0,0,1]
	v_mov_b32_e32 v81, v87
	scratch_store_b64 off, v[80:81], off offset:288
.LBB37_17:
	s_wait_xcnt 0x0
	s_or_b32 exec_lo, exec_lo, s2
	scratch_load_b64 v[80:81], off, off offset:280
	s_mov_b32 s9, s1
	v_cmp_lt_u32_e64 s1, 35, v0
	s_mov_b32 s4, 16
	s_mov_b32 s5, 32
	;; [unrolled: 1-line block ×4, first 2 shown]
	s_wait_loadcnt 0x0
	ds_store_b64 v1, v[80:81]
	s_wait_storecnt_dscnt 0x0
	s_barrier_signal -1
	s_barrier_wait -1
	s_wait_xcnt 0x0
	s_and_saveexec_b32 s22, s1
	s_cbranch_execz .LBB37_25
; %bb.18:
	s_and_not1_b32 vcc_lo, exec_lo, s3
	s_cbranch_vccnz .LBB37_20
; %bb.19:
	scratch_load_b64 v[80:81], v47, off
	ds_load_b64 v[82:83], v1
	s_wait_loadcnt_dscnt 0x0
	v_pk_mul_f32 v[84:85], v[82:83], v[80:81] op_sel:[1,1] op_sel_hi:[0,1]
	s_delay_alu instid0(VALU_DEP_1) | instskip(SKIP_1) | instid1(VALU_DEP_2)
	v_pk_fma_f32 v[86:87], v[82:83], v[80:81], v[84:85] op_sel_hi:[1,0,1]
	v_pk_fma_f32 v[80:81], v[82:83], v[80:81], v[84:85] neg_lo:[0,0,1] neg_hi:[0,0,1]
	v_mov_b32_e32 v81, v87
	s_cbranch_execz .LBB37_21
	s_branch .LBB37_22
.LBB37_20:
                                        ; implicit-def: $vgpr80_vgpr81
.LBB37_21:
	ds_load_b64 v[80:81], v1
.LBB37_22:
	s_and_saveexec_b32 s23, s0
	s_cbranch_execz .LBB37_24
; %bb.23:
	scratch_load_b64 v[82:83], off, off offset:288
	v_mov_b32_e32 v84, 0
	ds_load_b64 v[84:85], v84 offset:592
	s_wait_loadcnt_dscnt 0x0
	v_pk_mul_f32 v[86:87], v[84:85], v[82:83] op_sel:[1,1] op_sel_hi:[0,1]
	s_delay_alu instid0(VALU_DEP_1) | instskip(SKIP_1) | instid1(VALU_DEP_2)
	v_pk_fma_f32 v[88:89], v[84:85], v[82:83], v[86:87] op_sel_hi:[1,0,1]
	v_pk_fma_f32 v[82:83], v[84:85], v[82:83], v[86:87] neg_lo:[0,0,1] neg_hi:[0,0,1]
	v_mov_b32_e32 v83, v89
	s_delay_alu instid0(VALU_DEP_1)
	v_pk_add_f32 v[80:81], v[80:81], v[82:83]
.LBB37_24:
	s_or_b32 exec_lo, exec_lo, s23
	v_mov_b32_e32 v82, 0
	ds_load_b64 v[82:83], v82 offset:280
	s_wait_dscnt 0x0
	v_pk_mul_f32 v[84:85], v[80:81], v[82:83] op_sel:[1,1] op_sel_hi:[0,1]
	s_delay_alu instid0(VALU_DEP_1) | instskip(SKIP_1) | instid1(VALU_DEP_2)
	v_pk_fma_f32 v[86:87], v[80:81], v[82:83], v[84:85] op_sel_hi:[1,0,1]
	v_pk_fma_f32 v[80:81], v[80:81], v[82:83], v[84:85] neg_lo:[0,0,1] neg_hi:[0,0,1]
	v_mov_b32_e32 v81, v87
	scratch_store_b64 off, v[80:81], off offset:280
.LBB37_25:
	s_wait_xcnt 0x0
	s_or_b32 exec_lo, exec_lo, s22
	scratch_load_b64 v[80:81], off, off offset:272
	v_cmp_lt_u32_e64 s0, 34, v0
	s_wait_loadcnt 0x0
	ds_store_b64 v1, v[80:81]
	s_wait_storecnt_dscnt 0x0
	s_barrier_signal -1
	s_barrier_wait -1
	s_wait_xcnt 0x0
	s_and_saveexec_b32 s22, s0
	s_cbranch_execz .LBB37_35
; %bb.26:
	s_and_not1_b32 vcc_lo, exec_lo, s3
	s_cbranch_vccnz .LBB37_28
; %bb.27:
	scratch_load_b64 v[80:81], v47, off
	ds_load_b64 v[82:83], v1
	s_wait_loadcnt_dscnt 0x0
	v_pk_mul_f32 v[84:85], v[82:83], v[80:81] op_sel:[1,1] op_sel_hi:[0,1]
	s_delay_alu instid0(VALU_DEP_1) | instskip(SKIP_1) | instid1(VALU_DEP_2)
	v_pk_fma_f32 v[86:87], v[82:83], v[80:81], v[84:85] op_sel_hi:[1,0,1]
	v_pk_fma_f32 v[80:81], v[82:83], v[80:81], v[84:85] neg_lo:[0,0,1] neg_hi:[0,0,1]
	v_mov_b32_e32 v81, v87
	s_cbranch_execz .LBB37_29
	s_branch .LBB37_30
.LBB37_28:
                                        ; implicit-def: $vgpr80_vgpr81
.LBB37_29:
	ds_load_b64 v[80:81], v1
.LBB37_30:
	s_and_saveexec_b32 s23, s1
	s_cbranch_execz .LBB37_34
; %bb.31:
	v_subrev_nc_u32_e32 v82, 35, v0
	s_movk_i32 s1, 0x118
	s_movk_i32 s25, 0x248
	s_mov_b32 s24, 0
.LBB37_32:                              ; =>This Inner Loop Header: Depth=1
	scratch_load_b64 v[84:85], off, s1
	v_dual_mov_b32 v83, s25 :: v_dual_add_nc_u32 v82, -1, v82
	s_add_co_i32 s25, s25, 8
	s_wait_xcnt 0x0
	s_add_co_i32 s1, s1, 8
	ds_load_b64 v[86:87], v83
	v_cmp_eq_u32_e32 vcc_lo, 0, v82
	s_or_b32 s24, vcc_lo, s24
	s_wait_loadcnt_dscnt 0x0
	v_pk_mul_f32 v[88:89], v[86:87], v[84:85] op_sel:[1,1] op_sel_hi:[0,1]
	s_delay_alu instid0(VALU_DEP_1) | instskip(SKIP_1) | instid1(VALU_DEP_2)
	v_pk_fma_f32 v[90:91], v[86:87], v[84:85], v[88:89] op_sel_hi:[1,0,1]
	v_pk_fma_f32 v[84:85], v[86:87], v[84:85], v[88:89] neg_lo:[0,0,1] neg_hi:[0,0,1]
	v_mov_b32_e32 v85, v91
	s_delay_alu instid0(VALU_DEP_1)
	v_pk_add_f32 v[80:81], v[80:81], v[84:85]
	s_and_not1_b32 exec_lo, exec_lo, s24
	s_cbranch_execnz .LBB37_32
; %bb.33:
	s_or_b32 exec_lo, exec_lo, s24
.LBB37_34:
	s_delay_alu instid0(SALU_CYCLE_1) | instskip(SKIP_4) | instid1(VALU_DEP_1)
	s_or_b32 exec_lo, exec_lo, s23
	v_mov_b32_e32 v82, 0
	ds_load_b64 v[82:83], v82 offset:272
	s_wait_dscnt 0x0
	v_pk_mul_f32 v[84:85], v[80:81], v[82:83] op_sel:[1,1] op_sel_hi:[0,1]
	v_pk_fma_f32 v[86:87], v[80:81], v[82:83], v[84:85] op_sel_hi:[1,0,1]
	v_pk_fma_f32 v[80:81], v[80:81], v[82:83], v[84:85] neg_lo:[0,0,1] neg_hi:[0,0,1]
	s_delay_alu instid0(VALU_DEP_2)
	v_mov_b32_e32 v81, v87
	scratch_store_b64 off, v[80:81], off offset:272
.LBB37_35:
	s_wait_xcnt 0x0
	s_or_b32 exec_lo, exec_lo, s22
	scratch_load_b64 v[80:81], off, off offset:264
	v_cmp_lt_u32_e64 s1, 33, v0
	s_wait_loadcnt 0x0
	ds_store_b64 v1, v[80:81]
	s_wait_storecnt_dscnt 0x0
	s_barrier_signal -1
	s_barrier_wait -1
	s_wait_xcnt 0x0
	s_and_saveexec_b32 s22, s1
	s_cbranch_execz .LBB37_45
; %bb.36:
	s_and_not1_b32 vcc_lo, exec_lo, s3
	s_cbranch_vccnz .LBB37_38
; %bb.37:
	scratch_load_b64 v[80:81], v47, off
	ds_load_b64 v[82:83], v1
	s_wait_loadcnt_dscnt 0x0
	v_pk_mul_f32 v[84:85], v[82:83], v[80:81] op_sel:[1,1] op_sel_hi:[0,1]
	s_delay_alu instid0(VALU_DEP_1) | instskip(SKIP_1) | instid1(VALU_DEP_2)
	v_pk_fma_f32 v[86:87], v[82:83], v[80:81], v[84:85] op_sel_hi:[1,0,1]
	v_pk_fma_f32 v[80:81], v[82:83], v[80:81], v[84:85] neg_lo:[0,0,1] neg_hi:[0,0,1]
	v_mov_b32_e32 v81, v87
	s_cbranch_execz .LBB37_39
	s_branch .LBB37_40
.LBB37_38:
                                        ; implicit-def: $vgpr80_vgpr81
.LBB37_39:
	ds_load_b64 v[80:81], v1
.LBB37_40:
	s_and_saveexec_b32 s23, s0
	s_cbranch_execz .LBB37_44
; %bb.41:
	v_subrev_nc_u32_e32 v82, 34, v0
	s_movk_i32 s24, 0x240
	s_mov_b32 s0, 0
.LBB37_42:                              ; =>This Inner Loop Header: Depth=1
	scratch_load_b64 v[84:85], off, s21
	v_dual_mov_b32 v83, s24 :: v_dual_add_nc_u32 v82, -1, v82
	s_add_co_i32 s24, s24, 8
	s_wait_xcnt 0x0
	s_add_co_i32 s21, s21, 8
	ds_load_b64 v[86:87], v83
	v_cmp_eq_u32_e32 vcc_lo, 0, v82
	s_or_b32 s0, vcc_lo, s0
	s_wait_loadcnt_dscnt 0x0
	v_pk_mul_f32 v[88:89], v[86:87], v[84:85] op_sel:[1,1] op_sel_hi:[0,1]
	s_delay_alu instid0(VALU_DEP_1) | instskip(SKIP_1) | instid1(VALU_DEP_2)
	v_pk_fma_f32 v[90:91], v[86:87], v[84:85], v[88:89] op_sel_hi:[1,0,1]
	v_pk_fma_f32 v[84:85], v[86:87], v[84:85], v[88:89] neg_lo:[0,0,1] neg_hi:[0,0,1]
	v_mov_b32_e32 v85, v91
	s_delay_alu instid0(VALU_DEP_1)
	v_pk_add_f32 v[80:81], v[80:81], v[84:85]
	s_and_not1_b32 exec_lo, exec_lo, s0
	s_cbranch_execnz .LBB37_42
; %bb.43:
	s_or_b32 exec_lo, exec_lo, s0
.LBB37_44:
	s_delay_alu instid0(SALU_CYCLE_1) | instskip(SKIP_4) | instid1(VALU_DEP_1)
	s_or_b32 exec_lo, exec_lo, s23
	v_mov_b32_e32 v82, 0
	ds_load_b64 v[82:83], v82 offset:264
	s_wait_dscnt 0x0
	v_pk_mul_f32 v[84:85], v[80:81], v[82:83] op_sel:[1,1] op_sel_hi:[0,1]
	v_pk_fma_f32 v[86:87], v[80:81], v[82:83], v[84:85] op_sel_hi:[1,0,1]
	v_pk_fma_f32 v[80:81], v[80:81], v[82:83], v[84:85] neg_lo:[0,0,1] neg_hi:[0,0,1]
	s_delay_alu instid0(VALU_DEP_2)
	v_mov_b32_e32 v81, v87
	scratch_store_b64 off, v[80:81], off offset:264
.LBB37_45:
	s_wait_xcnt 0x0
	s_or_b32 exec_lo, exec_lo, s22
	scratch_load_b64 v[80:81], off, off offset:256
	v_cmp_lt_u32_e64 s0, 32, v0
	s_wait_loadcnt 0x0
	ds_store_b64 v1, v[80:81]
	s_wait_storecnt_dscnt 0x0
	s_barrier_signal -1
	s_barrier_wait -1
	s_wait_xcnt 0x0
	s_and_saveexec_b32 s21, s0
	s_cbranch_execz .LBB37_55
; %bb.46:
	s_and_not1_b32 vcc_lo, exec_lo, s3
	s_cbranch_vccnz .LBB37_48
; %bb.47:
	scratch_load_b64 v[80:81], v47, off
	ds_load_b64 v[82:83], v1
	s_wait_loadcnt_dscnt 0x0
	v_pk_mul_f32 v[84:85], v[82:83], v[80:81] op_sel:[1,1] op_sel_hi:[0,1]
	s_delay_alu instid0(VALU_DEP_1) | instskip(SKIP_1) | instid1(VALU_DEP_2)
	v_pk_fma_f32 v[86:87], v[82:83], v[80:81], v[84:85] op_sel_hi:[1,0,1]
	v_pk_fma_f32 v[80:81], v[82:83], v[80:81], v[84:85] neg_lo:[0,0,1] neg_hi:[0,0,1]
	v_mov_b32_e32 v81, v87
	s_cbranch_execz .LBB37_49
	s_branch .LBB37_50
.LBB37_48:
                                        ; implicit-def: $vgpr80_vgpr81
.LBB37_49:
	ds_load_b64 v[80:81], v1
.LBB37_50:
	s_and_saveexec_b32 s22, s1
	s_cbranch_execz .LBB37_54
; %bb.51:
	v_subrev_nc_u32_e32 v82, 33, v0
	s_movk_i32 s1, 0x108
	s_movk_i32 s24, 0x238
	s_mov_b32 s23, 0
.LBB37_52:                              ; =>This Inner Loop Header: Depth=1
	scratch_load_b64 v[84:85], off, s1
	v_dual_mov_b32 v83, s24 :: v_dual_add_nc_u32 v82, -1, v82
	s_add_co_i32 s24, s24, 8
	s_wait_xcnt 0x0
	s_add_co_i32 s1, s1, 8
	ds_load_b64 v[86:87], v83
	v_cmp_eq_u32_e32 vcc_lo, 0, v82
	s_or_b32 s23, vcc_lo, s23
	s_wait_loadcnt_dscnt 0x0
	v_pk_mul_f32 v[88:89], v[86:87], v[84:85] op_sel:[1,1] op_sel_hi:[0,1]
	s_delay_alu instid0(VALU_DEP_1) | instskip(SKIP_1) | instid1(VALU_DEP_2)
	v_pk_fma_f32 v[90:91], v[86:87], v[84:85], v[88:89] op_sel_hi:[1,0,1]
	v_pk_fma_f32 v[84:85], v[86:87], v[84:85], v[88:89] neg_lo:[0,0,1] neg_hi:[0,0,1]
	v_mov_b32_e32 v85, v91
	s_delay_alu instid0(VALU_DEP_1)
	v_pk_add_f32 v[80:81], v[80:81], v[84:85]
	s_and_not1_b32 exec_lo, exec_lo, s23
	s_cbranch_execnz .LBB37_52
; %bb.53:
	s_or_b32 exec_lo, exec_lo, s23
.LBB37_54:
	s_delay_alu instid0(SALU_CYCLE_1) | instskip(SKIP_4) | instid1(VALU_DEP_1)
	s_or_b32 exec_lo, exec_lo, s22
	v_mov_b32_e32 v82, 0
	ds_load_b64 v[82:83], v82 offset:256
	s_wait_dscnt 0x0
	v_pk_mul_f32 v[84:85], v[80:81], v[82:83] op_sel:[1,1] op_sel_hi:[0,1]
	v_pk_fma_f32 v[86:87], v[80:81], v[82:83], v[84:85] op_sel_hi:[1,0,1]
	v_pk_fma_f32 v[80:81], v[80:81], v[82:83], v[84:85] neg_lo:[0,0,1] neg_hi:[0,0,1]
	s_delay_alu instid0(VALU_DEP_2)
	v_mov_b32_e32 v81, v87
	scratch_store_b64 off, v[80:81], off offset:256
.LBB37_55:
	s_wait_xcnt 0x0
	s_or_b32 exec_lo, exec_lo, s21
	scratch_load_b64 v[80:81], off, off offset:248
	v_cmp_lt_u32_e64 s1, 31, v0
	s_wait_loadcnt 0x0
	ds_store_b64 v1, v[80:81]
	s_wait_storecnt_dscnt 0x0
	s_barrier_signal -1
	s_barrier_wait -1
	s_wait_xcnt 0x0
	s_and_saveexec_b32 s21, s1
	s_cbranch_execz .LBB37_65
; %bb.56:
	s_and_not1_b32 vcc_lo, exec_lo, s3
	s_cbranch_vccnz .LBB37_58
; %bb.57:
	scratch_load_b64 v[80:81], v47, off
	ds_load_b64 v[82:83], v1
	s_wait_loadcnt_dscnt 0x0
	v_pk_mul_f32 v[84:85], v[82:83], v[80:81] op_sel:[1,1] op_sel_hi:[0,1]
	s_delay_alu instid0(VALU_DEP_1) | instskip(SKIP_1) | instid1(VALU_DEP_2)
	v_pk_fma_f32 v[86:87], v[82:83], v[80:81], v[84:85] op_sel_hi:[1,0,1]
	v_pk_fma_f32 v[80:81], v[82:83], v[80:81], v[84:85] neg_lo:[0,0,1] neg_hi:[0,0,1]
	v_mov_b32_e32 v81, v87
	s_cbranch_execz .LBB37_59
	s_branch .LBB37_60
.LBB37_58:
                                        ; implicit-def: $vgpr80_vgpr81
.LBB37_59:
	ds_load_b64 v[80:81], v1
.LBB37_60:
	s_and_saveexec_b32 s22, s0
	s_cbranch_execz .LBB37_64
; %bb.61:
	v_subrev_nc_u32_e32 v82, 32, v0
	s_movk_i32 s23, 0x230
	s_mov_b32 s0, 0
.LBB37_62:                              ; =>This Inner Loop Header: Depth=1
	scratch_load_b64 v[84:85], off, s20
	v_dual_mov_b32 v83, s23 :: v_dual_add_nc_u32 v82, -1, v82
	s_add_co_i32 s23, s23, 8
	s_wait_xcnt 0x0
	s_add_co_i32 s20, s20, 8
	ds_load_b64 v[86:87], v83
	v_cmp_eq_u32_e32 vcc_lo, 0, v82
	s_or_b32 s0, vcc_lo, s0
	s_wait_loadcnt_dscnt 0x0
	v_pk_mul_f32 v[88:89], v[86:87], v[84:85] op_sel:[1,1] op_sel_hi:[0,1]
	s_delay_alu instid0(VALU_DEP_1) | instskip(SKIP_1) | instid1(VALU_DEP_2)
	v_pk_fma_f32 v[90:91], v[86:87], v[84:85], v[88:89] op_sel_hi:[1,0,1]
	v_pk_fma_f32 v[84:85], v[86:87], v[84:85], v[88:89] neg_lo:[0,0,1] neg_hi:[0,0,1]
	v_mov_b32_e32 v85, v91
	s_delay_alu instid0(VALU_DEP_1)
	v_pk_add_f32 v[80:81], v[80:81], v[84:85]
	s_and_not1_b32 exec_lo, exec_lo, s0
	s_cbranch_execnz .LBB37_62
; %bb.63:
	s_or_b32 exec_lo, exec_lo, s0
.LBB37_64:
	s_delay_alu instid0(SALU_CYCLE_1) | instskip(SKIP_4) | instid1(VALU_DEP_1)
	s_or_b32 exec_lo, exec_lo, s22
	v_mov_b32_e32 v82, 0
	ds_load_b64 v[82:83], v82 offset:248
	s_wait_dscnt 0x0
	v_pk_mul_f32 v[84:85], v[80:81], v[82:83] op_sel:[1,1] op_sel_hi:[0,1]
	v_pk_fma_f32 v[86:87], v[80:81], v[82:83], v[84:85] op_sel_hi:[1,0,1]
	v_pk_fma_f32 v[80:81], v[80:81], v[82:83], v[84:85] neg_lo:[0,0,1] neg_hi:[0,0,1]
	s_delay_alu instid0(VALU_DEP_2)
	v_mov_b32_e32 v81, v87
	scratch_store_b64 off, v[80:81], off offset:248
.LBB37_65:
	s_wait_xcnt 0x0
	s_or_b32 exec_lo, exec_lo, s21
	scratch_load_b64 v[80:81], off, off offset:240
	v_cmp_lt_u32_e64 s0, 30, v0
	s_wait_loadcnt 0x0
	ds_store_b64 v1, v[80:81]
	s_wait_storecnt_dscnt 0x0
	s_barrier_signal -1
	s_barrier_wait -1
	s_wait_xcnt 0x0
	s_and_saveexec_b32 s20, s0
	s_cbranch_execz .LBB37_75
; %bb.66:
	s_and_not1_b32 vcc_lo, exec_lo, s3
	s_cbranch_vccnz .LBB37_68
; %bb.67:
	scratch_load_b64 v[80:81], v47, off
	ds_load_b64 v[82:83], v1
	s_wait_loadcnt_dscnt 0x0
	v_pk_mul_f32 v[84:85], v[82:83], v[80:81] op_sel:[1,1] op_sel_hi:[0,1]
	s_delay_alu instid0(VALU_DEP_1) | instskip(SKIP_1) | instid1(VALU_DEP_2)
	v_pk_fma_f32 v[86:87], v[82:83], v[80:81], v[84:85] op_sel_hi:[1,0,1]
	v_pk_fma_f32 v[80:81], v[82:83], v[80:81], v[84:85] neg_lo:[0,0,1] neg_hi:[0,0,1]
	v_mov_b32_e32 v81, v87
	s_cbranch_execz .LBB37_69
	s_branch .LBB37_70
.LBB37_68:
                                        ; implicit-def: $vgpr80_vgpr81
.LBB37_69:
	ds_load_b64 v[80:81], v1
.LBB37_70:
	s_and_saveexec_b32 s21, s1
	s_cbranch_execz .LBB37_74
; %bb.71:
	v_subrev_nc_u32_e32 v82, 31, v0
	s_movk_i32 s1, 0xf8
	s_movk_i32 s23, 0x228
	s_mov_b32 s22, 0
.LBB37_72:                              ; =>This Inner Loop Header: Depth=1
	scratch_load_b64 v[84:85], off, s1
	v_dual_mov_b32 v83, s23 :: v_dual_add_nc_u32 v82, -1, v82
	s_add_co_i32 s23, s23, 8
	s_wait_xcnt 0x0
	s_add_co_i32 s1, s1, 8
	ds_load_b64 v[86:87], v83
	v_cmp_eq_u32_e32 vcc_lo, 0, v82
	s_or_b32 s22, vcc_lo, s22
	s_wait_loadcnt_dscnt 0x0
	v_pk_mul_f32 v[88:89], v[86:87], v[84:85] op_sel:[1,1] op_sel_hi:[0,1]
	s_delay_alu instid0(VALU_DEP_1) | instskip(SKIP_1) | instid1(VALU_DEP_2)
	v_pk_fma_f32 v[90:91], v[86:87], v[84:85], v[88:89] op_sel_hi:[1,0,1]
	v_pk_fma_f32 v[84:85], v[86:87], v[84:85], v[88:89] neg_lo:[0,0,1] neg_hi:[0,0,1]
	v_mov_b32_e32 v85, v91
	s_delay_alu instid0(VALU_DEP_1)
	v_pk_add_f32 v[80:81], v[80:81], v[84:85]
	s_and_not1_b32 exec_lo, exec_lo, s22
	s_cbranch_execnz .LBB37_72
; %bb.73:
	s_or_b32 exec_lo, exec_lo, s22
.LBB37_74:
	s_delay_alu instid0(SALU_CYCLE_1) | instskip(SKIP_4) | instid1(VALU_DEP_1)
	s_or_b32 exec_lo, exec_lo, s21
	v_mov_b32_e32 v82, 0
	ds_load_b64 v[82:83], v82 offset:240
	s_wait_dscnt 0x0
	v_pk_mul_f32 v[84:85], v[80:81], v[82:83] op_sel:[1,1] op_sel_hi:[0,1]
	v_pk_fma_f32 v[86:87], v[80:81], v[82:83], v[84:85] op_sel_hi:[1,0,1]
	v_pk_fma_f32 v[80:81], v[80:81], v[82:83], v[84:85] neg_lo:[0,0,1] neg_hi:[0,0,1]
	s_delay_alu instid0(VALU_DEP_2)
	v_mov_b32_e32 v81, v87
	scratch_store_b64 off, v[80:81], off offset:240
.LBB37_75:
	s_wait_xcnt 0x0
	s_or_b32 exec_lo, exec_lo, s20
	scratch_load_b64 v[80:81], off, off offset:232
	v_cmp_lt_u32_e64 s1, 29, v0
	s_wait_loadcnt 0x0
	ds_store_b64 v1, v[80:81]
	s_wait_storecnt_dscnt 0x0
	s_barrier_signal -1
	s_barrier_wait -1
	s_wait_xcnt 0x0
	s_and_saveexec_b32 s20, s1
	s_cbranch_execz .LBB37_85
; %bb.76:
	s_and_not1_b32 vcc_lo, exec_lo, s3
	s_cbranch_vccnz .LBB37_78
; %bb.77:
	scratch_load_b64 v[80:81], v47, off
	ds_load_b64 v[82:83], v1
	s_wait_loadcnt_dscnt 0x0
	v_pk_mul_f32 v[84:85], v[82:83], v[80:81] op_sel:[1,1] op_sel_hi:[0,1]
	s_delay_alu instid0(VALU_DEP_1) | instskip(SKIP_1) | instid1(VALU_DEP_2)
	v_pk_fma_f32 v[86:87], v[82:83], v[80:81], v[84:85] op_sel_hi:[1,0,1]
	v_pk_fma_f32 v[80:81], v[82:83], v[80:81], v[84:85] neg_lo:[0,0,1] neg_hi:[0,0,1]
	v_mov_b32_e32 v81, v87
	s_cbranch_execz .LBB37_79
	s_branch .LBB37_80
.LBB37_78:
                                        ; implicit-def: $vgpr80_vgpr81
.LBB37_79:
	ds_load_b64 v[80:81], v1
.LBB37_80:
	s_and_saveexec_b32 s21, s0
	s_cbranch_execz .LBB37_84
; %bb.81:
	v_subrev_nc_u32_e32 v82, 30, v0
	s_movk_i32 s22, 0x220
	s_mov_b32 s0, 0
.LBB37_82:                              ; =>This Inner Loop Header: Depth=1
	scratch_load_b64 v[84:85], off, s19
	v_dual_mov_b32 v83, s22 :: v_dual_add_nc_u32 v82, -1, v82
	s_add_co_i32 s22, s22, 8
	s_wait_xcnt 0x0
	s_add_co_i32 s19, s19, 8
	ds_load_b64 v[86:87], v83
	v_cmp_eq_u32_e32 vcc_lo, 0, v82
	s_or_b32 s0, vcc_lo, s0
	s_wait_loadcnt_dscnt 0x0
	v_pk_mul_f32 v[88:89], v[86:87], v[84:85] op_sel:[1,1] op_sel_hi:[0,1]
	s_delay_alu instid0(VALU_DEP_1) | instskip(SKIP_1) | instid1(VALU_DEP_2)
	v_pk_fma_f32 v[90:91], v[86:87], v[84:85], v[88:89] op_sel_hi:[1,0,1]
	v_pk_fma_f32 v[84:85], v[86:87], v[84:85], v[88:89] neg_lo:[0,0,1] neg_hi:[0,0,1]
	v_mov_b32_e32 v85, v91
	s_delay_alu instid0(VALU_DEP_1)
	v_pk_add_f32 v[80:81], v[80:81], v[84:85]
	s_and_not1_b32 exec_lo, exec_lo, s0
	s_cbranch_execnz .LBB37_82
; %bb.83:
	s_or_b32 exec_lo, exec_lo, s0
.LBB37_84:
	s_delay_alu instid0(SALU_CYCLE_1) | instskip(SKIP_4) | instid1(VALU_DEP_1)
	s_or_b32 exec_lo, exec_lo, s21
	v_mov_b32_e32 v82, 0
	ds_load_b64 v[82:83], v82 offset:232
	s_wait_dscnt 0x0
	v_pk_mul_f32 v[84:85], v[80:81], v[82:83] op_sel:[1,1] op_sel_hi:[0,1]
	v_pk_fma_f32 v[86:87], v[80:81], v[82:83], v[84:85] op_sel_hi:[1,0,1]
	v_pk_fma_f32 v[80:81], v[80:81], v[82:83], v[84:85] neg_lo:[0,0,1] neg_hi:[0,0,1]
	s_delay_alu instid0(VALU_DEP_2)
	v_mov_b32_e32 v81, v87
	scratch_store_b64 off, v[80:81], off offset:232
.LBB37_85:
	s_wait_xcnt 0x0
	s_or_b32 exec_lo, exec_lo, s20
	scratch_load_b64 v[80:81], off, off offset:224
	v_cmp_lt_u32_e64 s0, 28, v0
	s_wait_loadcnt 0x0
	ds_store_b64 v1, v[80:81]
	s_wait_storecnt_dscnt 0x0
	s_barrier_signal -1
	s_barrier_wait -1
	s_wait_xcnt 0x0
	s_and_saveexec_b32 s19, s0
	s_cbranch_execz .LBB37_95
; %bb.86:
	s_and_not1_b32 vcc_lo, exec_lo, s3
	s_cbranch_vccnz .LBB37_88
; %bb.87:
	scratch_load_b64 v[80:81], v47, off
	ds_load_b64 v[82:83], v1
	s_wait_loadcnt_dscnt 0x0
	v_pk_mul_f32 v[84:85], v[82:83], v[80:81] op_sel:[1,1] op_sel_hi:[0,1]
	s_delay_alu instid0(VALU_DEP_1) | instskip(SKIP_1) | instid1(VALU_DEP_2)
	v_pk_fma_f32 v[86:87], v[82:83], v[80:81], v[84:85] op_sel_hi:[1,0,1]
	v_pk_fma_f32 v[80:81], v[82:83], v[80:81], v[84:85] neg_lo:[0,0,1] neg_hi:[0,0,1]
	v_mov_b32_e32 v81, v87
	s_cbranch_execz .LBB37_89
	s_branch .LBB37_90
.LBB37_88:
                                        ; implicit-def: $vgpr80_vgpr81
.LBB37_89:
	ds_load_b64 v[80:81], v1
.LBB37_90:
	s_and_saveexec_b32 s20, s1
	s_cbranch_execz .LBB37_94
; %bb.91:
	v_subrev_nc_u32_e32 v82, 29, v0
	s_movk_i32 s1, 0xe8
	s_movk_i32 s22, 0x218
	s_mov_b32 s21, 0
.LBB37_92:                              ; =>This Inner Loop Header: Depth=1
	scratch_load_b64 v[84:85], off, s1
	v_dual_mov_b32 v83, s22 :: v_dual_add_nc_u32 v82, -1, v82
	s_add_co_i32 s22, s22, 8
	s_wait_xcnt 0x0
	s_add_co_i32 s1, s1, 8
	ds_load_b64 v[86:87], v83
	v_cmp_eq_u32_e32 vcc_lo, 0, v82
	s_or_b32 s21, vcc_lo, s21
	s_wait_loadcnt_dscnt 0x0
	v_pk_mul_f32 v[88:89], v[86:87], v[84:85] op_sel:[1,1] op_sel_hi:[0,1]
	s_delay_alu instid0(VALU_DEP_1) | instskip(SKIP_1) | instid1(VALU_DEP_2)
	v_pk_fma_f32 v[90:91], v[86:87], v[84:85], v[88:89] op_sel_hi:[1,0,1]
	v_pk_fma_f32 v[84:85], v[86:87], v[84:85], v[88:89] neg_lo:[0,0,1] neg_hi:[0,0,1]
	v_mov_b32_e32 v85, v91
	s_delay_alu instid0(VALU_DEP_1)
	v_pk_add_f32 v[80:81], v[80:81], v[84:85]
	s_and_not1_b32 exec_lo, exec_lo, s21
	s_cbranch_execnz .LBB37_92
; %bb.93:
	s_or_b32 exec_lo, exec_lo, s21
.LBB37_94:
	s_delay_alu instid0(SALU_CYCLE_1) | instskip(SKIP_4) | instid1(VALU_DEP_1)
	s_or_b32 exec_lo, exec_lo, s20
	v_mov_b32_e32 v82, 0
	ds_load_b64 v[82:83], v82 offset:224
	s_wait_dscnt 0x0
	v_pk_mul_f32 v[84:85], v[80:81], v[82:83] op_sel:[1,1] op_sel_hi:[0,1]
	v_pk_fma_f32 v[86:87], v[80:81], v[82:83], v[84:85] op_sel_hi:[1,0,1]
	v_pk_fma_f32 v[80:81], v[80:81], v[82:83], v[84:85] neg_lo:[0,0,1] neg_hi:[0,0,1]
	s_delay_alu instid0(VALU_DEP_2)
	v_mov_b32_e32 v81, v87
	scratch_store_b64 off, v[80:81], off offset:224
.LBB37_95:
	s_wait_xcnt 0x0
	s_or_b32 exec_lo, exec_lo, s19
	scratch_load_b64 v[80:81], off, off offset:216
	v_cmp_lt_u32_e64 s1, 27, v0
	s_wait_loadcnt 0x0
	ds_store_b64 v1, v[80:81]
	s_wait_storecnt_dscnt 0x0
	s_barrier_signal -1
	s_barrier_wait -1
	s_wait_xcnt 0x0
	s_and_saveexec_b32 s19, s1
	s_cbranch_execz .LBB37_105
; %bb.96:
	s_and_not1_b32 vcc_lo, exec_lo, s3
	s_cbranch_vccnz .LBB37_98
; %bb.97:
	scratch_load_b64 v[80:81], v47, off
	ds_load_b64 v[82:83], v1
	s_wait_loadcnt_dscnt 0x0
	v_pk_mul_f32 v[84:85], v[82:83], v[80:81] op_sel:[1,1] op_sel_hi:[0,1]
	s_delay_alu instid0(VALU_DEP_1) | instskip(SKIP_1) | instid1(VALU_DEP_2)
	v_pk_fma_f32 v[86:87], v[82:83], v[80:81], v[84:85] op_sel_hi:[1,0,1]
	v_pk_fma_f32 v[80:81], v[82:83], v[80:81], v[84:85] neg_lo:[0,0,1] neg_hi:[0,0,1]
	v_mov_b32_e32 v81, v87
	s_cbranch_execz .LBB37_99
	s_branch .LBB37_100
.LBB37_98:
                                        ; implicit-def: $vgpr80_vgpr81
.LBB37_99:
	ds_load_b64 v[80:81], v1
.LBB37_100:
	s_and_saveexec_b32 s20, s0
	s_cbranch_execz .LBB37_104
; %bb.101:
	v_subrev_nc_u32_e32 v82, 28, v0
	s_movk_i32 s21, 0x210
	s_mov_b32 s0, 0
.LBB37_102:                             ; =>This Inner Loop Header: Depth=1
	scratch_load_b64 v[84:85], off, s18
	v_dual_mov_b32 v83, s21 :: v_dual_add_nc_u32 v82, -1, v82
	s_add_co_i32 s21, s21, 8
	s_wait_xcnt 0x0
	s_add_co_i32 s18, s18, 8
	ds_load_b64 v[86:87], v83
	v_cmp_eq_u32_e32 vcc_lo, 0, v82
	s_or_b32 s0, vcc_lo, s0
	s_wait_loadcnt_dscnt 0x0
	v_pk_mul_f32 v[88:89], v[86:87], v[84:85] op_sel:[1,1] op_sel_hi:[0,1]
	s_delay_alu instid0(VALU_DEP_1) | instskip(SKIP_1) | instid1(VALU_DEP_2)
	v_pk_fma_f32 v[90:91], v[86:87], v[84:85], v[88:89] op_sel_hi:[1,0,1]
	v_pk_fma_f32 v[84:85], v[86:87], v[84:85], v[88:89] neg_lo:[0,0,1] neg_hi:[0,0,1]
	v_mov_b32_e32 v85, v91
	s_delay_alu instid0(VALU_DEP_1)
	v_pk_add_f32 v[80:81], v[80:81], v[84:85]
	s_and_not1_b32 exec_lo, exec_lo, s0
	s_cbranch_execnz .LBB37_102
; %bb.103:
	s_or_b32 exec_lo, exec_lo, s0
.LBB37_104:
	s_delay_alu instid0(SALU_CYCLE_1) | instskip(SKIP_4) | instid1(VALU_DEP_1)
	s_or_b32 exec_lo, exec_lo, s20
	v_mov_b32_e32 v82, 0
	ds_load_b64 v[82:83], v82 offset:216
	s_wait_dscnt 0x0
	v_pk_mul_f32 v[84:85], v[80:81], v[82:83] op_sel:[1,1] op_sel_hi:[0,1]
	v_pk_fma_f32 v[86:87], v[80:81], v[82:83], v[84:85] op_sel_hi:[1,0,1]
	v_pk_fma_f32 v[80:81], v[80:81], v[82:83], v[84:85] neg_lo:[0,0,1] neg_hi:[0,0,1]
	s_delay_alu instid0(VALU_DEP_2)
	v_mov_b32_e32 v81, v87
	scratch_store_b64 off, v[80:81], off offset:216
.LBB37_105:
	s_wait_xcnt 0x0
	s_or_b32 exec_lo, exec_lo, s19
	scratch_load_b64 v[80:81], off, off offset:208
	v_cmp_lt_u32_e64 s0, 26, v0
	s_wait_loadcnt 0x0
	ds_store_b64 v1, v[80:81]
	s_wait_storecnt_dscnt 0x0
	s_barrier_signal -1
	s_barrier_wait -1
	s_wait_xcnt 0x0
	s_and_saveexec_b32 s18, s0
	s_cbranch_execz .LBB37_115
; %bb.106:
	s_and_not1_b32 vcc_lo, exec_lo, s3
	s_cbranch_vccnz .LBB37_108
; %bb.107:
	scratch_load_b64 v[80:81], v47, off
	ds_load_b64 v[82:83], v1
	s_wait_loadcnt_dscnt 0x0
	v_pk_mul_f32 v[84:85], v[82:83], v[80:81] op_sel:[1,1] op_sel_hi:[0,1]
	s_delay_alu instid0(VALU_DEP_1) | instskip(SKIP_1) | instid1(VALU_DEP_2)
	v_pk_fma_f32 v[86:87], v[82:83], v[80:81], v[84:85] op_sel_hi:[1,0,1]
	v_pk_fma_f32 v[80:81], v[82:83], v[80:81], v[84:85] neg_lo:[0,0,1] neg_hi:[0,0,1]
	v_mov_b32_e32 v81, v87
	s_cbranch_execz .LBB37_109
	s_branch .LBB37_110
.LBB37_108:
                                        ; implicit-def: $vgpr80_vgpr81
.LBB37_109:
	ds_load_b64 v[80:81], v1
.LBB37_110:
	s_and_saveexec_b32 s19, s1
	s_cbranch_execz .LBB37_114
; %bb.111:
	v_subrev_nc_u32_e32 v82, 27, v0
	s_movk_i32 s1, 0xd8
	s_movk_i32 s21, 0x208
	s_mov_b32 s20, 0
.LBB37_112:                             ; =>This Inner Loop Header: Depth=1
	scratch_load_b64 v[84:85], off, s1
	v_dual_mov_b32 v83, s21 :: v_dual_add_nc_u32 v82, -1, v82
	s_add_co_i32 s21, s21, 8
	s_wait_xcnt 0x0
	s_add_co_i32 s1, s1, 8
	ds_load_b64 v[86:87], v83
	v_cmp_eq_u32_e32 vcc_lo, 0, v82
	s_or_b32 s20, vcc_lo, s20
	s_wait_loadcnt_dscnt 0x0
	v_pk_mul_f32 v[88:89], v[86:87], v[84:85] op_sel:[1,1] op_sel_hi:[0,1]
	s_delay_alu instid0(VALU_DEP_1) | instskip(SKIP_1) | instid1(VALU_DEP_2)
	v_pk_fma_f32 v[90:91], v[86:87], v[84:85], v[88:89] op_sel_hi:[1,0,1]
	v_pk_fma_f32 v[84:85], v[86:87], v[84:85], v[88:89] neg_lo:[0,0,1] neg_hi:[0,0,1]
	v_mov_b32_e32 v85, v91
	s_delay_alu instid0(VALU_DEP_1)
	v_pk_add_f32 v[80:81], v[80:81], v[84:85]
	s_and_not1_b32 exec_lo, exec_lo, s20
	s_cbranch_execnz .LBB37_112
; %bb.113:
	s_or_b32 exec_lo, exec_lo, s20
.LBB37_114:
	s_delay_alu instid0(SALU_CYCLE_1) | instskip(SKIP_4) | instid1(VALU_DEP_1)
	s_or_b32 exec_lo, exec_lo, s19
	v_mov_b32_e32 v82, 0
	ds_load_b64 v[82:83], v82 offset:208
	s_wait_dscnt 0x0
	v_pk_mul_f32 v[84:85], v[80:81], v[82:83] op_sel:[1,1] op_sel_hi:[0,1]
	v_pk_fma_f32 v[86:87], v[80:81], v[82:83], v[84:85] op_sel_hi:[1,0,1]
	v_pk_fma_f32 v[80:81], v[80:81], v[82:83], v[84:85] neg_lo:[0,0,1] neg_hi:[0,0,1]
	s_delay_alu instid0(VALU_DEP_2)
	v_mov_b32_e32 v81, v87
	scratch_store_b64 off, v[80:81], off offset:208
.LBB37_115:
	s_wait_xcnt 0x0
	s_or_b32 exec_lo, exec_lo, s18
	scratch_load_b64 v[80:81], off, off offset:200
	v_cmp_lt_u32_e64 s1, 25, v0
	s_wait_loadcnt 0x0
	ds_store_b64 v1, v[80:81]
	s_wait_storecnt_dscnt 0x0
	s_barrier_signal -1
	s_barrier_wait -1
	s_wait_xcnt 0x0
	s_and_saveexec_b32 s18, s1
	s_cbranch_execz .LBB37_125
; %bb.116:
	s_and_not1_b32 vcc_lo, exec_lo, s3
	s_cbranch_vccnz .LBB37_118
; %bb.117:
	scratch_load_b64 v[80:81], v47, off
	ds_load_b64 v[82:83], v1
	s_wait_loadcnt_dscnt 0x0
	v_pk_mul_f32 v[84:85], v[82:83], v[80:81] op_sel:[1,1] op_sel_hi:[0,1]
	s_delay_alu instid0(VALU_DEP_1) | instskip(SKIP_1) | instid1(VALU_DEP_2)
	v_pk_fma_f32 v[86:87], v[82:83], v[80:81], v[84:85] op_sel_hi:[1,0,1]
	v_pk_fma_f32 v[80:81], v[82:83], v[80:81], v[84:85] neg_lo:[0,0,1] neg_hi:[0,0,1]
	v_mov_b32_e32 v81, v87
	s_cbranch_execz .LBB37_119
	s_branch .LBB37_120
.LBB37_118:
                                        ; implicit-def: $vgpr80_vgpr81
.LBB37_119:
	ds_load_b64 v[80:81], v1
.LBB37_120:
	s_and_saveexec_b32 s19, s0
	s_cbranch_execz .LBB37_124
; %bb.121:
	v_subrev_nc_u32_e32 v82, 26, v0
	s_movk_i32 s20, 0x200
	s_mov_b32 s0, 0
.LBB37_122:                             ; =>This Inner Loop Header: Depth=1
	scratch_load_b64 v[84:85], off, s17
	v_dual_mov_b32 v83, s20 :: v_dual_add_nc_u32 v82, -1, v82
	s_add_co_i32 s20, s20, 8
	s_wait_xcnt 0x0
	s_add_co_i32 s17, s17, 8
	ds_load_b64 v[86:87], v83
	v_cmp_eq_u32_e32 vcc_lo, 0, v82
	s_or_b32 s0, vcc_lo, s0
	s_wait_loadcnt_dscnt 0x0
	v_pk_mul_f32 v[88:89], v[86:87], v[84:85] op_sel:[1,1] op_sel_hi:[0,1]
	s_delay_alu instid0(VALU_DEP_1) | instskip(SKIP_1) | instid1(VALU_DEP_2)
	v_pk_fma_f32 v[90:91], v[86:87], v[84:85], v[88:89] op_sel_hi:[1,0,1]
	v_pk_fma_f32 v[84:85], v[86:87], v[84:85], v[88:89] neg_lo:[0,0,1] neg_hi:[0,0,1]
	v_mov_b32_e32 v85, v91
	s_delay_alu instid0(VALU_DEP_1)
	v_pk_add_f32 v[80:81], v[80:81], v[84:85]
	s_and_not1_b32 exec_lo, exec_lo, s0
	s_cbranch_execnz .LBB37_122
; %bb.123:
	s_or_b32 exec_lo, exec_lo, s0
.LBB37_124:
	s_delay_alu instid0(SALU_CYCLE_1) | instskip(SKIP_4) | instid1(VALU_DEP_1)
	s_or_b32 exec_lo, exec_lo, s19
	v_mov_b32_e32 v82, 0
	ds_load_b64 v[82:83], v82 offset:200
	s_wait_dscnt 0x0
	v_pk_mul_f32 v[84:85], v[80:81], v[82:83] op_sel:[1,1] op_sel_hi:[0,1]
	v_pk_fma_f32 v[86:87], v[80:81], v[82:83], v[84:85] op_sel_hi:[1,0,1]
	v_pk_fma_f32 v[80:81], v[80:81], v[82:83], v[84:85] neg_lo:[0,0,1] neg_hi:[0,0,1]
	s_delay_alu instid0(VALU_DEP_2)
	v_mov_b32_e32 v81, v87
	scratch_store_b64 off, v[80:81], off offset:200
.LBB37_125:
	s_wait_xcnt 0x0
	s_or_b32 exec_lo, exec_lo, s18
	scratch_load_b64 v[80:81], off, off offset:192
	v_cmp_lt_u32_e64 s0, 24, v0
	s_wait_loadcnt 0x0
	ds_store_b64 v1, v[80:81]
	s_wait_storecnt_dscnt 0x0
	s_barrier_signal -1
	s_barrier_wait -1
	s_wait_xcnt 0x0
	s_and_saveexec_b32 s17, s0
	s_cbranch_execz .LBB37_135
; %bb.126:
	s_and_not1_b32 vcc_lo, exec_lo, s3
	s_cbranch_vccnz .LBB37_128
; %bb.127:
	scratch_load_b64 v[80:81], v47, off
	ds_load_b64 v[82:83], v1
	s_wait_loadcnt_dscnt 0x0
	v_pk_mul_f32 v[84:85], v[82:83], v[80:81] op_sel:[1,1] op_sel_hi:[0,1]
	s_delay_alu instid0(VALU_DEP_1) | instskip(SKIP_1) | instid1(VALU_DEP_2)
	v_pk_fma_f32 v[86:87], v[82:83], v[80:81], v[84:85] op_sel_hi:[1,0,1]
	v_pk_fma_f32 v[80:81], v[82:83], v[80:81], v[84:85] neg_lo:[0,0,1] neg_hi:[0,0,1]
	v_mov_b32_e32 v81, v87
	s_cbranch_execz .LBB37_129
	s_branch .LBB37_130
.LBB37_128:
                                        ; implicit-def: $vgpr80_vgpr81
.LBB37_129:
	ds_load_b64 v[80:81], v1
.LBB37_130:
	s_and_saveexec_b32 s18, s1
	s_cbranch_execz .LBB37_134
; %bb.131:
	v_subrev_nc_u32_e32 v82, 25, v0
	s_movk_i32 s1, 0xc8
	s_movk_i32 s20, 0x1f8
	s_mov_b32 s19, 0
.LBB37_132:                             ; =>This Inner Loop Header: Depth=1
	scratch_load_b64 v[84:85], off, s1
	v_dual_mov_b32 v83, s20 :: v_dual_add_nc_u32 v82, -1, v82
	s_add_co_i32 s20, s20, 8
	s_wait_xcnt 0x0
	s_add_co_i32 s1, s1, 8
	ds_load_b64 v[86:87], v83
	v_cmp_eq_u32_e32 vcc_lo, 0, v82
	s_or_b32 s19, vcc_lo, s19
	s_wait_loadcnt_dscnt 0x0
	v_pk_mul_f32 v[88:89], v[86:87], v[84:85] op_sel:[1,1] op_sel_hi:[0,1]
	s_delay_alu instid0(VALU_DEP_1) | instskip(SKIP_1) | instid1(VALU_DEP_2)
	v_pk_fma_f32 v[90:91], v[86:87], v[84:85], v[88:89] op_sel_hi:[1,0,1]
	v_pk_fma_f32 v[84:85], v[86:87], v[84:85], v[88:89] neg_lo:[0,0,1] neg_hi:[0,0,1]
	v_mov_b32_e32 v85, v91
	s_delay_alu instid0(VALU_DEP_1)
	v_pk_add_f32 v[80:81], v[80:81], v[84:85]
	s_and_not1_b32 exec_lo, exec_lo, s19
	s_cbranch_execnz .LBB37_132
; %bb.133:
	s_or_b32 exec_lo, exec_lo, s19
.LBB37_134:
	s_delay_alu instid0(SALU_CYCLE_1) | instskip(SKIP_4) | instid1(VALU_DEP_1)
	s_or_b32 exec_lo, exec_lo, s18
	v_mov_b32_e32 v82, 0
	ds_load_b64 v[82:83], v82 offset:192
	s_wait_dscnt 0x0
	v_pk_mul_f32 v[84:85], v[80:81], v[82:83] op_sel:[1,1] op_sel_hi:[0,1]
	v_pk_fma_f32 v[86:87], v[80:81], v[82:83], v[84:85] op_sel_hi:[1,0,1]
	v_pk_fma_f32 v[80:81], v[80:81], v[82:83], v[84:85] neg_lo:[0,0,1] neg_hi:[0,0,1]
	s_delay_alu instid0(VALU_DEP_2)
	v_mov_b32_e32 v81, v87
	scratch_store_b64 off, v[80:81], off offset:192
.LBB37_135:
	s_wait_xcnt 0x0
	s_or_b32 exec_lo, exec_lo, s17
	scratch_load_b64 v[80:81], off, off offset:184
	v_cmp_lt_u32_e64 s1, 23, v0
	s_wait_loadcnt 0x0
	ds_store_b64 v1, v[80:81]
	s_wait_storecnt_dscnt 0x0
	s_barrier_signal -1
	s_barrier_wait -1
	s_wait_xcnt 0x0
	s_and_saveexec_b32 s17, s1
	s_cbranch_execz .LBB37_145
; %bb.136:
	s_and_not1_b32 vcc_lo, exec_lo, s3
	s_cbranch_vccnz .LBB37_138
; %bb.137:
	scratch_load_b64 v[80:81], v47, off
	ds_load_b64 v[82:83], v1
	s_wait_loadcnt_dscnt 0x0
	v_pk_mul_f32 v[84:85], v[82:83], v[80:81] op_sel:[1,1] op_sel_hi:[0,1]
	s_delay_alu instid0(VALU_DEP_1) | instskip(SKIP_1) | instid1(VALU_DEP_2)
	v_pk_fma_f32 v[86:87], v[82:83], v[80:81], v[84:85] op_sel_hi:[1,0,1]
	v_pk_fma_f32 v[80:81], v[82:83], v[80:81], v[84:85] neg_lo:[0,0,1] neg_hi:[0,0,1]
	v_mov_b32_e32 v81, v87
	s_cbranch_execz .LBB37_139
	s_branch .LBB37_140
.LBB37_138:
                                        ; implicit-def: $vgpr80_vgpr81
.LBB37_139:
	ds_load_b64 v[80:81], v1
.LBB37_140:
	s_and_saveexec_b32 s18, s0
	s_cbranch_execz .LBB37_144
; %bb.141:
	v_subrev_nc_u32_e32 v82, 24, v0
	s_movk_i32 s19, 0x1f0
	s_mov_b32 s0, 0
.LBB37_142:                             ; =>This Inner Loop Header: Depth=1
	scratch_load_b64 v[84:85], off, s16
	v_dual_mov_b32 v83, s19 :: v_dual_add_nc_u32 v82, -1, v82
	s_add_co_i32 s19, s19, 8
	s_wait_xcnt 0x0
	s_add_co_i32 s16, s16, 8
	ds_load_b64 v[86:87], v83
	v_cmp_eq_u32_e32 vcc_lo, 0, v82
	s_or_b32 s0, vcc_lo, s0
	s_wait_loadcnt_dscnt 0x0
	v_pk_mul_f32 v[88:89], v[86:87], v[84:85] op_sel:[1,1] op_sel_hi:[0,1]
	s_delay_alu instid0(VALU_DEP_1) | instskip(SKIP_1) | instid1(VALU_DEP_2)
	v_pk_fma_f32 v[90:91], v[86:87], v[84:85], v[88:89] op_sel_hi:[1,0,1]
	v_pk_fma_f32 v[84:85], v[86:87], v[84:85], v[88:89] neg_lo:[0,0,1] neg_hi:[0,0,1]
	v_mov_b32_e32 v85, v91
	s_delay_alu instid0(VALU_DEP_1)
	v_pk_add_f32 v[80:81], v[80:81], v[84:85]
	s_and_not1_b32 exec_lo, exec_lo, s0
	s_cbranch_execnz .LBB37_142
; %bb.143:
	s_or_b32 exec_lo, exec_lo, s0
.LBB37_144:
	s_delay_alu instid0(SALU_CYCLE_1) | instskip(SKIP_4) | instid1(VALU_DEP_1)
	s_or_b32 exec_lo, exec_lo, s18
	v_mov_b32_e32 v82, 0
	ds_load_b64 v[82:83], v82 offset:184
	s_wait_dscnt 0x0
	v_pk_mul_f32 v[84:85], v[80:81], v[82:83] op_sel:[1,1] op_sel_hi:[0,1]
	v_pk_fma_f32 v[86:87], v[80:81], v[82:83], v[84:85] op_sel_hi:[1,0,1]
	v_pk_fma_f32 v[80:81], v[80:81], v[82:83], v[84:85] neg_lo:[0,0,1] neg_hi:[0,0,1]
	s_delay_alu instid0(VALU_DEP_2)
	v_mov_b32_e32 v81, v87
	scratch_store_b64 off, v[80:81], off offset:184
.LBB37_145:
	s_wait_xcnt 0x0
	s_or_b32 exec_lo, exec_lo, s17
	scratch_load_b64 v[80:81], off, off offset:176
	v_cmp_lt_u32_e64 s0, 22, v0
	s_wait_loadcnt 0x0
	ds_store_b64 v1, v[80:81]
	s_wait_storecnt_dscnt 0x0
	s_barrier_signal -1
	s_barrier_wait -1
	s_wait_xcnt 0x0
	s_and_saveexec_b32 s16, s0
	s_cbranch_execz .LBB37_155
; %bb.146:
	s_and_not1_b32 vcc_lo, exec_lo, s3
	s_cbranch_vccnz .LBB37_148
; %bb.147:
	scratch_load_b64 v[80:81], v47, off
	ds_load_b64 v[82:83], v1
	s_wait_loadcnt_dscnt 0x0
	v_pk_mul_f32 v[84:85], v[82:83], v[80:81] op_sel:[1,1] op_sel_hi:[0,1]
	s_delay_alu instid0(VALU_DEP_1) | instskip(SKIP_1) | instid1(VALU_DEP_2)
	v_pk_fma_f32 v[86:87], v[82:83], v[80:81], v[84:85] op_sel_hi:[1,0,1]
	v_pk_fma_f32 v[80:81], v[82:83], v[80:81], v[84:85] neg_lo:[0,0,1] neg_hi:[0,0,1]
	v_mov_b32_e32 v81, v87
	s_cbranch_execz .LBB37_149
	s_branch .LBB37_150
.LBB37_148:
                                        ; implicit-def: $vgpr80_vgpr81
.LBB37_149:
	ds_load_b64 v[80:81], v1
.LBB37_150:
	s_and_saveexec_b32 s17, s1
	s_cbranch_execz .LBB37_154
; %bb.151:
	v_subrev_nc_u32_e32 v82, 23, v0
	s_movk_i32 s1, 0xb8
	s_movk_i32 s19, 0x1e8
	s_mov_b32 s18, 0
.LBB37_152:                             ; =>This Inner Loop Header: Depth=1
	scratch_load_b64 v[84:85], off, s1
	v_dual_mov_b32 v83, s19 :: v_dual_add_nc_u32 v82, -1, v82
	s_add_co_i32 s19, s19, 8
	s_wait_xcnt 0x0
	s_add_co_i32 s1, s1, 8
	ds_load_b64 v[86:87], v83
	v_cmp_eq_u32_e32 vcc_lo, 0, v82
	s_or_b32 s18, vcc_lo, s18
	s_wait_loadcnt_dscnt 0x0
	v_pk_mul_f32 v[88:89], v[86:87], v[84:85] op_sel:[1,1] op_sel_hi:[0,1]
	s_delay_alu instid0(VALU_DEP_1) | instskip(SKIP_1) | instid1(VALU_DEP_2)
	v_pk_fma_f32 v[90:91], v[86:87], v[84:85], v[88:89] op_sel_hi:[1,0,1]
	v_pk_fma_f32 v[84:85], v[86:87], v[84:85], v[88:89] neg_lo:[0,0,1] neg_hi:[0,0,1]
	v_mov_b32_e32 v85, v91
	s_delay_alu instid0(VALU_DEP_1)
	v_pk_add_f32 v[80:81], v[80:81], v[84:85]
	s_and_not1_b32 exec_lo, exec_lo, s18
	s_cbranch_execnz .LBB37_152
; %bb.153:
	s_or_b32 exec_lo, exec_lo, s18
.LBB37_154:
	s_delay_alu instid0(SALU_CYCLE_1) | instskip(SKIP_4) | instid1(VALU_DEP_1)
	s_or_b32 exec_lo, exec_lo, s17
	v_mov_b32_e32 v82, 0
	ds_load_b64 v[82:83], v82 offset:176
	s_wait_dscnt 0x0
	v_pk_mul_f32 v[84:85], v[80:81], v[82:83] op_sel:[1,1] op_sel_hi:[0,1]
	v_pk_fma_f32 v[86:87], v[80:81], v[82:83], v[84:85] op_sel_hi:[1,0,1]
	v_pk_fma_f32 v[80:81], v[80:81], v[82:83], v[84:85] neg_lo:[0,0,1] neg_hi:[0,0,1]
	s_delay_alu instid0(VALU_DEP_2)
	v_mov_b32_e32 v81, v87
	scratch_store_b64 off, v[80:81], off offset:176
.LBB37_155:
	s_wait_xcnt 0x0
	s_or_b32 exec_lo, exec_lo, s16
	scratch_load_b64 v[80:81], off, off offset:168
	v_cmp_lt_u32_e64 s1, 21, v0
	s_wait_loadcnt 0x0
	ds_store_b64 v1, v[80:81]
	s_wait_storecnt_dscnt 0x0
	s_barrier_signal -1
	s_barrier_wait -1
	s_wait_xcnt 0x0
	s_and_saveexec_b32 s16, s1
	s_cbranch_execz .LBB37_165
; %bb.156:
	s_and_not1_b32 vcc_lo, exec_lo, s3
	s_cbranch_vccnz .LBB37_158
; %bb.157:
	scratch_load_b64 v[80:81], v47, off
	ds_load_b64 v[82:83], v1
	s_wait_loadcnt_dscnt 0x0
	v_pk_mul_f32 v[84:85], v[82:83], v[80:81] op_sel:[1,1] op_sel_hi:[0,1]
	s_delay_alu instid0(VALU_DEP_1) | instskip(SKIP_1) | instid1(VALU_DEP_2)
	v_pk_fma_f32 v[86:87], v[82:83], v[80:81], v[84:85] op_sel_hi:[1,0,1]
	v_pk_fma_f32 v[80:81], v[82:83], v[80:81], v[84:85] neg_lo:[0,0,1] neg_hi:[0,0,1]
	v_mov_b32_e32 v81, v87
	s_cbranch_execz .LBB37_159
	s_branch .LBB37_160
.LBB37_158:
                                        ; implicit-def: $vgpr80_vgpr81
.LBB37_159:
	ds_load_b64 v[80:81], v1
.LBB37_160:
	s_and_saveexec_b32 s17, s0
	s_cbranch_execz .LBB37_164
; %bb.161:
	v_subrev_nc_u32_e32 v82, 22, v0
	s_movk_i32 s18, 0x1e0
	s_mov_b32 s0, 0
.LBB37_162:                             ; =>This Inner Loop Header: Depth=1
	scratch_load_b64 v[84:85], off, s15
	v_dual_mov_b32 v83, s18 :: v_dual_add_nc_u32 v82, -1, v82
	s_add_co_i32 s18, s18, 8
	s_wait_xcnt 0x0
	s_add_co_i32 s15, s15, 8
	ds_load_b64 v[86:87], v83
	v_cmp_eq_u32_e32 vcc_lo, 0, v82
	s_or_b32 s0, vcc_lo, s0
	s_wait_loadcnt_dscnt 0x0
	v_pk_mul_f32 v[88:89], v[86:87], v[84:85] op_sel:[1,1] op_sel_hi:[0,1]
	s_delay_alu instid0(VALU_DEP_1) | instskip(SKIP_1) | instid1(VALU_DEP_2)
	v_pk_fma_f32 v[90:91], v[86:87], v[84:85], v[88:89] op_sel_hi:[1,0,1]
	v_pk_fma_f32 v[84:85], v[86:87], v[84:85], v[88:89] neg_lo:[0,0,1] neg_hi:[0,0,1]
	v_mov_b32_e32 v85, v91
	s_delay_alu instid0(VALU_DEP_1)
	v_pk_add_f32 v[80:81], v[80:81], v[84:85]
	s_and_not1_b32 exec_lo, exec_lo, s0
	s_cbranch_execnz .LBB37_162
; %bb.163:
	s_or_b32 exec_lo, exec_lo, s0
.LBB37_164:
	s_delay_alu instid0(SALU_CYCLE_1) | instskip(SKIP_4) | instid1(VALU_DEP_1)
	s_or_b32 exec_lo, exec_lo, s17
	v_mov_b32_e32 v82, 0
	ds_load_b64 v[82:83], v82 offset:168
	s_wait_dscnt 0x0
	v_pk_mul_f32 v[84:85], v[80:81], v[82:83] op_sel:[1,1] op_sel_hi:[0,1]
	v_pk_fma_f32 v[86:87], v[80:81], v[82:83], v[84:85] op_sel_hi:[1,0,1]
	v_pk_fma_f32 v[80:81], v[80:81], v[82:83], v[84:85] neg_lo:[0,0,1] neg_hi:[0,0,1]
	s_delay_alu instid0(VALU_DEP_2)
	v_mov_b32_e32 v81, v87
	scratch_store_b64 off, v[80:81], off offset:168
.LBB37_165:
	s_wait_xcnt 0x0
	s_or_b32 exec_lo, exec_lo, s16
	scratch_load_b64 v[80:81], off, off offset:160
	v_cmp_lt_u32_e64 s0, 20, v0
	s_wait_loadcnt 0x0
	ds_store_b64 v1, v[80:81]
	s_wait_storecnt_dscnt 0x0
	s_barrier_signal -1
	s_barrier_wait -1
	s_wait_xcnt 0x0
	s_and_saveexec_b32 s15, s0
	s_cbranch_execz .LBB37_175
; %bb.166:
	s_and_not1_b32 vcc_lo, exec_lo, s3
	s_cbranch_vccnz .LBB37_168
; %bb.167:
	scratch_load_b64 v[80:81], v47, off
	ds_load_b64 v[82:83], v1
	s_wait_loadcnt_dscnt 0x0
	v_pk_mul_f32 v[84:85], v[82:83], v[80:81] op_sel:[1,1] op_sel_hi:[0,1]
	s_delay_alu instid0(VALU_DEP_1) | instskip(SKIP_1) | instid1(VALU_DEP_2)
	v_pk_fma_f32 v[86:87], v[82:83], v[80:81], v[84:85] op_sel_hi:[1,0,1]
	v_pk_fma_f32 v[80:81], v[82:83], v[80:81], v[84:85] neg_lo:[0,0,1] neg_hi:[0,0,1]
	v_mov_b32_e32 v81, v87
	s_cbranch_execz .LBB37_169
	s_branch .LBB37_170
.LBB37_168:
                                        ; implicit-def: $vgpr80_vgpr81
.LBB37_169:
	ds_load_b64 v[80:81], v1
.LBB37_170:
	s_and_saveexec_b32 s16, s1
	s_cbranch_execz .LBB37_174
; %bb.171:
	v_subrev_nc_u32_e32 v82, 21, v0
	s_movk_i32 s1, 0xa8
	s_movk_i32 s18, 0x1d8
	s_mov_b32 s17, 0
.LBB37_172:                             ; =>This Inner Loop Header: Depth=1
	scratch_load_b64 v[84:85], off, s1
	v_dual_mov_b32 v83, s18 :: v_dual_add_nc_u32 v82, -1, v82
	s_add_co_i32 s18, s18, 8
	s_wait_xcnt 0x0
	s_add_co_i32 s1, s1, 8
	ds_load_b64 v[86:87], v83
	v_cmp_eq_u32_e32 vcc_lo, 0, v82
	s_or_b32 s17, vcc_lo, s17
	s_wait_loadcnt_dscnt 0x0
	v_pk_mul_f32 v[88:89], v[86:87], v[84:85] op_sel:[1,1] op_sel_hi:[0,1]
	s_delay_alu instid0(VALU_DEP_1) | instskip(SKIP_1) | instid1(VALU_DEP_2)
	v_pk_fma_f32 v[90:91], v[86:87], v[84:85], v[88:89] op_sel_hi:[1,0,1]
	v_pk_fma_f32 v[84:85], v[86:87], v[84:85], v[88:89] neg_lo:[0,0,1] neg_hi:[0,0,1]
	v_mov_b32_e32 v85, v91
	s_delay_alu instid0(VALU_DEP_1)
	v_pk_add_f32 v[80:81], v[80:81], v[84:85]
	s_and_not1_b32 exec_lo, exec_lo, s17
	s_cbranch_execnz .LBB37_172
; %bb.173:
	s_or_b32 exec_lo, exec_lo, s17
.LBB37_174:
	s_delay_alu instid0(SALU_CYCLE_1) | instskip(SKIP_4) | instid1(VALU_DEP_1)
	s_or_b32 exec_lo, exec_lo, s16
	v_mov_b32_e32 v82, 0
	ds_load_b64 v[82:83], v82 offset:160
	s_wait_dscnt 0x0
	v_pk_mul_f32 v[84:85], v[80:81], v[82:83] op_sel:[1,1] op_sel_hi:[0,1]
	v_pk_fma_f32 v[86:87], v[80:81], v[82:83], v[84:85] op_sel_hi:[1,0,1]
	v_pk_fma_f32 v[80:81], v[80:81], v[82:83], v[84:85] neg_lo:[0,0,1] neg_hi:[0,0,1]
	s_delay_alu instid0(VALU_DEP_2)
	v_mov_b32_e32 v81, v87
	scratch_store_b64 off, v[80:81], off offset:160
.LBB37_175:
	s_wait_xcnt 0x0
	s_or_b32 exec_lo, exec_lo, s15
	scratch_load_b64 v[80:81], off, off offset:152
	v_cmp_lt_u32_e64 s1, 19, v0
	s_wait_loadcnt 0x0
	ds_store_b64 v1, v[80:81]
	s_wait_storecnt_dscnt 0x0
	s_barrier_signal -1
	s_barrier_wait -1
	s_wait_xcnt 0x0
	s_and_saveexec_b32 s15, s1
	s_cbranch_execz .LBB37_185
; %bb.176:
	s_and_not1_b32 vcc_lo, exec_lo, s3
	s_cbranch_vccnz .LBB37_178
; %bb.177:
	scratch_load_b64 v[80:81], v47, off
	ds_load_b64 v[82:83], v1
	s_wait_loadcnt_dscnt 0x0
	v_pk_mul_f32 v[84:85], v[82:83], v[80:81] op_sel:[1,1] op_sel_hi:[0,1]
	s_delay_alu instid0(VALU_DEP_1) | instskip(SKIP_1) | instid1(VALU_DEP_2)
	v_pk_fma_f32 v[86:87], v[82:83], v[80:81], v[84:85] op_sel_hi:[1,0,1]
	v_pk_fma_f32 v[80:81], v[82:83], v[80:81], v[84:85] neg_lo:[0,0,1] neg_hi:[0,0,1]
	v_mov_b32_e32 v81, v87
	s_cbranch_execz .LBB37_179
	s_branch .LBB37_180
.LBB37_178:
                                        ; implicit-def: $vgpr80_vgpr81
.LBB37_179:
	ds_load_b64 v[80:81], v1
.LBB37_180:
	s_and_saveexec_b32 s16, s0
	s_cbranch_execz .LBB37_184
; %bb.181:
	v_subrev_nc_u32_e32 v82, 20, v0
	s_movk_i32 s17, 0x1d0
	s_mov_b32 s0, 0
.LBB37_182:                             ; =>This Inner Loop Header: Depth=1
	scratch_load_b64 v[84:85], off, s14
	v_dual_mov_b32 v83, s17 :: v_dual_add_nc_u32 v82, -1, v82
	s_add_co_i32 s17, s17, 8
	s_wait_xcnt 0x0
	s_add_co_i32 s14, s14, 8
	ds_load_b64 v[86:87], v83
	v_cmp_eq_u32_e32 vcc_lo, 0, v82
	s_or_b32 s0, vcc_lo, s0
	s_wait_loadcnt_dscnt 0x0
	v_pk_mul_f32 v[88:89], v[86:87], v[84:85] op_sel:[1,1] op_sel_hi:[0,1]
	s_delay_alu instid0(VALU_DEP_1) | instskip(SKIP_1) | instid1(VALU_DEP_2)
	v_pk_fma_f32 v[90:91], v[86:87], v[84:85], v[88:89] op_sel_hi:[1,0,1]
	v_pk_fma_f32 v[84:85], v[86:87], v[84:85], v[88:89] neg_lo:[0,0,1] neg_hi:[0,0,1]
	v_mov_b32_e32 v85, v91
	s_delay_alu instid0(VALU_DEP_1)
	v_pk_add_f32 v[80:81], v[80:81], v[84:85]
	s_and_not1_b32 exec_lo, exec_lo, s0
	s_cbranch_execnz .LBB37_182
; %bb.183:
	s_or_b32 exec_lo, exec_lo, s0
.LBB37_184:
	s_delay_alu instid0(SALU_CYCLE_1) | instskip(SKIP_4) | instid1(VALU_DEP_1)
	s_or_b32 exec_lo, exec_lo, s16
	v_mov_b32_e32 v82, 0
	ds_load_b64 v[82:83], v82 offset:152
	s_wait_dscnt 0x0
	v_pk_mul_f32 v[84:85], v[80:81], v[82:83] op_sel:[1,1] op_sel_hi:[0,1]
	v_pk_fma_f32 v[86:87], v[80:81], v[82:83], v[84:85] op_sel_hi:[1,0,1]
	v_pk_fma_f32 v[80:81], v[80:81], v[82:83], v[84:85] neg_lo:[0,0,1] neg_hi:[0,0,1]
	s_delay_alu instid0(VALU_DEP_2)
	v_mov_b32_e32 v81, v87
	scratch_store_b64 off, v[80:81], off offset:152
.LBB37_185:
	s_wait_xcnt 0x0
	s_or_b32 exec_lo, exec_lo, s15
	scratch_load_b64 v[80:81], off, off offset:144
	v_cmp_lt_u32_e64 s0, 18, v0
	s_wait_loadcnt 0x0
	ds_store_b64 v1, v[80:81]
	s_wait_storecnt_dscnt 0x0
	s_barrier_signal -1
	s_barrier_wait -1
	s_wait_xcnt 0x0
	s_and_saveexec_b32 s14, s0
	s_cbranch_execz .LBB37_195
; %bb.186:
	s_and_not1_b32 vcc_lo, exec_lo, s3
	s_cbranch_vccnz .LBB37_188
; %bb.187:
	scratch_load_b64 v[80:81], v47, off
	ds_load_b64 v[82:83], v1
	s_wait_loadcnt_dscnt 0x0
	v_pk_mul_f32 v[84:85], v[82:83], v[80:81] op_sel:[1,1] op_sel_hi:[0,1]
	s_delay_alu instid0(VALU_DEP_1) | instskip(SKIP_1) | instid1(VALU_DEP_2)
	v_pk_fma_f32 v[86:87], v[82:83], v[80:81], v[84:85] op_sel_hi:[1,0,1]
	v_pk_fma_f32 v[80:81], v[82:83], v[80:81], v[84:85] neg_lo:[0,0,1] neg_hi:[0,0,1]
	v_mov_b32_e32 v81, v87
	s_cbranch_execz .LBB37_189
	s_branch .LBB37_190
.LBB37_188:
                                        ; implicit-def: $vgpr80_vgpr81
.LBB37_189:
	ds_load_b64 v[80:81], v1
.LBB37_190:
	s_and_saveexec_b32 s15, s1
	s_cbranch_execz .LBB37_194
; %bb.191:
	v_subrev_nc_u32_e32 v82, 19, v0
	s_movk_i32 s1, 0x98
	s_movk_i32 s17, 0x1c8
	s_mov_b32 s16, 0
.LBB37_192:                             ; =>This Inner Loop Header: Depth=1
	scratch_load_b64 v[84:85], off, s1
	v_dual_mov_b32 v83, s17 :: v_dual_add_nc_u32 v82, -1, v82
	s_add_co_i32 s17, s17, 8
	s_wait_xcnt 0x0
	s_add_co_i32 s1, s1, 8
	ds_load_b64 v[86:87], v83
	v_cmp_eq_u32_e32 vcc_lo, 0, v82
	s_or_b32 s16, vcc_lo, s16
	s_wait_loadcnt_dscnt 0x0
	v_pk_mul_f32 v[88:89], v[86:87], v[84:85] op_sel:[1,1] op_sel_hi:[0,1]
	s_delay_alu instid0(VALU_DEP_1) | instskip(SKIP_1) | instid1(VALU_DEP_2)
	v_pk_fma_f32 v[90:91], v[86:87], v[84:85], v[88:89] op_sel_hi:[1,0,1]
	v_pk_fma_f32 v[84:85], v[86:87], v[84:85], v[88:89] neg_lo:[0,0,1] neg_hi:[0,0,1]
	v_mov_b32_e32 v85, v91
	s_delay_alu instid0(VALU_DEP_1)
	v_pk_add_f32 v[80:81], v[80:81], v[84:85]
	s_and_not1_b32 exec_lo, exec_lo, s16
	s_cbranch_execnz .LBB37_192
; %bb.193:
	s_or_b32 exec_lo, exec_lo, s16
.LBB37_194:
	s_delay_alu instid0(SALU_CYCLE_1) | instskip(SKIP_4) | instid1(VALU_DEP_1)
	s_or_b32 exec_lo, exec_lo, s15
	v_mov_b32_e32 v82, 0
	ds_load_b64 v[82:83], v82 offset:144
	s_wait_dscnt 0x0
	v_pk_mul_f32 v[84:85], v[80:81], v[82:83] op_sel:[1,1] op_sel_hi:[0,1]
	v_pk_fma_f32 v[86:87], v[80:81], v[82:83], v[84:85] op_sel_hi:[1,0,1]
	v_pk_fma_f32 v[80:81], v[80:81], v[82:83], v[84:85] neg_lo:[0,0,1] neg_hi:[0,0,1]
	s_delay_alu instid0(VALU_DEP_2)
	v_mov_b32_e32 v81, v87
	scratch_store_b64 off, v[80:81], off offset:144
.LBB37_195:
	s_wait_xcnt 0x0
	s_or_b32 exec_lo, exec_lo, s14
	scratch_load_b64 v[80:81], off, off offset:136
	v_cmp_lt_u32_e64 s1, 17, v0
	s_wait_loadcnt 0x0
	ds_store_b64 v1, v[80:81]
	s_wait_storecnt_dscnt 0x0
	s_barrier_signal -1
	s_barrier_wait -1
	s_wait_xcnt 0x0
	s_and_saveexec_b32 s14, s1
	s_cbranch_execz .LBB37_205
; %bb.196:
	s_and_not1_b32 vcc_lo, exec_lo, s3
	s_cbranch_vccnz .LBB37_198
; %bb.197:
	scratch_load_b64 v[80:81], v47, off
	ds_load_b64 v[82:83], v1
	s_wait_loadcnt_dscnt 0x0
	v_pk_mul_f32 v[84:85], v[82:83], v[80:81] op_sel:[1,1] op_sel_hi:[0,1]
	s_delay_alu instid0(VALU_DEP_1) | instskip(SKIP_1) | instid1(VALU_DEP_2)
	v_pk_fma_f32 v[86:87], v[82:83], v[80:81], v[84:85] op_sel_hi:[1,0,1]
	v_pk_fma_f32 v[80:81], v[82:83], v[80:81], v[84:85] neg_lo:[0,0,1] neg_hi:[0,0,1]
	v_mov_b32_e32 v81, v87
	s_cbranch_execz .LBB37_199
	s_branch .LBB37_200
.LBB37_198:
                                        ; implicit-def: $vgpr80_vgpr81
.LBB37_199:
	ds_load_b64 v[80:81], v1
.LBB37_200:
	s_and_saveexec_b32 s15, s0
	s_cbranch_execz .LBB37_204
; %bb.201:
	v_subrev_nc_u32_e32 v82, 18, v0
	s_movk_i32 s16, 0x1c0
	s_mov_b32 s0, 0
.LBB37_202:                             ; =>This Inner Loop Header: Depth=1
	scratch_load_b64 v[84:85], off, s13
	v_dual_mov_b32 v83, s16 :: v_dual_add_nc_u32 v82, -1, v82
	s_add_co_i32 s16, s16, 8
	s_wait_xcnt 0x0
	s_add_co_i32 s13, s13, 8
	ds_load_b64 v[86:87], v83
	v_cmp_eq_u32_e32 vcc_lo, 0, v82
	s_or_b32 s0, vcc_lo, s0
	s_wait_loadcnt_dscnt 0x0
	v_pk_mul_f32 v[88:89], v[86:87], v[84:85] op_sel:[1,1] op_sel_hi:[0,1]
	s_delay_alu instid0(VALU_DEP_1) | instskip(SKIP_1) | instid1(VALU_DEP_2)
	v_pk_fma_f32 v[90:91], v[86:87], v[84:85], v[88:89] op_sel_hi:[1,0,1]
	v_pk_fma_f32 v[84:85], v[86:87], v[84:85], v[88:89] neg_lo:[0,0,1] neg_hi:[0,0,1]
	v_mov_b32_e32 v85, v91
	s_delay_alu instid0(VALU_DEP_1)
	v_pk_add_f32 v[80:81], v[80:81], v[84:85]
	s_and_not1_b32 exec_lo, exec_lo, s0
	s_cbranch_execnz .LBB37_202
; %bb.203:
	s_or_b32 exec_lo, exec_lo, s0
.LBB37_204:
	s_delay_alu instid0(SALU_CYCLE_1) | instskip(SKIP_4) | instid1(VALU_DEP_1)
	s_or_b32 exec_lo, exec_lo, s15
	v_mov_b32_e32 v82, 0
	ds_load_b64 v[82:83], v82 offset:136
	s_wait_dscnt 0x0
	v_pk_mul_f32 v[84:85], v[80:81], v[82:83] op_sel:[1,1] op_sel_hi:[0,1]
	v_pk_fma_f32 v[86:87], v[80:81], v[82:83], v[84:85] op_sel_hi:[1,0,1]
	v_pk_fma_f32 v[80:81], v[80:81], v[82:83], v[84:85] neg_lo:[0,0,1] neg_hi:[0,0,1]
	s_delay_alu instid0(VALU_DEP_2)
	v_mov_b32_e32 v81, v87
	scratch_store_b64 off, v[80:81], off offset:136
.LBB37_205:
	s_wait_xcnt 0x0
	s_or_b32 exec_lo, exec_lo, s14
	scratch_load_b64 v[80:81], off, off offset:128
	v_cmp_lt_u32_e64 s0, 16, v0
	s_wait_loadcnt 0x0
	ds_store_b64 v1, v[80:81]
	s_wait_storecnt_dscnt 0x0
	s_barrier_signal -1
	s_barrier_wait -1
	s_wait_xcnt 0x0
	s_and_saveexec_b32 s13, s0
	s_cbranch_execz .LBB37_215
; %bb.206:
	s_and_not1_b32 vcc_lo, exec_lo, s3
	s_cbranch_vccnz .LBB37_208
; %bb.207:
	scratch_load_b64 v[80:81], v47, off
	ds_load_b64 v[82:83], v1
	s_wait_loadcnt_dscnt 0x0
	v_pk_mul_f32 v[84:85], v[82:83], v[80:81] op_sel:[1,1] op_sel_hi:[0,1]
	s_delay_alu instid0(VALU_DEP_1) | instskip(SKIP_1) | instid1(VALU_DEP_2)
	v_pk_fma_f32 v[86:87], v[82:83], v[80:81], v[84:85] op_sel_hi:[1,0,1]
	v_pk_fma_f32 v[80:81], v[82:83], v[80:81], v[84:85] neg_lo:[0,0,1] neg_hi:[0,0,1]
	v_mov_b32_e32 v81, v87
	s_cbranch_execz .LBB37_209
	s_branch .LBB37_210
.LBB37_208:
                                        ; implicit-def: $vgpr80_vgpr81
.LBB37_209:
	ds_load_b64 v[80:81], v1
.LBB37_210:
	s_and_saveexec_b32 s14, s1
	s_cbranch_execz .LBB37_214
; %bb.211:
	v_subrev_nc_u32_e32 v82, 17, v0
	s_movk_i32 s1, 0x88
	s_movk_i32 s16, 0x1b8
	s_mov_b32 s15, 0
.LBB37_212:                             ; =>This Inner Loop Header: Depth=1
	scratch_load_b64 v[84:85], off, s1
	v_dual_mov_b32 v83, s16 :: v_dual_add_nc_u32 v82, -1, v82
	s_add_co_i32 s16, s16, 8
	s_wait_xcnt 0x0
	s_add_co_i32 s1, s1, 8
	ds_load_b64 v[86:87], v83
	v_cmp_eq_u32_e32 vcc_lo, 0, v82
	s_or_b32 s15, vcc_lo, s15
	s_wait_loadcnt_dscnt 0x0
	v_pk_mul_f32 v[88:89], v[86:87], v[84:85] op_sel:[1,1] op_sel_hi:[0,1]
	s_delay_alu instid0(VALU_DEP_1) | instskip(SKIP_1) | instid1(VALU_DEP_2)
	v_pk_fma_f32 v[90:91], v[86:87], v[84:85], v[88:89] op_sel_hi:[1,0,1]
	v_pk_fma_f32 v[84:85], v[86:87], v[84:85], v[88:89] neg_lo:[0,0,1] neg_hi:[0,0,1]
	v_mov_b32_e32 v85, v91
	s_delay_alu instid0(VALU_DEP_1)
	v_pk_add_f32 v[80:81], v[80:81], v[84:85]
	s_and_not1_b32 exec_lo, exec_lo, s15
	s_cbranch_execnz .LBB37_212
; %bb.213:
	s_or_b32 exec_lo, exec_lo, s15
.LBB37_214:
	s_delay_alu instid0(SALU_CYCLE_1) | instskip(SKIP_4) | instid1(VALU_DEP_1)
	s_or_b32 exec_lo, exec_lo, s14
	v_mov_b32_e32 v82, 0
	ds_load_b64 v[82:83], v82 offset:128
	s_wait_dscnt 0x0
	v_pk_mul_f32 v[84:85], v[80:81], v[82:83] op_sel:[1,1] op_sel_hi:[0,1]
	v_pk_fma_f32 v[86:87], v[80:81], v[82:83], v[84:85] op_sel_hi:[1,0,1]
	v_pk_fma_f32 v[80:81], v[80:81], v[82:83], v[84:85] neg_lo:[0,0,1] neg_hi:[0,0,1]
	s_delay_alu instid0(VALU_DEP_2)
	v_mov_b32_e32 v81, v87
	scratch_store_b64 off, v[80:81], off offset:128
.LBB37_215:
	s_wait_xcnt 0x0
	s_or_b32 exec_lo, exec_lo, s13
	scratch_load_b64 v[80:81], off, off offset:120
	v_cmp_lt_u32_e64 s1, 15, v0
	s_wait_loadcnt 0x0
	ds_store_b64 v1, v[80:81]
	s_wait_storecnt_dscnt 0x0
	s_barrier_signal -1
	s_barrier_wait -1
	s_wait_xcnt 0x0
	s_and_saveexec_b32 s13, s1
	s_cbranch_execz .LBB37_225
; %bb.216:
	s_and_not1_b32 vcc_lo, exec_lo, s3
	s_cbranch_vccnz .LBB37_218
; %bb.217:
	scratch_load_b64 v[80:81], v47, off
	ds_load_b64 v[82:83], v1
	s_wait_loadcnt_dscnt 0x0
	v_pk_mul_f32 v[84:85], v[82:83], v[80:81] op_sel:[1,1] op_sel_hi:[0,1]
	s_delay_alu instid0(VALU_DEP_1) | instskip(SKIP_1) | instid1(VALU_DEP_2)
	v_pk_fma_f32 v[86:87], v[82:83], v[80:81], v[84:85] op_sel_hi:[1,0,1]
	v_pk_fma_f32 v[80:81], v[82:83], v[80:81], v[84:85] neg_lo:[0,0,1] neg_hi:[0,0,1]
	v_mov_b32_e32 v81, v87
	s_cbranch_execz .LBB37_219
	s_branch .LBB37_220
.LBB37_218:
                                        ; implicit-def: $vgpr80_vgpr81
.LBB37_219:
	ds_load_b64 v[80:81], v1
.LBB37_220:
	s_and_saveexec_b32 s14, s0
	s_cbranch_execz .LBB37_224
; %bb.221:
	v_add_nc_u32_e32 v82, -16, v0
	s_movk_i32 s15, 0x1b0
	s_mov_b32 s0, 0
.LBB37_222:                             ; =>This Inner Loop Header: Depth=1
	scratch_load_b64 v[84:85], off, s12
	v_dual_mov_b32 v83, s15 :: v_dual_add_nc_u32 v82, -1, v82
	s_add_co_i32 s15, s15, 8
	s_wait_xcnt 0x0
	s_add_co_i32 s12, s12, 8
	ds_load_b64 v[86:87], v83
	v_cmp_eq_u32_e32 vcc_lo, 0, v82
	s_or_b32 s0, vcc_lo, s0
	s_wait_loadcnt_dscnt 0x0
	v_pk_mul_f32 v[88:89], v[86:87], v[84:85] op_sel:[1,1] op_sel_hi:[0,1]
	s_delay_alu instid0(VALU_DEP_1) | instskip(SKIP_1) | instid1(VALU_DEP_2)
	v_pk_fma_f32 v[90:91], v[86:87], v[84:85], v[88:89] op_sel_hi:[1,0,1]
	v_pk_fma_f32 v[84:85], v[86:87], v[84:85], v[88:89] neg_lo:[0,0,1] neg_hi:[0,0,1]
	v_mov_b32_e32 v85, v91
	s_delay_alu instid0(VALU_DEP_1)
	v_pk_add_f32 v[80:81], v[80:81], v[84:85]
	s_and_not1_b32 exec_lo, exec_lo, s0
	s_cbranch_execnz .LBB37_222
; %bb.223:
	s_or_b32 exec_lo, exec_lo, s0
.LBB37_224:
	s_delay_alu instid0(SALU_CYCLE_1) | instskip(SKIP_4) | instid1(VALU_DEP_1)
	s_or_b32 exec_lo, exec_lo, s14
	v_mov_b32_e32 v82, 0
	ds_load_b64 v[82:83], v82 offset:120
	s_wait_dscnt 0x0
	v_pk_mul_f32 v[84:85], v[80:81], v[82:83] op_sel:[1,1] op_sel_hi:[0,1]
	v_pk_fma_f32 v[86:87], v[80:81], v[82:83], v[84:85] op_sel_hi:[1,0,1]
	v_pk_fma_f32 v[80:81], v[80:81], v[82:83], v[84:85] neg_lo:[0,0,1] neg_hi:[0,0,1]
	s_delay_alu instid0(VALU_DEP_2)
	v_mov_b32_e32 v81, v87
	scratch_store_b64 off, v[80:81], off offset:120
.LBB37_225:
	s_wait_xcnt 0x0
	s_or_b32 exec_lo, exec_lo, s13
	scratch_load_b64 v[80:81], off, off offset:112
	v_cmp_lt_u32_e64 s0, 14, v0
	s_wait_loadcnt 0x0
	ds_store_b64 v1, v[80:81]
	s_wait_storecnt_dscnt 0x0
	s_barrier_signal -1
	s_barrier_wait -1
	s_wait_xcnt 0x0
	s_and_saveexec_b32 s12, s0
	s_cbranch_execz .LBB37_235
; %bb.226:
	s_and_not1_b32 vcc_lo, exec_lo, s3
	s_cbranch_vccnz .LBB37_228
; %bb.227:
	scratch_load_b64 v[80:81], v47, off
	ds_load_b64 v[82:83], v1
	s_wait_loadcnt_dscnt 0x0
	v_pk_mul_f32 v[84:85], v[82:83], v[80:81] op_sel:[1,1] op_sel_hi:[0,1]
	s_delay_alu instid0(VALU_DEP_1) | instskip(SKIP_1) | instid1(VALU_DEP_2)
	v_pk_fma_f32 v[86:87], v[82:83], v[80:81], v[84:85] op_sel_hi:[1,0,1]
	v_pk_fma_f32 v[80:81], v[82:83], v[80:81], v[84:85] neg_lo:[0,0,1] neg_hi:[0,0,1]
	v_mov_b32_e32 v81, v87
	s_cbranch_execz .LBB37_229
	s_branch .LBB37_230
.LBB37_228:
                                        ; implicit-def: $vgpr80_vgpr81
.LBB37_229:
	ds_load_b64 v[80:81], v1
.LBB37_230:
	s_and_saveexec_b32 s13, s1
	s_cbranch_execz .LBB37_234
; %bb.231:
	v_add_nc_u32_e32 v82, -15, v0
	s_movk_i32 s1, 0x78
	s_movk_i32 s15, 0x1a8
	s_mov_b32 s14, 0
.LBB37_232:                             ; =>This Inner Loop Header: Depth=1
	scratch_load_b64 v[84:85], off, s1
	v_dual_mov_b32 v83, s15 :: v_dual_add_nc_u32 v82, -1, v82
	s_add_co_i32 s15, s15, 8
	s_wait_xcnt 0x0
	s_add_co_i32 s1, s1, 8
	ds_load_b64 v[86:87], v83
	v_cmp_eq_u32_e32 vcc_lo, 0, v82
	s_or_b32 s14, vcc_lo, s14
	s_wait_loadcnt_dscnt 0x0
	v_pk_mul_f32 v[88:89], v[86:87], v[84:85] op_sel:[1,1] op_sel_hi:[0,1]
	s_delay_alu instid0(VALU_DEP_1) | instskip(SKIP_1) | instid1(VALU_DEP_2)
	v_pk_fma_f32 v[90:91], v[86:87], v[84:85], v[88:89] op_sel_hi:[1,0,1]
	v_pk_fma_f32 v[84:85], v[86:87], v[84:85], v[88:89] neg_lo:[0,0,1] neg_hi:[0,0,1]
	v_mov_b32_e32 v85, v91
	s_delay_alu instid0(VALU_DEP_1)
	v_pk_add_f32 v[80:81], v[80:81], v[84:85]
	s_and_not1_b32 exec_lo, exec_lo, s14
	s_cbranch_execnz .LBB37_232
; %bb.233:
	s_or_b32 exec_lo, exec_lo, s14
.LBB37_234:
	s_delay_alu instid0(SALU_CYCLE_1) | instskip(SKIP_4) | instid1(VALU_DEP_1)
	s_or_b32 exec_lo, exec_lo, s13
	v_mov_b32_e32 v82, 0
	ds_load_b64 v[82:83], v82 offset:112
	s_wait_dscnt 0x0
	v_pk_mul_f32 v[84:85], v[80:81], v[82:83] op_sel:[1,1] op_sel_hi:[0,1]
	v_pk_fma_f32 v[86:87], v[80:81], v[82:83], v[84:85] op_sel_hi:[1,0,1]
	v_pk_fma_f32 v[80:81], v[80:81], v[82:83], v[84:85] neg_lo:[0,0,1] neg_hi:[0,0,1]
	s_delay_alu instid0(VALU_DEP_2)
	v_mov_b32_e32 v81, v87
	scratch_store_b64 off, v[80:81], off offset:112
.LBB37_235:
	s_wait_xcnt 0x0
	s_or_b32 exec_lo, exec_lo, s12
	scratch_load_b64 v[80:81], off, off offset:104
	v_cmp_lt_u32_e64 s1, 13, v0
	s_wait_loadcnt 0x0
	ds_store_b64 v1, v[80:81]
	s_wait_storecnt_dscnt 0x0
	s_barrier_signal -1
	s_barrier_wait -1
	s_wait_xcnt 0x0
	s_and_saveexec_b32 s12, s1
	s_cbranch_execz .LBB37_245
; %bb.236:
	s_and_not1_b32 vcc_lo, exec_lo, s3
	s_cbranch_vccnz .LBB37_238
; %bb.237:
	scratch_load_b64 v[80:81], v47, off
	ds_load_b64 v[82:83], v1
	s_wait_loadcnt_dscnt 0x0
	v_pk_mul_f32 v[84:85], v[82:83], v[80:81] op_sel:[1,1] op_sel_hi:[0,1]
	s_delay_alu instid0(VALU_DEP_1) | instskip(SKIP_1) | instid1(VALU_DEP_2)
	v_pk_fma_f32 v[86:87], v[82:83], v[80:81], v[84:85] op_sel_hi:[1,0,1]
	v_pk_fma_f32 v[80:81], v[82:83], v[80:81], v[84:85] neg_lo:[0,0,1] neg_hi:[0,0,1]
	v_mov_b32_e32 v81, v87
	s_cbranch_execz .LBB37_239
	s_branch .LBB37_240
.LBB37_238:
                                        ; implicit-def: $vgpr80_vgpr81
.LBB37_239:
	ds_load_b64 v[80:81], v1
.LBB37_240:
	s_and_saveexec_b32 s13, s0
	s_cbranch_execz .LBB37_244
; %bb.241:
	v_add_nc_u32_e32 v82, -14, v0
	s_movk_i32 s14, 0x1a0
	s_mov_b32 s0, 0
.LBB37_242:                             ; =>This Inner Loop Header: Depth=1
	scratch_load_b64 v[84:85], off, s11
	v_dual_mov_b32 v83, s14 :: v_dual_add_nc_u32 v82, -1, v82
	s_add_co_i32 s14, s14, 8
	s_wait_xcnt 0x0
	s_add_co_i32 s11, s11, 8
	ds_load_b64 v[86:87], v83
	v_cmp_eq_u32_e32 vcc_lo, 0, v82
	s_or_b32 s0, vcc_lo, s0
	s_wait_loadcnt_dscnt 0x0
	v_pk_mul_f32 v[88:89], v[86:87], v[84:85] op_sel:[1,1] op_sel_hi:[0,1]
	s_delay_alu instid0(VALU_DEP_1) | instskip(SKIP_1) | instid1(VALU_DEP_2)
	v_pk_fma_f32 v[90:91], v[86:87], v[84:85], v[88:89] op_sel_hi:[1,0,1]
	v_pk_fma_f32 v[84:85], v[86:87], v[84:85], v[88:89] neg_lo:[0,0,1] neg_hi:[0,0,1]
	v_mov_b32_e32 v85, v91
	s_delay_alu instid0(VALU_DEP_1)
	v_pk_add_f32 v[80:81], v[80:81], v[84:85]
	s_and_not1_b32 exec_lo, exec_lo, s0
	s_cbranch_execnz .LBB37_242
; %bb.243:
	s_or_b32 exec_lo, exec_lo, s0
.LBB37_244:
	s_delay_alu instid0(SALU_CYCLE_1) | instskip(SKIP_4) | instid1(VALU_DEP_1)
	s_or_b32 exec_lo, exec_lo, s13
	v_mov_b32_e32 v82, 0
	ds_load_b64 v[82:83], v82 offset:104
	s_wait_dscnt 0x0
	v_pk_mul_f32 v[84:85], v[80:81], v[82:83] op_sel:[1,1] op_sel_hi:[0,1]
	v_pk_fma_f32 v[86:87], v[80:81], v[82:83], v[84:85] op_sel_hi:[1,0,1]
	v_pk_fma_f32 v[80:81], v[80:81], v[82:83], v[84:85] neg_lo:[0,0,1] neg_hi:[0,0,1]
	s_delay_alu instid0(VALU_DEP_2)
	v_mov_b32_e32 v81, v87
	scratch_store_b64 off, v[80:81], off offset:104
.LBB37_245:
	s_wait_xcnt 0x0
	s_or_b32 exec_lo, exec_lo, s12
	scratch_load_b64 v[80:81], off, off offset:96
	v_cmp_lt_u32_e64 s0, 12, v0
	s_wait_loadcnt 0x0
	ds_store_b64 v1, v[80:81]
	s_wait_storecnt_dscnt 0x0
	s_barrier_signal -1
	s_barrier_wait -1
	s_wait_xcnt 0x0
	s_and_saveexec_b32 s11, s0
	s_cbranch_execz .LBB37_255
; %bb.246:
	s_and_not1_b32 vcc_lo, exec_lo, s3
	s_cbranch_vccnz .LBB37_248
; %bb.247:
	scratch_load_b64 v[80:81], v47, off
	ds_load_b64 v[82:83], v1
	s_wait_loadcnt_dscnt 0x0
	v_pk_mul_f32 v[84:85], v[82:83], v[80:81] op_sel:[1,1] op_sel_hi:[0,1]
	s_delay_alu instid0(VALU_DEP_1) | instskip(SKIP_1) | instid1(VALU_DEP_2)
	v_pk_fma_f32 v[86:87], v[82:83], v[80:81], v[84:85] op_sel_hi:[1,0,1]
	v_pk_fma_f32 v[80:81], v[82:83], v[80:81], v[84:85] neg_lo:[0,0,1] neg_hi:[0,0,1]
	v_mov_b32_e32 v81, v87
	s_cbranch_execz .LBB37_249
	s_branch .LBB37_250
.LBB37_248:
                                        ; implicit-def: $vgpr80_vgpr81
.LBB37_249:
	ds_load_b64 v[80:81], v1
.LBB37_250:
	s_and_saveexec_b32 s12, s1
	s_cbranch_execz .LBB37_254
; %bb.251:
	v_add_nc_u32_e32 v82, -13, v0
	s_movk_i32 s1, 0x68
	s_movk_i32 s14, 0x198
	s_mov_b32 s13, 0
.LBB37_252:                             ; =>This Inner Loop Header: Depth=1
	scratch_load_b64 v[84:85], off, s1
	v_dual_mov_b32 v83, s14 :: v_dual_add_nc_u32 v82, -1, v82
	s_add_co_i32 s14, s14, 8
	s_wait_xcnt 0x0
	s_add_co_i32 s1, s1, 8
	ds_load_b64 v[86:87], v83
	v_cmp_eq_u32_e32 vcc_lo, 0, v82
	s_or_b32 s13, vcc_lo, s13
	s_wait_loadcnt_dscnt 0x0
	v_pk_mul_f32 v[88:89], v[86:87], v[84:85] op_sel:[1,1] op_sel_hi:[0,1]
	s_delay_alu instid0(VALU_DEP_1) | instskip(SKIP_1) | instid1(VALU_DEP_2)
	v_pk_fma_f32 v[90:91], v[86:87], v[84:85], v[88:89] op_sel_hi:[1,0,1]
	v_pk_fma_f32 v[84:85], v[86:87], v[84:85], v[88:89] neg_lo:[0,0,1] neg_hi:[0,0,1]
	v_mov_b32_e32 v85, v91
	s_delay_alu instid0(VALU_DEP_1)
	v_pk_add_f32 v[80:81], v[80:81], v[84:85]
	s_and_not1_b32 exec_lo, exec_lo, s13
	s_cbranch_execnz .LBB37_252
; %bb.253:
	s_or_b32 exec_lo, exec_lo, s13
.LBB37_254:
	s_delay_alu instid0(SALU_CYCLE_1) | instskip(SKIP_4) | instid1(VALU_DEP_1)
	s_or_b32 exec_lo, exec_lo, s12
	v_mov_b32_e32 v82, 0
	ds_load_b64 v[82:83], v82 offset:96
	s_wait_dscnt 0x0
	v_pk_mul_f32 v[84:85], v[80:81], v[82:83] op_sel:[1,1] op_sel_hi:[0,1]
	v_pk_fma_f32 v[86:87], v[80:81], v[82:83], v[84:85] op_sel_hi:[1,0,1]
	v_pk_fma_f32 v[80:81], v[80:81], v[82:83], v[84:85] neg_lo:[0,0,1] neg_hi:[0,0,1]
	s_delay_alu instid0(VALU_DEP_2)
	v_mov_b32_e32 v81, v87
	scratch_store_b64 off, v[80:81], off offset:96
.LBB37_255:
	s_wait_xcnt 0x0
	s_or_b32 exec_lo, exec_lo, s11
	scratch_load_b64 v[80:81], off, off offset:88
	v_cmp_lt_u32_e64 s1, 11, v0
	s_wait_loadcnt 0x0
	ds_store_b64 v1, v[80:81]
	s_wait_storecnt_dscnt 0x0
	s_barrier_signal -1
	s_barrier_wait -1
	s_wait_xcnt 0x0
	s_and_saveexec_b32 s11, s1
	s_cbranch_execz .LBB37_265
; %bb.256:
	s_and_not1_b32 vcc_lo, exec_lo, s3
	s_cbranch_vccnz .LBB37_258
; %bb.257:
	scratch_load_b64 v[80:81], v47, off
	ds_load_b64 v[82:83], v1
	s_wait_loadcnt_dscnt 0x0
	v_pk_mul_f32 v[84:85], v[82:83], v[80:81] op_sel:[1,1] op_sel_hi:[0,1]
	s_delay_alu instid0(VALU_DEP_1) | instskip(SKIP_1) | instid1(VALU_DEP_2)
	v_pk_fma_f32 v[86:87], v[82:83], v[80:81], v[84:85] op_sel_hi:[1,0,1]
	v_pk_fma_f32 v[80:81], v[82:83], v[80:81], v[84:85] neg_lo:[0,0,1] neg_hi:[0,0,1]
	v_mov_b32_e32 v81, v87
	s_cbranch_execz .LBB37_259
	s_branch .LBB37_260
.LBB37_258:
                                        ; implicit-def: $vgpr80_vgpr81
.LBB37_259:
	ds_load_b64 v[80:81], v1
.LBB37_260:
	s_and_saveexec_b32 s12, s0
	s_cbranch_execz .LBB37_264
; %bb.261:
	v_add_nc_u32_e32 v82, -12, v0
	s_movk_i32 s13, 0x190
	s_mov_b32 s0, 0
.LBB37_262:                             ; =>This Inner Loop Header: Depth=1
	scratch_load_b64 v[84:85], off, s10
	v_dual_mov_b32 v83, s13 :: v_dual_add_nc_u32 v82, -1, v82
	s_add_co_i32 s13, s13, 8
	s_wait_xcnt 0x0
	s_add_co_i32 s10, s10, 8
	ds_load_b64 v[86:87], v83
	v_cmp_eq_u32_e32 vcc_lo, 0, v82
	s_or_b32 s0, vcc_lo, s0
	s_wait_loadcnt_dscnt 0x0
	v_pk_mul_f32 v[88:89], v[86:87], v[84:85] op_sel:[1,1] op_sel_hi:[0,1]
	s_delay_alu instid0(VALU_DEP_1) | instskip(SKIP_1) | instid1(VALU_DEP_2)
	v_pk_fma_f32 v[90:91], v[86:87], v[84:85], v[88:89] op_sel_hi:[1,0,1]
	v_pk_fma_f32 v[84:85], v[86:87], v[84:85], v[88:89] neg_lo:[0,0,1] neg_hi:[0,0,1]
	v_mov_b32_e32 v85, v91
	s_delay_alu instid0(VALU_DEP_1)
	v_pk_add_f32 v[80:81], v[80:81], v[84:85]
	s_and_not1_b32 exec_lo, exec_lo, s0
	s_cbranch_execnz .LBB37_262
; %bb.263:
	s_or_b32 exec_lo, exec_lo, s0
.LBB37_264:
	s_delay_alu instid0(SALU_CYCLE_1) | instskip(SKIP_4) | instid1(VALU_DEP_1)
	s_or_b32 exec_lo, exec_lo, s12
	v_mov_b32_e32 v82, 0
	ds_load_b64 v[82:83], v82 offset:88
	s_wait_dscnt 0x0
	v_pk_mul_f32 v[84:85], v[80:81], v[82:83] op_sel:[1,1] op_sel_hi:[0,1]
	v_pk_fma_f32 v[86:87], v[80:81], v[82:83], v[84:85] op_sel_hi:[1,0,1]
	v_pk_fma_f32 v[80:81], v[80:81], v[82:83], v[84:85] neg_lo:[0,0,1] neg_hi:[0,0,1]
	s_delay_alu instid0(VALU_DEP_2)
	v_mov_b32_e32 v81, v87
	scratch_store_b64 off, v[80:81], off offset:88
.LBB37_265:
	s_wait_xcnt 0x0
	s_or_b32 exec_lo, exec_lo, s11
	scratch_load_b64 v[80:81], off, off offset:80
	v_cmp_lt_u32_e64 s0, 10, v0
	s_wait_loadcnt 0x0
	ds_store_b64 v1, v[80:81]
	s_wait_storecnt_dscnt 0x0
	s_barrier_signal -1
	s_barrier_wait -1
	s_wait_xcnt 0x0
	s_and_saveexec_b32 s10, s0
	s_cbranch_execz .LBB37_275
; %bb.266:
	s_and_not1_b32 vcc_lo, exec_lo, s3
	s_cbranch_vccnz .LBB37_268
; %bb.267:
	scratch_load_b64 v[80:81], v47, off
	ds_load_b64 v[82:83], v1
	s_wait_loadcnt_dscnt 0x0
	v_pk_mul_f32 v[84:85], v[82:83], v[80:81] op_sel:[1,1] op_sel_hi:[0,1]
	s_delay_alu instid0(VALU_DEP_1) | instskip(SKIP_1) | instid1(VALU_DEP_2)
	v_pk_fma_f32 v[86:87], v[82:83], v[80:81], v[84:85] op_sel_hi:[1,0,1]
	v_pk_fma_f32 v[80:81], v[82:83], v[80:81], v[84:85] neg_lo:[0,0,1] neg_hi:[0,0,1]
	v_mov_b32_e32 v81, v87
	s_cbranch_execz .LBB37_269
	s_branch .LBB37_270
.LBB37_268:
                                        ; implicit-def: $vgpr80_vgpr81
.LBB37_269:
	ds_load_b64 v[80:81], v1
.LBB37_270:
	s_and_saveexec_b32 s11, s1
	s_cbranch_execz .LBB37_274
; %bb.271:
	v_add_nc_u32_e32 v82, -11, v0
	s_movk_i32 s1, 0x58
	s_movk_i32 s13, 0x188
	s_mov_b32 s12, 0
.LBB37_272:                             ; =>This Inner Loop Header: Depth=1
	scratch_load_b64 v[84:85], off, s1
	v_dual_mov_b32 v83, s13 :: v_dual_add_nc_u32 v82, -1, v82
	s_add_co_i32 s13, s13, 8
	s_wait_xcnt 0x0
	s_add_co_i32 s1, s1, 8
	ds_load_b64 v[86:87], v83
	v_cmp_eq_u32_e32 vcc_lo, 0, v82
	s_or_b32 s12, vcc_lo, s12
	s_wait_loadcnt_dscnt 0x0
	v_pk_mul_f32 v[88:89], v[86:87], v[84:85] op_sel:[1,1] op_sel_hi:[0,1]
	s_delay_alu instid0(VALU_DEP_1) | instskip(SKIP_1) | instid1(VALU_DEP_2)
	v_pk_fma_f32 v[90:91], v[86:87], v[84:85], v[88:89] op_sel_hi:[1,0,1]
	v_pk_fma_f32 v[84:85], v[86:87], v[84:85], v[88:89] neg_lo:[0,0,1] neg_hi:[0,0,1]
	v_mov_b32_e32 v85, v91
	s_delay_alu instid0(VALU_DEP_1)
	v_pk_add_f32 v[80:81], v[80:81], v[84:85]
	s_and_not1_b32 exec_lo, exec_lo, s12
	s_cbranch_execnz .LBB37_272
; %bb.273:
	s_or_b32 exec_lo, exec_lo, s12
.LBB37_274:
	s_delay_alu instid0(SALU_CYCLE_1) | instskip(SKIP_4) | instid1(VALU_DEP_1)
	s_or_b32 exec_lo, exec_lo, s11
	v_mov_b32_e32 v82, 0
	ds_load_b64 v[82:83], v82 offset:80
	s_wait_dscnt 0x0
	v_pk_mul_f32 v[84:85], v[80:81], v[82:83] op_sel:[1,1] op_sel_hi:[0,1]
	v_pk_fma_f32 v[86:87], v[80:81], v[82:83], v[84:85] op_sel_hi:[1,0,1]
	v_pk_fma_f32 v[80:81], v[80:81], v[82:83], v[84:85] neg_lo:[0,0,1] neg_hi:[0,0,1]
	s_delay_alu instid0(VALU_DEP_2)
	v_mov_b32_e32 v81, v87
	scratch_store_b64 off, v[80:81], off offset:80
.LBB37_275:
	s_wait_xcnt 0x0
	s_or_b32 exec_lo, exec_lo, s10
	scratch_load_b64 v[80:81], off, off offset:72
	v_cmp_lt_u32_e64 s1, 9, v0
	s_wait_loadcnt 0x0
	ds_store_b64 v1, v[80:81]
	s_wait_storecnt_dscnt 0x0
	s_barrier_signal -1
	s_barrier_wait -1
	s_wait_xcnt 0x0
	s_and_saveexec_b32 s10, s1
	s_cbranch_execz .LBB37_285
; %bb.276:
	s_and_not1_b32 vcc_lo, exec_lo, s3
	s_cbranch_vccnz .LBB37_278
; %bb.277:
	scratch_load_b64 v[80:81], v47, off
	ds_load_b64 v[82:83], v1
	s_wait_loadcnt_dscnt 0x0
	v_pk_mul_f32 v[84:85], v[82:83], v[80:81] op_sel:[1,1] op_sel_hi:[0,1]
	s_delay_alu instid0(VALU_DEP_1) | instskip(SKIP_1) | instid1(VALU_DEP_2)
	v_pk_fma_f32 v[86:87], v[82:83], v[80:81], v[84:85] op_sel_hi:[1,0,1]
	v_pk_fma_f32 v[80:81], v[82:83], v[80:81], v[84:85] neg_lo:[0,0,1] neg_hi:[0,0,1]
	v_mov_b32_e32 v81, v87
	s_cbranch_execz .LBB37_279
	s_branch .LBB37_280
.LBB37_278:
                                        ; implicit-def: $vgpr80_vgpr81
.LBB37_279:
	ds_load_b64 v[80:81], v1
.LBB37_280:
	s_and_saveexec_b32 s11, s0
	s_cbranch_execz .LBB37_284
; %bb.281:
	v_add_nc_u32_e32 v82, -10, v0
	s_movk_i32 s12, 0x180
	s_mov_b32 s0, 0
.LBB37_282:                             ; =>This Inner Loop Header: Depth=1
	scratch_load_b64 v[84:85], off, s9
	v_dual_mov_b32 v83, s12 :: v_dual_add_nc_u32 v82, -1, v82
	s_add_co_i32 s12, s12, 8
	s_wait_xcnt 0x0
	s_add_co_i32 s9, s9, 8
	ds_load_b64 v[86:87], v83
	v_cmp_eq_u32_e32 vcc_lo, 0, v82
	s_or_b32 s0, vcc_lo, s0
	s_wait_loadcnt_dscnt 0x0
	v_pk_mul_f32 v[88:89], v[86:87], v[84:85] op_sel:[1,1] op_sel_hi:[0,1]
	s_delay_alu instid0(VALU_DEP_1) | instskip(SKIP_1) | instid1(VALU_DEP_2)
	v_pk_fma_f32 v[90:91], v[86:87], v[84:85], v[88:89] op_sel_hi:[1,0,1]
	v_pk_fma_f32 v[84:85], v[86:87], v[84:85], v[88:89] neg_lo:[0,0,1] neg_hi:[0,0,1]
	v_mov_b32_e32 v85, v91
	s_delay_alu instid0(VALU_DEP_1)
	v_pk_add_f32 v[80:81], v[80:81], v[84:85]
	s_and_not1_b32 exec_lo, exec_lo, s0
	s_cbranch_execnz .LBB37_282
; %bb.283:
	s_or_b32 exec_lo, exec_lo, s0
.LBB37_284:
	s_delay_alu instid0(SALU_CYCLE_1) | instskip(SKIP_4) | instid1(VALU_DEP_1)
	s_or_b32 exec_lo, exec_lo, s11
	v_mov_b32_e32 v82, 0
	ds_load_b64 v[82:83], v82 offset:72
	s_wait_dscnt 0x0
	v_pk_mul_f32 v[84:85], v[80:81], v[82:83] op_sel:[1,1] op_sel_hi:[0,1]
	v_pk_fma_f32 v[86:87], v[80:81], v[82:83], v[84:85] op_sel_hi:[1,0,1]
	v_pk_fma_f32 v[80:81], v[80:81], v[82:83], v[84:85] neg_lo:[0,0,1] neg_hi:[0,0,1]
	s_delay_alu instid0(VALU_DEP_2)
	v_mov_b32_e32 v81, v87
	scratch_store_b64 off, v[80:81], off offset:72
.LBB37_285:
	s_wait_xcnt 0x0
	s_or_b32 exec_lo, exec_lo, s10
	scratch_load_b64 v[80:81], off, off offset:64
	v_cmp_lt_u32_e64 s0, 8, v0
	s_wait_loadcnt 0x0
	ds_store_b64 v1, v[80:81]
	s_wait_storecnt_dscnt 0x0
	s_barrier_signal -1
	s_barrier_wait -1
	s_wait_xcnt 0x0
	s_and_saveexec_b32 s9, s0
	s_cbranch_execz .LBB37_295
; %bb.286:
	s_and_not1_b32 vcc_lo, exec_lo, s3
	s_cbranch_vccnz .LBB37_288
; %bb.287:
	scratch_load_b64 v[80:81], v47, off
	ds_load_b64 v[82:83], v1
	s_wait_loadcnt_dscnt 0x0
	v_pk_mul_f32 v[84:85], v[82:83], v[80:81] op_sel:[1,1] op_sel_hi:[0,1]
	s_delay_alu instid0(VALU_DEP_1) | instskip(SKIP_1) | instid1(VALU_DEP_2)
	v_pk_fma_f32 v[86:87], v[82:83], v[80:81], v[84:85] op_sel_hi:[1,0,1]
	v_pk_fma_f32 v[80:81], v[82:83], v[80:81], v[84:85] neg_lo:[0,0,1] neg_hi:[0,0,1]
	v_mov_b32_e32 v81, v87
	s_cbranch_execz .LBB37_289
	s_branch .LBB37_290
.LBB37_288:
                                        ; implicit-def: $vgpr80_vgpr81
.LBB37_289:
	ds_load_b64 v[80:81], v1
.LBB37_290:
	s_and_saveexec_b32 s10, s1
	s_cbranch_execz .LBB37_294
; %bb.291:
	v_add_nc_u32_e32 v82, -9, v0
	s_movk_i32 s1, 0x48
	s_movk_i32 s12, 0x178
	s_mov_b32 s11, 0
.LBB37_292:                             ; =>This Inner Loop Header: Depth=1
	scratch_load_b64 v[84:85], off, s1
	v_dual_mov_b32 v83, s12 :: v_dual_add_nc_u32 v82, -1, v82
	s_add_co_i32 s12, s12, 8
	s_wait_xcnt 0x0
	s_add_co_i32 s1, s1, 8
	ds_load_b64 v[86:87], v83
	v_cmp_eq_u32_e32 vcc_lo, 0, v82
	s_or_b32 s11, vcc_lo, s11
	s_wait_loadcnt_dscnt 0x0
	v_pk_mul_f32 v[88:89], v[86:87], v[84:85] op_sel:[1,1] op_sel_hi:[0,1]
	s_delay_alu instid0(VALU_DEP_1) | instskip(SKIP_1) | instid1(VALU_DEP_2)
	v_pk_fma_f32 v[90:91], v[86:87], v[84:85], v[88:89] op_sel_hi:[1,0,1]
	v_pk_fma_f32 v[84:85], v[86:87], v[84:85], v[88:89] neg_lo:[0,0,1] neg_hi:[0,0,1]
	v_mov_b32_e32 v85, v91
	s_delay_alu instid0(VALU_DEP_1)
	v_pk_add_f32 v[80:81], v[80:81], v[84:85]
	s_and_not1_b32 exec_lo, exec_lo, s11
	s_cbranch_execnz .LBB37_292
; %bb.293:
	s_or_b32 exec_lo, exec_lo, s11
.LBB37_294:
	s_delay_alu instid0(SALU_CYCLE_1) | instskip(SKIP_4) | instid1(VALU_DEP_1)
	s_or_b32 exec_lo, exec_lo, s10
	v_mov_b32_e32 v82, 0
	ds_load_b64 v[82:83], v82 offset:64
	s_wait_dscnt 0x0
	v_pk_mul_f32 v[84:85], v[80:81], v[82:83] op_sel:[1,1] op_sel_hi:[0,1]
	v_pk_fma_f32 v[86:87], v[80:81], v[82:83], v[84:85] op_sel_hi:[1,0,1]
	v_pk_fma_f32 v[80:81], v[80:81], v[82:83], v[84:85] neg_lo:[0,0,1] neg_hi:[0,0,1]
	s_delay_alu instid0(VALU_DEP_2)
	v_mov_b32_e32 v81, v87
	scratch_store_b64 off, v[80:81], off offset:64
.LBB37_295:
	s_wait_xcnt 0x0
	s_or_b32 exec_lo, exec_lo, s9
	scratch_load_b64 v[80:81], off, off offset:56
	v_cmp_lt_u32_e64 s1, 7, v0
	s_wait_loadcnt 0x0
	ds_store_b64 v1, v[80:81]
	s_wait_storecnt_dscnt 0x0
	s_barrier_signal -1
	s_barrier_wait -1
	s_wait_xcnt 0x0
	s_and_saveexec_b32 s9, s1
	s_cbranch_execz .LBB37_305
; %bb.296:
	s_and_not1_b32 vcc_lo, exec_lo, s3
	s_cbranch_vccnz .LBB37_298
; %bb.297:
	scratch_load_b64 v[80:81], v47, off
	ds_load_b64 v[82:83], v1
	s_wait_loadcnt_dscnt 0x0
	v_pk_mul_f32 v[84:85], v[82:83], v[80:81] op_sel:[1,1] op_sel_hi:[0,1]
	s_delay_alu instid0(VALU_DEP_1) | instskip(SKIP_1) | instid1(VALU_DEP_2)
	v_pk_fma_f32 v[86:87], v[82:83], v[80:81], v[84:85] op_sel_hi:[1,0,1]
	v_pk_fma_f32 v[80:81], v[82:83], v[80:81], v[84:85] neg_lo:[0,0,1] neg_hi:[0,0,1]
	v_mov_b32_e32 v81, v87
	s_cbranch_execz .LBB37_299
	s_branch .LBB37_300
.LBB37_298:
                                        ; implicit-def: $vgpr80_vgpr81
.LBB37_299:
	ds_load_b64 v[80:81], v1
.LBB37_300:
	s_and_saveexec_b32 s10, s0
	s_cbranch_execz .LBB37_304
; %bb.301:
	v_add_nc_u32_e32 v82, -8, v0
	s_movk_i32 s11, 0x170
	s_mov_b32 s0, 0
.LBB37_302:                             ; =>This Inner Loop Header: Depth=1
	scratch_load_b64 v[84:85], off, s8
	v_dual_mov_b32 v83, s11 :: v_dual_add_nc_u32 v82, -1, v82
	s_add_co_i32 s11, s11, 8
	s_wait_xcnt 0x0
	s_add_co_i32 s8, s8, 8
	ds_load_b64 v[86:87], v83
	v_cmp_eq_u32_e32 vcc_lo, 0, v82
	s_or_b32 s0, vcc_lo, s0
	s_wait_loadcnt_dscnt 0x0
	v_pk_mul_f32 v[88:89], v[86:87], v[84:85] op_sel:[1,1] op_sel_hi:[0,1]
	s_delay_alu instid0(VALU_DEP_1) | instskip(SKIP_1) | instid1(VALU_DEP_2)
	v_pk_fma_f32 v[90:91], v[86:87], v[84:85], v[88:89] op_sel_hi:[1,0,1]
	v_pk_fma_f32 v[84:85], v[86:87], v[84:85], v[88:89] neg_lo:[0,0,1] neg_hi:[0,0,1]
	v_mov_b32_e32 v85, v91
	s_delay_alu instid0(VALU_DEP_1)
	v_pk_add_f32 v[80:81], v[80:81], v[84:85]
	s_and_not1_b32 exec_lo, exec_lo, s0
	s_cbranch_execnz .LBB37_302
; %bb.303:
	s_or_b32 exec_lo, exec_lo, s0
.LBB37_304:
	s_delay_alu instid0(SALU_CYCLE_1) | instskip(SKIP_4) | instid1(VALU_DEP_1)
	s_or_b32 exec_lo, exec_lo, s10
	v_mov_b32_e32 v82, 0
	ds_load_b64 v[82:83], v82 offset:56
	s_wait_dscnt 0x0
	v_pk_mul_f32 v[84:85], v[80:81], v[82:83] op_sel:[1,1] op_sel_hi:[0,1]
	v_pk_fma_f32 v[86:87], v[80:81], v[82:83], v[84:85] op_sel_hi:[1,0,1]
	v_pk_fma_f32 v[80:81], v[80:81], v[82:83], v[84:85] neg_lo:[0,0,1] neg_hi:[0,0,1]
	s_delay_alu instid0(VALU_DEP_2)
	v_mov_b32_e32 v81, v87
	scratch_store_b64 off, v[80:81], off offset:56
.LBB37_305:
	s_wait_xcnt 0x0
	s_or_b32 exec_lo, exec_lo, s9
	scratch_load_b64 v[80:81], off, off offset:48
	v_cmp_lt_u32_e64 s0, 6, v0
	s_wait_loadcnt 0x0
	ds_store_b64 v1, v[80:81]
	s_wait_storecnt_dscnt 0x0
	s_barrier_signal -1
	s_barrier_wait -1
	s_wait_xcnt 0x0
	s_and_saveexec_b32 s8, s0
	s_cbranch_execz .LBB37_315
; %bb.306:
	s_and_not1_b32 vcc_lo, exec_lo, s3
	s_cbranch_vccnz .LBB37_308
; %bb.307:
	scratch_load_b64 v[80:81], v47, off
	ds_load_b64 v[82:83], v1
	s_wait_loadcnt_dscnt 0x0
	v_pk_mul_f32 v[84:85], v[82:83], v[80:81] op_sel:[1,1] op_sel_hi:[0,1]
	s_delay_alu instid0(VALU_DEP_1) | instskip(SKIP_1) | instid1(VALU_DEP_2)
	v_pk_fma_f32 v[86:87], v[82:83], v[80:81], v[84:85] op_sel_hi:[1,0,1]
	v_pk_fma_f32 v[80:81], v[82:83], v[80:81], v[84:85] neg_lo:[0,0,1] neg_hi:[0,0,1]
	v_mov_b32_e32 v81, v87
	s_cbranch_execz .LBB37_309
	s_branch .LBB37_310
.LBB37_308:
                                        ; implicit-def: $vgpr80_vgpr81
.LBB37_309:
	ds_load_b64 v[80:81], v1
.LBB37_310:
	s_and_saveexec_b32 s9, s1
	s_cbranch_execz .LBB37_314
; %bb.311:
	v_add_nc_u32_e32 v82, -7, v0
	s_mov_b32 s1, 56
	s_movk_i32 s11, 0x168
	s_mov_b32 s10, 0
.LBB37_312:                             ; =>This Inner Loop Header: Depth=1
	scratch_load_b64 v[84:85], off, s1
	v_dual_mov_b32 v83, s11 :: v_dual_add_nc_u32 v82, -1, v82
	s_add_co_i32 s11, s11, 8
	s_wait_xcnt 0x0
	s_add_co_i32 s1, s1, 8
	ds_load_b64 v[86:87], v83
	v_cmp_eq_u32_e32 vcc_lo, 0, v82
	s_or_b32 s10, vcc_lo, s10
	s_wait_loadcnt_dscnt 0x0
	v_pk_mul_f32 v[88:89], v[86:87], v[84:85] op_sel:[1,1] op_sel_hi:[0,1]
	s_delay_alu instid0(VALU_DEP_1) | instskip(SKIP_1) | instid1(VALU_DEP_2)
	v_pk_fma_f32 v[90:91], v[86:87], v[84:85], v[88:89] op_sel_hi:[1,0,1]
	v_pk_fma_f32 v[84:85], v[86:87], v[84:85], v[88:89] neg_lo:[0,0,1] neg_hi:[0,0,1]
	v_mov_b32_e32 v85, v91
	s_delay_alu instid0(VALU_DEP_1)
	v_pk_add_f32 v[80:81], v[80:81], v[84:85]
	s_and_not1_b32 exec_lo, exec_lo, s10
	s_cbranch_execnz .LBB37_312
; %bb.313:
	s_or_b32 exec_lo, exec_lo, s10
.LBB37_314:
	s_delay_alu instid0(SALU_CYCLE_1) | instskip(SKIP_4) | instid1(VALU_DEP_1)
	s_or_b32 exec_lo, exec_lo, s9
	v_mov_b32_e32 v82, 0
	ds_load_b64 v[82:83], v82 offset:48
	s_wait_dscnt 0x0
	v_pk_mul_f32 v[84:85], v[80:81], v[82:83] op_sel:[1,1] op_sel_hi:[0,1]
	v_pk_fma_f32 v[86:87], v[80:81], v[82:83], v[84:85] op_sel_hi:[1,0,1]
	v_pk_fma_f32 v[80:81], v[80:81], v[82:83], v[84:85] neg_lo:[0,0,1] neg_hi:[0,0,1]
	s_delay_alu instid0(VALU_DEP_2)
	v_mov_b32_e32 v81, v87
	scratch_store_b64 off, v[80:81], off offset:48
.LBB37_315:
	s_wait_xcnt 0x0
	s_or_b32 exec_lo, exec_lo, s8
	scratch_load_b64 v[80:81], off, off offset:40
	v_cmp_lt_u32_e64 s1, 5, v0
	s_wait_loadcnt 0x0
	ds_store_b64 v1, v[80:81]
	s_wait_storecnt_dscnt 0x0
	s_barrier_signal -1
	s_barrier_wait -1
	s_wait_xcnt 0x0
	s_and_saveexec_b32 s8, s1
	s_cbranch_execz .LBB37_325
; %bb.316:
	s_and_not1_b32 vcc_lo, exec_lo, s3
	s_cbranch_vccnz .LBB37_318
; %bb.317:
	scratch_load_b64 v[80:81], v47, off
	ds_load_b64 v[82:83], v1
	s_wait_loadcnt_dscnt 0x0
	v_pk_mul_f32 v[84:85], v[82:83], v[80:81] op_sel:[1,1] op_sel_hi:[0,1]
	s_delay_alu instid0(VALU_DEP_1) | instskip(SKIP_1) | instid1(VALU_DEP_2)
	v_pk_fma_f32 v[86:87], v[82:83], v[80:81], v[84:85] op_sel_hi:[1,0,1]
	v_pk_fma_f32 v[80:81], v[82:83], v[80:81], v[84:85] neg_lo:[0,0,1] neg_hi:[0,0,1]
	v_mov_b32_e32 v81, v87
	s_cbranch_execz .LBB37_319
	s_branch .LBB37_320
.LBB37_318:
                                        ; implicit-def: $vgpr80_vgpr81
.LBB37_319:
	ds_load_b64 v[80:81], v1
.LBB37_320:
	s_and_saveexec_b32 s9, s0
	s_cbranch_execz .LBB37_324
; %bb.321:
	v_add_nc_u32_e32 v82, -6, v0
	s_movk_i32 s10, 0x160
	s_mov_b32 s0, 0
.LBB37_322:                             ; =>This Inner Loop Header: Depth=1
	scratch_load_b64 v[84:85], off, s2
	v_dual_mov_b32 v83, s10 :: v_dual_add_nc_u32 v82, -1, v82
	s_add_co_i32 s10, s10, 8
	s_wait_xcnt 0x0
	s_add_co_i32 s2, s2, 8
	ds_load_b64 v[86:87], v83
	v_cmp_eq_u32_e32 vcc_lo, 0, v82
	s_or_b32 s0, vcc_lo, s0
	s_wait_loadcnt_dscnt 0x0
	v_pk_mul_f32 v[88:89], v[86:87], v[84:85] op_sel:[1,1] op_sel_hi:[0,1]
	s_delay_alu instid0(VALU_DEP_1) | instskip(SKIP_1) | instid1(VALU_DEP_2)
	v_pk_fma_f32 v[90:91], v[86:87], v[84:85], v[88:89] op_sel_hi:[1,0,1]
	v_pk_fma_f32 v[84:85], v[86:87], v[84:85], v[88:89] neg_lo:[0,0,1] neg_hi:[0,0,1]
	v_mov_b32_e32 v85, v91
	s_delay_alu instid0(VALU_DEP_1)
	v_pk_add_f32 v[80:81], v[80:81], v[84:85]
	s_and_not1_b32 exec_lo, exec_lo, s0
	s_cbranch_execnz .LBB37_322
; %bb.323:
	s_or_b32 exec_lo, exec_lo, s0
.LBB37_324:
	s_delay_alu instid0(SALU_CYCLE_1) | instskip(SKIP_4) | instid1(VALU_DEP_1)
	s_or_b32 exec_lo, exec_lo, s9
	v_mov_b32_e32 v82, 0
	ds_load_b64 v[82:83], v82 offset:40
	s_wait_dscnt 0x0
	v_pk_mul_f32 v[84:85], v[80:81], v[82:83] op_sel:[1,1] op_sel_hi:[0,1]
	v_pk_fma_f32 v[86:87], v[80:81], v[82:83], v[84:85] op_sel_hi:[1,0,1]
	v_pk_fma_f32 v[80:81], v[80:81], v[82:83], v[84:85] neg_lo:[0,0,1] neg_hi:[0,0,1]
	s_delay_alu instid0(VALU_DEP_2)
	v_mov_b32_e32 v81, v87
	scratch_store_b64 off, v[80:81], off offset:40
.LBB37_325:
	s_wait_xcnt 0x0
	s_or_b32 exec_lo, exec_lo, s8
	scratch_load_b64 v[80:81], off, off offset:32
	v_cmp_lt_u32_e64 s0, 4, v0
	s_wait_loadcnt 0x0
	ds_store_b64 v1, v[80:81]
	s_wait_storecnt_dscnt 0x0
	s_barrier_signal -1
	s_barrier_wait -1
	s_wait_xcnt 0x0
	s_and_saveexec_b32 s2, s0
	s_cbranch_execz .LBB37_335
; %bb.326:
	s_and_not1_b32 vcc_lo, exec_lo, s3
	s_cbranch_vccnz .LBB37_328
; %bb.327:
	scratch_load_b64 v[80:81], v47, off
	ds_load_b64 v[82:83], v1
	s_wait_loadcnt_dscnt 0x0
	v_pk_mul_f32 v[84:85], v[82:83], v[80:81] op_sel:[1,1] op_sel_hi:[0,1]
	s_delay_alu instid0(VALU_DEP_1) | instskip(SKIP_1) | instid1(VALU_DEP_2)
	v_pk_fma_f32 v[86:87], v[82:83], v[80:81], v[84:85] op_sel_hi:[1,0,1]
	v_pk_fma_f32 v[80:81], v[82:83], v[80:81], v[84:85] neg_lo:[0,0,1] neg_hi:[0,0,1]
	v_mov_b32_e32 v81, v87
	s_cbranch_execz .LBB37_329
	s_branch .LBB37_330
.LBB37_328:
                                        ; implicit-def: $vgpr80_vgpr81
.LBB37_329:
	ds_load_b64 v[80:81], v1
.LBB37_330:
	s_and_saveexec_b32 s8, s1
	s_cbranch_execz .LBB37_334
; %bb.331:
	v_add_nc_u32_e32 v82, -5, v0
	s_mov_b32 s1, 40
	s_movk_i32 s10, 0x158
	s_mov_b32 s9, 0
.LBB37_332:                             ; =>This Inner Loop Header: Depth=1
	scratch_load_b64 v[84:85], off, s1
	v_dual_mov_b32 v83, s10 :: v_dual_add_nc_u32 v82, -1, v82
	s_add_co_i32 s10, s10, 8
	s_wait_xcnt 0x0
	s_add_co_i32 s1, s1, 8
	ds_load_b64 v[86:87], v83
	v_cmp_eq_u32_e32 vcc_lo, 0, v82
	s_or_b32 s9, vcc_lo, s9
	s_wait_loadcnt_dscnt 0x0
	v_pk_mul_f32 v[88:89], v[86:87], v[84:85] op_sel:[1,1] op_sel_hi:[0,1]
	s_delay_alu instid0(VALU_DEP_1) | instskip(SKIP_1) | instid1(VALU_DEP_2)
	v_pk_fma_f32 v[90:91], v[86:87], v[84:85], v[88:89] op_sel_hi:[1,0,1]
	v_pk_fma_f32 v[84:85], v[86:87], v[84:85], v[88:89] neg_lo:[0,0,1] neg_hi:[0,0,1]
	v_mov_b32_e32 v85, v91
	s_delay_alu instid0(VALU_DEP_1)
	v_pk_add_f32 v[80:81], v[80:81], v[84:85]
	s_and_not1_b32 exec_lo, exec_lo, s9
	s_cbranch_execnz .LBB37_332
; %bb.333:
	s_or_b32 exec_lo, exec_lo, s9
.LBB37_334:
	s_delay_alu instid0(SALU_CYCLE_1) | instskip(SKIP_4) | instid1(VALU_DEP_1)
	s_or_b32 exec_lo, exec_lo, s8
	v_mov_b32_e32 v82, 0
	ds_load_b64 v[82:83], v82 offset:32
	s_wait_dscnt 0x0
	v_pk_mul_f32 v[84:85], v[80:81], v[82:83] op_sel:[1,1] op_sel_hi:[0,1]
	v_pk_fma_f32 v[86:87], v[80:81], v[82:83], v[84:85] op_sel_hi:[1,0,1]
	v_pk_fma_f32 v[80:81], v[80:81], v[82:83], v[84:85] neg_lo:[0,0,1] neg_hi:[0,0,1]
	s_delay_alu instid0(VALU_DEP_2)
	v_mov_b32_e32 v81, v87
	scratch_store_b64 off, v[80:81], off offset:32
.LBB37_335:
	s_wait_xcnt 0x0
	s_or_b32 exec_lo, exec_lo, s2
	scratch_load_b64 v[80:81], off, off offset:24
	v_cmp_lt_u32_e64 s2, 3, v0
	s_wait_loadcnt 0x0
	ds_store_b64 v1, v[80:81]
	s_wait_storecnt_dscnt 0x0
	s_barrier_signal -1
	s_barrier_wait -1
	s_wait_xcnt 0x0
	s_and_saveexec_b32 s1, s2
	s_cbranch_execz .LBB37_345
; %bb.336:
	s_and_not1_b32 vcc_lo, exec_lo, s3
	s_cbranch_vccnz .LBB37_338
; %bb.337:
	scratch_load_b64 v[80:81], v47, off
	ds_load_b64 v[82:83], v1
	s_wait_loadcnt_dscnt 0x0
	v_pk_mul_f32 v[84:85], v[82:83], v[80:81] op_sel:[1,1] op_sel_hi:[0,1]
	s_delay_alu instid0(VALU_DEP_1) | instskip(SKIP_1) | instid1(VALU_DEP_2)
	v_pk_fma_f32 v[86:87], v[82:83], v[80:81], v[84:85] op_sel_hi:[1,0,1]
	v_pk_fma_f32 v[80:81], v[82:83], v[80:81], v[84:85] neg_lo:[0,0,1] neg_hi:[0,0,1]
	v_mov_b32_e32 v81, v87
	s_cbranch_execz .LBB37_339
	s_branch .LBB37_340
.LBB37_338:
                                        ; implicit-def: $vgpr80_vgpr81
.LBB37_339:
	ds_load_b64 v[80:81], v1
.LBB37_340:
	s_and_saveexec_b32 s8, s0
	s_cbranch_execz .LBB37_344
; %bb.341:
	v_add_nc_u32_e32 v82, -4, v0
	s_movk_i32 s9, 0x150
	s_mov_b32 s0, 0
.LBB37_342:                             ; =>This Inner Loop Header: Depth=1
	scratch_load_b64 v[84:85], off, s5
	v_dual_mov_b32 v83, s9 :: v_dual_add_nc_u32 v82, -1, v82
	s_add_co_i32 s9, s9, 8
	s_wait_xcnt 0x0
	s_add_co_i32 s5, s5, 8
	ds_load_b64 v[86:87], v83
	v_cmp_eq_u32_e32 vcc_lo, 0, v82
	s_or_b32 s0, vcc_lo, s0
	s_wait_loadcnt_dscnt 0x0
	v_pk_mul_f32 v[88:89], v[86:87], v[84:85] op_sel:[1,1] op_sel_hi:[0,1]
	s_delay_alu instid0(VALU_DEP_1) | instskip(SKIP_1) | instid1(VALU_DEP_2)
	v_pk_fma_f32 v[90:91], v[86:87], v[84:85], v[88:89] op_sel_hi:[1,0,1]
	v_pk_fma_f32 v[84:85], v[86:87], v[84:85], v[88:89] neg_lo:[0,0,1] neg_hi:[0,0,1]
	v_mov_b32_e32 v85, v91
	s_delay_alu instid0(VALU_DEP_1)
	v_pk_add_f32 v[80:81], v[80:81], v[84:85]
	s_and_not1_b32 exec_lo, exec_lo, s0
	s_cbranch_execnz .LBB37_342
; %bb.343:
	s_or_b32 exec_lo, exec_lo, s0
.LBB37_344:
	s_delay_alu instid0(SALU_CYCLE_1) | instskip(SKIP_4) | instid1(VALU_DEP_1)
	s_or_b32 exec_lo, exec_lo, s8
	v_mov_b32_e32 v82, 0
	ds_load_b64 v[82:83], v82 offset:24
	s_wait_dscnt 0x0
	v_pk_mul_f32 v[84:85], v[80:81], v[82:83] op_sel:[1,1] op_sel_hi:[0,1]
	v_pk_fma_f32 v[86:87], v[80:81], v[82:83], v[84:85] op_sel_hi:[1,0,1]
	v_pk_fma_f32 v[80:81], v[80:81], v[82:83], v[84:85] neg_lo:[0,0,1] neg_hi:[0,0,1]
	s_delay_alu instid0(VALU_DEP_2)
	v_mov_b32_e32 v81, v87
	scratch_store_b64 off, v[80:81], off offset:24
.LBB37_345:
	s_wait_xcnt 0x0
	s_or_b32 exec_lo, exec_lo, s1
	scratch_load_b64 v[80:81], off, off offset:16
	v_cmp_lt_u32_e64 s1, 2, v0
	s_wait_loadcnt 0x0
	ds_store_b64 v1, v[80:81]
	s_wait_storecnt_dscnt 0x0
	s_barrier_signal -1
	s_barrier_wait -1
	s_wait_xcnt 0x0
	s_and_saveexec_b32 s0, s1
	s_cbranch_execz .LBB37_355
; %bb.346:
	s_and_not1_b32 vcc_lo, exec_lo, s3
	s_cbranch_vccnz .LBB37_348
; %bb.347:
	scratch_load_b64 v[80:81], v47, off
	ds_load_b64 v[82:83], v1
	s_wait_loadcnt_dscnt 0x0
	v_pk_mul_f32 v[84:85], v[82:83], v[80:81] op_sel:[1,1] op_sel_hi:[0,1]
	s_delay_alu instid0(VALU_DEP_1) | instskip(SKIP_1) | instid1(VALU_DEP_2)
	v_pk_fma_f32 v[86:87], v[82:83], v[80:81], v[84:85] op_sel_hi:[1,0,1]
	v_pk_fma_f32 v[80:81], v[82:83], v[80:81], v[84:85] neg_lo:[0,0,1] neg_hi:[0,0,1]
	v_mov_b32_e32 v81, v87
	s_cbranch_execz .LBB37_349
	s_branch .LBB37_350
.LBB37_348:
                                        ; implicit-def: $vgpr80_vgpr81
.LBB37_349:
	ds_load_b64 v[80:81], v1
.LBB37_350:
	s_and_saveexec_b32 s5, s2
	s_cbranch_execz .LBB37_354
; %bb.351:
	v_add_nc_u32_e32 v82, -3, v0
	s_mov_b32 s2, 24
	s_movk_i32 s9, 0x148
	s_mov_b32 s8, 0
.LBB37_352:                             ; =>This Inner Loop Header: Depth=1
	scratch_load_b64 v[84:85], off, s2
	v_dual_mov_b32 v83, s9 :: v_dual_add_nc_u32 v82, -1, v82
	s_add_co_i32 s9, s9, 8
	s_wait_xcnt 0x0
	s_add_co_i32 s2, s2, 8
	ds_load_b64 v[86:87], v83
	v_cmp_eq_u32_e32 vcc_lo, 0, v82
	s_or_b32 s8, vcc_lo, s8
	s_wait_loadcnt_dscnt 0x0
	v_pk_mul_f32 v[88:89], v[86:87], v[84:85] op_sel:[1,1] op_sel_hi:[0,1]
	s_delay_alu instid0(VALU_DEP_1) | instskip(SKIP_1) | instid1(VALU_DEP_2)
	v_pk_fma_f32 v[90:91], v[86:87], v[84:85], v[88:89] op_sel_hi:[1,0,1]
	v_pk_fma_f32 v[84:85], v[86:87], v[84:85], v[88:89] neg_lo:[0,0,1] neg_hi:[0,0,1]
	v_mov_b32_e32 v85, v91
	s_delay_alu instid0(VALU_DEP_1)
	v_pk_add_f32 v[80:81], v[80:81], v[84:85]
	s_and_not1_b32 exec_lo, exec_lo, s8
	s_cbranch_execnz .LBB37_352
; %bb.353:
	s_or_b32 exec_lo, exec_lo, s8
.LBB37_354:
	s_delay_alu instid0(SALU_CYCLE_1) | instskip(SKIP_4) | instid1(VALU_DEP_1)
	s_or_b32 exec_lo, exec_lo, s5
	v_mov_b32_e32 v82, 0
	ds_load_b64 v[82:83], v82 offset:16
	s_wait_dscnt 0x0
	v_pk_mul_f32 v[84:85], v[80:81], v[82:83] op_sel:[1,1] op_sel_hi:[0,1]
	v_pk_fma_f32 v[86:87], v[80:81], v[82:83], v[84:85] op_sel_hi:[1,0,1]
	v_pk_fma_f32 v[80:81], v[80:81], v[82:83], v[84:85] neg_lo:[0,0,1] neg_hi:[0,0,1]
	s_delay_alu instid0(VALU_DEP_2)
	v_mov_b32_e32 v81, v87
	scratch_store_b64 off, v[80:81], off offset:16
.LBB37_355:
	s_wait_xcnt 0x0
	s_or_b32 exec_lo, exec_lo, s0
	scratch_load_b64 v[80:81], off, off offset:8
	v_cmp_lt_u32_e64 s0, 1, v0
	s_wait_loadcnt 0x0
	ds_store_b64 v1, v[80:81]
	s_wait_storecnt_dscnt 0x0
	s_barrier_signal -1
	s_barrier_wait -1
	s_wait_xcnt 0x0
	s_and_saveexec_b32 s2, s0
	s_cbranch_execz .LBB37_365
; %bb.356:
	s_and_not1_b32 vcc_lo, exec_lo, s3
	s_cbranch_vccnz .LBB37_358
; %bb.357:
	scratch_load_b64 v[80:81], v47, off
	ds_load_b64 v[82:83], v1
	s_wait_loadcnt_dscnt 0x0
	v_pk_mul_f32 v[84:85], v[82:83], v[80:81] op_sel:[1,1] op_sel_hi:[0,1]
	s_delay_alu instid0(VALU_DEP_1) | instskip(SKIP_1) | instid1(VALU_DEP_2)
	v_pk_fma_f32 v[86:87], v[82:83], v[80:81], v[84:85] op_sel_hi:[1,0,1]
	v_pk_fma_f32 v[80:81], v[82:83], v[80:81], v[84:85] neg_lo:[0,0,1] neg_hi:[0,0,1]
	v_mov_b32_e32 v81, v87
	s_cbranch_execz .LBB37_359
	s_branch .LBB37_360
.LBB37_358:
                                        ; implicit-def: $vgpr80_vgpr81
.LBB37_359:
	ds_load_b64 v[80:81], v1
.LBB37_360:
	s_and_saveexec_b32 s5, s1
	s_cbranch_execz .LBB37_364
; %bb.361:
	v_add_nc_u32_e32 v82, -2, v0
	s_movk_i32 s8, 0x140
	s_mov_b32 s1, 0
.LBB37_362:                             ; =>This Inner Loop Header: Depth=1
	scratch_load_b64 v[84:85], off, s4
	v_dual_mov_b32 v83, s8 :: v_dual_add_nc_u32 v82, -1, v82
	s_add_co_i32 s8, s8, 8
	s_wait_xcnt 0x0
	s_add_co_i32 s4, s4, 8
	ds_load_b64 v[86:87], v83
	v_cmp_eq_u32_e32 vcc_lo, 0, v82
	s_or_b32 s1, vcc_lo, s1
	s_wait_loadcnt_dscnt 0x0
	v_pk_mul_f32 v[88:89], v[86:87], v[84:85] op_sel:[1,1] op_sel_hi:[0,1]
	s_delay_alu instid0(VALU_DEP_1) | instskip(SKIP_1) | instid1(VALU_DEP_2)
	v_pk_fma_f32 v[90:91], v[86:87], v[84:85], v[88:89] op_sel_hi:[1,0,1]
	v_pk_fma_f32 v[84:85], v[86:87], v[84:85], v[88:89] neg_lo:[0,0,1] neg_hi:[0,0,1]
	v_mov_b32_e32 v85, v91
	s_delay_alu instid0(VALU_DEP_1)
	v_pk_add_f32 v[80:81], v[80:81], v[84:85]
	s_and_not1_b32 exec_lo, exec_lo, s1
	s_cbranch_execnz .LBB37_362
; %bb.363:
	s_or_b32 exec_lo, exec_lo, s1
.LBB37_364:
	s_delay_alu instid0(SALU_CYCLE_1) | instskip(SKIP_4) | instid1(VALU_DEP_1)
	s_or_b32 exec_lo, exec_lo, s5
	v_mov_b32_e32 v82, 0
	ds_load_b64 v[82:83], v82 offset:8
	s_wait_dscnt 0x0
	v_pk_mul_f32 v[84:85], v[80:81], v[82:83] op_sel:[1,1] op_sel_hi:[0,1]
	v_pk_fma_f32 v[86:87], v[80:81], v[82:83], v[84:85] op_sel_hi:[1,0,1]
	v_pk_fma_f32 v[80:81], v[80:81], v[82:83], v[84:85] neg_lo:[0,0,1] neg_hi:[0,0,1]
	s_delay_alu instid0(VALU_DEP_2)
	v_mov_b32_e32 v81, v87
	scratch_store_b64 off, v[80:81], off offset:8
.LBB37_365:
	s_wait_xcnt 0x0
	s_or_b32 exec_lo, exec_lo, s2
	scratch_load_b64 v[80:81], off, off
	s_mov_b32 s2, 0
	s_mov_b32 s1, 0
	s_mov_b32 s5, exec_lo
                                        ; implicit-def: $vgpr108
                                        ; implicit-def: $sgpr4
	s_wait_loadcnt 0x0
	ds_store_b64 v1, v[80:81]
	s_wait_storecnt_dscnt 0x0
	s_barrier_signal -1
	s_barrier_wait -1
	s_wait_xcnt 0x0
	v_cmpx_ne_u32_e32 0, v0
	s_cbranch_execz .LBB37_375
; %bb.366:
	s_and_not1_b32 vcc_lo, exec_lo, s3
	s_cbranch_vccnz .LBB37_368
; %bb.367:
	scratch_load_b64 v[82:83], v47, off
	ds_load_b64 v[84:85], v1
	s_wait_loadcnt_dscnt 0x0
	v_dual_mul_f32 v80, v85, v83 :: v_dual_mul_f32 v81, v84, v83
	s_delay_alu instid0(VALU_DEP_1)
	v_dual_fma_f32 v80, v84, v82, -v80 :: v_dual_fmac_f32 v81, v85, v82
	s_and_not1_b32 vcc_lo, exec_lo, s1
	s_cbranch_vccz .LBB37_369
	s_branch .LBB37_370
.LBB37_368:
                                        ; implicit-def: $vgpr80
.LBB37_369:
	ds_load_b64 v[80:81], v1
.LBB37_370:
	s_and_saveexec_b32 s1, s0
	s_cbranch_execz .LBB37_374
; %bb.371:
	v_add_nc_u32_e32 v82, -1, v0
	s_or_b32 s0, 0, 8
	s_movk_i32 s8, 0x138
	s_mov_b32 s4, 0
.LBB37_372:                             ; =>This Inner Loop Header: Depth=1
	scratch_load_b64 v[84:85], off, s0
	v_mov_b32_e32 v83, s8
	s_add_co_i32 s8, s8, 8
	s_wait_xcnt 0x0
	s_add_co_i32 s0, s0, 8
	v_add_nc_u32_e32 v82, -1, v82
	ds_load_b64 v[86:87], v83
	v_cmp_eq_u32_e32 vcc_lo, 0, v82
	s_or_b32 s4, vcc_lo, s4
	s_wait_loadcnt_dscnt 0x0
	v_dual_mul_f32 v83, v87, v85 :: v_dual_mul_f32 v85, v86, v85
	s_delay_alu instid0(VALU_DEP_1) | instskip(NEXT) | instid1(VALU_DEP_1)
	v_dual_fma_f32 v83, v86, v84, -v83 :: v_dual_fmac_f32 v85, v87, v84
	v_dual_add_f32 v80, v80, v83 :: v_dual_add_f32 v81, v81, v85
	s_and_not1_b32 exec_lo, exec_lo, s4
	s_cbranch_execnz .LBB37_372
; %bb.373:
	s_or_b32 exec_lo, exec_lo, s4
.LBB37_374:
	s_delay_alu instid0(SALU_CYCLE_1)
	s_or_b32 exec_lo, exec_lo, s1
	v_mov_b32_e32 v82, 0
	s_mov_b32 s1, exec_lo
	s_or_b32 s4, 0, 4
	ds_load_b64 v[82:83], v82
	s_wait_dscnt 0x0
	v_dual_mul_f32 v84, v81, v83 :: v_dual_mul_f32 v108, v80, v83
	s_delay_alu instid0(VALU_DEP_1) | instskip(NEXT) | instid1(VALU_DEP_2)
	v_fma_f32 v80, v80, v82, -v84
	v_fmac_f32_e32 v108, v81, v82
	scratch_store_b32 off, v80, off
.LBB37_375:
	s_wait_xcnt 0x0
	s_or_b32 exec_lo, exec_lo, s5
	s_delay_alu instid0(SALU_CYCLE_1)
	s_and_b32 vcc_lo, exec_lo, s2
	s_cbranch_vccz .LBB37_741
.LBB37_376:
	scratch_load_b64 v[80:81], off, off offset:8
	v_cmp_eq_u32_e64 s0, 0, v0
	s_wait_loadcnt 0x0
	ds_store_b64 v1, v[80:81]
	s_wait_storecnt_dscnt 0x0
	s_barrier_signal -1
	s_barrier_wait -1
	s_wait_xcnt 0x0
	s_and_saveexec_b32 s2, s0
	s_cbranch_execz .LBB37_382
; %bb.377:
	s_and_b32 vcc_lo, exec_lo, s3
	s_cbranch_vccz .LBB37_379
; %bb.378:
	scratch_load_b64 v[80:81], v47, off
	ds_load_b64 v[82:83], v1
	s_wait_loadcnt_dscnt 0x0
	v_pk_mul_f32 v[84:85], v[82:83], v[80:81] op_sel:[1,1] op_sel_hi:[0,1]
	v_pk_mul_f32 v[86:87], v[82:83], v[80:81] op_sel_hi:[1,0]
	s_delay_alu instid0(VALU_DEP_2) | instskip(NEXT) | instid1(VALU_DEP_2)
	v_pk_fma_f32 v[80:81], v[82:83], v[80:81], v[84:85] op_sel_hi:[1,0,1]
	v_sub_f32_e32 v80, v86, v84
	s_cbranch_execz .LBB37_380
	s_branch .LBB37_381
.LBB37_379:
                                        ; implicit-def: $vgpr81
.LBB37_380:
	ds_load_b64 v[80:81], v1
.LBB37_381:
	s_wait_dscnt 0x0
	v_dual_mov_b32 v82, 0 :: v_dual_mov_b32 v84, v81
	v_mov_b32_e32 v85, v80
	ds_load_b64 v[82:83], v82 offset:8
	s_wait_dscnt 0x0
	v_pk_mul_f32 v[84:85], v[84:85], v[82:83] op_sel:[0,1]
	s_delay_alu instid0(VALU_DEP_1) | instskip(SKIP_1) | instid1(VALU_DEP_2)
	v_pk_fma_f32 v[86:87], v[80:81], v[82:83], v[84:85] op_sel_hi:[1,0,1]
	v_pk_fma_f32 v[80:81], v[80:81], v[82:83], v[84:85] neg_lo:[0,0,1] neg_hi:[0,0,1]
	v_mov_b32_e32 v81, v87
	scratch_store_b64 off, v[80:81], off offset:8
.LBB37_382:
	s_wait_xcnt 0x0
	s_or_b32 exec_lo, exec_lo, s2
	scratch_load_b64 v[80:81], off, off offset:16
	v_cndmask_b32_e64 v82, 0, 1, s3
	s_mov_b32 s2, exec_lo
	s_wait_loadcnt 0x0
	ds_store_b64 v1, v[80:81]
	s_wait_storecnt_dscnt 0x0
	s_barrier_signal -1
	s_barrier_wait -1
	s_wait_xcnt 0x0
	v_cmpx_gt_u32_e32 2, v0
	s_cbranch_execz .LBB37_390
; %bb.383:
	s_and_not1_b32 vcc_lo, exec_lo, s3
	s_cbranch_vccnz .LBB37_385
; %bb.384:
	scratch_load_b64 v[80:81], v47, off
	ds_load_b64 v[84:85], v1
	s_wait_loadcnt_dscnt 0x0
	v_pk_mul_f32 v[86:87], v[84:85], v[80:81] op_sel:[1,1] op_sel_hi:[0,1]
	s_delay_alu instid0(VALU_DEP_1) | instskip(SKIP_1) | instid1(VALU_DEP_2)
	v_pk_fma_f32 v[88:89], v[84:85], v[80:81], v[86:87] op_sel_hi:[1,0,1]
	v_pk_fma_f32 v[80:81], v[84:85], v[80:81], v[86:87] neg_lo:[0,0,1] neg_hi:[0,0,1]
	v_mov_b32_e32 v81, v89
	s_cbranch_execz .LBB37_386
	s_branch .LBB37_387
.LBB37_385:
                                        ; implicit-def: $vgpr80_vgpr81
.LBB37_386:
	ds_load_b64 v[80:81], v1
.LBB37_387:
	s_and_saveexec_b32 s3, s0
	s_cbranch_execz .LBB37_389
; %bb.388:
	scratch_load_b64 v[84:85], off, off offset:8
	v_mov_b32_e32 v83, 0
	ds_load_b64 v[86:87], v83 offset:312
	s_wait_loadcnt_dscnt 0x0
	v_pk_mul_f32 v[88:89], v[86:87], v[84:85] op_sel:[1,1] op_sel_hi:[0,1]
	s_delay_alu instid0(VALU_DEP_1) | instskip(SKIP_1) | instid1(VALU_DEP_2)
	v_pk_fma_f32 v[90:91], v[86:87], v[84:85], v[88:89] op_sel_hi:[1,0,1]
	v_pk_fma_f32 v[84:85], v[86:87], v[84:85], v[88:89] neg_lo:[0,0,1] neg_hi:[0,0,1]
	v_mov_b32_e32 v85, v91
	s_delay_alu instid0(VALU_DEP_1)
	v_pk_add_f32 v[80:81], v[80:81], v[84:85]
.LBB37_389:
	s_or_b32 exec_lo, exec_lo, s3
	v_mov_b32_e32 v83, 0
	ds_load_b64 v[84:85], v83 offset:16
	s_wait_dscnt 0x0
	v_pk_mul_f32 v[86:87], v[80:81], v[84:85] op_sel:[1,1] op_sel_hi:[0,1]
	s_delay_alu instid0(VALU_DEP_1) | instskip(SKIP_1) | instid1(VALU_DEP_2)
	v_pk_fma_f32 v[88:89], v[80:81], v[84:85], v[86:87] op_sel_hi:[1,0,1]
	v_pk_fma_f32 v[80:81], v[80:81], v[84:85], v[86:87] neg_lo:[0,0,1] neg_hi:[0,0,1]
	v_mov_b32_e32 v81, v89
	scratch_store_b64 off, v[80:81], off offset:16
.LBB37_390:
	s_wait_xcnt 0x0
	s_or_b32 exec_lo, exec_lo, s2
	scratch_load_b64 v[80:81], off, off offset:24
	s_mov_b32 s2, exec_lo
	s_wait_loadcnt 0x0
	ds_store_b64 v1, v[80:81]
	s_wait_storecnt_dscnt 0x0
	s_barrier_signal -1
	s_barrier_wait -1
	s_wait_xcnt 0x0
	v_cmpx_gt_u32_e32 3, v0
	s_cbranch_execz .LBB37_400
; %bb.391:
	v_cmp_ne_u32_e32 vcc_lo, 1, v82
	s_cbranch_vccnz .LBB37_393
; %bb.392:
	scratch_load_b64 v[80:81], v47, off
	ds_load_b64 v[84:85], v1
	s_wait_loadcnt_dscnt 0x0
	v_pk_mul_f32 v[86:87], v[84:85], v[80:81] op_sel:[1,1] op_sel_hi:[0,1]
	s_delay_alu instid0(VALU_DEP_1) | instskip(SKIP_1) | instid1(VALU_DEP_2)
	v_pk_fma_f32 v[88:89], v[84:85], v[80:81], v[86:87] op_sel_hi:[1,0,1]
	v_pk_fma_f32 v[80:81], v[84:85], v[80:81], v[86:87] neg_lo:[0,0,1] neg_hi:[0,0,1]
	v_mov_b32_e32 v81, v89
	s_cbranch_execz .LBB37_394
	s_branch .LBB37_395
.LBB37_393:
                                        ; implicit-def: $vgpr80_vgpr81
.LBB37_394:
	ds_load_b64 v[80:81], v1
.LBB37_395:
	s_mov_b32 s3, exec_lo
	v_cmpx_ne_u32_e32 2, v0
	s_cbranch_execz .LBB37_399
; %bb.396:
	scratch_load_b64 v[84:85], v47, off offset:8
	ds_load_b64 v[86:87], v1 offset:8
	s_wait_loadcnt_dscnt 0x0
	v_pk_mul_f32 v[88:89], v[86:87], v[84:85] op_sel:[1,1] op_sel_hi:[0,1]
	s_delay_alu instid0(VALU_DEP_1) | instskip(SKIP_1) | instid1(VALU_DEP_2)
	v_pk_fma_f32 v[90:91], v[86:87], v[84:85], v[88:89] op_sel_hi:[1,0,1]
	v_pk_fma_f32 v[84:85], v[86:87], v[84:85], v[88:89] neg_lo:[0,0,1] neg_hi:[0,0,1]
	v_mov_b32_e32 v85, v91
	s_delay_alu instid0(VALU_DEP_1)
	v_pk_add_f32 v[80:81], v[80:81], v[84:85]
	s_and_saveexec_b32 s4, s0
	s_cbranch_execz .LBB37_398
; %bb.397:
	scratch_load_b64 v[84:85], off, off offset:16
	v_mov_b32_e32 v83, 0
	ds_load_b64 v[86:87], v83 offset:320
	s_wait_loadcnt_dscnt 0x0
	v_pk_mul_f32 v[88:89], v[86:87], v[84:85] op_sel:[1,1] op_sel_hi:[0,1]
	s_delay_alu instid0(VALU_DEP_1) | instskip(SKIP_1) | instid1(VALU_DEP_2)
	v_pk_fma_f32 v[90:91], v[86:87], v[84:85], v[88:89] op_sel_hi:[1,0,1]
	v_pk_fma_f32 v[84:85], v[86:87], v[84:85], v[88:89] neg_lo:[0,0,1] neg_hi:[0,0,1]
	v_mov_b32_e32 v85, v91
	s_delay_alu instid0(VALU_DEP_1)
	v_pk_add_f32 v[80:81], v[80:81], v[84:85]
.LBB37_398:
	s_or_b32 exec_lo, exec_lo, s4
.LBB37_399:
	s_delay_alu instid0(SALU_CYCLE_1) | instskip(SKIP_4) | instid1(VALU_DEP_1)
	s_or_b32 exec_lo, exec_lo, s3
	v_mov_b32_e32 v83, 0
	ds_load_b64 v[84:85], v83 offset:24
	s_wait_dscnt 0x0
	v_pk_mul_f32 v[86:87], v[80:81], v[84:85] op_sel:[1,1] op_sel_hi:[0,1]
	v_pk_fma_f32 v[88:89], v[80:81], v[84:85], v[86:87] op_sel_hi:[1,0,1]
	v_pk_fma_f32 v[80:81], v[80:81], v[84:85], v[86:87] neg_lo:[0,0,1] neg_hi:[0,0,1]
	s_delay_alu instid0(VALU_DEP_2)
	v_mov_b32_e32 v81, v89
	scratch_store_b64 off, v[80:81], off offset:24
.LBB37_400:
	s_wait_xcnt 0x0
	s_or_b32 exec_lo, exec_lo, s2
	scratch_load_b64 v[80:81], off, off offset:32
	s_mov_b32 s0, exec_lo
	s_wait_loadcnt 0x0
	ds_store_b64 v1, v[80:81]
	s_wait_storecnt_dscnt 0x0
	s_barrier_signal -1
	s_barrier_wait -1
	s_wait_xcnt 0x0
	v_cmpx_gt_u32_e32 4, v0
	s_cbranch_execz .LBB37_410
; %bb.401:
	v_cmp_ne_u32_e32 vcc_lo, 1, v82
	s_cbranch_vccnz .LBB37_403
; %bb.402:
	scratch_load_b64 v[80:81], v47, off
	ds_load_b64 v[84:85], v1
	s_wait_loadcnt_dscnt 0x0
	v_pk_mul_f32 v[86:87], v[84:85], v[80:81] op_sel:[1,1] op_sel_hi:[0,1]
	s_delay_alu instid0(VALU_DEP_1) | instskip(SKIP_1) | instid1(VALU_DEP_2)
	v_pk_fma_f32 v[88:89], v[84:85], v[80:81], v[86:87] op_sel_hi:[1,0,1]
	v_pk_fma_f32 v[80:81], v[84:85], v[80:81], v[86:87] neg_lo:[0,0,1] neg_hi:[0,0,1]
	v_mov_b32_e32 v81, v89
	s_cbranch_execz .LBB37_404
	s_branch .LBB37_405
.LBB37_403:
                                        ; implicit-def: $vgpr80_vgpr81
.LBB37_404:
	ds_load_b64 v[80:81], v1
.LBB37_405:
	s_mov_b32 s2, exec_lo
	v_cmpx_ne_u32_e32 3, v0
	s_cbranch_execz .LBB37_409
; %bb.406:
	v_add_nc_u32_e32 v83, 0x138, v46
	v_add3_u32 v84, 0, v46, 8
	v_mov_b32_e32 v85, v0
	s_mov_b32 s3, 0
.LBB37_407:                             ; =>This Inner Loop Header: Depth=1
	scratch_load_b64 v[86:87], v84, off
	ds_load_b64 v[88:89], v83
	s_wait_xcnt 0x0
	v_dual_add_nc_u32 v83, 8, v83 :: v_dual_add_nc_u32 v84, 8, v84
	s_wait_loadcnt_dscnt 0x0
	v_pk_mul_f32 v[90:91], v[88:89], v[86:87] op_sel:[1,1] op_sel_hi:[0,1]
	s_delay_alu instid0(VALU_DEP_1) | instskip(SKIP_2) | instid1(VALU_DEP_3)
	v_pk_fma_f32 v[92:93], v[88:89], v[86:87], v[90:91] op_sel_hi:[1,0,1]
	v_add_nc_u32_e32 v85, 1, v85
	v_pk_fma_f32 v[86:87], v[88:89], v[86:87], v[90:91] neg_lo:[0,0,1] neg_hi:[0,0,1]
	v_mov_b32_e32 v87, v93
	s_delay_alu instid0(VALU_DEP_3) | instskip(NEXT) | instid1(VALU_DEP_2)
	v_cmp_lt_u32_e32 vcc_lo, 2, v85
	v_pk_add_f32 v[80:81], v[80:81], v[86:87]
	s_or_b32 s3, vcc_lo, s3
	s_delay_alu instid0(SALU_CYCLE_1)
	s_and_not1_b32 exec_lo, exec_lo, s3
	s_cbranch_execnz .LBB37_407
; %bb.408:
	s_or_b32 exec_lo, exec_lo, s3
.LBB37_409:
	s_delay_alu instid0(SALU_CYCLE_1) | instskip(SKIP_4) | instid1(VALU_DEP_1)
	s_or_b32 exec_lo, exec_lo, s2
	v_mov_b32_e32 v83, 0
	ds_load_b64 v[84:85], v83 offset:32
	s_wait_dscnt 0x0
	v_pk_mul_f32 v[86:87], v[80:81], v[84:85] op_sel:[1,1] op_sel_hi:[0,1]
	v_pk_fma_f32 v[88:89], v[80:81], v[84:85], v[86:87] op_sel_hi:[1,0,1]
	v_pk_fma_f32 v[80:81], v[80:81], v[84:85], v[86:87] neg_lo:[0,0,1] neg_hi:[0,0,1]
	s_delay_alu instid0(VALU_DEP_2)
	v_mov_b32_e32 v81, v89
	scratch_store_b64 off, v[80:81], off offset:32
.LBB37_410:
	s_wait_xcnt 0x0
	s_or_b32 exec_lo, exec_lo, s0
	scratch_load_b64 v[80:81], off, off offset:40
	s_mov_b32 s0, exec_lo
	s_wait_loadcnt 0x0
	ds_store_b64 v1, v[80:81]
	s_wait_storecnt_dscnt 0x0
	s_barrier_signal -1
	s_barrier_wait -1
	s_wait_xcnt 0x0
	v_cmpx_gt_u32_e32 5, v0
	s_cbranch_execz .LBB37_420
; %bb.411:
	v_cmp_ne_u32_e32 vcc_lo, 1, v82
	s_cbranch_vccnz .LBB37_413
; %bb.412:
	scratch_load_b64 v[80:81], v47, off
	ds_load_b64 v[84:85], v1
	s_wait_loadcnt_dscnt 0x0
	v_pk_mul_f32 v[86:87], v[84:85], v[80:81] op_sel:[1,1] op_sel_hi:[0,1]
	s_delay_alu instid0(VALU_DEP_1) | instskip(SKIP_1) | instid1(VALU_DEP_2)
	v_pk_fma_f32 v[88:89], v[84:85], v[80:81], v[86:87] op_sel_hi:[1,0,1]
	v_pk_fma_f32 v[80:81], v[84:85], v[80:81], v[86:87] neg_lo:[0,0,1] neg_hi:[0,0,1]
	v_mov_b32_e32 v81, v89
	s_cbranch_execz .LBB37_414
	s_branch .LBB37_415
.LBB37_413:
                                        ; implicit-def: $vgpr80_vgpr81
.LBB37_414:
	ds_load_b64 v[80:81], v1
.LBB37_415:
	s_mov_b32 s2, exec_lo
	v_cmpx_ne_u32_e32 4, v0
	s_cbranch_execz .LBB37_419
; %bb.416:
	v_add_nc_u32_e32 v83, 0x138, v46
	v_add3_u32 v84, 0, v46, 8
	v_mov_b32_e32 v85, v0
	s_mov_b32 s3, 0
.LBB37_417:                             ; =>This Inner Loop Header: Depth=1
	scratch_load_b64 v[86:87], v84, off
	ds_load_b64 v[88:89], v83
	s_wait_xcnt 0x0
	v_dual_add_nc_u32 v83, 8, v83 :: v_dual_add_nc_u32 v84, 8, v84
	s_wait_loadcnt_dscnt 0x0
	v_pk_mul_f32 v[90:91], v[88:89], v[86:87] op_sel:[1,1] op_sel_hi:[0,1]
	s_delay_alu instid0(VALU_DEP_1) | instskip(SKIP_2) | instid1(VALU_DEP_3)
	v_pk_fma_f32 v[92:93], v[88:89], v[86:87], v[90:91] op_sel_hi:[1,0,1]
	v_add_nc_u32_e32 v85, 1, v85
	v_pk_fma_f32 v[86:87], v[88:89], v[86:87], v[90:91] neg_lo:[0,0,1] neg_hi:[0,0,1]
	v_mov_b32_e32 v87, v93
	s_delay_alu instid0(VALU_DEP_3) | instskip(NEXT) | instid1(VALU_DEP_2)
	v_cmp_lt_u32_e32 vcc_lo, 3, v85
	v_pk_add_f32 v[80:81], v[80:81], v[86:87]
	s_or_b32 s3, vcc_lo, s3
	s_delay_alu instid0(SALU_CYCLE_1)
	s_and_not1_b32 exec_lo, exec_lo, s3
	s_cbranch_execnz .LBB37_417
; %bb.418:
	s_or_b32 exec_lo, exec_lo, s3
.LBB37_419:
	s_delay_alu instid0(SALU_CYCLE_1) | instskip(SKIP_4) | instid1(VALU_DEP_1)
	s_or_b32 exec_lo, exec_lo, s2
	v_mov_b32_e32 v83, 0
	ds_load_b64 v[84:85], v83 offset:40
	s_wait_dscnt 0x0
	v_pk_mul_f32 v[86:87], v[80:81], v[84:85] op_sel:[1,1] op_sel_hi:[0,1]
	v_pk_fma_f32 v[88:89], v[80:81], v[84:85], v[86:87] op_sel_hi:[1,0,1]
	v_pk_fma_f32 v[80:81], v[80:81], v[84:85], v[86:87] neg_lo:[0,0,1] neg_hi:[0,0,1]
	s_delay_alu instid0(VALU_DEP_2)
	v_mov_b32_e32 v81, v89
	scratch_store_b64 off, v[80:81], off offset:40
.LBB37_420:
	s_wait_xcnt 0x0
	s_or_b32 exec_lo, exec_lo, s0
	scratch_load_b64 v[80:81], off, off offset:48
	s_mov_b32 s0, exec_lo
	s_wait_loadcnt 0x0
	ds_store_b64 v1, v[80:81]
	s_wait_storecnt_dscnt 0x0
	s_barrier_signal -1
	s_barrier_wait -1
	s_wait_xcnt 0x0
	v_cmpx_gt_u32_e32 6, v0
	s_cbranch_execz .LBB37_430
; %bb.421:
	v_cmp_ne_u32_e32 vcc_lo, 1, v82
	s_cbranch_vccnz .LBB37_423
; %bb.422:
	scratch_load_b64 v[80:81], v47, off
	ds_load_b64 v[84:85], v1
	s_wait_loadcnt_dscnt 0x0
	v_pk_mul_f32 v[86:87], v[84:85], v[80:81] op_sel:[1,1] op_sel_hi:[0,1]
	s_delay_alu instid0(VALU_DEP_1) | instskip(SKIP_1) | instid1(VALU_DEP_2)
	v_pk_fma_f32 v[88:89], v[84:85], v[80:81], v[86:87] op_sel_hi:[1,0,1]
	v_pk_fma_f32 v[80:81], v[84:85], v[80:81], v[86:87] neg_lo:[0,0,1] neg_hi:[0,0,1]
	v_mov_b32_e32 v81, v89
	s_cbranch_execz .LBB37_424
	s_branch .LBB37_425
.LBB37_423:
                                        ; implicit-def: $vgpr80_vgpr81
.LBB37_424:
	ds_load_b64 v[80:81], v1
.LBB37_425:
	s_mov_b32 s2, exec_lo
	v_cmpx_ne_u32_e32 5, v0
	s_cbranch_execz .LBB37_429
; %bb.426:
	v_add_nc_u32_e32 v83, 0x138, v46
	v_add3_u32 v84, 0, v46, 8
	v_mov_b32_e32 v85, v0
	s_mov_b32 s3, 0
.LBB37_427:                             ; =>This Inner Loop Header: Depth=1
	scratch_load_b64 v[86:87], v84, off
	ds_load_b64 v[88:89], v83
	s_wait_xcnt 0x0
	v_dual_add_nc_u32 v83, 8, v83 :: v_dual_add_nc_u32 v84, 8, v84
	s_wait_loadcnt_dscnt 0x0
	v_pk_mul_f32 v[90:91], v[88:89], v[86:87] op_sel:[1,1] op_sel_hi:[0,1]
	s_delay_alu instid0(VALU_DEP_1) | instskip(SKIP_2) | instid1(VALU_DEP_3)
	v_pk_fma_f32 v[92:93], v[88:89], v[86:87], v[90:91] op_sel_hi:[1,0,1]
	v_add_nc_u32_e32 v85, 1, v85
	v_pk_fma_f32 v[86:87], v[88:89], v[86:87], v[90:91] neg_lo:[0,0,1] neg_hi:[0,0,1]
	v_mov_b32_e32 v87, v93
	s_delay_alu instid0(VALU_DEP_3) | instskip(NEXT) | instid1(VALU_DEP_2)
	v_cmp_lt_u32_e32 vcc_lo, 4, v85
	v_pk_add_f32 v[80:81], v[80:81], v[86:87]
	s_or_b32 s3, vcc_lo, s3
	s_delay_alu instid0(SALU_CYCLE_1)
	s_and_not1_b32 exec_lo, exec_lo, s3
	s_cbranch_execnz .LBB37_427
; %bb.428:
	s_or_b32 exec_lo, exec_lo, s3
.LBB37_429:
	s_delay_alu instid0(SALU_CYCLE_1) | instskip(SKIP_4) | instid1(VALU_DEP_1)
	s_or_b32 exec_lo, exec_lo, s2
	v_mov_b32_e32 v83, 0
	ds_load_b64 v[84:85], v83 offset:48
	s_wait_dscnt 0x0
	v_pk_mul_f32 v[86:87], v[80:81], v[84:85] op_sel:[1,1] op_sel_hi:[0,1]
	v_pk_fma_f32 v[88:89], v[80:81], v[84:85], v[86:87] op_sel_hi:[1,0,1]
	v_pk_fma_f32 v[80:81], v[80:81], v[84:85], v[86:87] neg_lo:[0,0,1] neg_hi:[0,0,1]
	s_delay_alu instid0(VALU_DEP_2)
	v_mov_b32_e32 v81, v89
	scratch_store_b64 off, v[80:81], off offset:48
.LBB37_430:
	s_wait_xcnt 0x0
	s_or_b32 exec_lo, exec_lo, s0
	scratch_load_b64 v[80:81], off, off offset:56
	s_mov_b32 s0, exec_lo
	s_wait_loadcnt 0x0
	ds_store_b64 v1, v[80:81]
	s_wait_storecnt_dscnt 0x0
	s_barrier_signal -1
	s_barrier_wait -1
	s_wait_xcnt 0x0
	v_cmpx_gt_u32_e32 7, v0
	s_cbranch_execz .LBB37_440
; %bb.431:
	v_cmp_ne_u32_e32 vcc_lo, 1, v82
	s_cbranch_vccnz .LBB37_433
; %bb.432:
	scratch_load_b64 v[80:81], v47, off
	ds_load_b64 v[84:85], v1
	s_wait_loadcnt_dscnt 0x0
	v_pk_mul_f32 v[86:87], v[84:85], v[80:81] op_sel:[1,1] op_sel_hi:[0,1]
	s_delay_alu instid0(VALU_DEP_1) | instskip(SKIP_1) | instid1(VALU_DEP_2)
	v_pk_fma_f32 v[88:89], v[84:85], v[80:81], v[86:87] op_sel_hi:[1,0,1]
	v_pk_fma_f32 v[80:81], v[84:85], v[80:81], v[86:87] neg_lo:[0,0,1] neg_hi:[0,0,1]
	v_mov_b32_e32 v81, v89
	s_cbranch_execz .LBB37_434
	s_branch .LBB37_435
.LBB37_433:
                                        ; implicit-def: $vgpr80_vgpr81
.LBB37_434:
	ds_load_b64 v[80:81], v1
.LBB37_435:
	s_mov_b32 s2, exec_lo
	v_cmpx_ne_u32_e32 6, v0
	s_cbranch_execz .LBB37_439
; %bb.436:
	v_add_nc_u32_e32 v83, 0x138, v46
	v_add3_u32 v84, 0, v46, 8
	v_mov_b32_e32 v85, v0
	s_mov_b32 s3, 0
.LBB37_437:                             ; =>This Inner Loop Header: Depth=1
	scratch_load_b64 v[86:87], v84, off
	ds_load_b64 v[88:89], v83
	s_wait_xcnt 0x0
	v_dual_add_nc_u32 v83, 8, v83 :: v_dual_add_nc_u32 v84, 8, v84
	s_wait_loadcnt_dscnt 0x0
	v_pk_mul_f32 v[90:91], v[88:89], v[86:87] op_sel:[1,1] op_sel_hi:[0,1]
	s_delay_alu instid0(VALU_DEP_1) | instskip(SKIP_2) | instid1(VALU_DEP_3)
	v_pk_fma_f32 v[92:93], v[88:89], v[86:87], v[90:91] op_sel_hi:[1,0,1]
	v_add_nc_u32_e32 v85, 1, v85
	v_pk_fma_f32 v[86:87], v[88:89], v[86:87], v[90:91] neg_lo:[0,0,1] neg_hi:[0,0,1]
	v_mov_b32_e32 v87, v93
	s_delay_alu instid0(VALU_DEP_3) | instskip(NEXT) | instid1(VALU_DEP_2)
	v_cmp_lt_u32_e32 vcc_lo, 5, v85
	v_pk_add_f32 v[80:81], v[80:81], v[86:87]
	s_or_b32 s3, vcc_lo, s3
	s_delay_alu instid0(SALU_CYCLE_1)
	s_and_not1_b32 exec_lo, exec_lo, s3
	s_cbranch_execnz .LBB37_437
; %bb.438:
	s_or_b32 exec_lo, exec_lo, s3
.LBB37_439:
	s_delay_alu instid0(SALU_CYCLE_1) | instskip(SKIP_4) | instid1(VALU_DEP_1)
	s_or_b32 exec_lo, exec_lo, s2
	v_mov_b32_e32 v83, 0
	ds_load_b64 v[84:85], v83 offset:56
	s_wait_dscnt 0x0
	v_pk_mul_f32 v[86:87], v[80:81], v[84:85] op_sel:[1,1] op_sel_hi:[0,1]
	v_pk_fma_f32 v[88:89], v[80:81], v[84:85], v[86:87] op_sel_hi:[1,0,1]
	v_pk_fma_f32 v[80:81], v[80:81], v[84:85], v[86:87] neg_lo:[0,0,1] neg_hi:[0,0,1]
	s_delay_alu instid0(VALU_DEP_2)
	v_mov_b32_e32 v81, v89
	scratch_store_b64 off, v[80:81], off offset:56
.LBB37_440:
	s_wait_xcnt 0x0
	s_or_b32 exec_lo, exec_lo, s0
	scratch_load_b64 v[80:81], off, off offset:64
	s_mov_b32 s0, exec_lo
	s_wait_loadcnt 0x0
	ds_store_b64 v1, v[80:81]
	s_wait_storecnt_dscnt 0x0
	s_barrier_signal -1
	s_barrier_wait -1
	s_wait_xcnt 0x0
	v_cmpx_gt_u32_e32 8, v0
	s_cbranch_execz .LBB37_450
; %bb.441:
	v_cmp_ne_u32_e32 vcc_lo, 1, v82
	s_cbranch_vccnz .LBB37_443
; %bb.442:
	scratch_load_b64 v[80:81], v47, off
	ds_load_b64 v[84:85], v1
	s_wait_loadcnt_dscnt 0x0
	v_pk_mul_f32 v[86:87], v[84:85], v[80:81] op_sel:[1,1] op_sel_hi:[0,1]
	s_delay_alu instid0(VALU_DEP_1) | instskip(SKIP_1) | instid1(VALU_DEP_2)
	v_pk_fma_f32 v[88:89], v[84:85], v[80:81], v[86:87] op_sel_hi:[1,0,1]
	v_pk_fma_f32 v[80:81], v[84:85], v[80:81], v[86:87] neg_lo:[0,0,1] neg_hi:[0,0,1]
	v_mov_b32_e32 v81, v89
	s_cbranch_execz .LBB37_444
	s_branch .LBB37_445
.LBB37_443:
                                        ; implicit-def: $vgpr80_vgpr81
.LBB37_444:
	ds_load_b64 v[80:81], v1
.LBB37_445:
	s_mov_b32 s2, exec_lo
	v_cmpx_ne_u32_e32 7, v0
	s_cbranch_execz .LBB37_449
; %bb.446:
	v_add_nc_u32_e32 v83, 0x138, v46
	v_add3_u32 v84, 0, v46, 8
	v_mov_b32_e32 v85, v0
	s_mov_b32 s3, 0
.LBB37_447:                             ; =>This Inner Loop Header: Depth=1
	scratch_load_b64 v[86:87], v84, off
	ds_load_b64 v[88:89], v83
	s_wait_xcnt 0x0
	v_dual_add_nc_u32 v83, 8, v83 :: v_dual_add_nc_u32 v84, 8, v84
	s_wait_loadcnt_dscnt 0x0
	v_pk_mul_f32 v[90:91], v[88:89], v[86:87] op_sel:[1,1] op_sel_hi:[0,1]
	s_delay_alu instid0(VALU_DEP_1) | instskip(SKIP_2) | instid1(VALU_DEP_3)
	v_pk_fma_f32 v[92:93], v[88:89], v[86:87], v[90:91] op_sel_hi:[1,0,1]
	v_add_nc_u32_e32 v85, 1, v85
	v_pk_fma_f32 v[86:87], v[88:89], v[86:87], v[90:91] neg_lo:[0,0,1] neg_hi:[0,0,1]
	v_mov_b32_e32 v87, v93
	s_delay_alu instid0(VALU_DEP_3) | instskip(NEXT) | instid1(VALU_DEP_2)
	v_cmp_lt_u32_e32 vcc_lo, 6, v85
	v_pk_add_f32 v[80:81], v[80:81], v[86:87]
	s_or_b32 s3, vcc_lo, s3
	s_delay_alu instid0(SALU_CYCLE_1)
	s_and_not1_b32 exec_lo, exec_lo, s3
	s_cbranch_execnz .LBB37_447
; %bb.448:
	s_or_b32 exec_lo, exec_lo, s3
.LBB37_449:
	s_delay_alu instid0(SALU_CYCLE_1) | instskip(SKIP_4) | instid1(VALU_DEP_1)
	s_or_b32 exec_lo, exec_lo, s2
	v_mov_b32_e32 v83, 0
	ds_load_b64 v[84:85], v83 offset:64
	s_wait_dscnt 0x0
	v_pk_mul_f32 v[86:87], v[80:81], v[84:85] op_sel:[1,1] op_sel_hi:[0,1]
	v_pk_fma_f32 v[88:89], v[80:81], v[84:85], v[86:87] op_sel_hi:[1,0,1]
	v_pk_fma_f32 v[80:81], v[80:81], v[84:85], v[86:87] neg_lo:[0,0,1] neg_hi:[0,0,1]
	s_delay_alu instid0(VALU_DEP_2)
	v_mov_b32_e32 v81, v89
	scratch_store_b64 off, v[80:81], off offset:64
.LBB37_450:
	s_wait_xcnt 0x0
	s_or_b32 exec_lo, exec_lo, s0
	scratch_load_b64 v[80:81], off, off offset:72
	s_mov_b32 s0, exec_lo
	s_wait_loadcnt 0x0
	ds_store_b64 v1, v[80:81]
	s_wait_storecnt_dscnt 0x0
	s_barrier_signal -1
	s_barrier_wait -1
	s_wait_xcnt 0x0
	v_cmpx_gt_u32_e32 9, v0
	s_cbranch_execz .LBB37_460
; %bb.451:
	v_cmp_ne_u32_e32 vcc_lo, 1, v82
	s_cbranch_vccnz .LBB37_453
; %bb.452:
	scratch_load_b64 v[80:81], v47, off
	ds_load_b64 v[84:85], v1
	s_wait_loadcnt_dscnt 0x0
	v_pk_mul_f32 v[86:87], v[84:85], v[80:81] op_sel:[1,1] op_sel_hi:[0,1]
	s_delay_alu instid0(VALU_DEP_1) | instskip(SKIP_1) | instid1(VALU_DEP_2)
	v_pk_fma_f32 v[88:89], v[84:85], v[80:81], v[86:87] op_sel_hi:[1,0,1]
	v_pk_fma_f32 v[80:81], v[84:85], v[80:81], v[86:87] neg_lo:[0,0,1] neg_hi:[0,0,1]
	v_mov_b32_e32 v81, v89
	s_cbranch_execz .LBB37_454
	s_branch .LBB37_455
.LBB37_453:
                                        ; implicit-def: $vgpr80_vgpr81
.LBB37_454:
	ds_load_b64 v[80:81], v1
.LBB37_455:
	s_mov_b32 s2, exec_lo
	v_cmpx_ne_u32_e32 8, v0
	s_cbranch_execz .LBB37_459
; %bb.456:
	v_add_nc_u32_e32 v83, 0x138, v46
	v_add3_u32 v84, 0, v46, 8
	v_mov_b32_e32 v85, v0
	s_mov_b32 s3, 0
.LBB37_457:                             ; =>This Inner Loop Header: Depth=1
	scratch_load_b64 v[86:87], v84, off
	ds_load_b64 v[88:89], v83
	s_wait_xcnt 0x0
	v_dual_add_nc_u32 v83, 8, v83 :: v_dual_add_nc_u32 v84, 8, v84
	s_wait_loadcnt_dscnt 0x0
	v_pk_mul_f32 v[90:91], v[88:89], v[86:87] op_sel:[1,1] op_sel_hi:[0,1]
	s_delay_alu instid0(VALU_DEP_1) | instskip(SKIP_2) | instid1(VALU_DEP_3)
	v_pk_fma_f32 v[92:93], v[88:89], v[86:87], v[90:91] op_sel_hi:[1,0,1]
	v_add_nc_u32_e32 v85, 1, v85
	v_pk_fma_f32 v[86:87], v[88:89], v[86:87], v[90:91] neg_lo:[0,0,1] neg_hi:[0,0,1]
	v_mov_b32_e32 v87, v93
	s_delay_alu instid0(VALU_DEP_3) | instskip(NEXT) | instid1(VALU_DEP_2)
	v_cmp_lt_u32_e32 vcc_lo, 7, v85
	v_pk_add_f32 v[80:81], v[80:81], v[86:87]
	s_or_b32 s3, vcc_lo, s3
	s_delay_alu instid0(SALU_CYCLE_1)
	s_and_not1_b32 exec_lo, exec_lo, s3
	s_cbranch_execnz .LBB37_457
; %bb.458:
	s_or_b32 exec_lo, exec_lo, s3
.LBB37_459:
	s_delay_alu instid0(SALU_CYCLE_1) | instskip(SKIP_4) | instid1(VALU_DEP_1)
	s_or_b32 exec_lo, exec_lo, s2
	v_mov_b32_e32 v83, 0
	ds_load_b64 v[84:85], v83 offset:72
	s_wait_dscnt 0x0
	v_pk_mul_f32 v[86:87], v[80:81], v[84:85] op_sel:[1,1] op_sel_hi:[0,1]
	v_pk_fma_f32 v[88:89], v[80:81], v[84:85], v[86:87] op_sel_hi:[1,0,1]
	v_pk_fma_f32 v[80:81], v[80:81], v[84:85], v[86:87] neg_lo:[0,0,1] neg_hi:[0,0,1]
	s_delay_alu instid0(VALU_DEP_2)
	v_mov_b32_e32 v81, v89
	scratch_store_b64 off, v[80:81], off offset:72
.LBB37_460:
	s_wait_xcnt 0x0
	s_or_b32 exec_lo, exec_lo, s0
	scratch_load_b64 v[80:81], off, off offset:80
	s_mov_b32 s0, exec_lo
	s_wait_loadcnt 0x0
	ds_store_b64 v1, v[80:81]
	s_wait_storecnt_dscnt 0x0
	s_barrier_signal -1
	s_barrier_wait -1
	s_wait_xcnt 0x0
	v_cmpx_gt_u32_e32 10, v0
	s_cbranch_execz .LBB37_470
; %bb.461:
	v_cmp_ne_u32_e32 vcc_lo, 1, v82
	s_cbranch_vccnz .LBB37_463
; %bb.462:
	scratch_load_b64 v[80:81], v47, off
	ds_load_b64 v[84:85], v1
	s_wait_loadcnt_dscnt 0x0
	v_pk_mul_f32 v[86:87], v[84:85], v[80:81] op_sel:[1,1] op_sel_hi:[0,1]
	s_delay_alu instid0(VALU_DEP_1) | instskip(SKIP_1) | instid1(VALU_DEP_2)
	v_pk_fma_f32 v[88:89], v[84:85], v[80:81], v[86:87] op_sel_hi:[1,0,1]
	v_pk_fma_f32 v[80:81], v[84:85], v[80:81], v[86:87] neg_lo:[0,0,1] neg_hi:[0,0,1]
	v_mov_b32_e32 v81, v89
	s_cbranch_execz .LBB37_464
	s_branch .LBB37_465
.LBB37_463:
                                        ; implicit-def: $vgpr80_vgpr81
.LBB37_464:
	ds_load_b64 v[80:81], v1
.LBB37_465:
	s_mov_b32 s2, exec_lo
	v_cmpx_ne_u32_e32 9, v0
	s_cbranch_execz .LBB37_469
; %bb.466:
	v_add_nc_u32_e32 v83, 0x138, v46
	v_add3_u32 v84, 0, v46, 8
	v_mov_b32_e32 v85, v0
	s_mov_b32 s3, 0
.LBB37_467:                             ; =>This Inner Loop Header: Depth=1
	scratch_load_b64 v[86:87], v84, off
	ds_load_b64 v[88:89], v83
	s_wait_xcnt 0x0
	v_dual_add_nc_u32 v83, 8, v83 :: v_dual_add_nc_u32 v84, 8, v84
	s_wait_loadcnt_dscnt 0x0
	v_pk_mul_f32 v[90:91], v[88:89], v[86:87] op_sel:[1,1] op_sel_hi:[0,1]
	s_delay_alu instid0(VALU_DEP_1) | instskip(SKIP_2) | instid1(VALU_DEP_3)
	v_pk_fma_f32 v[92:93], v[88:89], v[86:87], v[90:91] op_sel_hi:[1,0,1]
	v_add_nc_u32_e32 v85, 1, v85
	v_pk_fma_f32 v[86:87], v[88:89], v[86:87], v[90:91] neg_lo:[0,0,1] neg_hi:[0,0,1]
	v_mov_b32_e32 v87, v93
	s_delay_alu instid0(VALU_DEP_3) | instskip(NEXT) | instid1(VALU_DEP_2)
	v_cmp_lt_u32_e32 vcc_lo, 8, v85
	v_pk_add_f32 v[80:81], v[80:81], v[86:87]
	s_or_b32 s3, vcc_lo, s3
	s_delay_alu instid0(SALU_CYCLE_1)
	s_and_not1_b32 exec_lo, exec_lo, s3
	s_cbranch_execnz .LBB37_467
; %bb.468:
	s_or_b32 exec_lo, exec_lo, s3
.LBB37_469:
	s_delay_alu instid0(SALU_CYCLE_1) | instskip(SKIP_4) | instid1(VALU_DEP_1)
	s_or_b32 exec_lo, exec_lo, s2
	v_mov_b32_e32 v83, 0
	ds_load_b64 v[84:85], v83 offset:80
	s_wait_dscnt 0x0
	v_pk_mul_f32 v[86:87], v[80:81], v[84:85] op_sel:[1,1] op_sel_hi:[0,1]
	v_pk_fma_f32 v[88:89], v[80:81], v[84:85], v[86:87] op_sel_hi:[1,0,1]
	v_pk_fma_f32 v[80:81], v[80:81], v[84:85], v[86:87] neg_lo:[0,0,1] neg_hi:[0,0,1]
	s_delay_alu instid0(VALU_DEP_2)
	v_mov_b32_e32 v81, v89
	scratch_store_b64 off, v[80:81], off offset:80
.LBB37_470:
	s_wait_xcnt 0x0
	s_or_b32 exec_lo, exec_lo, s0
	scratch_load_b64 v[80:81], off, off offset:88
	s_mov_b32 s0, exec_lo
	s_wait_loadcnt 0x0
	ds_store_b64 v1, v[80:81]
	s_wait_storecnt_dscnt 0x0
	s_barrier_signal -1
	s_barrier_wait -1
	s_wait_xcnt 0x0
	v_cmpx_gt_u32_e32 11, v0
	s_cbranch_execz .LBB37_480
; %bb.471:
	v_cmp_ne_u32_e32 vcc_lo, 1, v82
	s_cbranch_vccnz .LBB37_473
; %bb.472:
	scratch_load_b64 v[80:81], v47, off
	ds_load_b64 v[84:85], v1
	s_wait_loadcnt_dscnt 0x0
	v_pk_mul_f32 v[86:87], v[84:85], v[80:81] op_sel:[1,1] op_sel_hi:[0,1]
	s_delay_alu instid0(VALU_DEP_1) | instskip(SKIP_1) | instid1(VALU_DEP_2)
	v_pk_fma_f32 v[88:89], v[84:85], v[80:81], v[86:87] op_sel_hi:[1,0,1]
	v_pk_fma_f32 v[80:81], v[84:85], v[80:81], v[86:87] neg_lo:[0,0,1] neg_hi:[0,0,1]
	v_mov_b32_e32 v81, v89
	s_cbranch_execz .LBB37_474
	s_branch .LBB37_475
.LBB37_473:
                                        ; implicit-def: $vgpr80_vgpr81
.LBB37_474:
	ds_load_b64 v[80:81], v1
.LBB37_475:
	s_mov_b32 s2, exec_lo
	v_cmpx_ne_u32_e32 10, v0
	s_cbranch_execz .LBB37_479
; %bb.476:
	v_add_nc_u32_e32 v83, 0x138, v46
	v_add3_u32 v84, 0, v46, 8
	v_mov_b32_e32 v85, v0
	s_mov_b32 s3, 0
.LBB37_477:                             ; =>This Inner Loop Header: Depth=1
	scratch_load_b64 v[86:87], v84, off
	ds_load_b64 v[88:89], v83
	s_wait_xcnt 0x0
	v_dual_add_nc_u32 v83, 8, v83 :: v_dual_add_nc_u32 v84, 8, v84
	s_wait_loadcnt_dscnt 0x0
	v_pk_mul_f32 v[90:91], v[88:89], v[86:87] op_sel:[1,1] op_sel_hi:[0,1]
	s_delay_alu instid0(VALU_DEP_1) | instskip(SKIP_2) | instid1(VALU_DEP_3)
	v_pk_fma_f32 v[92:93], v[88:89], v[86:87], v[90:91] op_sel_hi:[1,0,1]
	v_add_nc_u32_e32 v85, 1, v85
	v_pk_fma_f32 v[86:87], v[88:89], v[86:87], v[90:91] neg_lo:[0,0,1] neg_hi:[0,0,1]
	v_mov_b32_e32 v87, v93
	s_delay_alu instid0(VALU_DEP_3) | instskip(NEXT) | instid1(VALU_DEP_2)
	v_cmp_lt_u32_e32 vcc_lo, 9, v85
	v_pk_add_f32 v[80:81], v[80:81], v[86:87]
	s_or_b32 s3, vcc_lo, s3
	s_delay_alu instid0(SALU_CYCLE_1)
	s_and_not1_b32 exec_lo, exec_lo, s3
	s_cbranch_execnz .LBB37_477
; %bb.478:
	s_or_b32 exec_lo, exec_lo, s3
.LBB37_479:
	s_delay_alu instid0(SALU_CYCLE_1) | instskip(SKIP_4) | instid1(VALU_DEP_1)
	s_or_b32 exec_lo, exec_lo, s2
	v_mov_b32_e32 v83, 0
	ds_load_b64 v[84:85], v83 offset:88
	s_wait_dscnt 0x0
	v_pk_mul_f32 v[86:87], v[80:81], v[84:85] op_sel:[1,1] op_sel_hi:[0,1]
	v_pk_fma_f32 v[88:89], v[80:81], v[84:85], v[86:87] op_sel_hi:[1,0,1]
	v_pk_fma_f32 v[80:81], v[80:81], v[84:85], v[86:87] neg_lo:[0,0,1] neg_hi:[0,0,1]
	s_delay_alu instid0(VALU_DEP_2)
	v_mov_b32_e32 v81, v89
	scratch_store_b64 off, v[80:81], off offset:88
.LBB37_480:
	s_wait_xcnt 0x0
	s_or_b32 exec_lo, exec_lo, s0
	scratch_load_b64 v[80:81], off, off offset:96
	s_mov_b32 s0, exec_lo
	s_wait_loadcnt 0x0
	ds_store_b64 v1, v[80:81]
	s_wait_storecnt_dscnt 0x0
	s_barrier_signal -1
	s_barrier_wait -1
	s_wait_xcnt 0x0
	v_cmpx_gt_u32_e32 12, v0
	s_cbranch_execz .LBB37_490
; %bb.481:
	v_cmp_ne_u32_e32 vcc_lo, 1, v82
	s_cbranch_vccnz .LBB37_483
; %bb.482:
	scratch_load_b64 v[80:81], v47, off
	ds_load_b64 v[84:85], v1
	s_wait_loadcnt_dscnt 0x0
	v_pk_mul_f32 v[86:87], v[84:85], v[80:81] op_sel:[1,1] op_sel_hi:[0,1]
	s_delay_alu instid0(VALU_DEP_1) | instskip(SKIP_1) | instid1(VALU_DEP_2)
	v_pk_fma_f32 v[88:89], v[84:85], v[80:81], v[86:87] op_sel_hi:[1,0,1]
	v_pk_fma_f32 v[80:81], v[84:85], v[80:81], v[86:87] neg_lo:[0,0,1] neg_hi:[0,0,1]
	v_mov_b32_e32 v81, v89
	s_cbranch_execz .LBB37_484
	s_branch .LBB37_485
.LBB37_483:
                                        ; implicit-def: $vgpr80_vgpr81
.LBB37_484:
	ds_load_b64 v[80:81], v1
.LBB37_485:
	s_mov_b32 s2, exec_lo
	v_cmpx_ne_u32_e32 11, v0
	s_cbranch_execz .LBB37_489
; %bb.486:
	v_add_nc_u32_e32 v83, 0x138, v46
	v_add3_u32 v84, 0, v46, 8
	v_mov_b32_e32 v85, v0
	s_mov_b32 s3, 0
.LBB37_487:                             ; =>This Inner Loop Header: Depth=1
	scratch_load_b64 v[86:87], v84, off
	ds_load_b64 v[88:89], v83
	s_wait_xcnt 0x0
	v_dual_add_nc_u32 v83, 8, v83 :: v_dual_add_nc_u32 v84, 8, v84
	s_wait_loadcnt_dscnt 0x0
	v_pk_mul_f32 v[90:91], v[88:89], v[86:87] op_sel:[1,1] op_sel_hi:[0,1]
	s_delay_alu instid0(VALU_DEP_1) | instskip(SKIP_2) | instid1(VALU_DEP_3)
	v_pk_fma_f32 v[92:93], v[88:89], v[86:87], v[90:91] op_sel_hi:[1,0,1]
	v_add_nc_u32_e32 v85, 1, v85
	v_pk_fma_f32 v[86:87], v[88:89], v[86:87], v[90:91] neg_lo:[0,0,1] neg_hi:[0,0,1]
	v_mov_b32_e32 v87, v93
	s_delay_alu instid0(VALU_DEP_3) | instskip(NEXT) | instid1(VALU_DEP_2)
	v_cmp_lt_u32_e32 vcc_lo, 10, v85
	v_pk_add_f32 v[80:81], v[80:81], v[86:87]
	s_or_b32 s3, vcc_lo, s3
	s_delay_alu instid0(SALU_CYCLE_1)
	s_and_not1_b32 exec_lo, exec_lo, s3
	s_cbranch_execnz .LBB37_487
; %bb.488:
	s_or_b32 exec_lo, exec_lo, s3
.LBB37_489:
	s_delay_alu instid0(SALU_CYCLE_1) | instskip(SKIP_4) | instid1(VALU_DEP_1)
	s_or_b32 exec_lo, exec_lo, s2
	v_mov_b32_e32 v83, 0
	ds_load_b64 v[84:85], v83 offset:96
	s_wait_dscnt 0x0
	v_pk_mul_f32 v[86:87], v[80:81], v[84:85] op_sel:[1,1] op_sel_hi:[0,1]
	v_pk_fma_f32 v[88:89], v[80:81], v[84:85], v[86:87] op_sel_hi:[1,0,1]
	v_pk_fma_f32 v[80:81], v[80:81], v[84:85], v[86:87] neg_lo:[0,0,1] neg_hi:[0,0,1]
	s_delay_alu instid0(VALU_DEP_2)
	v_mov_b32_e32 v81, v89
	scratch_store_b64 off, v[80:81], off offset:96
.LBB37_490:
	s_wait_xcnt 0x0
	s_or_b32 exec_lo, exec_lo, s0
	scratch_load_b64 v[80:81], off, off offset:104
	s_mov_b32 s0, exec_lo
	s_wait_loadcnt 0x0
	ds_store_b64 v1, v[80:81]
	s_wait_storecnt_dscnt 0x0
	s_barrier_signal -1
	s_barrier_wait -1
	s_wait_xcnt 0x0
	v_cmpx_gt_u32_e32 13, v0
	s_cbranch_execz .LBB37_500
; %bb.491:
	v_cmp_ne_u32_e32 vcc_lo, 1, v82
	s_cbranch_vccnz .LBB37_493
; %bb.492:
	scratch_load_b64 v[80:81], v47, off
	ds_load_b64 v[84:85], v1
	s_wait_loadcnt_dscnt 0x0
	v_pk_mul_f32 v[86:87], v[84:85], v[80:81] op_sel:[1,1] op_sel_hi:[0,1]
	s_delay_alu instid0(VALU_DEP_1) | instskip(SKIP_1) | instid1(VALU_DEP_2)
	v_pk_fma_f32 v[88:89], v[84:85], v[80:81], v[86:87] op_sel_hi:[1,0,1]
	v_pk_fma_f32 v[80:81], v[84:85], v[80:81], v[86:87] neg_lo:[0,0,1] neg_hi:[0,0,1]
	v_mov_b32_e32 v81, v89
	s_cbranch_execz .LBB37_494
	s_branch .LBB37_495
.LBB37_493:
                                        ; implicit-def: $vgpr80_vgpr81
.LBB37_494:
	ds_load_b64 v[80:81], v1
.LBB37_495:
	s_mov_b32 s2, exec_lo
	v_cmpx_ne_u32_e32 12, v0
	s_cbranch_execz .LBB37_499
; %bb.496:
	v_add_nc_u32_e32 v83, 0x138, v46
	v_add3_u32 v84, 0, v46, 8
	v_mov_b32_e32 v85, v0
	s_mov_b32 s3, 0
.LBB37_497:                             ; =>This Inner Loop Header: Depth=1
	scratch_load_b64 v[86:87], v84, off
	ds_load_b64 v[88:89], v83
	s_wait_xcnt 0x0
	v_dual_add_nc_u32 v83, 8, v83 :: v_dual_add_nc_u32 v84, 8, v84
	s_wait_loadcnt_dscnt 0x0
	v_pk_mul_f32 v[90:91], v[88:89], v[86:87] op_sel:[1,1] op_sel_hi:[0,1]
	s_delay_alu instid0(VALU_DEP_1) | instskip(SKIP_2) | instid1(VALU_DEP_3)
	v_pk_fma_f32 v[92:93], v[88:89], v[86:87], v[90:91] op_sel_hi:[1,0,1]
	v_add_nc_u32_e32 v85, 1, v85
	v_pk_fma_f32 v[86:87], v[88:89], v[86:87], v[90:91] neg_lo:[0,0,1] neg_hi:[0,0,1]
	v_mov_b32_e32 v87, v93
	s_delay_alu instid0(VALU_DEP_3) | instskip(NEXT) | instid1(VALU_DEP_2)
	v_cmp_lt_u32_e32 vcc_lo, 11, v85
	v_pk_add_f32 v[80:81], v[80:81], v[86:87]
	s_or_b32 s3, vcc_lo, s3
	s_delay_alu instid0(SALU_CYCLE_1)
	s_and_not1_b32 exec_lo, exec_lo, s3
	s_cbranch_execnz .LBB37_497
; %bb.498:
	s_or_b32 exec_lo, exec_lo, s3
.LBB37_499:
	s_delay_alu instid0(SALU_CYCLE_1) | instskip(SKIP_4) | instid1(VALU_DEP_1)
	s_or_b32 exec_lo, exec_lo, s2
	v_mov_b32_e32 v83, 0
	ds_load_b64 v[84:85], v83 offset:104
	s_wait_dscnt 0x0
	v_pk_mul_f32 v[86:87], v[80:81], v[84:85] op_sel:[1,1] op_sel_hi:[0,1]
	v_pk_fma_f32 v[88:89], v[80:81], v[84:85], v[86:87] op_sel_hi:[1,0,1]
	v_pk_fma_f32 v[80:81], v[80:81], v[84:85], v[86:87] neg_lo:[0,0,1] neg_hi:[0,0,1]
	s_delay_alu instid0(VALU_DEP_2)
	v_mov_b32_e32 v81, v89
	scratch_store_b64 off, v[80:81], off offset:104
.LBB37_500:
	s_wait_xcnt 0x0
	s_or_b32 exec_lo, exec_lo, s0
	scratch_load_b64 v[80:81], off, off offset:112
	s_mov_b32 s0, exec_lo
	s_wait_loadcnt 0x0
	ds_store_b64 v1, v[80:81]
	s_wait_storecnt_dscnt 0x0
	s_barrier_signal -1
	s_barrier_wait -1
	s_wait_xcnt 0x0
	v_cmpx_gt_u32_e32 14, v0
	s_cbranch_execz .LBB37_510
; %bb.501:
	v_cmp_ne_u32_e32 vcc_lo, 1, v82
	s_cbranch_vccnz .LBB37_503
; %bb.502:
	scratch_load_b64 v[80:81], v47, off
	ds_load_b64 v[84:85], v1
	s_wait_loadcnt_dscnt 0x0
	v_pk_mul_f32 v[86:87], v[84:85], v[80:81] op_sel:[1,1] op_sel_hi:[0,1]
	s_delay_alu instid0(VALU_DEP_1) | instskip(SKIP_1) | instid1(VALU_DEP_2)
	v_pk_fma_f32 v[88:89], v[84:85], v[80:81], v[86:87] op_sel_hi:[1,0,1]
	v_pk_fma_f32 v[80:81], v[84:85], v[80:81], v[86:87] neg_lo:[0,0,1] neg_hi:[0,0,1]
	v_mov_b32_e32 v81, v89
	s_cbranch_execz .LBB37_504
	s_branch .LBB37_505
.LBB37_503:
                                        ; implicit-def: $vgpr80_vgpr81
.LBB37_504:
	ds_load_b64 v[80:81], v1
.LBB37_505:
	s_mov_b32 s2, exec_lo
	v_cmpx_ne_u32_e32 13, v0
	s_cbranch_execz .LBB37_509
; %bb.506:
	v_add_nc_u32_e32 v83, 0x138, v46
	v_add3_u32 v84, 0, v46, 8
	v_mov_b32_e32 v85, v0
	s_mov_b32 s3, 0
.LBB37_507:                             ; =>This Inner Loop Header: Depth=1
	scratch_load_b64 v[86:87], v84, off
	ds_load_b64 v[88:89], v83
	s_wait_xcnt 0x0
	v_dual_add_nc_u32 v83, 8, v83 :: v_dual_add_nc_u32 v84, 8, v84
	s_wait_loadcnt_dscnt 0x0
	v_pk_mul_f32 v[90:91], v[88:89], v[86:87] op_sel:[1,1] op_sel_hi:[0,1]
	s_delay_alu instid0(VALU_DEP_1) | instskip(SKIP_2) | instid1(VALU_DEP_3)
	v_pk_fma_f32 v[92:93], v[88:89], v[86:87], v[90:91] op_sel_hi:[1,0,1]
	v_add_nc_u32_e32 v85, 1, v85
	v_pk_fma_f32 v[86:87], v[88:89], v[86:87], v[90:91] neg_lo:[0,0,1] neg_hi:[0,0,1]
	v_mov_b32_e32 v87, v93
	s_delay_alu instid0(VALU_DEP_3) | instskip(NEXT) | instid1(VALU_DEP_2)
	v_cmp_lt_u32_e32 vcc_lo, 12, v85
	v_pk_add_f32 v[80:81], v[80:81], v[86:87]
	s_or_b32 s3, vcc_lo, s3
	s_delay_alu instid0(SALU_CYCLE_1)
	s_and_not1_b32 exec_lo, exec_lo, s3
	s_cbranch_execnz .LBB37_507
; %bb.508:
	s_or_b32 exec_lo, exec_lo, s3
.LBB37_509:
	s_delay_alu instid0(SALU_CYCLE_1) | instskip(SKIP_4) | instid1(VALU_DEP_1)
	s_or_b32 exec_lo, exec_lo, s2
	v_mov_b32_e32 v83, 0
	ds_load_b64 v[84:85], v83 offset:112
	s_wait_dscnt 0x0
	v_pk_mul_f32 v[86:87], v[80:81], v[84:85] op_sel:[1,1] op_sel_hi:[0,1]
	v_pk_fma_f32 v[88:89], v[80:81], v[84:85], v[86:87] op_sel_hi:[1,0,1]
	v_pk_fma_f32 v[80:81], v[80:81], v[84:85], v[86:87] neg_lo:[0,0,1] neg_hi:[0,0,1]
	s_delay_alu instid0(VALU_DEP_2)
	v_mov_b32_e32 v81, v89
	scratch_store_b64 off, v[80:81], off offset:112
.LBB37_510:
	s_wait_xcnt 0x0
	s_or_b32 exec_lo, exec_lo, s0
	scratch_load_b64 v[80:81], off, off offset:120
	s_mov_b32 s0, exec_lo
	s_wait_loadcnt 0x0
	ds_store_b64 v1, v[80:81]
	s_wait_storecnt_dscnt 0x0
	s_barrier_signal -1
	s_barrier_wait -1
	s_wait_xcnt 0x0
	v_cmpx_gt_u32_e32 15, v0
	s_cbranch_execz .LBB37_520
; %bb.511:
	v_cmp_ne_u32_e32 vcc_lo, 1, v82
	s_cbranch_vccnz .LBB37_513
; %bb.512:
	scratch_load_b64 v[80:81], v47, off
	ds_load_b64 v[84:85], v1
	s_wait_loadcnt_dscnt 0x0
	v_pk_mul_f32 v[86:87], v[84:85], v[80:81] op_sel:[1,1] op_sel_hi:[0,1]
	s_delay_alu instid0(VALU_DEP_1) | instskip(SKIP_1) | instid1(VALU_DEP_2)
	v_pk_fma_f32 v[88:89], v[84:85], v[80:81], v[86:87] op_sel_hi:[1,0,1]
	v_pk_fma_f32 v[80:81], v[84:85], v[80:81], v[86:87] neg_lo:[0,0,1] neg_hi:[0,0,1]
	v_mov_b32_e32 v81, v89
	s_cbranch_execz .LBB37_514
	s_branch .LBB37_515
.LBB37_513:
                                        ; implicit-def: $vgpr80_vgpr81
.LBB37_514:
	ds_load_b64 v[80:81], v1
.LBB37_515:
	s_mov_b32 s2, exec_lo
	v_cmpx_ne_u32_e32 14, v0
	s_cbranch_execz .LBB37_519
; %bb.516:
	v_add_nc_u32_e32 v83, 0x138, v46
	v_add3_u32 v84, 0, v46, 8
	v_mov_b32_e32 v85, v0
	s_mov_b32 s3, 0
.LBB37_517:                             ; =>This Inner Loop Header: Depth=1
	scratch_load_b64 v[86:87], v84, off
	ds_load_b64 v[88:89], v83
	s_wait_xcnt 0x0
	v_dual_add_nc_u32 v83, 8, v83 :: v_dual_add_nc_u32 v84, 8, v84
	s_wait_loadcnt_dscnt 0x0
	v_pk_mul_f32 v[90:91], v[88:89], v[86:87] op_sel:[1,1] op_sel_hi:[0,1]
	s_delay_alu instid0(VALU_DEP_1) | instskip(SKIP_2) | instid1(VALU_DEP_3)
	v_pk_fma_f32 v[92:93], v[88:89], v[86:87], v[90:91] op_sel_hi:[1,0,1]
	v_add_nc_u32_e32 v85, 1, v85
	v_pk_fma_f32 v[86:87], v[88:89], v[86:87], v[90:91] neg_lo:[0,0,1] neg_hi:[0,0,1]
	v_mov_b32_e32 v87, v93
	s_delay_alu instid0(VALU_DEP_3) | instskip(NEXT) | instid1(VALU_DEP_2)
	v_cmp_lt_u32_e32 vcc_lo, 13, v85
	v_pk_add_f32 v[80:81], v[80:81], v[86:87]
	s_or_b32 s3, vcc_lo, s3
	s_delay_alu instid0(SALU_CYCLE_1)
	s_and_not1_b32 exec_lo, exec_lo, s3
	s_cbranch_execnz .LBB37_517
; %bb.518:
	s_or_b32 exec_lo, exec_lo, s3
.LBB37_519:
	s_delay_alu instid0(SALU_CYCLE_1) | instskip(SKIP_4) | instid1(VALU_DEP_1)
	s_or_b32 exec_lo, exec_lo, s2
	v_mov_b32_e32 v83, 0
	ds_load_b64 v[84:85], v83 offset:120
	s_wait_dscnt 0x0
	v_pk_mul_f32 v[86:87], v[80:81], v[84:85] op_sel:[1,1] op_sel_hi:[0,1]
	v_pk_fma_f32 v[88:89], v[80:81], v[84:85], v[86:87] op_sel_hi:[1,0,1]
	v_pk_fma_f32 v[80:81], v[80:81], v[84:85], v[86:87] neg_lo:[0,0,1] neg_hi:[0,0,1]
	s_delay_alu instid0(VALU_DEP_2)
	v_mov_b32_e32 v81, v89
	scratch_store_b64 off, v[80:81], off offset:120
.LBB37_520:
	s_wait_xcnt 0x0
	s_or_b32 exec_lo, exec_lo, s0
	scratch_load_b64 v[80:81], off, off offset:128
	s_mov_b32 s0, exec_lo
	s_wait_loadcnt 0x0
	ds_store_b64 v1, v[80:81]
	s_wait_storecnt_dscnt 0x0
	s_barrier_signal -1
	s_barrier_wait -1
	s_wait_xcnt 0x0
	v_cmpx_gt_u32_e32 16, v0
	s_cbranch_execz .LBB37_530
; %bb.521:
	v_cmp_ne_u32_e32 vcc_lo, 1, v82
	s_cbranch_vccnz .LBB37_523
; %bb.522:
	scratch_load_b64 v[80:81], v47, off
	ds_load_b64 v[84:85], v1
	s_wait_loadcnt_dscnt 0x0
	v_pk_mul_f32 v[86:87], v[84:85], v[80:81] op_sel:[1,1] op_sel_hi:[0,1]
	s_delay_alu instid0(VALU_DEP_1) | instskip(SKIP_1) | instid1(VALU_DEP_2)
	v_pk_fma_f32 v[88:89], v[84:85], v[80:81], v[86:87] op_sel_hi:[1,0,1]
	v_pk_fma_f32 v[80:81], v[84:85], v[80:81], v[86:87] neg_lo:[0,0,1] neg_hi:[0,0,1]
	v_mov_b32_e32 v81, v89
	s_cbranch_execz .LBB37_524
	s_branch .LBB37_525
.LBB37_523:
                                        ; implicit-def: $vgpr80_vgpr81
.LBB37_524:
	ds_load_b64 v[80:81], v1
.LBB37_525:
	s_mov_b32 s2, exec_lo
	v_cmpx_ne_u32_e32 15, v0
	s_cbranch_execz .LBB37_529
; %bb.526:
	v_add_nc_u32_e32 v83, 0x138, v46
	v_add3_u32 v84, 0, v46, 8
	v_mov_b32_e32 v85, v0
	s_mov_b32 s3, 0
.LBB37_527:                             ; =>This Inner Loop Header: Depth=1
	scratch_load_b64 v[86:87], v84, off
	ds_load_b64 v[88:89], v83
	s_wait_xcnt 0x0
	v_dual_add_nc_u32 v83, 8, v83 :: v_dual_add_nc_u32 v84, 8, v84
	s_wait_loadcnt_dscnt 0x0
	v_pk_mul_f32 v[90:91], v[88:89], v[86:87] op_sel:[1,1] op_sel_hi:[0,1]
	s_delay_alu instid0(VALU_DEP_1) | instskip(SKIP_2) | instid1(VALU_DEP_3)
	v_pk_fma_f32 v[92:93], v[88:89], v[86:87], v[90:91] op_sel_hi:[1,0,1]
	v_add_nc_u32_e32 v85, 1, v85
	v_pk_fma_f32 v[86:87], v[88:89], v[86:87], v[90:91] neg_lo:[0,0,1] neg_hi:[0,0,1]
	v_mov_b32_e32 v87, v93
	s_delay_alu instid0(VALU_DEP_3) | instskip(NEXT) | instid1(VALU_DEP_2)
	v_cmp_lt_u32_e32 vcc_lo, 14, v85
	v_pk_add_f32 v[80:81], v[80:81], v[86:87]
	s_or_b32 s3, vcc_lo, s3
	s_delay_alu instid0(SALU_CYCLE_1)
	s_and_not1_b32 exec_lo, exec_lo, s3
	s_cbranch_execnz .LBB37_527
; %bb.528:
	s_or_b32 exec_lo, exec_lo, s3
.LBB37_529:
	s_delay_alu instid0(SALU_CYCLE_1) | instskip(SKIP_4) | instid1(VALU_DEP_1)
	s_or_b32 exec_lo, exec_lo, s2
	v_mov_b32_e32 v83, 0
	ds_load_b64 v[84:85], v83 offset:128
	s_wait_dscnt 0x0
	v_pk_mul_f32 v[86:87], v[80:81], v[84:85] op_sel:[1,1] op_sel_hi:[0,1]
	v_pk_fma_f32 v[88:89], v[80:81], v[84:85], v[86:87] op_sel_hi:[1,0,1]
	v_pk_fma_f32 v[80:81], v[80:81], v[84:85], v[86:87] neg_lo:[0,0,1] neg_hi:[0,0,1]
	s_delay_alu instid0(VALU_DEP_2)
	v_mov_b32_e32 v81, v89
	scratch_store_b64 off, v[80:81], off offset:128
.LBB37_530:
	s_wait_xcnt 0x0
	s_or_b32 exec_lo, exec_lo, s0
	scratch_load_b64 v[80:81], off, off offset:136
	s_mov_b32 s0, exec_lo
	s_wait_loadcnt 0x0
	ds_store_b64 v1, v[80:81]
	s_wait_storecnt_dscnt 0x0
	s_barrier_signal -1
	s_barrier_wait -1
	s_wait_xcnt 0x0
	v_cmpx_gt_u32_e32 17, v0
	s_cbranch_execz .LBB37_540
; %bb.531:
	v_cmp_ne_u32_e32 vcc_lo, 1, v82
	s_cbranch_vccnz .LBB37_533
; %bb.532:
	scratch_load_b64 v[80:81], v47, off
	ds_load_b64 v[84:85], v1
	s_wait_loadcnt_dscnt 0x0
	v_pk_mul_f32 v[86:87], v[84:85], v[80:81] op_sel:[1,1] op_sel_hi:[0,1]
	s_delay_alu instid0(VALU_DEP_1) | instskip(SKIP_1) | instid1(VALU_DEP_2)
	v_pk_fma_f32 v[88:89], v[84:85], v[80:81], v[86:87] op_sel_hi:[1,0,1]
	v_pk_fma_f32 v[80:81], v[84:85], v[80:81], v[86:87] neg_lo:[0,0,1] neg_hi:[0,0,1]
	v_mov_b32_e32 v81, v89
	s_cbranch_execz .LBB37_534
	s_branch .LBB37_535
.LBB37_533:
                                        ; implicit-def: $vgpr80_vgpr81
.LBB37_534:
	ds_load_b64 v[80:81], v1
.LBB37_535:
	s_mov_b32 s2, exec_lo
	v_cmpx_ne_u32_e32 16, v0
	s_cbranch_execz .LBB37_539
; %bb.536:
	v_add_nc_u32_e32 v83, 0x138, v46
	v_add3_u32 v84, 0, v46, 8
	v_mov_b32_e32 v85, v0
	s_mov_b32 s3, 0
.LBB37_537:                             ; =>This Inner Loop Header: Depth=1
	scratch_load_b64 v[86:87], v84, off
	ds_load_b64 v[88:89], v83
	s_wait_xcnt 0x0
	v_dual_add_nc_u32 v83, 8, v83 :: v_dual_add_nc_u32 v84, 8, v84
	s_wait_loadcnt_dscnt 0x0
	v_pk_mul_f32 v[90:91], v[88:89], v[86:87] op_sel:[1,1] op_sel_hi:[0,1]
	s_delay_alu instid0(VALU_DEP_1) | instskip(SKIP_2) | instid1(VALU_DEP_3)
	v_pk_fma_f32 v[92:93], v[88:89], v[86:87], v[90:91] op_sel_hi:[1,0,1]
	v_add_nc_u32_e32 v85, 1, v85
	v_pk_fma_f32 v[86:87], v[88:89], v[86:87], v[90:91] neg_lo:[0,0,1] neg_hi:[0,0,1]
	v_mov_b32_e32 v87, v93
	s_delay_alu instid0(VALU_DEP_3) | instskip(NEXT) | instid1(VALU_DEP_2)
	v_cmp_lt_u32_e32 vcc_lo, 15, v85
	v_pk_add_f32 v[80:81], v[80:81], v[86:87]
	s_or_b32 s3, vcc_lo, s3
	s_delay_alu instid0(SALU_CYCLE_1)
	s_and_not1_b32 exec_lo, exec_lo, s3
	s_cbranch_execnz .LBB37_537
; %bb.538:
	s_or_b32 exec_lo, exec_lo, s3
.LBB37_539:
	s_delay_alu instid0(SALU_CYCLE_1) | instskip(SKIP_4) | instid1(VALU_DEP_1)
	s_or_b32 exec_lo, exec_lo, s2
	v_mov_b32_e32 v83, 0
	ds_load_b64 v[84:85], v83 offset:136
	s_wait_dscnt 0x0
	v_pk_mul_f32 v[86:87], v[80:81], v[84:85] op_sel:[1,1] op_sel_hi:[0,1]
	v_pk_fma_f32 v[88:89], v[80:81], v[84:85], v[86:87] op_sel_hi:[1,0,1]
	v_pk_fma_f32 v[80:81], v[80:81], v[84:85], v[86:87] neg_lo:[0,0,1] neg_hi:[0,0,1]
	s_delay_alu instid0(VALU_DEP_2)
	v_mov_b32_e32 v81, v89
	scratch_store_b64 off, v[80:81], off offset:136
.LBB37_540:
	s_wait_xcnt 0x0
	s_or_b32 exec_lo, exec_lo, s0
	scratch_load_b64 v[80:81], off, off offset:144
	s_mov_b32 s0, exec_lo
	s_wait_loadcnt 0x0
	ds_store_b64 v1, v[80:81]
	s_wait_storecnt_dscnt 0x0
	s_barrier_signal -1
	s_barrier_wait -1
	s_wait_xcnt 0x0
	v_cmpx_gt_u32_e32 18, v0
	s_cbranch_execz .LBB37_550
; %bb.541:
	v_cmp_ne_u32_e32 vcc_lo, 1, v82
	s_cbranch_vccnz .LBB37_543
; %bb.542:
	scratch_load_b64 v[80:81], v47, off
	ds_load_b64 v[84:85], v1
	s_wait_loadcnt_dscnt 0x0
	v_pk_mul_f32 v[86:87], v[84:85], v[80:81] op_sel:[1,1] op_sel_hi:[0,1]
	s_delay_alu instid0(VALU_DEP_1) | instskip(SKIP_1) | instid1(VALU_DEP_2)
	v_pk_fma_f32 v[88:89], v[84:85], v[80:81], v[86:87] op_sel_hi:[1,0,1]
	v_pk_fma_f32 v[80:81], v[84:85], v[80:81], v[86:87] neg_lo:[0,0,1] neg_hi:[0,0,1]
	v_mov_b32_e32 v81, v89
	s_cbranch_execz .LBB37_544
	s_branch .LBB37_545
.LBB37_543:
                                        ; implicit-def: $vgpr80_vgpr81
.LBB37_544:
	ds_load_b64 v[80:81], v1
.LBB37_545:
	s_mov_b32 s2, exec_lo
	v_cmpx_ne_u32_e32 17, v0
	s_cbranch_execz .LBB37_549
; %bb.546:
	v_add_nc_u32_e32 v83, 0x138, v46
	v_add3_u32 v84, 0, v46, 8
	v_mov_b32_e32 v85, v0
	s_mov_b32 s3, 0
.LBB37_547:                             ; =>This Inner Loop Header: Depth=1
	scratch_load_b64 v[86:87], v84, off
	ds_load_b64 v[88:89], v83
	s_wait_xcnt 0x0
	v_dual_add_nc_u32 v83, 8, v83 :: v_dual_add_nc_u32 v84, 8, v84
	s_wait_loadcnt_dscnt 0x0
	v_pk_mul_f32 v[90:91], v[88:89], v[86:87] op_sel:[1,1] op_sel_hi:[0,1]
	s_delay_alu instid0(VALU_DEP_1) | instskip(SKIP_2) | instid1(VALU_DEP_3)
	v_pk_fma_f32 v[92:93], v[88:89], v[86:87], v[90:91] op_sel_hi:[1,0,1]
	v_add_nc_u32_e32 v85, 1, v85
	v_pk_fma_f32 v[86:87], v[88:89], v[86:87], v[90:91] neg_lo:[0,0,1] neg_hi:[0,0,1]
	v_mov_b32_e32 v87, v93
	s_delay_alu instid0(VALU_DEP_3) | instskip(NEXT) | instid1(VALU_DEP_2)
	v_cmp_lt_u32_e32 vcc_lo, 16, v85
	v_pk_add_f32 v[80:81], v[80:81], v[86:87]
	s_or_b32 s3, vcc_lo, s3
	s_delay_alu instid0(SALU_CYCLE_1)
	s_and_not1_b32 exec_lo, exec_lo, s3
	s_cbranch_execnz .LBB37_547
; %bb.548:
	s_or_b32 exec_lo, exec_lo, s3
.LBB37_549:
	s_delay_alu instid0(SALU_CYCLE_1) | instskip(SKIP_4) | instid1(VALU_DEP_1)
	s_or_b32 exec_lo, exec_lo, s2
	v_mov_b32_e32 v83, 0
	ds_load_b64 v[84:85], v83 offset:144
	s_wait_dscnt 0x0
	v_pk_mul_f32 v[86:87], v[80:81], v[84:85] op_sel:[1,1] op_sel_hi:[0,1]
	v_pk_fma_f32 v[88:89], v[80:81], v[84:85], v[86:87] op_sel_hi:[1,0,1]
	v_pk_fma_f32 v[80:81], v[80:81], v[84:85], v[86:87] neg_lo:[0,0,1] neg_hi:[0,0,1]
	s_delay_alu instid0(VALU_DEP_2)
	v_mov_b32_e32 v81, v89
	scratch_store_b64 off, v[80:81], off offset:144
.LBB37_550:
	s_wait_xcnt 0x0
	s_or_b32 exec_lo, exec_lo, s0
	scratch_load_b64 v[80:81], off, off offset:152
	s_mov_b32 s0, exec_lo
	s_wait_loadcnt 0x0
	ds_store_b64 v1, v[80:81]
	s_wait_storecnt_dscnt 0x0
	s_barrier_signal -1
	s_barrier_wait -1
	s_wait_xcnt 0x0
	v_cmpx_gt_u32_e32 19, v0
	s_cbranch_execz .LBB37_560
; %bb.551:
	v_cmp_ne_u32_e32 vcc_lo, 1, v82
	s_cbranch_vccnz .LBB37_553
; %bb.552:
	scratch_load_b64 v[80:81], v47, off
	ds_load_b64 v[84:85], v1
	s_wait_loadcnt_dscnt 0x0
	v_pk_mul_f32 v[86:87], v[84:85], v[80:81] op_sel:[1,1] op_sel_hi:[0,1]
	s_delay_alu instid0(VALU_DEP_1) | instskip(SKIP_1) | instid1(VALU_DEP_2)
	v_pk_fma_f32 v[88:89], v[84:85], v[80:81], v[86:87] op_sel_hi:[1,0,1]
	v_pk_fma_f32 v[80:81], v[84:85], v[80:81], v[86:87] neg_lo:[0,0,1] neg_hi:[0,0,1]
	v_mov_b32_e32 v81, v89
	s_cbranch_execz .LBB37_554
	s_branch .LBB37_555
.LBB37_553:
                                        ; implicit-def: $vgpr80_vgpr81
.LBB37_554:
	ds_load_b64 v[80:81], v1
.LBB37_555:
	s_mov_b32 s2, exec_lo
	v_cmpx_ne_u32_e32 18, v0
	s_cbranch_execz .LBB37_559
; %bb.556:
	v_add_nc_u32_e32 v83, 0x138, v46
	v_add3_u32 v84, 0, v46, 8
	v_mov_b32_e32 v85, v0
	s_mov_b32 s3, 0
.LBB37_557:                             ; =>This Inner Loop Header: Depth=1
	scratch_load_b64 v[86:87], v84, off
	ds_load_b64 v[88:89], v83
	s_wait_xcnt 0x0
	v_dual_add_nc_u32 v83, 8, v83 :: v_dual_add_nc_u32 v84, 8, v84
	s_wait_loadcnt_dscnt 0x0
	v_pk_mul_f32 v[90:91], v[88:89], v[86:87] op_sel:[1,1] op_sel_hi:[0,1]
	s_delay_alu instid0(VALU_DEP_1) | instskip(SKIP_2) | instid1(VALU_DEP_3)
	v_pk_fma_f32 v[92:93], v[88:89], v[86:87], v[90:91] op_sel_hi:[1,0,1]
	v_add_nc_u32_e32 v85, 1, v85
	v_pk_fma_f32 v[86:87], v[88:89], v[86:87], v[90:91] neg_lo:[0,0,1] neg_hi:[0,0,1]
	v_mov_b32_e32 v87, v93
	s_delay_alu instid0(VALU_DEP_3) | instskip(NEXT) | instid1(VALU_DEP_2)
	v_cmp_lt_u32_e32 vcc_lo, 17, v85
	v_pk_add_f32 v[80:81], v[80:81], v[86:87]
	s_or_b32 s3, vcc_lo, s3
	s_delay_alu instid0(SALU_CYCLE_1)
	s_and_not1_b32 exec_lo, exec_lo, s3
	s_cbranch_execnz .LBB37_557
; %bb.558:
	s_or_b32 exec_lo, exec_lo, s3
.LBB37_559:
	s_delay_alu instid0(SALU_CYCLE_1) | instskip(SKIP_4) | instid1(VALU_DEP_1)
	s_or_b32 exec_lo, exec_lo, s2
	v_mov_b32_e32 v83, 0
	ds_load_b64 v[84:85], v83 offset:152
	s_wait_dscnt 0x0
	v_pk_mul_f32 v[86:87], v[80:81], v[84:85] op_sel:[1,1] op_sel_hi:[0,1]
	v_pk_fma_f32 v[88:89], v[80:81], v[84:85], v[86:87] op_sel_hi:[1,0,1]
	v_pk_fma_f32 v[80:81], v[80:81], v[84:85], v[86:87] neg_lo:[0,0,1] neg_hi:[0,0,1]
	s_delay_alu instid0(VALU_DEP_2)
	v_mov_b32_e32 v81, v89
	scratch_store_b64 off, v[80:81], off offset:152
.LBB37_560:
	s_wait_xcnt 0x0
	s_or_b32 exec_lo, exec_lo, s0
	scratch_load_b64 v[80:81], off, off offset:160
	s_mov_b32 s0, exec_lo
	s_wait_loadcnt 0x0
	ds_store_b64 v1, v[80:81]
	s_wait_storecnt_dscnt 0x0
	s_barrier_signal -1
	s_barrier_wait -1
	s_wait_xcnt 0x0
	v_cmpx_gt_u32_e32 20, v0
	s_cbranch_execz .LBB37_570
; %bb.561:
	v_cmp_ne_u32_e32 vcc_lo, 1, v82
	s_cbranch_vccnz .LBB37_563
; %bb.562:
	scratch_load_b64 v[80:81], v47, off
	ds_load_b64 v[84:85], v1
	s_wait_loadcnt_dscnt 0x0
	v_pk_mul_f32 v[86:87], v[84:85], v[80:81] op_sel:[1,1] op_sel_hi:[0,1]
	s_delay_alu instid0(VALU_DEP_1) | instskip(SKIP_1) | instid1(VALU_DEP_2)
	v_pk_fma_f32 v[88:89], v[84:85], v[80:81], v[86:87] op_sel_hi:[1,0,1]
	v_pk_fma_f32 v[80:81], v[84:85], v[80:81], v[86:87] neg_lo:[0,0,1] neg_hi:[0,0,1]
	v_mov_b32_e32 v81, v89
	s_cbranch_execz .LBB37_564
	s_branch .LBB37_565
.LBB37_563:
                                        ; implicit-def: $vgpr80_vgpr81
.LBB37_564:
	ds_load_b64 v[80:81], v1
.LBB37_565:
	s_mov_b32 s2, exec_lo
	v_cmpx_ne_u32_e32 19, v0
	s_cbranch_execz .LBB37_569
; %bb.566:
	v_add_nc_u32_e32 v83, 0x138, v46
	v_add3_u32 v84, 0, v46, 8
	v_mov_b32_e32 v85, v0
	s_mov_b32 s3, 0
.LBB37_567:                             ; =>This Inner Loop Header: Depth=1
	scratch_load_b64 v[86:87], v84, off
	ds_load_b64 v[88:89], v83
	s_wait_xcnt 0x0
	v_dual_add_nc_u32 v83, 8, v83 :: v_dual_add_nc_u32 v84, 8, v84
	s_wait_loadcnt_dscnt 0x0
	v_pk_mul_f32 v[90:91], v[88:89], v[86:87] op_sel:[1,1] op_sel_hi:[0,1]
	s_delay_alu instid0(VALU_DEP_1) | instskip(SKIP_2) | instid1(VALU_DEP_3)
	v_pk_fma_f32 v[92:93], v[88:89], v[86:87], v[90:91] op_sel_hi:[1,0,1]
	v_add_nc_u32_e32 v85, 1, v85
	v_pk_fma_f32 v[86:87], v[88:89], v[86:87], v[90:91] neg_lo:[0,0,1] neg_hi:[0,0,1]
	v_mov_b32_e32 v87, v93
	s_delay_alu instid0(VALU_DEP_3) | instskip(NEXT) | instid1(VALU_DEP_2)
	v_cmp_lt_u32_e32 vcc_lo, 18, v85
	v_pk_add_f32 v[80:81], v[80:81], v[86:87]
	s_or_b32 s3, vcc_lo, s3
	s_delay_alu instid0(SALU_CYCLE_1)
	s_and_not1_b32 exec_lo, exec_lo, s3
	s_cbranch_execnz .LBB37_567
; %bb.568:
	s_or_b32 exec_lo, exec_lo, s3
.LBB37_569:
	s_delay_alu instid0(SALU_CYCLE_1) | instskip(SKIP_4) | instid1(VALU_DEP_1)
	s_or_b32 exec_lo, exec_lo, s2
	v_mov_b32_e32 v83, 0
	ds_load_b64 v[84:85], v83 offset:160
	s_wait_dscnt 0x0
	v_pk_mul_f32 v[86:87], v[80:81], v[84:85] op_sel:[1,1] op_sel_hi:[0,1]
	v_pk_fma_f32 v[88:89], v[80:81], v[84:85], v[86:87] op_sel_hi:[1,0,1]
	v_pk_fma_f32 v[80:81], v[80:81], v[84:85], v[86:87] neg_lo:[0,0,1] neg_hi:[0,0,1]
	s_delay_alu instid0(VALU_DEP_2)
	v_mov_b32_e32 v81, v89
	scratch_store_b64 off, v[80:81], off offset:160
.LBB37_570:
	s_wait_xcnt 0x0
	s_or_b32 exec_lo, exec_lo, s0
	scratch_load_b64 v[80:81], off, off offset:168
	s_mov_b32 s0, exec_lo
	s_wait_loadcnt 0x0
	ds_store_b64 v1, v[80:81]
	s_wait_storecnt_dscnt 0x0
	s_barrier_signal -1
	s_barrier_wait -1
	s_wait_xcnt 0x0
	v_cmpx_gt_u32_e32 21, v0
	s_cbranch_execz .LBB37_580
; %bb.571:
	v_cmp_ne_u32_e32 vcc_lo, 1, v82
	s_cbranch_vccnz .LBB37_573
; %bb.572:
	scratch_load_b64 v[80:81], v47, off
	ds_load_b64 v[84:85], v1
	s_wait_loadcnt_dscnt 0x0
	v_pk_mul_f32 v[86:87], v[84:85], v[80:81] op_sel:[1,1] op_sel_hi:[0,1]
	s_delay_alu instid0(VALU_DEP_1) | instskip(SKIP_1) | instid1(VALU_DEP_2)
	v_pk_fma_f32 v[88:89], v[84:85], v[80:81], v[86:87] op_sel_hi:[1,0,1]
	v_pk_fma_f32 v[80:81], v[84:85], v[80:81], v[86:87] neg_lo:[0,0,1] neg_hi:[0,0,1]
	v_mov_b32_e32 v81, v89
	s_cbranch_execz .LBB37_574
	s_branch .LBB37_575
.LBB37_573:
                                        ; implicit-def: $vgpr80_vgpr81
.LBB37_574:
	ds_load_b64 v[80:81], v1
.LBB37_575:
	s_mov_b32 s2, exec_lo
	v_cmpx_ne_u32_e32 20, v0
	s_cbranch_execz .LBB37_579
; %bb.576:
	v_add_nc_u32_e32 v83, 0x138, v46
	v_add3_u32 v84, 0, v46, 8
	v_mov_b32_e32 v85, v0
	s_mov_b32 s3, 0
.LBB37_577:                             ; =>This Inner Loop Header: Depth=1
	scratch_load_b64 v[86:87], v84, off
	ds_load_b64 v[88:89], v83
	s_wait_xcnt 0x0
	v_dual_add_nc_u32 v83, 8, v83 :: v_dual_add_nc_u32 v84, 8, v84
	s_wait_loadcnt_dscnt 0x0
	v_pk_mul_f32 v[90:91], v[88:89], v[86:87] op_sel:[1,1] op_sel_hi:[0,1]
	s_delay_alu instid0(VALU_DEP_1) | instskip(SKIP_2) | instid1(VALU_DEP_3)
	v_pk_fma_f32 v[92:93], v[88:89], v[86:87], v[90:91] op_sel_hi:[1,0,1]
	v_add_nc_u32_e32 v85, 1, v85
	v_pk_fma_f32 v[86:87], v[88:89], v[86:87], v[90:91] neg_lo:[0,0,1] neg_hi:[0,0,1]
	v_mov_b32_e32 v87, v93
	s_delay_alu instid0(VALU_DEP_3) | instskip(NEXT) | instid1(VALU_DEP_2)
	v_cmp_lt_u32_e32 vcc_lo, 19, v85
	v_pk_add_f32 v[80:81], v[80:81], v[86:87]
	s_or_b32 s3, vcc_lo, s3
	s_delay_alu instid0(SALU_CYCLE_1)
	s_and_not1_b32 exec_lo, exec_lo, s3
	s_cbranch_execnz .LBB37_577
; %bb.578:
	s_or_b32 exec_lo, exec_lo, s3
.LBB37_579:
	s_delay_alu instid0(SALU_CYCLE_1) | instskip(SKIP_4) | instid1(VALU_DEP_1)
	s_or_b32 exec_lo, exec_lo, s2
	v_mov_b32_e32 v83, 0
	ds_load_b64 v[84:85], v83 offset:168
	s_wait_dscnt 0x0
	v_pk_mul_f32 v[86:87], v[80:81], v[84:85] op_sel:[1,1] op_sel_hi:[0,1]
	v_pk_fma_f32 v[88:89], v[80:81], v[84:85], v[86:87] op_sel_hi:[1,0,1]
	v_pk_fma_f32 v[80:81], v[80:81], v[84:85], v[86:87] neg_lo:[0,0,1] neg_hi:[0,0,1]
	s_delay_alu instid0(VALU_DEP_2)
	v_mov_b32_e32 v81, v89
	scratch_store_b64 off, v[80:81], off offset:168
.LBB37_580:
	s_wait_xcnt 0x0
	s_or_b32 exec_lo, exec_lo, s0
	scratch_load_b64 v[80:81], off, off offset:176
	s_mov_b32 s0, exec_lo
	s_wait_loadcnt 0x0
	ds_store_b64 v1, v[80:81]
	s_wait_storecnt_dscnt 0x0
	s_barrier_signal -1
	s_barrier_wait -1
	s_wait_xcnt 0x0
	v_cmpx_gt_u32_e32 22, v0
	s_cbranch_execz .LBB37_590
; %bb.581:
	v_cmp_ne_u32_e32 vcc_lo, 1, v82
	s_cbranch_vccnz .LBB37_583
; %bb.582:
	scratch_load_b64 v[80:81], v47, off
	ds_load_b64 v[84:85], v1
	s_wait_loadcnt_dscnt 0x0
	v_pk_mul_f32 v[86:87], v[84:85], v[80:81] op_sel:[1,1] op_sel_hi:[0,1]
	s_delay_alu instid0(VALU_DEP_1) | instskip(SKIP_1) | instid1(VALU_DEP_2)
	v_pk_fma_f32 v[88:89], v[84:85], v[80:81], v[86:87] op_sel_hi:[1,0,1]
	v_pk_fma_f32 v[80:81], v[84:85], v[80:81], v[86:87] neg_lo:[0,0,1] neg_hi:[0,0,1]
	v_mov_b32_e32 v81, v89
	s_cbranch_execz .LBB37_584
	s_branch .LBB37_585
.LBB37_583:
                                        ; implicit-def: $vgpr80_vgpr81
.LBB37_584:
	ds_load_b64 v[80:81], v1
.LBB37_585:
	s_mov_b32 s2, exec_lo
	v_cmpx_ne_u32_e32 21, v0
	s_cbranch_execz .LBB37_589
; %bb.586:
	v_add_nc_u32_e32 v83, 0x138, v46
	v_add3_u32 v84, 0, v46, 8
	v_mov_b32_e32 v85, v0
	s_mov_b32 s3, 0
.LBB37_587:                             ; =>This Inner Loop Header: Depth=1
	scratch_load_b64 v[86:87], v84, off
	ds_load_b64 v[88:89], v83
	s_wait_xcnt 0x0
	v_dual_add_nc_u32 v83, 8, v83 :: v_dual_add_nc_u32 v84, 8, v84
	s_wait_loadcnt_dscnt 0x0
	v_pk_mul_f32 v[90:91], v[88:89], v[86:87] op_sel:[1,1] op_sel_hi:[0,1]
	s_delay_alu instid0(VALU_DEP_1) | instskip(SKIP_2) | instid1(VALU_DEP_3)
	v_pk_fma_f32 v[92:93], v[88:89], v[86:87], v[90:91] op_sel_hi:[1,0,1]
	v_add_nc_u32_e32 v85, 1, v85
	v_pk_fma_f32 v[86:87], v[88:89], v[86:87], v[90:91] neg_lo:[0,0,1] neg_hi:[0,0,1]
	v_mov_b32_e32 v87, v93
	s_delay_alu instid0(VALU_DEP_3) | instskip(NEXT) | instid1(VALU_DEP_2)
	v_cmp_lt_u32_e32 vcc_lo, 20, v85
	v_pk_add_f32 v[80:81], v[80:81], v[86:87]
	s_or_b32 s3, vcc_lo, s3
	s_delay_alu instid0(SALU_CYCLE_1)
	s_and_not1_b32 exec_lo, exec_lo, s3
	s_cbranch_execnz .LBB37_587
; %bb.588:
	s_or_b32 exec_lo, exec_lo, s3
.LBB37_589:
	s_delay_alu instid0(SALU_CYCLE_1) | instskip(SKIP_4) | instid1(VALU_DEP_1)
	s_or_b32 exec_lo, exec_lo, s2
	v_mov_b32_e32 v83, 0
	ds_load_b64 v[84:85], v83 offset:176
	s_wait_dscnt 0x0
	v_pk_mul_f32 v[86:87], v[80:81], v[84:85] op_sel:[1,1] op_sel_hi:[0,1]
	v_pk_fma_f32 v[88:89], v[80:81], v[84:85], v[86:87] op_sel_hi:[1,0,1]
	v_pk_fma_f32 v[80:81], v[80:81], v[84:85], v[86:87] neg_lo:[0,0,1] neg_hi:[0,0,1]
	s_delay_alu instid0(VALU_DEP_2)
	v_mov_b32_e32 v81, v89
	scratch_store_b64 off, v[80:81], off offset:176
.LBB37_590:
	s_wait_xcnt 0x0
	s_or_b32 exec_lo, exec_lo, s0
	scratch_load_b64 v[80:81], off, off offset:184
	s_mov_b32 s0, exec_lo
	s_wait_loadcnt 0x0
	ds_store_b64 v1, v[80:81]
	s_wait_storecnt_dscnt 0x0
	s_barrier_signal -1
	s_barrier_wait -1
	s_wait_xcnt 0x0
	v_cmpx_gt_u32_e32 23, v0
	s_cbranch_execz .LBB37_600
; %bb.591:
	v_cmp_ne_u32_e32 vcc_lo, 1, v82
	s_cbranch_vccnz .LBB37_593
; %bb.592:
	scratch_load_b64 v[80:81], v47, off
	ds_load_b64 v[84:85], v1
	s_wait_loadcnt_dscnt 0x0
	v_pk_mul_f32 v[86:87], v[84:85], v[80:81] op_sel:[1,1] op_sel_hi:[0,1]
	s_delay_alu instid0(VALU_DEP_1) | instskip(SKIP_1) | instid1(VALU_DEP_2)
	v_pk_fma_f32 v[88:89], v[84:85], v[80:81], v[86:87] op_sel_hi:[1,0,1]
	v_pk_fma_f32 v[80:81], v[84:85], v[80:81], v[86:87] neg_lo:[0,0,1] neg_hi:[0,0,1]
	v_mov_b32_e32 v81, v89
	s_cbranch_execz .LBB37_594
	s_branch .LBB37_595
.LBB37_593:
                                        ; implicit-def: $vgpr80_vgpr81
.LBB37_594:
	ds_load_b64 v[80:81], v1
.LBB37_595:
	s_mov_b32 s2, exec_lo
	v_cmpx_ne_u32_e32 22, v0
	s_cbranch_execz .LBB37_599
; %bb.596:
	v_add_nc_u32_e32 v83, 0x138, v46
	v_add3_u32 v84, 0, v46, 8
	v_mov_b32_e32 v85, v0
	s_mov_b32 s3, 0
.LBB37_597:                             ; =>This Inner Loop Header: Depth=1
	scratch_load_b64 v[86:87], v84, off
	ds_load_b64 v[88:89], v83
	s_wait_xcnt 0x0
	v_dual_add_nc_u32 v83, 8, v83 :: v_dual_add_nc_u32 v84, 8, v84
	s_wait_loadcnt_dscnt 0x0
	v_pk_mul_f32 v[90:91], v[88:89], v[86:87] op_sel:[1,1] op_sel_hi:[0,1]
	s_delay_alu instid0(VALU_DEP_1) | instskip(SKIP_2) | instid1(VALU_DEP_3)
	v_pk_fma_f32 v[92:93], v[88:89], v[86:87], v[90:91] op_sel_hi:[1,0,1]
	v_add_nc_u32_e32 v85, 1, v85
	v_pk_fma_f32 v[86:87], v[88:89], v[86:87], v[90:91] neg_lo:[0,0,1] neg_hi:[0,0,1]
	v_mov_b32_e32 v87, v93
	s_delay_alu instid0(VALU_DEP_3) | instskip(NEXT) | instid1(VALU_DEP_2)
	v_cmp_lt_u32_e32 vcc_lo, 21, v85
	v_pk_add_f32 v[80:81], v[80:81], v[86:87]
	s_or_b32 s3, vcc_lo, s3
	s_delay_alu instid0(SALU_CYCLE_1)
	s_and_not1_b32 exec_lo, exec_lo, s3
	s_cbranch_execnz .LBB37_597
; %bb.598:
	s_or_b32 exec_lo, exec_lo, s3
.LBB37_599:
	s_delay_alu instid0(SALU_CYCLE_1) | instskip(SKIP_4) | instid1(VALU_DEP_1)
	s_or_b32 exec_lo, exec_lo, s2
	v_mov_b32_e32 v83, 0
	ds_load_b64 v[84:85], v83 offset:184
	s_wait_dscnt 0x0
	v_pk_mul_f32 v[86:87], v[80:81], v[84:85] op_sel:[1,1] op_sel_hi:[0,1]
	v_pk_fma_f32 v[88:89], v[80:81], v[84:85], v[86:87] op_sel_hi:[1,0,1]
	v_pk_fma_f32 v[80:81], v[80:81], v[84:85], v[86:87] neg_lo:[0,0,1] neg_hi:[0,0,1]
	s_delay_alu instid0(VALU_DEP_2)
	v_mov_b32_e32 v81, v89
	scratch_store_b64 off, v[80:81], off offset:184
.LBB37_600:
	s_wait_xcnt 0x0
	s_or_b32 exec_lo, exec_lo, s0
	scratch_load_b64 v[80:81], off, off offset:192
	s_mov_b32 s0, exec_lo
	s_wait_loadcnt 0x0
	ds_store_b64 v1, v[80:81]
	s_wait_storecnt_dscnt 0x0
	s_barrier_signal -1
	s_barrier_wait -1
	s_wait_xcnt 0x0
	v_cmpx_gt_u32_e32 24, v0
	s_cbranch_execz .LBB37_610
; %bb.601:
	v_cmp_ne_u32_e32 vcc_lo, 1, v82
	s_cbranch_vccnz .LBB37_603
; %bb.602:
	scratch_load_b64 v[80:81], v47, off
	ds_load_b64 v[84:85], v1
	s_wait_loadcnt_dscnt 0x0
	v_pk_mul_f32 v[86:87], v[84:85], v[80:81] op_sel:[1,1] op_sel_hi:[0,1]
	s_delay_alu instid0(VALU_DEP_1) | instskip(SKIP_1) | instid1(VALU_DEP_2)
	v_pk_fma_f32 v[88:89], v[84:85], v[80:81], v[86:87] op_sel_hi:[1,0,1]
	v_pk_fma_f32 v[80:81], v[84:85], v[80:81], v[86:87] neg_lo:[0,0,1] neg_hi:[0,0,1]
	v_mov_b32_e32 v81, v89
	s_cbranch_execz .LBB37_604
	s_branch .LBB37_605
.LBB37_603:
                                        ; implicit-def: $vgpr80_vgpr81
.LBB37_604:
	ds_load_b64 v[80:81], v1
.LBB37_605:
	s_mov_b32 s2, exec_lo
	v_cmpx_ne_u32_e32 23, v0
	s_cbranch_execz .LBB37_609
; %bb.606:
	v_add_nc_u32_e32 v83, 0x138, v46
	v_add3_u32 v84, 0, v46, 8
	v_mov_b32_e32 v85, v0
	s_mov_b32 s3, 0
.LBB37_607:                             ; =>This Inner Loop Header: Depth=1
	scratch_load_b64 v[86:87], v84, off
	ds_load_b64 v[88:89], v83
	s_wait_xcnt 0x0
	v_dual_add_nc_u32 v83, 8, v83 :: v_dual_add_nc_u32 v84, 8, v84
	s_wait_loadcnt_dscnt 0x0
	v_pk_mul_f32 v[90:91], v[88:89], v[86:87] op_sel:[1,1] op_sel_hi:[0,1]
	s_delay_alu instid0(VALU_DEP_1) | instskip(SKIP_2) | instid1(VALU_DEP_3)
	v_pk_fma_f32 v[92:93], v[88:89], v[86:87], v[90:91] op_sel_hi:[1,0,1]
	v_add_nc_u32_e32 v85, 1, v85
	v_pk_fma_f32 v[86:87], v[88:89], v[86:87], v[90:91] neg_lo:[0,0,1] neg_hi:[0,0,1]
	v_mov_b32_e32 v87, v93
	s_delay_alu instid0(VALU_DEP_3) | instskip(NEXT) | instid1(VALU_DEP_2)
	v_cmp_lt_u32_e32 vcc_lo, 22, v85
	v_pk_add_f32 v[80:81], v[80:81], v[86:87]
	s_or_b32 s3, vcc_lo, s3
	s_delay_alu instid0(SALU_CYCLE_1)
	s_and_not1_b32 exec_lo, exec_lo, s3
	s_cbranch_execnz .LBB37_607
; %bb.608:
	s_or_b32 exec_lo, exec_lo, s3
.LBB37_609:
	s_delay_alu instid0(SALU_CYCLE_1) | instskip(SKIP_4) | instid1(VALU_DEP_1)
	s_or_b32 exec_lo, exec_lo, s2
	v_mov_b32_e32 v83, 0
	ds_load_b64 v[84:85], v83 offset:192
	s_wait_dscnt 0x0
	v_pk_mul_f32 v[86:87], v[80:81], v[84:85] op_sel:[1,1] op_sel_hi:[0,1]
	v_pk_fma_f32 v[88:89], v[80:81], v[84:85], v[86:87] op_sel_hi:[1,0,1]
	v_pk_fma_f32 v[80:81], v[80:81], v[84:85], v[86:87] neg_lo:[0,0,1] neg_hi:[0,0,1]
	s_delay_alu instid0(VALU_DEP_2)
	v_mov_b32_e32 v81, v89
	scratch_store_b64 off, v[80:81], off offset:192
.LBB37_610:
	s_wait_xcnt 0x0
	s_or_b32 exec_lo, exec_lo, s0
	scratch_load_b64 v[80:81], off, off offset:200
	s_mov_b32 s0, exec_lo
	s_wait_loadcnt 0x0
	ds_store_b64 v1, v[80:81]
	s_wait_storecnt_dscnt 0x0
	s_barrier_signal -1
	s_barrier_wait -1
	s_wait_xcnt 0x0
	v_cmpx_gt_u32_e32 25, v0
	s_cbranch_execz .LBB37_620
; %bb.611:
	v_cmp_ne_u32_e32 vcc_lo, 1, v82
	s_cbranch_vccnz .LBB37_613
; %bb.612:
	scratch_load_b64 v[80:81], v47, off
	ds_load_b64 v[84:85], v1
	s_wait_loadcnt_dscnt 0x0
	v_pk_mul_f32 v[86:87], v[84:85], v[80:81] op_sel:[1,1] op_sel_hi:[0,1]
	s_delay_alu instid0(VALU_DEP_1) | instskip(SKIP_1) | instid1(VALU_DEP_2)
	v_pk_fma_f32 v[88:89], v[84:85], v[80:81], v[86:87] op_sel_hi:[1,0,1]
	v_pk_fma_f32 v[80:81], v[84:85], v[80:81], v[86:87] neg_lo:[0,0,1] neg_hi:[0,0,1]
	v_mov_b32_e32 v81, v89
	s_cbranch_execz .LBB37_614
	s_branch .LBB37_615
.LBB37_613:
                                        ; implicit-def: $vgpr80_vgpr81
.LBB37_614:
	ds_load_b64 v[80:81], v1
.LBB37_615:
	s_mov_b32 s2, exec_lo
	v_cmpx_ne_u32_e32 24, v0
	s_cbranch_execz .LBB37_619
; %bb.616:
	v_add_nc_u32_e32 v83, 0x138, v46
	v_add3_u32 v84, 0, v46, 8
	v_mov_b32_e32 v85, v0
	s_mov_b32 s3, 0
.LBB37_617:                             ; =>This Inner Loop Header: Depth=1
	scratch_load_b64 v[86:87], v84, off
	ds_load_b64 v[88:89], v83
	s_wait_xcnt 0x0
	v_dual_add_nc_u32 v83, 8, v83 :: v_dual_add_nc_u32 v84, 8, v84
	s_wait_loadcnt_dscnt 0x0
	v_pk_mul_f32 v[90:91], v[88:89], v[86:87] op_sel:[1,1] op_sel_hi:[0,1]
	s_delay_alu instid0(VALU_DEP_1) | instskip(SKIP_2) | instid1(VALU_DEP_3)
	v_pk_fma_f32 v[92:93], v[88:89], v[86:87], v[90:91] op_sel_hi:[1,0,1]
	v_add_nc_u32_e32 v85, 1, v85
	v_pk_fma_f32 v[86:87], v[88:89], v[86:87], v[90:91] neg_lo:[0,0,1] neg_hi:[0,0,1]
	v_mov_b32_e32 v87, v93
	s_delay_alu instid0(VALU_DEP_3) | instskip(NEXT) | instid1(VALU_DEP_2)
	v_cmp_lt_u32_e32 vcc_lo, 23, v85
	v_pk_add_f32 v[80:81], v[80:81], v[86:87]
	s_or_b32 s3, vcc_lo, s3
	s_delay_alu instid0(SALU_CYCLE_1)
	s_and_not1_b32 exec_lo, exec_lo, s3
	s_cbranch_execnz .LBB37_617
; %bb.618:
	s_or_b32 exec_lo, exec_lo, s3
.LBB37_619:
	s_delay_alu instid0(SALU_CYCLE_1) | instskip(SKIP_4) | instid1(VALU_DEP_1)
	s_or_b32 exec_lo, exec_lo, s2
	v_mov_b32_e32 v83, 0
	ds_load_b64 v[84:85], v83 offset:200
	s_wait_dscnt 0x0
	v_pk_mul_f32 v[86:87], v[80:81], v[84:85] op_sel:[1,1] op_sel_hi:[0,1]
	v_pk_fma_f32 v[88:89], v[80:81], v[84:85], v[86:87] op_sel_hi:[1,0,1]
	v_pk_fma_f32 v[80:81], v[80:81], v[84:85], v[86:87] neg_lo:[0,0,1] neg_hi:[0,0,1]
	s_delay_alu instid0(VALU_DEP_2)
	v_mov_b32_e32 v81, v89
	scratch_store_b64 off, v[80:81], off offset:200
.LBB37_620:
	s_wait_xcnt 0x0
	s_or_b32 exec_lo, exec_lo, s0
	scratch_load_b64 v[80:81], off, off offset:208
	s_mov_b32 s0, exec_lo
	s_wait_loadcnt 0x0
	ds_store_b64 v1, v[80:81]
	s_wait_storecnt_dscnt 0x0
	s_barrier_signal -1
	s_barrier_wait -1
	s_wait_xcnt 0x0
	v_cmpx_gt_u32_e32 26, v0
	s_cbranch_execz .LBB37_630
; %bb.621:
	v_cmp_ne_u32_e32 vcc_lo, 1, v82
	s_cbranch_vccnz .LBB37_623
; %bb.622:
	scratch_load_b64 v[80:81], v47, off
	ds_load_b64 v[84:85], v1
	s_wait_loadcnt_dscnt 0x0
	v_pk_mul_f32 v[86:87], v[84:85], v[80:81] op_sel:[1,1] op_sel_hi:[0,1]
	s_delay_alu instid0(VALU_DEP_1) | instskip(SKIP_1) | instid1(VALU_DEP_2)
	v_pk_fma_f32 v[88:89], v[84:85], v[80:81], v[86:87] op_sel_hi:[1,0,1]
	v_pk_fma_f32 v[80:81], v[84:85], v[80:81], v[86:87] neg_lo:[0,0,1] neg_hi:[0,0,1]
	v_mov_b32_e32 v81, v89
	s_cbranch_execz .LBB37_624
	s_branch .LBB37_625
.LBB37_623:
                                        ; implicit-def: $vgpr80_vgpr81
.LBB37_624:
	ds_load_b64 v[80:81], v1
.LBB37_625:
	s_mov_b32 s2, exec_lo
	v_cmpx_ne_u32_e32 25, v0
	s_cbranch_execz .LBB37_629
; %bb.626:
	v_add_nc_u32_e32 v83, 0x138, v46
	v_add3_u32 v84, 0, v46, 8
	v_mov_b32_e32 v85, v0
	s_mov_b32 s3, 0
.LBB37_627:                             ; =>This Inner Loop Header: Depth=1
	scratch_load_b64 v[86:87], v84, off
	ds_load_b64 v[88:89], v83
	s_wait_xcnt 0x0
	v_dual_add_nc_u32 v83, 8, v83 :: v_dual_add_nc_u32 v84, 8, v84
	s_wait_loadcnt_dscnt 0x0
	v_pk_mul_f32 v[90:91], v[88:89], v[86:87] op_sel:[1,1] op_sel_hi:[0,1]
	s_delay_alu instid0(VALU_DEP_1) | instskip(SKIP_2) | instid1(VALU_DEP_3)
	v_pk_fma_f32 v[92:93], v[88:89], v[86:87], v[90:91] op_sel_hi:[1,0,1]
	v_add_nc_u32_e32 v85, 1, v85
	v_pk_fma_f32 v[86:87], v[88:89], v[86:87], v[90:91] neg_lo:[0,0,1] neg_hi:[0,0,1]
	v_mov_b32_e32 v87, v93
	s_delay_alu instid0(VALU_DEP_3) | instskip(NEXT) | instid1(VALU_DEP_2)
	v_cmp_lt_u32_e32 vcc_lo, 24, v85
	v_pk_add_f32 v[80:81], v[80:81], v[86:87]
	s_or_b32 s3, vcc_lo, s3
	s_delay_alu instid0(SALU_CYCLE_1)
	s_and_not1_b32 exec_lo, exec_lo, s3
	s_cbranch_execnz .LBB37_627
; %bb.628:
	s_or_b32 exec_lo, exec_lo, s3
.LBB37_629:
	s_delay_alu instid0(SALU_CYCLE_1) | instskip(SKIP_4) | instid1(VALU_DEP_1)
	s_or_b32 exec_lo, exec_lo, s2
	v_mov_b32_e32 v83, 0
	ds_load_b64 v[84:85], v83 offset:208
	s_wait_dscnt 0x0
	v_pk_mul_f32 v[86:87], v[80:81], v[84:85] op_sel:[1,1] op_sel_hi:[0,1]
	v_pk_fma_f32 v[88:89], v[80:81], v[84:85], v[86:87] op_sel_hi:[1,0,1]
	v_pk_fma_f32 v[80:81], v[80:81], v[84:85], v[86:87] neg_lo:[0,0,1] neg_hi:[0,0,1]
	s_delay_alu instid0(VALU_DEP_2)
	v_mov_b32_e32 v81, v89
	scratch_store_b64 off, v[80:81], off offset:208
.LBB37_630:
	s_wait_xcnt 0x0
	s_or_b32 exec_lo, exec_lo, s0
	scratch_load_b64 v[80:81], off, off offset:216
	s_mov_b32 s0, exec_lo
	s_wait_loadcnt 0x0
	ds_store_b64 v1, v[80:81]
	s_wait_storecnt_dscnt 0x0
	s_barrier_signal -1
	s_barrier_wait -1
	s_wait_xcnt 0x0
	v_cmpx_gt_u32_e32 27, v0
	s_cbranch_execz .LBB37_640
; %bb.631:
	v_cmp_ne_u32_e32 vcc_lo, 1, v82
	s_cbranch_vccnz .LBB37_633
; %bb.632:
	scratch_load_b64 v[80:81], v47, off
	ds_load_b64 v[84:85], v1
	s_wait_loadcnt_dscnt 0x0
	v_pk_mul_f32 v[86:87], v[84:85], v[80:81] op_sel:[1,1] op_sel_hi:[0,1]
	s_delay_alu instid0(VALU_DEP_1) | instskip(SKIP_1) | instid1(VALU_DEP_2)
	v_pk_fma_f32 v[88:89], v[84:85], v[80:81], v[86:87] op_sel_hi:[1,0,1]
	v_pk_fma_f32 v[80:81], v[84:85], v[80:81], v[86:87] neg_lo:[0,0,1] neg_hi:[0,0,1]
	v_mov_b32_e32 v81, v89
	s_cbranch_execz .LBB37_634
	s_branch .LBB37_635
.LBB37_633:
                                        ; implicit-def: $vgpr80_vgpr81
.LBB37_634:
	ds_load_b64 v[80:81], v1
.LBB37_635:
	s_mov_b32 s2, exec_lo
	v_cmpx_ne_u32_e32 26, v0
	s_cbranch_execz .LBB37_639
; %bb.636:
	v_add_nc_u32_e32 v83, 0x138, v46
	v_add3_u32 v84, 0, v46, 8
	v_mov_b32_e32 v85, v0
	s_mov_b32 s3, 0
.LBB37_637:                             ; =>This Inner Loop Header: Depth=1
	scratch_load_b64 v[86:87], v84, off
	ds_load_b64 v[88:89], v83
	s_wait_xcnt 0x0
	v_dual_add_nc_u32 v83, 8, v83 :: v_dual_add_nc_u32 v84, 8, v84
	s_wait_loadcnt_dscnt 0x0
	v_pk_mul_f32 v[90:91], v[88:89], v[86:87] op_sel:[1,1] op_sel_hi:[0,1]
	s_delay_alu instid0(VALU_DEP_1) | instskip(SKIP_2) | instid1(VALU_DEP_3)
	v_pk_fma_f32 v[92:93], v[88:89], v[86:87], v[90:91] op_sel_hi:[1,0,1]
	v_add_nc_u32_e32 v85, 1, v85
	v_pk_fma_f32 v[86:87], v[88:89], v[86:87], v[90:91] neg_lo:[0,0,1] neg_hi:[0,0,1]
	v_mov_b32_e32 v87, v93
	s_delay_alu instid0(VALU_DEP_3) | instskip(NEXT) | instid1(VALU_DEP_2)
	v_cmp_lt_u32_e32 vcc_lo, 25, v85
	v_pk_add_f32 v[80:81], v[80:81], v[86:87]
	s_or_b32 s3, vcc_lo, s3
	s_delay_alu instid0(SALU_CYCLE_1)
	s_and_not1_b32 exec_lo, exec_lo, s3
	s_cbranch_execnz .LBB37_637
; %bb.638:
	s_or_b32 exec_lo, exec_lo, s3
.LBB37_639:
	s_delay_alu instid0(SALU_CYCLE_1) | instskip(SKIP_4) | instid1(VALU_DEP_1)
	s_or_b32 exec_lo, exec_lo, s2
	v_mov_b32_e32 v83, 0
	ds_load_b64 v[84:85], v83 offset:216
	s_wait_dscnt 0x0
	v_pk_mul_f32 v[86:87], v[80:81], v[84:85] op_sel:[1,1] op_sel_hi:[0,1]
	v_pk_fma_f32 v[88:89], v[80:81], v[84:85], v[86:87] op_sel_hi:[1,0,1]
	v_pk_fma_f32 v[80:81], v[80:81], v[84:85], v[86:87] neg_lo:[0,0,1] neg_hi:[0,0,1]
	s_delay_alu instid0(VALU_DEP_2)
	v_mov_b32_e32 v81, v89
	scratch_store_b64 off, v[80:81], off offset:216
.LBB37_640:
	s_wait_xcnt 0x0
	s_or_b32 exec_lo, exec_lo, s0
	scratch_load_b64 v[80:81], off, off offset:224
	s_mov_b32 s0, exec_lo
	s_wait_loadcnt 0x0
	ds_store_b64 v1, v[80:81]
	s_wait_storecnt_dscnt 0x0
	s_barrier_signal -1
	s_barrier_wait -1
	s_wait_xcnt 0x0
	v_cmpx_gt_u32_e32 28, v0
	s_cbranch_execz .LBB37_650
; %bb.641:
	v_cmp_ne_u32_e32 vcc_lo, 1, v82
	s_cbranch_vccnz .LBB37_643
; %bb.642:
	scratch_load_b64 v[80:81], v47, off
	ds_load_b64 v[84:85], v1
	s_wait_loadcnt_dscnt 0x0
	v_pk_mul_f32 v[86:87], v[84:85], v[80:81] op_sel:[1,1] op_sel_hi:[0,1]
	s_delay_alu instid0(VALU_DEP_1) | instskip(SKIP_1) | instid1(VALU_DEP_2)
	v_pk_fma_f32 v[88:89], v[84:85], v[80:81], v[86:87] op_sel_hi:[1,0,1]
	v_pk_fma_f32 v[80:81], v[84:85], v[80:81], v[86:87] neg_lo:[0,0,1] neg_hi:[0,0,1]
	v_mov_b32_e32 v81, v89
	s_cbranch_execz .LBB37_644
	s_branch .LBB37_645
.LBB37_643:
                                        ; implicit-def: $vgpr80_vgpr81
.LBB37_644:
	ds_load_b64 v[80:81], v1
.LBB37_645:
	s_mov_b32 s2, exec_lo
	v_cmpx_ne_u32_e32 27, v0
	s_cbranch_execz .LBB37_649
; %bb.646:
	v_add_nc_u32_e32 v83, 0x138, v46
	v_add3_u32 v84, 0, v46, 8
	v_mov_b32_e32 v85, v0
	s_mov_b32 s3, 0
.LBB37_647:                             ; =>This Inner Loop Header: Depth=1
	scratch_load_b64 v[86:87], v84, off
	ds_load_b64 v[88:89], v83
	s_wait_xcnt 0x0
	v_dual_add_nc_u32 v83, 8, v83 :: v_dual_add_nc_u32 v84, 8, v84
	s_wait_loadcnt_dscnt 0x0
	v_pk_mul_f32 v[90:91], v[88:89], v[86:87] op_sel:[1,1] op_sel_hi:[0,1]
	s_delay_alu instid0(VALU_DEP_1) | instskip(SKIP_2) | instid1(VALU_DEP_3)
	v_pk_fma_f32 v[92:93], v[88:89], v[86:87], v[90:91] op_sel_hi:[1,0,1]
	v_add_nc_u32_e32 v85, 1, v85
	v_pk_fma_f32 v[86:87], v[88:89], v[86:87], v[90:91] neg_lo:[0,0,1] neg_hi:[0,0,1]
	v_mov_b32_e32 v87, v93
	s_delay_alu instid0(VALU_DEP_3) | instskip(NEXT) | instid1(VALU_DEP_2)
	v_cmp_lt_u32_e32 vcc_lo, 26, v85
	v_pk_add_f32 v[80:81], v[80:81], v[86:87]
	s_or_b32 s3, vcc_lo, s3
	s_delay_alu instid0(SALU_CYCLE_1)
	s_and_not1_b32 exec_lo, exec_lo, s3
	s_cbranch_execnz .LBB37_647
; %bb.648:
	s_or_b32 exec_lo, exec_lo, s3
.LBB37_649:
	s_delay_alu instid0(SALU_CYCLE_1) | instskip(SKIP_4) | instid1(VALU_DEP_1)
	s_or_b32 exec_lo, exec_lo, s2
	v_mov_b32_e32 v83, 0
	ds_load_b64 v[84:85], v83 offset:224
	s_wait_dscnt 0x0
	v_pk_mul_f32 v[86:87], v[80:81], v[84:85] op_sel:[1,1] op_sel_hi:[0,1]
	v_pk_fma_f32 v[88:89], v[80:81], v[84:85], v[86:87] op_sel_hi:[1,0,1]
	v_pk_fma_f32 v[80:81], v[80:81], v[84:85], v[86:87] neg_lo:[0,0,1] neg_hi:[0,0,1]
	s_delay_alu instid0(VALU_DEP_2)
	v_mov_b32_e32 v81, v89
	scratch_store_b64 off, v[80:81], off offset:224
.LBB37_650:
	s_wait_xcnt 0x0
	s_or_b32 exec_lo, exec_lo, s0
	scratch_load_b64 v[80:81], off, off offset:232
	s_mov_b32 s0, exec_lo
	s_wait_loadcnt 0x0
	ds_store_b64 v1, v[80:81]
	s_wait_storecnt_dscnt 0x0
	s_barrier_signal -1
	s_barrier_wait -1
	s_wait_xcnt 0x0
	v_cmpx_gt_u32_e32 29, v0
	s_cbranch_execz .LBB37_660
; %bb.651:
	v_cmp_ne_u32_e32 vcc_lo, 1, v82
	s_cbranch_vccnz .LBB37_653
; %bb.652:
	scratch_load_b64 v[80:81], v47, off
	ds_load_b64 v[84:85], v1
	s_wait_loadcnt_dscnt 0x0
	v_pk_mul_f32 v[86:87], v[84:85], v[80:81] op_sel:[1,1] op_sel_hi:[0,1]
	s_delay_alu instid0(VALU_DEP_1) | instskip(SKIP_1) | instid1(VALU_DEP_2)
	v_pk_fma_f32 v[88:89], v[84:85], v[80:81], v[86:87] op_sel_hi:[1,0,1]
	v_pk_fma_f32 v[80:81], v[84:85], v[80:81], v[86:87] neg_lo:[0,0,1] neg_hi:[0,0,1]
	v_mov_b32_e32 v81, v89
	s_cbranch_execz .LBB37_654
	s_branch .LBB37_655
.LBB37_653:
                                        ; implicit-def: $vgpr80_vgpr81
.LBB37_654:
	ds_load_b64 v[80:81], v1
.LBB37_655:
	s_mov_b32 s2, exec_lo
	v_cmpx_ne_u32_e32 28, v0
	s_cbranch_execz .LBB37_659
; %bb.656:
	v_add_nc_u32_e32 v83, 0x138, v46
	v_add3_u32 v84, 0, v46, 8
	v_mov_b32_e32 v85, v0
	s_mov_b32 s3, 0
.LBB37_657:                             ; =>This Inner Loop Header: Depth=1
	scratch_load_b64 v[86:87], v84, off
	ds_load_b64 v[88:89], v83
	s_wait_xcnt 0x0
	v_dual_add_nc_u32 v83, 8, v83 :: v_dual_add_nc_u32 v84, 8, v84
	s_wait_loadcnt_dscnt 0x0
	v_pk_mul_f32 v[90:91], v[88:89], v[86:87] op_sel:[1,1] op_sel_hi:[0,1]
	s_delay_alu instid0(VALU_DEP_1) | instskip(SKIP_2) | instid1(VALU_DEP_3)
	v_pk_fma_f32 v[92:93], v[88:89], v[86:87], v[90:91] op_sel_hi:[1,0,1]
	v_add_nc_u32_e32 v85, 1, v85
	v_pk_fma_f32 v[86:87], v[88:89], v[86:87], v[90:91] neg_lo:[0,0,1] neg_hi:[0,0,1]
	v_mov_b32_e32 v87, v93
	s_delay_alu instid0(VALU_DEP_3) | instskip(NEXT) | instid1(VALU_DEP_2)
	v_cmp_lt_u32_e32 vcc_lo, 27, v85
	v_pk_add_f32 v[80:81], v[80:81], v[86:87]
	s_or_b32 s3, vcc_lo, s3
	s_delay_alu instid0(SALU_CYCLE_1)
	s_and_not1_b32 exec_lo, exec_lo, s3
	s_cbranch_execnz .LBB37_657
; %bb.658:
	s_or_b32 exec_lo, exec_lo, s3
.LBB37_659:
	s_delay_alu instid0(SALU_CYCLE_1) | instskip(SKIP_4) | instid1(VALU_DEP_1)
	s_or_b32 exec_lo, exec_lo, s2
	v_mov_b32_e32 v83, 0
	ds_load_b64 v[84:85], v83 offset:232
	s_wait_dscnt 0x0
	v_pk_mul_f32 v[86:87], v[80:81], v[84:85] op_sel:[1,1] op_sel_hi:[0,1]
	v_pk_fma_f32 v[88:89], v[80:81], v[84:85], v[86:87] op_sel_hi:[1,0,1]
	v_pk_fma_f32 v[80:81], v[80:81], v[84:85], v[86:87] neg_lo:[0,0,1] neg_hi:[0,0,1]
	s_delay_alu instid0(VALU_DEP_2)
	v_mov_b32_e32 v81, v89
	scratch_store_b64 off, v[80:81], off offset:232
.LBB37_660:
	s_wait_xcnt 0x0
	s_or_b32 exec_lo, exec_lo, s0
	scratch_load_b64 v[80:81], off, off offset:240
	s_mov_b32 s0, exec_lo
	s_wait_loadcnt 0x0
	ds_store_b64 v1, v[80:81]
	s_wait_storecnt_dscnt 0x0
	s_barrier_signal -1
	s_barrier_wait -1
	s_wait_xcnt 0x0
	v_cmpx_gt_u32_e32 30, v0
	s_cbranch_execz .LBB37_670
; %bb.661:
	v_cmp_ne_u32_e32 vcc_lo, 1, v82
	s_cbranch_vccnz .LBB37_663
; %bb.662:
	scratch_load_b64 v[80:81], v47, off
	ds_load_b64 v[84:85], v1
	s_wait_loadcnt_dscnt 0x0
	v_pk_mul_f32 v[86:87], v[84:85], v[80:81] op_sel:[1,1] op_sel_hi:[0,1]
	s_delay_alu instid0(VALU_DEP_1) | instskip(SKIP_1) | instid1(VALU_DEP_2)
	v_pk_fma_f32 v[88:89], v[84:85], v[80:81], v[86:87] op_sel_hi:[1,0,1]
	v_pk_fma_f32 v[80:81], v[84:85], v[80:81], v[86:87] neg_lo:[0,0,1] neg_hi:[0,0,1]
	v_mov_b32_e32 v81, v89
	s_cbranch_execz .LBB37_664
	s_branch .LBB37_665
.LBB37_663:
                                        ; implicit-def: $vgpr80_vgpr81
.LBB37_664:
	ds_load_b64 v[80:81], v1
.LBB37_665:
	s_mov_b32 s2, exec_lo
	v_cmpx_ne_u32_e32 29, v0
	s_cbranch_execz .LBB37_669
; %bb.666:
	v_add_nc_u32_e32 v83, 0x138, v46
	v_add3_u32 v84, 0, v46, 8
	v_mov_b32_e32 v85, v0
	s_mov_b32 s3, 0
.LBB37_667:                             ; =>This Inner Loop Header: Depth=1
	scratch_load_b64 v[86:87], v84, off
	ds_load_b64 v[88:89], v83
	s_wait_xcnt 0x0
	v_dual_add_nc_u32 v83, 8, v83 :: v_dual_add_nc_u32 v84, 8, v84
	s_wait_loadcnt_dscnt 0x0
	v_pk_mul_f32 v[90:91], v[88:89], v[86:87] op_sel:[1,1] op_sel_hi:[0,1]
	s_delay_alu instid0(VALU_DEP_1) | instskip(SKIP_2) | instid1(VALU_DEP_3)
	v_pk_fma_f32 v[92:93], v[88:89], v[86:87], v[90:91] op_sel_hi:[1,0,1]
	v_add_nc_u32_e32 v85, 1, v85
	v_pk_fma_f32 v[86:87], v[88:89], v[86:87], v[90:91] neg_lo:[0,0,1] neg_hi:[0,0,1]
	v_mov_b32_e32 v87, v93
	s_delay_alu instid0(VALU_DEP_3) | instskip(NEXT) | instid1(VALU_DEP_2)
	v_cmp_lt_u32_e32 vcc_lo, 28, v85
	v_pk_add_f32 v[80:81], v[80:81], v[86:87]
	s_or_b32 s3, vcc_lo, s3
	s_delay_alu instid0(SALU_CYCLE_1)
	s_and_not1_b32 exec_lo, exec_lo, s3
	s_cbranch_execnz .LBB37_667
; %bb.668:
	s_or_b32 exec_lo, exec_lo, s3
.LBB37_669:
	s_delay_alu instid0(SALU_CYCLE_1) | instskip(SKIP_4) | instid1(VALU_DEP_1)
	s_or_b32 exec_lo, exec_lo, s2
	v_mov_b32_e32 v83, 0
	ds_load_b64 v[84:85], v83 offset:240
	s_wait_dscnt 0x0
	v_pk_mul_f32 v[86:87], v[80:81], v[84:85] op_sel:[1,1] op_sel_hi:[0,1]
	v_pk_fma_f32 v[88:89], v[80:81], v[84:85], v[86:87] op_sel_hi:[1,0,1]
	v_pk_fma_f32 v[80:81], v[80:81], v[84:85], v[86:87] neg_lo:[0,0,1] neg_hi:[0,0,1]
	s_delay_alu instid0(VALU_DEP_2)
	v_mov_b32_e32 v81, v89
	scratch_store_b64 off, v[80:81], off offset:240
.LBB37_670:
	s_wait_xcnt 0x0
	s_or_b32 exec_lo, exec_lo, s0
	scratch_load_b64 v[80:81], off, off offset:248
	s_mov_b32 s0, exec_lo
	s_wait_loadcnt 0x0
	ds_store_b64 v1, v[80:81]
	s_wait_storecnt_dscnt 0x0
	s_barrier_signal -1
	s_barrier_wait -1
	s_wait_xcnt 0x0
	v_cmpx_gt_u32_e32 31, v0
	s_cbranch_execz .LBB37_680
; %bb.671:
	v_cmp_ne_u32_e32 vcc_lo, 1, v82
	s_cbranch_vccnz .LBB37_673
; %bb.672:
	scratch_load_b64 v[80:81], v47, off
	ds_load_b64 v[84:85], v1
	s_wait_loadcnt_dscnt 0x0
	v_pk_mul_f32 v[86:87], v[84:85], v[80:81] op_sel:[1,1] op_sel_hi:[0,1]
	s_delay_alu instid0(VALU_DEP_1) | instskip(SKIP_1) | instid1(VALU_DEP_2)
	v_pk_fma_f32 v[88:89], v[84:85], v[80:81], v[86:87] op_sel_hi:[1,0,1]
	v_pk_fma_f32 v[80:81], v[84:85], v[80:81], v[86:87] neg_lo:[0,0,1] neg_hi:[0,0,1]
	v_mov_b32_e32 v81, v89
	s_cbranch_execz .LBB37_674
	s_branch .LBB37_675
.LBB37_673:
                                        ; implicit-def: $vgpr80_vgpr81
.LBB37_674:
	ds_load_b64 v[80:81], v1
.LBB37_675:
	s_mov_b32 s2, exec_lo
	v_cmpx_ne_u32_e32 30, v0
	s_cbranch_execz .LBB37_679
; %bb.676:
	v_add_nc_u32_e32 v83, 0x138, v46
	v_add3_u32 v84, 0, v46, 8
	v_mov_b32_e32 v85, v0
	s_mov_b32 s3, 0
.LBB37_677:                             ; =>This Inner Loop Header: Depth=1
	scratch_load_b64 v[86:87], v84, off
	ds_load_b64 v[88:89], v83
	s_wait_xcnt 0x0
	v_dual_add_nc_u32 v83, 8, v83 :: v_dual_add_nc_u32 v84, 8, v84
	s_wait_loadcnt_dscnt 0x0
	v_pk_mul_f32 v[90:91], v[88:89], v[86:87] op_sel:[1,1] op_sel_hi:[0,1]
	s_delay_alu instid0(VALU_DEP_1) | instskip(SKIP_2) | instid1(VALU_DEP_3)
	v_pk_fma_f32 v[92:93], v[88:89], v[86:87], v[90:91] op_sel_hi:[1,0,1]
	v_add_nc_u32_e32 v85, 1, v85
	v_pk_fma_f32 v[86:87], v[88:89], v[86:87], v[90:91] neg_lo:[0,0,1] neg_hi:[0,0,1]
	v_mov_b32_e32 v87, v93
	s_delay_alu instid0(VALU_DEP_3) | instskip(NEXT) | instid1(VALU_DEP_2)
	v_cmp_lt_u32_e32 vcc_lo, 29, v85
	v_pk_add_f32 v[80:81], v[80:81], v[86:87]
	s_or_b32 s3, vcc_lo, s3
	s_delay_alu instid0(SALU_CYCLE_1)
	s_and_not1_b32 exec_lo, exec_lo, s3
	s_cbranch_execnz .LBB37_677
; %bb.678:
	s_or_b32 exec_lo, exec_lo, s3
.LBB37_679:
	s_delay_alu instid0(SALU_CYCLE_1) | instskip(SKIP_4) | instid1(VALU_DEP_1)
	s_or_b32 exec_lo, exec_lo, s2
	v_mov_b32_e32 v83, 0
	ds_load_b64 v[84:85], v83 offset:248
	s_wait_dscnt 0x0
	v_pk_mul_f32 v[86:87], v[80:81], v[84:85] op_sel:[1,1] op_sel_hi:[0,1]
	v_pk_fma_f32 v[88:89], v[80:81], v[84:85], v[86:87] op_sel_hi:[1,0,1]
	v_pk_fma_f32 v[80:81], v[80:81], v[84:85], v[86:87] neg_lo:[0,0,1] neg_hi:[0,0,1]
	s_delay_alu instid0(VALU_DEP_2)
	v_mov_b32_e32 v81, v89
	scratch_store_b64 off, v[80:81], off offset:248
.LBB37_680:
	s_wait_xcnt 0x0
	s_or_b32 exec_lo, exec_lo, s0
	scratch_load_b64 v[80:81], off, off offset:256
	s_mov_b32 s0, exec_lo
	s_wait_loadcnt 0x0
	ds_store_b64 v1, v[80:81]
	s_wait_storecnt_dscnt 0x0
	s_barrier_signal -1
	s_barrier_wait -1
	s_wait_xcnt 0x0
	v_cmpx_gt_u32_e32 32, v0
	s_cbranch_execz .LBB37_690
; %bb.681:
	v_cmp_ne_u32_e32 vcc_lo, 1, v82
	s_cbranch_vccnz .LBB37_683
; %bb.682:
	scratch_load_b64 v[80:81], v47, off
	ds_load_b64 v[84:85], v1
	s_wait_loadcnt_dscnt 0x0
	v_pk_mul_f32 v[86:87], v[84:85], v[80:81] op_sel:[1,1] op_sel_hi:[0,1]
	s_delay_alu instid0(VALU_DEP_1) | instskip(SKIP_1) | instid1(VALU_DEP_2)
	v_pk_fma_f32 v[88:89], v[84:85], v[80:81], v[86:87] op_sel_hi:[1,0,1]
	v_pk_fma_f32 v[80:81], v[84:85], v[80:81], v[86:87] neg_lo:[0,0,1] neg_hi:[0,0,1]
	v_mov_b32_e32 v81, v89
	s_cbranch_execz .LBB37_684
	s_branch .LBB37_685
.LBB37_683:
                                        ; implicit-def: $vgpr80_vgpr81
.LBB37_684:
	ds_load_b64 v[80:81], v1
.LBB37_685:
	s_mov_b32 s2, exec_lo
	v_cmpx_ne_u32_e32 31, v0
	s_cbranch_execz .LBB37_689
; %bb.686:
	v_add_nc_u32_e32 v83, 0x138, v46
	v_add3_u32 v84, 0, v46, 8
	v_mov_b32_e32 v85, v0
	s_mov_b32 s3, 0
.LBB37_687:                             ; =>This Inner Loop Header: Depth=1
	scratch_load_b64 v[86:87], v84, off
	ds_load_b64 v[88:89], v83
	s_wait_xcnt 0x0
	v_dual_add_nc_u32 v83, 8, v83 :: v_dual_add_nc_u32 v84, 8, v84
	s_wait_loadcnt_dscnt 0x0
	v_pk_mul_f32 v[90:91], v[88:89], v[86:87] op_sel:[1,1] op_sel_hi:[0,1]
	s_delay_alu instid0(VALU_DEP_1) | instskip(SKIP_2) | instid1(VALU_DEP_3)
	v_pk_fma_f32 v[92:93], v[88:89], v[86:87], v[90:91] op_sel_hi:[1,0,1]
	v_add_nc_u32_e32 v85, 1, v85
	v_pk_fma_f32 v[86:87], v[88:89], v[86:87], v[90:91] neg_lo:[0,0,1] neg_hi:[0,0,1]
	v_mov_b32_e32 v87, v93
	s_delay_alu instid0(VALU_DEP_3) | instskip(NEXT) | instid1(VALU_DEP_2)
	v_cmp_lt_u32_e32 vcc_lo, 30, v85
	v_pk_add_f32 v[80:81], v[80:81], v[86:87]
	s_or_b32 s3, vcc_lo, s3
	s_delay_alu instid0(SALU_CYCLE_1)
	s_and_not1_b32 exec_lo, exec_lo, s3
	s_cbranch_execnz .LBB37_687
; %bb.688:
	s_or_b32 exec_lo, exec_lo, s3
.LBB37_689:
	s_delay_alu instid0(SALU_CYCLE_1) | instskip(SKIP_4) | instid1(VALU_DEP_1)
	s_or_b32 exec_lo, exec_lo, s2
	v_mov_b32_e32 v83, 0
	ds_load_b64 v[84:85], v83 offset:256
	s_wait_dscnt 0x0
	v_pk_mul_f32 v[86:87], v[80:81], v[84:85] op_sel:[1,1] op_sel_hi:[0,1]
	v_pk_fma_f32 v[88:89], v[80:81], v[84:85], v[86:87] op_sel_hi:[1,0,1]
	v_pk_fma_f32 v[80:81], v[80:81], v[84:85], v[86:87] neg_lo:[0,0,1] neg_hi:[0,0,1]
	s_delay_alu instid0(VALU_DEP_2)
	v_mov_b32_e32 v81, v89
	scratch_store_b64 off, v[80:81], off offset:256
.LBB37_690:
	s_wait_xcnt 0x0
	s_or_b32 exec_lo, exec_lo, s0
	scratch_load_b64 v[80:81], off, off offset:264
	s_mov_b32 s0, exec_lo
	s_wait_loadcnt 0x0
	ds_store_b64 v1, v[80:81]
	s_wait_storecnt_dscnt 0x0
	s_barrier_signal -1
	s_barrier_wait -1
	s_wait_xcnt 0x0
	v_cmpx_gt_u32_e32 33, v0
	s_cbranch_execz .LBB37_700
; %bb.691:
	v_cmp_ne_u32_e32 vcc_lo, 1, v82
	s_cbranch_vccnz .LBB37_693
; %bb.692:
	scratch_load_b64 v[80:81], v47, off
	ds_load_b64 v[84:85], v1
	s_wait_loadcnt_dscnt 0x0
	v_pk_mul_f32 v[86:87], v[84:85], v[80:81] op_sel:[1,1] op_sel_hi:[0,1]
	s_delay_alu instid0(VALU_DEP_1) | instskip(SKIP_1) | instid1(VALU_DEP_2)
	v_pk_fma_f32 v[88:89], v[84:85], v[80:81], v[86:87] op_sel_hi:[1,0,1]
	v_pk_fma_f32 v[80:81], v[84:85], v[80:81], v[86:87] neg_lo:[0,0,1] neg_hi:[0,0,1]
	v_mov_b32_e32 v81, v89
	s_cbranch_execz .LBB37_694
	s_branch .LBB37_695
.LBB37_693:
                                        ; implicit-def: $vgpr80_vgpr81
.LBB37_694:
	ds_load_b64 v[80:81], v1
.LBB37_695:
	s_mov_b32 s2, exec_lo
	v_cmpx_ne_u32_e32 32, v0
	s_cbranch_execz .LBB37_699
; %bb.696:
	v_add_nc_u32_e32 v83, 0x138, v46
	v_add3_u32 v84, 0, v46, 8
	v_mov_b32_e32 v85, v0
	s_mov_b32 s3, 0
.LBB37_697:                             ; =>This Inner Loop Header: Depth=1
	scratch_load_b64 v[86:87], v84, off
	ds_load_b64 v[88:89], v83
	s_wait_xcnt 0x0
	v_dual_add_nc_u32 v83, 8, v83 :: v_dual_add_nc_u32 v84, 8, v84
	s_wait_loadcnt_dscnt 0x0
	v_pk_mul_f32 v[90:91], v[88:89], v[86:87] op_sel:[1,1] op_sel_hi:[0,1]
	s_delay_alu instid0(VALU_DEP_1) | instskip(SKIP_2) | instid1(VALU_DEP_3)
	v_pk_fma_f32 v[92:93], v[88:89], v[86:87], v[90:91] op_sel_hi:[1,0,1]
	v_add_nc_u32_e32 v85, 1, v85
	v_pk_fma_f32 v[86:87], v[88:89], v[86:87], v[90:91] neg_lo:[0,0,1] neg_hi:[0,0,1]
	v_mov_b32_e32 v87, v93
	s_delay_alu instid0(VALU_DEP_3) | instskip(NEXT) | instid1(VALU_DEP_2)
	v_cmp_lt_u32_e32 vcc_lo, 31, v85
	v_pk_add_f32 v[80:81], v[80:81], v[86:87]
	s_or_b32 s3, vcc_lo, s3
	s_delay_alu instid0(SALU_CYCLE_1)
	s_and_not1_b32 exec_lo, exec_lo, s3
	s_cbranch_execnz .LBB37_697
; %bb.698:
	s_or_b32 exec_lo, exec_lo, s3
.LBB37_699:
	s_delay_alu instid0(SALU_CYCLE_1) | instskip(SKIP_4) | instid1(VALU_DEP_1)
	s_or_b32 exec_lo, exec_lo, s2
	v_mov_b32_e32 v83, 0
	ds_load_b64 v[84:85], v83 offset:264
	s_wait_dscnt 0x0
	v_pk_mul_f32 v[86:87], v[80:81], v[84:85] op_sel:[1,1] op_sel_hi:[0,1]
	v_pk_fma_f32 v[88:89], v[80:81], v[84:85], v[86:87] op_sel_hi:[1,0,1]
	v_pk_fma_f32 v[80:81], v[80:81], v[84:85], v[86:87] neg_lo:[0,0,1] neg_hi:[0,0,1]
	s_delay_alu instid0(VALU_DEP_2)
	v_mov_b32_e32 v81, v89
	scratch_store_b64 off, v[80:81], off offset:264
.LBB37_700:
	s_wait_xcnt 0x0
	s_or_b32 exec_lo, exec_lo, s0
	scratch_load_b64 v[80:81], off, off offset:272
	s_mov_b32 s0, exec_lo
	s_wait_loadcnt 0x0
	ds_store_b64 v1, v[80:81]
	s_wait_storecnt_dscnt 0x0
	s_barrier_signal -1
	s_barrier_wait -1
	s_wait_xcnt 0x0
	v_cmpx_gt_u32_e32 34, v0
	s_cbranch_execz .LBB37_710
; %bb.701:
	v_cmp_ne_u32_e32 vcc_lo, 1, v82
	s_cbranch_vccnz .LBB37_703
; %bb.702:
	scratch_load_b64 v[80:81], v47, off
	ds_load_b64 v[84:85], v1
	s_wait_loadcnt_dscnt 0x0
	v_pk_mul_f32 v[86:87], v[84:85], v[80:81] op_sel:[1,1] op_sel_hi:[0,1]
	s_delay_alu instid0(VALU_DEP_1) | instskip(SKIP_1) | instid1(VALU_DEP_2)
	v_pk_fma_f32 v[88:89], v[84:85], v[80:81], v[86:87] op_sel_hi:[1,0,1]
	v_pk_fma_f32 v[80:81], v[84:85], v[80:81], v[86:87] neg_lo:[0,0,1] neg_hi:[0,0,1]
	v_mov_b32_e32 v81, v89
	s_cbranch_execz .LBB37_704
	s_branch .LBB37_705
.LBB37_703:
                                        ; implicit-def: $vgpr80_vgpr81
.LBB37_704:
	ds_load_b64 v[80:81], v1
.LBB37_705:
	s_mov_b32 s2, exec_lo
	v_cmpx_ne_u32_e32 33, v0
	s_cbranch_execz .LBB37_709
; %bb.706:
	v_add_nc_u32_e32 v83, 0x138, v46
	v_add3_u32 v84, 0, v46, 8
	v_mov_b32_e32 v85, v0
	s_mov_b32 s3, 0
.LBB37_707:                             ; =>This Inner Loop Header: Depth=1
	scratch_load_b64 v[86:87], v84, off
	ds_load_b64 v[88:89], v83
	s_wait_xcnt 0x0
	v_dual_add_nc_u32 v83, 8, v83 :: v_dual_add_nc_u32 v84, 8, v84
	s_wait_loadcnt_dscnt 0x0
	v_pk_mul_f32 v[90:91], v[88:89], v[86:87] op_sel:[1,1] op_sel_hi:[0,1]
	s_delay_alu instid0(VALU_DEP_1) | instskip(SKIP_2) | instid1(VALU_DEP_3)
	v_pk_fma_f32 v[92:93], v[88:89], v[86:87], v[90:91] op_sel_hi:[1,0,1]
	v_add_nc_u32_e32 v85, 1, v85
	v_pk_fma_f32 v[86:87], v[88:89], v[86:87], v[90:91] neg_lo:[0,0,1] neg_hi:[0,0,1]
	v_mov_b32_e32 v87, v93
	s_delay_alu instid0(VALU_DEP_3) | instskip(NEXT) | instid1(VALU_DEP_2)
	v_cmp_lt_u32_e32 vcc_lo, 32, v85
	v_pk_add_f32 v[80:81], v[80:81], v[86:87]
	s_or_b32 s3, vcc_lo, s3
	s_delay_alu instid0(SALU_CYCLE_1)
	s_and_not1_b32 exec_lo, exec_lo, s3
	s_cbranch_execnz .LBB37_707
; %bb.708:
	s_or_b32 exec_lo, exec_lo, s3
.LBB37_709:
	s_delay_alu instid0(SALU_CYCLE_1) | instskip(SKIP_4) | instid1(VALU_DEP_1)
	s_or_b32 exec_lo, exec_lo, s2
	v_mov_b32_e32 v83, 0
	ds_load_b64 v[84:85], v83 offset:272
	s_wait_dscnt 0x0
	v_pk_mul_f32 v[86:87], v[80:81], v[84:85] op_sel:[1,1] op_sel_hi:[0,1]
	v_pk_fma_f32 v[88:89], v[80:81], v[84:85], v[86:87] op_sel_hi:[1,0,1]
	v_pk_fma_f32 v[80:81], v[80:81], v[84:85], v[86:87] neg_lo:[0,0,1] neg_hi:[0,0,1]
	s_delay_alu instid0(VALU_DEP_2)
	v_mov_b32_e32 v81, v89
	scratch_store_b64 off, v[80:81], off offset:272
.LBB37_710:
	s_wait_xcnt 0x0
	s_or_b32 exec_lo, exec_lo, s0
	scratch_load_b64 v[80:81], off, off offset:280
	s_mov_b32 s0, exec_lo
	s_wait_loadcnt 0x0
	ds_store_b64 v1, v[80:81]
	s_wait_storecnt_dscnt 0x0
	s_barrier_signal -1
	s_barrier_wait -1
	s_wait_xcnt 0x0
	v_cmpx_gt_u32_e32 35, v0
	s_cbranch_execz .LBB37_720
; %bb.711:
	v_cmp_ne_u32_e32 vcc_lo, 1, v82
	s_cbranch_vccnz .LBB37_713
; %bb.712:
	scratch_load_b64 v[80:81], v47, off
	ds_load_b64 v[84:85], v1
	s_wait_loadcnt_dscnt 0x0
	v_pk_mul_f32 v[86:87], v[84:85], v[80:81] op_sel:[1,1] op_sel_hi:[0,1]
	s_delay_alu instid0(VALU_DEP_1) | instskip(SKIP_1) | instid1(VALU_DEP_2)
	v_pk_fma_f32 v[88:89], v[84:85], v[80:81], v[86:87] op_sel_hi:[1,0,1]
	v_pk_fma_f32 v[80:81], v[84:85], v[80:81], v[86:87] neg_lo:[0,0,1] neg_hi:[0,0,1]
	v_mov_b32_e32 v81, v89
	s_cbranch_execz .LBB37_714
	s_branch .LBB37_715
.LBB37_713:
                                        ; implicit-def: $vgpr80_vgpr81
.LBB37_714:
	ds_load_b64 v[80:81], v1
.LBB37_715:
	s_mov_b32 s2, exec_lo
	v_cmpx_ne_u32_e32 34, v0
	s_cbranch_execz .LBB37_719
; %bb.716:
	v_add_nc_u32_e32 v83, 0x138, v46
	v_add3_u32 v84, 0, v46, 8
	v_mov_b32_e32 v85, v0
	s_mov_b32 s3, 0
.LBB37_717:                             ; =>This Inner Loop Header: Depth=1
	scratch_load_b64 v[86:87], v84, off
	ds_load_b64 v[88:89], v83
	s_wait_xcnt 0x0
	v_dual_add_nc_u32 v83, 8, v83 :: v_dual_add_nc_u32 v84, 8, v84
	s_wait_loadcnt_dscnt 0x0
	v_pk_mul_f32 v[90:91], v[88:89], v[86:87] op_sel:[1,1] op_sel_hi:[0,1]
	s_delay_alu instid0(VALU_DEP_1) | instskip(SKIP_2) | instid1(VALU_DEP_3)
	v_pk_fma_f32 v[92:93], v[88:89], v[86:87], v[90:91] op_sel_hi:[1,0,1]
	v_add_nc_u32_e32 v85, 1, v85
	v_pk_fma_f32 v[86:87], v[88:89], v[86:87], v[90:91] neg_lo:[0,0,1] neg_hi:[0,0,1]
	v_mov_b32_e32 v87, v93
	s_delay_alu instid0(VALU_DEP_3) | instskip(NEXT) | instid1(VALU_DEP_2)
	v_cmp_lt_u32_e32 vcc_lo, 33, v85
	v_pk_add_f32 v[80:81], v[80:81], v[86:87]
	s_or_b32 s3, vcc_lo, s3
	s_delay_alu instid0(SALU_CYCLE_1)
	s_and_not1_b32 exec_lo, exec_lo, s3
	s_cbranch_execnz .LBB37_717
; %bb.718:
	s_or_b32 exec_lo, exec_lo, s3
.LBB37_719:
	s_delay_alu instid0(SALU_CYCLE_1) | instskip(SKIP_4) | instid1(VALU_DEP_1)
	s_or_b32 exec_lo, exec_lo, s2
	v_mov_b32_e32 v83, 0
	ds_load_b64 v[84:85], v83 offset:280
	s_wait_dscnt 0x0
	v_pk_mul_f32 v[86:87], v[80:81], v[84:85] op_sel:[1,1] op_sel_hi:[0,1]
	v_pk_fma_f32 v[88:89], v[80:81], v[84:85], v[86:87] op_sel_hi:[1,0,1]
	v_pk_fma_f32 v[80:81], v[80:81], v[84:85], v[86:87] neg_lo:[0,0,1] neg_hi:[0,0,1]
	s_delay_alu instid0(VALU_DEP_2)
	v_mov_b32_e32 v81, v89
	scratch_store_b64 off, v[80:81], off offset:280
.LBB37_720:
	s_wait_xcnt 0x0
	s_or_b32 exec_lo, exec_lo, s0
	scratch_load_b64 v[80:81], off, off offset:288
	v_cmp_gt_u32_e64 s0, 36, v0
	s_wait_loadcnt 0x0
	ds_store_b64 v1, v[80:81]
	s_wait_storecnt_dscnt 0x0
	s_barrier_signal -1
	s_barrier_wait -1
	s_wait_xcnt 0x0
	s_and_saveexec_b32 s2, s0
	s_cbranch_execz .LBB37_730
; %bb.721:
	v_cmp_ne_u32_e32 vcc_lo, 1, v82
	s_cbranch_vccnz .LBB37_723
; %bb.722:
	scratch_load_b64 v[80:81], v47, off
	ds_load_b64 v[84:85], v1
	s_wait_loadcnt_dscnt 0x0
	v_pk_mul_f32 v[86:87], v[84:85], v[80:81] op_sel:[1,1] op_sel_hi:[0,1]
	s_delay_alu instid0(VALU_DEP_1) | instskip(SKIP_1) | instid1(VALU_DEP_2)
	v_pk_fma_f32 v[88:89], v[84:85], v[80:81], v[86:87] op_sel_hi:[1,0,1]
	v_pk_fma_f32 v[80:81], v[84:85], v[80:81], v[86:87] neg_lo:[0,0,1] neg_hi:[0,0,1]
	v_mov_b32_e32 v81, v89
	s_cbranch_execz .LBB37_724
	s_branch .LBB37_725
.LBB37_723:
                                        ; implicit-def: $vgpr80_vgpr81
.LBB37_724:
	ds_load_b64 v[80:81], v1
.LBB37_725:
	s_mov_b32 s3, exec_lo
	v_cmpx_ne_u32_e32 35, v0
	s_cbranch_execz .LBB37_729
; %bb.726:
	v_add_nc_u32_e32 v83, 0x138, v46
	v_add3_u32 v84, 0, v46, 8
	v_mov_b32_e32 v85, v0
	s_mov_b32 s4, 0
.LBB37_727:                             ; =>This Inner Loop Header: Depth=1
	scratch_load_b64 v[86:87], v84, off
	ds_load_b64 v[88:89], v83
	s_wait_xcnt 0x0
	v_dual_add_nc_u32 v83, 8, v83 :: v_dual_add_nc_u32 v84, 8, v84
	s_wait_loadcnt_dscnt 0x0
	v_pk_mul_f32 v[90:91], v[88:89], v[86:87] op_sel:[1,1] op_sel_hi:[0,1]
	s_delay_alu instid0(VALU_DEP_1) | instskip(SKIP_2) | instid1(VALU_DEP_3)
	v_pk_fma_f32 v[92:93], v[88:89], v[86:87], v[90:91] op_sel_hi:[1,0,1]
	v_add_nc_u32_e32 v85, 1, v85
	v_pk_fma_f32 v[86:87], v[88:89], v[86:87], v[90:91] neg_lo:[0,0,1] neg_hi:[0,0,1]
	v_mov_b32_e32 v87, v93
	s_delay_alu instid0(VALU_DEP_3) | instskip(NEXT) | instid1(VALU_DEP_2)
	v_cmp_lt_u32_e32 vcc_lo, 34, v85
	v_pk_add_f32 v[80:81], v[80:81], v[86:87]
	s_or_b32 s4, vcc_lo, s4
	s_delay_alu instid0(SALU_CYCLE_1)
	s_and_not1_b32 exec_lo, exec_lo, s4
	s_cbranch_execnz .LBB37_727
; %bb.728:
	s_or_b32 exec_lo, exec_lo, s4
.LBB37_729:
	s_delay_alu instid0(SALU_CYCLE_1) | instskip(SKIP_4) | instid1(VALU_DEP_1)
	s_or_b32 exec_lo, exec_lo, s3
	v_mov_b32_e32 v83, 0
	ds_load_b64 v[84:85], v83 offset:288
	s_wait_dscnt 0x0
	v_pk_mul_f32 v[86:87], v[80:81], v[84:85] op_sel:[1,1] op_sel_hi:[0,1]
	v_pk_fma_f32 v[88:89], v[80:81], v[84:85], v[86:87] op_sel_hi:[1,0,1]
	v_pk_fma_f32 v[80:81], v[80:81], v[84:85], v[86:87] neg_lo:[0,0,1] neg_hi:[0,0,1]
	s_delay_alu instid0(VALU_DEP_2)
	v_mov_b32_e32 v81, v89
	scratch_store_b64 off, v[80:81], off offset:288
.LBB37_730:
	s_wait_xcnt 0x0
	s_or_b32 exec_lo, exec_lo, s2
	scratch_load_b64 v[80:81], off, off offset:296
	s_mov_b32 s2, exec_lo
                                        ; implicit-def: $vgpr108
                                        ; implicit-def: $sgpr4
	s_wait_loadcnt 0x0
	ds_store_b64 v1, v[80:81]
	s_wait_storecnt_dscnt 0x0
	s_barrier_signal -1
	s_barrier_wait -1
	s_wait_xcnt 0x0
	v_cmpx_ne_u32_e32 37, v0
	s_cbranch_execz .LBB37_740
; %bb.731:
	v_cmp_ne_u32_e32 vcc_lo, 1, v82
	s_cbranch_vccnz .LBB37_733
; %bb.732:
	scratch_load_b64 v[82:83], v47, off
	ds_load_b64 v[84:85], v1
	s_wait_loadcnt_dscnt 0x0
	v_dual_mul_f32 v47, v85, v83 :: v_dual_mul_f32 v81, v84, v83
	s_delay_alu instid0(VALU_DEP_1)
	v_dual_fma_f32 v80, v84, v82, -v47 :: v_dual_fmac_f32 v81, v85, v82
	s_cbranch_execz .LBB37_734
	s_branch .LBB37_735
.LBB37_733:
                                        ; implicit-def: $vgpr81
.LBB37_734:
	ds_load_b64 v[80:81], v1
.LBB37_735:
	s_and_saveexec_b32 s3, s0
	s_cbranch_execz .LBB37_739
; %bb.736:
	v_add_nc_u32_e32 v1, 0x138, v46
	v_add3_u32 v46, 0, v46, 8
	s_mov_b32 s0, 0
.LBB37_737:                             ; =>This Inner Loop Header: Depth=1
	scratch_load_b64 v[82:83], v46, off
	ds_load_b64 v[84:85], v1
	s_wait_loadcnt_dscnt 0x0
	v_dual_add_nc_u32 v1, 8, v1 :: v_dual_mul_f32 v47, v85, v83
	v_dual_mul_f32 v83, v84, v83 :: v_dual_add_nc_u32 v0, 1, v0
	s_delay_alu instid0(VALU_DEP_2) | instskip(NEXT) | instid1(VALU_DEP_2)
	v_fma_f32 v47, v84, v82, -v47
	v_fmac_f32_e32 v83, v85, v82
	s_delay_alu instid0(VALU_DEP_3) | instskip(NEXT) | instid1(VALU_DEP_3)
	v_cmp_lt_u32_e32 vcc_lo, 35, v0
	v_dual_add_nc_u32 v46, 8, v46 :: v_dual_add_f32 v80, v80, v47
	s_delay_alu instid0(VALU_DEP_3) | instskip(SKIP_1) | instid1(SALU_CYCLE_1)
	v_add_f32_e32 v81, v81, v83
	s_or_b32 s0, vcc_lo, s0
	s_and_not1_b32 exec_lo, exec_lo, s0
	s_cbranch_execnz .LBB37_737
; %bb.738:
	s_or_b32 exec_lo, exec_lo, s0
.LBB37_739:
	s_delay_alu instid0(SALU_CYCLE_1)
	s_or_b32 exec_lo, exec_lo, s3
	v_mov_b32_e32 v0, 0
	s_movk_i32 s4, 0x12c
	s_or_b32 s1, s1, exec_lo
	ds_load_b64 v[0:1], v0 offset:296
	s_wait_dscnt 0x0
	v_dual_mul_f32 v46, v81, v1 :: v_dual_mul_f32 v108, v80, v1
	s_delay_alu instid0(VALU_DEP_1)
	v_dual_fma_f32 v1, v80, v0, -v46 :: v_dual_fmac_f32 v108, v81, v0
	scratch_store_b32 off, v1, off offset:296
.LBB37_740:
	s_wait_xcnt 0x0
	s_or_b32 exec_lo, exec_lo, s2
.LBB37_741:
	v_lshl_add_u64 v[104:105], v[2:3], 3, s[6:7]
	v_lshl_add_u64 v[106:107], v[4:5], 3, s[6:7]
	;; [unrolled: 1-line block ×36, first 2 shown]
	s_and_saveexec_b32 s0, s1
	s_cbranch_execz .LBB37_743
; %bb.742:
	scratch_store_b32 off, v108, s4
.LBB37_743:
	s_wait_xcnt 0x0
	s_or_b32 exec_lo, exec_lo, s0
	s_clause 0x3
	scratch_load_b128 v[48:51], off, off
	scratch_load_b128 v[52:55], off, off offset:16
	scratch_load_b128 v[56:59], off, off offset:32
	;; [unrolled: 1-line block ×3, first 2 shown]
	s_wait_loadcnt 0x3
	s_clause 0x1
	global_store_b64 v[6:7], v[48:49], off
	global_store_b64 v[12:13], v[50:51], off
	s_clause 0x1
	scratch_load_b128 v[48:51], off, off offset:64
	scratch_load_b128 v[64:67], off, off offset:80
	s_wait_loadcnt 0x4
	s_clause 0x1
	global_store_b64 v[104:105], v[52:53], off
	global_store_b64 v[106:107], v[54:55], off
	s_clause 0x1
	scratch_load_b128 v[52:55], off, off offset:96
	scratch_load_b128 v[68:71], off, off offset:112
	s_wait_loadcnt 0x5
	s_clause 0x1
	global_store_b64 v[100:101], v[56:57], off
	global_store_b64 v[102:103], v[58:59], off
	s_clause 0x1
	scratch_load_b128 v[56:59], off, off offset:128
	scratch_load_b128 v[72:75], off, off offset:144
	s_wait_loadcnt 0x6
	s_clause 0x1
	global_store_b64 v[96:97], v[60:61], off
	global_store_b64 v[98:99], v[62:63], off
	s_clause 0x1
	scratch_load_b128 v[60:63], off, off offset:160
	scratch_load_b128 v[76:79], off, off offset:176
	s_wait_loadcnt 0x7
	s_clause 0x1
	global_store_b64 v[92:93], v[48:49], off
	global_store_b64 v[94:95], v[50:51], off
	s_clause 0x1
	scratch_load_b128 v[48:51], off, off offset:192
	scratch_load_b128 v[92:95], off, off offset:208
	s_wait_loadcnt 0x8
	s_clause 0x1
	global_store_b64 v[88:89], v[64:65], off
	global_store_b64 v[90:91], v[66:67], off
	s_clause 0x1
	scratch_load_b128 v[64:67], off, off offset:224
	scratch_load_b128 v[88:91], off, off offset:240
	s_wait_loadcnt 0x9
	s_clause 0x1
	global_store_b64 v[84:85], v[52:53], off
	global_store_b64 v[86:87], v[54:55], off
	s_clause 0x1
	scratch_load_b128 v[52:55], off, off offset:256
	scratch_load_b128 v[84:87], off, off offset:272
	s_wait_loadcnt 0xa
	s_clause 0x1
	global_store_b64 v[80:81], v[68:69], off
	global_store_b64 v[82:83], v[70:71], off
	scratch_load_b128 v[68:71], off, off offset:288
	s_wait_loadcnt 0xa
	s_clause 0x1
	global_store_b64 v[4:5], v[56:57], off
	global_store_b64 v[8:9], v[58:59], off
	s_wait_loadcnt 0x9
	s_clause 0x1
	global_store_b64 v[10:11], v[72:73], off
	global_store_b64 v[14:15], v[74:75], off
	;; [unrolled: 4-line block ×11, first 2 shown]
.LBB37_744:
	s_sendmsg sendmsg(MSG_DEALLOC_VGPRS)
	s_endpgm
	.section	.rodata,"a",@progbits
	.p2align	6, 0x0
	.amdhsa_kernel _ZN9rocsolver6v33100L18trti2_kernel_smallILi38E19rocblas_complex_numIfEPS3_EEv13rocblas_fill_17rocblas_diagonal_T1_iil
		.amdhsa_group_segment_fixed_size 608
		.amdhsa_private_segment_fixed_size 320
		.amdhsa_kernarg_size 32
		.amdhsa_user_sgpr_count 2
		.amdhsa_user_sgpr_dispatch_ptr 0
		.amdhsa_user_sgpr_queue_ptr 0
		.amdhsa_user_sgpr_kernarg_segment_ptr 1
		.amdhsa_user_sgpr_dispatch_id 0
		.amdhsa_user_sgpr_kernarg_preload_length 0
		.amdhsa_user_sgpr_kernarg_preload_offset 0
		.amdhsa_user_sgpr_private_segment_size 0
		.amdhsa_wavefront_size32 1
		.amdhsa_uses_dynamic_stack 0
		.amdhsa_enable_private_segment 1
		.amdhsa_system_sgpr_workgroup_id_x 1
		.amdhsa_system_sgpr_workgroup_id_y 0
		.amdhsa_system_sgpr_workgroup_id_z 0
		.amdhsa_system_sgpr_workgroup_info 0
		.amdhsa_system_vgpr_workitem_id 0
		.amdhsa_next_free_vgpr 109
		.amdhsa_next_free_sgpr 26
		.amdhsa_named_barrier_count 0
		.amdhsa_reserve_vcc 1
		.amdhsa_float_round_mode_32 0
		.amdhsa_float_round_mode_16_64 0
		.amdhsa_float_denorm_mode_32 3
		.amdhsa_float_denorm_mode_16_64 3
		.amdhsa_fp16_overflow 0
		.amdhsa_memory_ordered 1
		.amdhsa_forward_progress 1
		.amdhsa_inst_pref_size 225
		.amdhsa_round_robin_scheduling 0
		.amdhsa_exception_fp_ieee_invalid_op 0
		.amdhsa_exception_fp_denorm_src 0
		.amdhsa_exception_fp_ieee_div_zero 0
		.amdhsa_exception_fp_ieee_overflow 0
		.amdhsa_exception_fp_ieee_underflow 0
		.amdhsa_exception_fp_ieee_inexact 0
		.amdhsa_exception_int_div_zero 0
	.end_amdhsa_kernel
	.section	.text._ZN9rocsolver6v33100L18trti2_kernel_smallILi38E19rocblas_complex_numIfEPS3_EEv13rocblas_fill_17rocblas_diagonal_T1_iil,"axG",@progbits,_ZN9rocsolver6v33100L18trti2_kernel_smallILi38E19rocblas_complex_numIfEPS3_EEv13rocblas_fill_17rocblas_diagonal_T1_iil,comdat
.Lfunc_end37:
	.size	_ZN9rocsolver6v33100L18trti2_kernel_smallILi38E19rocblas_complex_numIfEPS3_EEv13rocblas_fill_17rocblas_diagonal_T1_iil, .Lfunc_end37-_ZN9rocsolver6v33100L18trti2_kernel_smallILi38E19rocblas_complex_numIfEPS3_EEv13rocblas_fill_17rocblas_diagonal_T1_iil
                                        ; -- End function
	.set _ZN9rocsolver6v33100L18trti2_kernel_smallILi38E19rocblas_complex_numIfEPS3_EEv13rocblas_fill_17rocblas_diagonal_T1_iil.num_vgpr, 109
	.set _ZN9rocsolver6v33100L18trti2_kernel_smallILi38E19rocblas_complex_numIfEPS3_EEv13rocblas_fill_17rocblas_diagonal_T1_iil.num_agpr, 0
	.set _ZN9rocsolver6v33100L18trti2_kernel_smallILi38E19rocblas_complex_numIfEPS3_EEv13rocblas_fill_17rocblas_diagonal_T1_iil.numbered_sgpr, 26
	.set _ZN9rocsolver6v33100L18trti2_kernel_smallILi38E19rocblas_complex_numIfEPS3_EEv13rocblas_fill_17rocblas_diagonal_T1_iil.num_named_barrier, 0
	.set _ZN9rocsolver6v33100L18trti2_kernel_smallILi38E19rocblas_complex_numIfEPS3_EEv13rocblas_fill_17rocblas_diagonal_T1_iil.private_seg_size, 320
	.set _ZN9rocsolver6v33100L18trti2_kernel_smallILi38E19rocblas_complex_numIfEPS3_EEv13rocblas_fill_17rocblas_diagonal_T1_iil.uses_vcc, 1
	.set _ZN9rocsolver6v33100L18trti2_kernel_smallILi38E19rocblas_complex_numIfEPS3_EEv13rocblas_fill_17rocblas_diagonal_T1_iil.uses_flat_scratch, 1
	.set _ZN9rocsolver6v33100L18trti2_kernel_smallILi38E19rocblas_complex_numIfEPS3_EEv13rocblas_fill_17rocblas_diagonal_T1_iil.has_dyn_sized_stack, 0
	.set _ZN9rocsolver6v33100L18trti2_kernel_smallILi38E19rocblas_complex_numIfEPS3_EEv13rocblas_fill_17rocblas_diagonal_T1_iil.has_recursion, 0
	.set _ZN9rocsolver6v33100L18trti2_kernel_smallILi38E19rocblas_complex_numIfEPS3_EEv13rocblas_fill_17rocblas_diagonal_T1_iil.has_indirect_call, 0
	.section	.AMDGPU.csdata,"",@progbits
; Kernel info:
; codeLenInByte = 28740
; TotalNumSgprs: 28
; NumVgprs: 109
; ScratchSize: 320
; MemoryBound: 0
; FloatMode: 240
; IeeeMode: 1
; LDSByteSize: 608 bytes/workgroup (compile time only)
; SGPRBlocks: 0
; VGPRBlocks: 6
; NumSGPRsForWavesPerEU: 28
; NumVGPRsForWavesPerEU: 109
; NamedBarCnt: 0
; Occupancy: 9
; WaveLimiterHint : 0
; COMPUTE_PGM_RSRC2:SCRATCH_EN: 1
; COMPUTE_PGM_RSRC2:USER_SGPR: 2
; COMPUTE_PGM_RSRC2:TRAP_HANDLER: 0
; COMPUTE_PGM_RSRC2:TGID_X_EN: 1
; COMPUTE_PGM_RSRC2:TGID_Y_EN: 0
; COMPUTE_PGM_RSRC2:TGID_Z_EN: 0
; COMPUTE_PGM_RSRC2:TIDIG_COMP_CNT: 0
	.section	.text._ZN9rocsolver6v33100L18trti2_kernel_smallILi39E19rocblas_complex_numIfEPS3_EEv13rocblas_fill_17rocblas_diagonal_T1_iil,"axG",@progbits,_ZN9rocsolver6v33100L18trti2_kernel_smallILi39E19rocblas_complex_numIfEPS3_EEv13rocblas_fill_17rocblas_diagonal_T1_iil,comdat
	.globl	_ZN9rocsolver6v33100L18trti2_kernel_smallILi39E19rocblas_complex_numIfEPS3_EEv13rocblas_fill_17rocblas_diagonal_T1_iil ; -- Begin function _ZN9rocsolver6v33100L18trti2_kernel_smallILi39E19rocblas_complex_numIfEPS3_EEv13rocblas_fill_17rocblas_diagonal_T1_iil
	.p2align	8
	.type	_ZN9rocsolver6v33100L18trti2_kernel_smallILi39E19rocblas_complex_numIfEPS3_EEv13rocblas_fill_17rocblas_diagonal_T1_iil,@function
_ZN9rocsolver6v33100L18trti2_kernel_smallILi39E19rocblas_complex_numIfEPS3_EEv13rocblas_fill_17rocblas_diagonal_T1_iil: ; @_ZN9rocsolver6v33100L18trti2_kernel_smallILi39E19rocblas_complex_numIfEPS3_EEv13rocblas_fill_17rocblas_diagonal_T1_iil
; %bb.0:
	s_mov_b32 s2, exec_lo
	v_cmpx_gt_u32_e32 39, v0
	s_cbranch_execz .LBB38_764
; %bb.1:
	s_load_b256 s[4:11], s[0:1], 0x0
	s_wait_xcnt 0x0
	s_bfe_u32 s0, ttmp6, 0x4000c
	s_and_b32 s1, ttmp6, 15
	s_add_co_i32 s0, s0, 1
	s_getreg_b32 s2, hwreg(HW_REG_IB_STS2, 6, 4)
	s_mul_i32 s0, ttmp9, s0
	s_delay_alu instid0(SALU_CYCLE_1)
	s_add_co_i32 s0, s1, s0
	s_wait_kmcnt 0x0
	v_add3_u32 v6, s9, s9, v0
	s_ashr_i32 s1, s8, 31
	s_cmp_eq_u32 s2, 0
	s_cselect_b32 s2, ttmp9, s0
	s_delay_alu instid0(VALU_DEP_1)
	v_add_nc_u32_e32 v8, s9, v6
	s_ashr_i32 s3, s2, 31
	s_mov_b32 s0, s8
	s_mul_u64 s[2:3], s[10:11], s[2:3]
	s_lshl_b64 s[0:1], s[0:1], 3
	v_add_nc_u32_e32 v10, s9, v8
	s_lshl_b64 s[2:3], s[2:3], 3
	s_delay_alu instid0(SALU_CYCLE_1) | instskip(NEXT) | instid1(SALU_CYCLE_1)
	s_add_nc_u64 s[2:3], s[6:7], s[2:3]
	s_add_nc_u64 s[6:7], s[2:3], s[0:1]
	s_delay_alu instid0(VALU_DEP_1) | instskip(SKIP_3) | instid1(VALU_DEP_1)
	v_add_nc_u32_e32 v12, s9, v10
	s_mov_b32 s0, s9
	s_ashr_i32 s1, s9, 31
	s_cmp_lg_u32 s5, 0x84
	v_add_nc_u32_e32 v14, s9, v12
	s_cselect_b32 s3, -1, 0
	s_delay_alu instid0(SALU_CYCLE_1) | instskip(NEXT) | instid1(VALU_DEP_1)
	s_and_b32 vcc_lo, exec_lo, s3
	v_add_nc_u32_e32 v16, s9, v14
	s_delay_alu instid0(VALU_DEP_1)
	v_add_nc_u32_e32 v18, s9, v16
	v_lshlrev_b32_e32 v48, 3, v0
	s_clause 0x1
	global_load_b64 v[56:57], v10, s[6:7] scale_offset
	global_load_b64 v[58:59], v12, s[6:7] scale_offset
	v_dual_mov_b32 v49, 0 :: v_dual_add_nc_u32 v20, s9, v18
	s_delay_alu instid0(VALU_DEP_1) | instskip(NEXT) | instid1(VALU_DEP_2)
	v_add_nc_u32_e32 v22, s9, v20
	v_add_nc_u64_e32 v[2:3], s[6:7], v[48:49]
	s_delay_alu instid0(VALU_DEP_2) | instskip(NEXT) | instid1(VALU_DEP_2)
	v_add_nc_u32_e32 v24, s9, v22
	v_lshl_add_u64 v[4:5], s[0:1], 3, v[2:3]
	s_mov_b32 s0, -1
	s_delay_alu instid0(VALU_DEP_2)
	v_add_nc_u32_e32 v26, s9, v24
	s_clause 0x5
	global_load_b64 v[60:61], v0, s[6:7] scale_offset
	global_load_b64 v[62:63], v[4:5], off
	global_load_b64 v[64:65], v6, s[6:7] scale_offset
	global_load_b64 v[66:67], v8, s[6:7] scale_offset
	;; [unrolled: 1-line block ×4, first 2 shown]
	v_add_nc_u32_e32 v28, s9, v26
	s_clause 0x1
	global_load_b64 v[72:73], v18, s[6:7] scale_offset
	global_load_b64 v[74:75], v20, s[6:7] scale_offset
	v_add_nc_u32_e32 v30, s9, v28
	s_clause 0x1
	global_load_b64 v[76:77], v22, s[6:7] scale_offset
	global_load_b64 v[78:79], v24, s[6:7] scale_offset
	v_add_nc_u32_e32 v32, s9, v30
	s_delay_alu instid0(VALU_DEP_1)
	v_add_nc_u32_e32 v34, s9, v32
	s_clause 0x3
	global_load_b64 v[80:81], v26, s[6:7] scale_offset
	global_load_b64 v[82:83], v28, s[6:7] scale_offset
	;; [unrolled: 1-line block ×4, first 2 shown]
	v_add_nc_u32_e32 v36, s9, v34
	s_delay_alu instid0(VALU_DEP_1) | instskip(NEXT) | instid1(VALU_DEP_1)
	v_add_nc_u32_e32 v38, s9, v36
	v_add_nc_u32_e32 v40, s9, v38
	s_delay_alu instid0(VALU_DEP_1) | instskip(NEXT) | instid1(VALU_DEP_1)
	v_add_nc_u32_e32 v42, s9, v40
	v_add_nc_u32_e32 v44, s9, v42
	s_delay_alu instid0(VALU_DEP_1)
	v_add_nc_u32_e32 v46, s9, v44
	s_clause 0x3
	global_load_b64 v[88:89], v34, s[6:7] scale_offset
	global_load_b64 v[90:91], v36, s[6:7] scale_offset
	;; [unrolled: 1-line block ×4, first 2 shown]
	v_add_nc_u32_e32 v50, s9, v46
	s_delay_alu instid0(VALU_DEP_1) | instskip(NEXT) | instid1(VALU_DEP_1)
	v_add_nc_u32_e32 v52, s9, v50
	v_add_nc_u32_e32 v54, s9, v52
	s_clause 0x5
	global_load_b64 v[96:97], v42, s[6:7] scale_offset
	global_load_b64 v[98:99], v44, s[6:7] scale_offset
	;; [unrolled: 1-line block ×6, first 2 shown]
	s_wait_loadcnt 0x18
	scratch_store_b128 off, v[56:59], off offset:32
	s_wait_xcnt 0x0
	v_add_nc_u32_e32 v56, s9, v54
	s_delay_alu instid0(VALU_DEP_1)
	v_add_nc_u32_e32 v58, s9, v56
	s_wait_loadcnt 0x16
	scratch_store_b128 off, v[60:63], off
	s_wait_loadcnt 0x14
	scratch_store_b128 off, v[64:67], off offset:16
	s_wait_xcnt 0x1
	v_add_nc_u32_e32 v60, s9, v58
	s_wait_loadcnt 0x12
	scratch_store_b128 off, v[68:71], off offset:48
	s_wait_loadcnt 0x10
	scratch_store_b128 off, v[72:75], off offset:64
	v_add_nc_u32_e32 v62, s9, v60
	s_wait_loadcnt 0xe
	scratch_store_b128 off, v[76:79], off offset:80
	s_wait_xcnt 0x3
	v_add_nc_u32_e32 v64, s9, v62
	s_delay_alu instid0(VALU_DEP_1)
	v_add_nc_u32_e32 v66, s9, v64
	s_wait_loadcnt 0xc
	scratch_store_b128 off, v[80:83], off offset:96
	s_clause 0x1
	global_load_b64 v[108:109], v56, s[6:7] scale_offset
	global_load_b64 v[110:111], v58, s[6:7] scale_offset
	s_wait_loadcnt 0xc
	scratch_store_b128 off, v[84:87], off offset:112
	s_wait_loadcnt 0xa
	scratch_store_b128 off, v[88:91], off offset:128
	s_wait_xcnt 0x7
	v_add_nc_u32_e32 v68, s9, v66
	s_delay_alu instid0(VALU_DEP_1)
	v_add_nc_u32_e32 v70, s9, v68
	s_clause 0x3
	global_load_b64 v[82:83], v60, s[6:7] scale_offset
	global_load_b64 v[84:85], v62, s[6:7] scale_offset
	;; [unrolled: 1-line block ×4, first 2 shown]
	s_wait_loadcnt 0xc
	scratch_store_b128 off, v[92:95], off offset:144
	s_wait_loadcnt 0xa
	scratch_store_b128 off, v[96:99], off offset:160
	;; [unrolled: 2-line block ×3, first 2 shown]
	v_add_nc_u32_e32 v72, s9, v70
	s_delay_alu instid0(VALU_DEP_1) | instskip(NEXT) | instid1(VALU_DEP_1)
	v_add_nc_u32_e32 v74, s9, v72
	v_add_nc_u32_e32 v76, s9, v74
	s_delay_alu instid0(VALU_DEP_1)
	v_add_nc_u32_e32 v78, s9, v76
	s_clause 0x3
	global_load_b64 v[90:91], v68, s[6:7] scale_offset
	global_load_b64 v[92:93], v70, s[6:7] scale_offset
	global_load_b64 v[94:95], v72, s[6:7] scale_offset
	global_load_b64 v[96:97], v74, s[6:7] scale_offset
	s_wait_loadcnt 0xa
	scratch_store_b128 off, v[104:107], off offset:192
	v_add_nc_u32_e32 v80, s9, v78
	s_clause 0x2
	global_load_b64 v[98:99], v76, s[6:7] scale_offset
	global_load_b64 v[100:101], v78, s[6:7] scale_offset
	global_load_b64 v[102:103], v80, s[6:7] scale_offset
	s_wait_loadcnt 0xb
	scratch_store_b128 off, v[108:111], off offset:208
	s_wait_loadcnt 0x9
	scratch_store_b128 off, v[82:85], off offset:224
	;; [unrolled: 2-line block ×6, first 2 shown]
	s_wait_loadcnt 0x0
	scratch_store_b64 off, v[102:103], off offset:304
	s_cbranch_vccz .LBB38_7
; %bb.2:
	scratch_load_b64 v[82:83], v0, off scale_offset
                                        ; implicit-def: $vgpr87
                                        ; implicit-def: $vgpr84
	s_wait_loadcnt 0x0
	v_cmp_ngt_f32_e64 s0, |v82|, |v83|
	s_wait_xcnt 0x0
	s_and_saveexec_b32 s1, s0
	s_delay_alu instid0(SALU_CYCLE_1)
	s_xor_b32 s0, exec_lo, s1
	s_cbranch_execz .LBB38_4
; %bb.3:
	v_div_scale_f32 v1, null, v83, v83, v82
	v_div_scale_f32 v11, vcc_lo, v82, v83, v82
	s_delay_alu instid0(VALU_DEP_2) | instskip(SKIP_1) | instid1(TRANS32_DEP_1)
	v_rcp_f32_e32 v7, v1
	v_nop
	v_fma_f32 v9, -v1, v7, 1.0
	s_delay_alu instid0(VALU_DEP_1) | instskip(NEXT) | instid1(VALU_DEP_1)
	v_fmac_f32_e32 v7, v9, v7
	v_mul_f32_e32 v9, v11, v7
	s_delay_alu instid0(VALU_DEP_1) | instskip(NEXT) | instid1(VALU_DEP_1)
	v_fma_f32 v13, -v1, v9, v11
	v_fmac_f32_e32 v9, v13, v7
	s_delay_alu instid0(VALU_DEP_1) | instskip(NEXT) | instid1(VALU_DEP_1)
	v_fma_f32 v1, -v1, v9, v11
	v_div_fmas_f32 v1, v1, v7, v9
	s_delay_alu instid0(VALU_DEP_1) | instskip(NEXT) | instid1(VALU_DEP_1)
	v_div_fixup_f32 v1, v1, v83, v82
	v_fmac_f32_e32 v83, v82, v1
	s_delay_alu instid0(VALU_DEP_1) | instskip(NEXT) | instid1(VALU_DEP_1)
	v_div_scale_f32 v7, null, v83, v83, -1.0
	v_rcp_f32_e32 v9, v7
	v_nop
	s_delay_alu instid0(TRANS32_DEP_1) | instskip(NEXT) | instid1(VALU_DEP_1)
	v_fma_f32 v11, -v7, v9, 1.0
	v_fmac_f32_e32 v9, v11, v9
	v_div_scale_f32 v11, vcc_lo, -1.0, v83, -1.0
	s_delay_alu instid0(VALU_DEP_1) | instskip(NEXT) | instid1(VALU_DEP_1)
	v_mul_f32_e32 v13, v11, v9
	v_fma_f32 v15, -v7, v13, v11
	s_delay_alu instid0(VALU_DEP_1) | instskip(NEXT) | instid1(VALU_DEP_1)
	v_fmac_f32_e32 v13, v15, v9
	v_fma_f32 v7, -v7, v13, v11
	s_delay_alu instid0(VALU_DEP_1) | instskip(NEXT) | instid1(VALU_DEP_1)
	v_div_fmas_f32 v7, v7, v9, v13
	v_div_fixup_f32 v87, v7, v83, -1.0
                                        ; implicit-def: $vgpr82_vgpr83
	s_delay_alu instid0(VALU_DEP_1) | instskip(NEXT) | instid1(VALU_DEP_1)
	v_mul_f32_e32 v84, v1, v87
	v_xor_b32_e32 v86, 0x80000000, v84
.LBB38_4:
	s_or_saveexec_b32 s0, s0
	v_lshl_add_u32 v1, v0, 3, 0
	s_xor_b32 exec_lo, exec_lo, s0
	s_cbranch_execz .LBB38_6
; %bb.5:
	v_div_scale_f32 v7, null, v82, v82, v83
	v_div_scale_f32 v13, vcc_lo, v83, v82, v83
	s_delay_alu instid0(VALU_DEP_2) | instskip(SKIP_1) | instid1(TRANS32_DEP_1)
	v_rcp_f32_e32 v9, v7
	v_nop
	v_fma_f32 v11, -v7, v9, 1.0
	s_delay_alu instid0(VALU_DEP_1) | instskip(NEXT) | instid1(VALU_DEP_1)
	v_fmac_f32_e32 v9, v11, v9
	v_mul_f32_e32 v11, v13, v9
	s_delay_alu instid0(VALU_DEP_1) | instskip(NEXT) | instid1(VALU_DEP_1)
	v_fma_f32 v15, -v7, v11, v13
	v_fmac_f32_e32 v11, v15, v9
	s_delay_alu instid0(VALU_DEP_1) | instskip(NEXT) | instid1(VALU_DEP_1)
	v_fma_f32 v7, -v7, v11, v13
	v_div_fmas_f32 v7, v7, v9, v11
	s_delay_alu instid0(VALU_DEP_1) | instskip(NEXT) | instid1(VALU_DEP_1)
	v_div_fixup_f32 v7, v7, v82, v83
	v_fmac_f32_e32 v82, v83, v7
	s_delay_alu instid0(VALU_DEP_1) | instskip(SKIP_1) | instid1(VALU_DEP_2)
	v_div_scale_f32 v9, null, v82, v82, 1.0
	v_div_scale_f32 v15, vcc_lo, 1.0, v82, 1.0
	v_rcp_f32_e32 v11, v9
	v_nop
	s_delay_alu instid0(TRANS32_DEP_1) | instskip(NEXT) | instid1(VALU_DEP_1)
	v_fma_f32 v13, -v9, v11, 1.0
	v_fmac_f32_e32 v11, v13, v11
	s_delay_alu instid0(VALU_DEP_1) | instskip(NEXT) | instid1(VALU_DEP_1)
	v_mul_f32_e32 v13, v15, v11
	v_fma_f32 v17, -v9, v13, v15
	s_delay_alu instid0(VALU_DEP_1) | instskip(NEXT) | instid1(VALU_DEP_1)
	v_fmac_f32_e32 v13, v17, v11
	v_fma_f32 v9, -v9, v13, v15
	s_delay_alu instid0(VALU_DEP_1) | instskip(NEXT) | instid1(VALU_DEP_1)
	v_div_fmas_f32 v9, v9, v11, v13
	v_div_fixup_f32 v86, v9, v82, 1.0
	s_delay_alu instid0(VALU_DEP_1)
	v_xor_b32_e32 v84, 0x80000000, v86
	v_mul_f32_e64 v87, v7, -v86
.LBB38_6:
	s_or_b32 exec_lo, exec_lo, s0
	s_delay_alu instid0(VALU_DEP_1)
	v_xor_b32_e32 v85, 0x80000000, v87
	s_mov_b32 s0, 0
	scratch_store_b64 v1, v[86:87], off
	ds_store_b64 v48, v[84:85]
.LBB38_7:
	s_and_b32 vcc_lo, exec_lo, s0
	s_cbranch_vccz .LBB38_9
; %bb.8:
	s_mov_b64 s[0:1], 0xbf800000
	s_wait_xcnt 0x5
	v_mov_b64_e32 v[82:83], s[0:1]
	ds_store_b64 v48, v[82:83]
.LBB38_9:
	v_dual_ashrrev_i32 v7, 31, v6 :: v_dual_ashrrev_i32 v9, 31, v8
	v_dual_ashrrev_i32 v11, 31, v10 :: v_dual_ashrrev_i32 v13, 31, v12
	;; [unrolled: 1-line block ×18, first 2 shown]
	v_dual_ashrrev_i32 v79, 31, v78 :: v_dual_mov_b32 v49, v48
	s_wait_xcnt 0x0
	v_add_nc_u32_e32 v1, 0x140, v48
	s_cmp_eq_u32 s4, 0x79
	s_cbranch_scc1 .LBB38_13
; %bb.10:
	scratch_load_b64 v[82:83], off, off offset:296
	v_cmp_eq_u32_e64 s0, 38, v0
	s_movk_i32 s1, 0x50
	s_movk_i32 s2, 0x60
	;; [unrolled: 1-line block ×14, first 2 shown]
	s_wait_loadcnt 0x0
	ds_store_b64 v1, v[82:83]
	s_wait_storecnt_dscnt 0x0
	s_barrier_signal -1
	s_barrier_wait -1
	s_wait_xcnt 0x0
	s_and_saveexec_b32 s4, s0
	s_cbranch_execz .LBB38_17
; %bb.11:
	s_and_b32 vcc_lo, exec_lo, s3
	s_cbranch_vccz .LBB38_14
; %bb.12:
	scratch_load_b64 v[82:83], v49, off
	ds_load_b64 v[84:85], v1
	s_wait_loadcnt_dscnt 0x0
	v_pk_mul_f32 v[86:87], v[84:85], v[82:83] op_sel:[1,1] op_sel_hi:[0,1]
	v_pk_mul_f32 v[88:89], v[84:85], v[82:83] op_sel_hi:[1,0]
	s_delay_alu instid0(VALU_DEP_2) | instskip(NEXT) | instid1(VALU_DEP_2)
	v_pk_fma_f32 v[82:83], v[84:85], v[82:83], v[86:87] op_sel_hi:[1,0,1]
	v_sub_f32_e32 v82, v88, v86
	s_cbranch_execz .LBB38_15
	s_branch .LBB38_16
.LBB38_13:
	s_mov_b32 s1, 0
                                        ; implicit-def: $vgpr102
                                        ; implicit-def: $sgpr4
	s_cbranch_execnz .LBB38_386
	s_branch .LBB38_761
.LBB38_14:
                                        ; implicit-def: $vgpr83
.LBB38_15:
	ds_load_b64 v[82:83], v1
.LBB38_16:
	s_wait_dscnt 0x0
	v_dual_mov_b32 v84, 0 :: v_dual_mov_b32 v86, v83
	v_mov_b32_e32 v87, v82
	ds_load_b64 v[84:85], v84 offset:296
	s_wait_dscnt 0x0
	v_pk_mul_f32 v[86:87], v[86:87], v[84:85] op_sel:[0,1]
	s_delay_alu instid0(VALU_DEP_1) | instskip(SKIP_1) | instid1(VALU_DEP_2)
	v_pk_fma_f32 v[88:89], v[82:83], v[84:85], v[86:87] op_sel_hi:[1,0,1]
	v_pk_fma_f32 v[82:83], v[82:83], v[84:85], v[86:87] neg_lo:[0,0,1] neg_hi:[0,0,1]
	v_mov_b32_e32 v83, v89
	scratch_store_b64 off, v[82:83], off offset:296
.LBB38_17:
	s_wait_xcnt 0x0
	s_or_b32 exec_lo, exec_lo, s4
	scratch_load_b64 v[82:83], off, off offset:288
	s_mov_b32 s11, s2
	v_cmp_lt_u32_e64 s2, 36, v0
	s_mov_b32 s4, 16
	s_mov_b32 s5, 32
	;; [unrolled: 1-line block ×5, first 2 shown]
	s_wait_loadcnt 0x0
	ds_store_b64 v1, v[82:83]
	s_wait_storecnt_dscnt 0x0
	s_barrier_signal -1
	s_barrier_wait -1
	s_wait_xcnt 0x0
	s_and_saveexec_b32 s1, s2
	s_cbranch_execz .LBB38_25
; %bb.18:
	s_and_not1_b32 vcc_lo, exec_lo, s3
	s_cbranch_vccnz .LBB38_20
; %bb.19:
	scratch_load_b64 v[82:83], v49, off
	ds_load_b64 v[84:85], v1
	s_wait_loadcnt_dscnt 0x0
	v_pk_mul_f32 v[86:87], v[84:85], v[82:83] op_sel:[1,1] op_sel_hi:[0,1]
	s_delay_alu instid0(VALU_DEP_1) | instskip(SKIP_1) | instid1(VALU_DEP_2)
	v_pk_fma_f32 v[88:89], v[84:85], v[82:83], v[86:87] op_sel_hi:[1,0,1]
	v_pk_fma_f32 v[82:83], v[84:85], v[82:83], v[86:87] neg_lo:[0,0,1] neg_hi:[0,0,1]
	v_mov_b32_e32 v83, v89
	s_cbranch_execz .LBB38_21
	s_branch .LBB38_22
.LBB38_20:
                                        ; implicit-def: $vgpr82_vgpr83
.LBB38_21:
	ds_load_b64 v[82:83], v1
.LBB38_22:
	s_and_saveexec_b32 s24, s0
	s_cbranch_execz .LBB38_24
; %bb.23:
	scratch_load_b64 v[84:85], off, off offset:296
	v_mov_b32_e32 v86, 0
	ds_load_b64 v[86:87], v86 offset:616
	s_wait_loadcnt_dscnt 0x0
	v_pk_mul_f32 v[88:89], v[86:87], v[84:85] op_sel:[1,1] op_sel_hi:[0,1]
	s_delay_alu instid0(VALU_DEP_1) | instskip(SKIP_1) | instid1(VALU_DEP_2)
	v_pk_fma_f32 v[90:91], v[86:87], v[84:85], v[88:89] op_sel_hi:[1,0,1]
	v_pk_fma_f32 v[84:85], v[86:87], v[84:85], v[88:89] neg_lo:[0,0,1] neg_hi:[0,0,1]
	v_mov_b32_e32 v85, v91
	s_delay_alu instid0(VALU_DEP_1)
	v_pk_add_f32 v[82:83], v[82:83], v[84:85]
.LBB38_24:
	s_or_b32 exec_lo, exec_lo, s24
	v_mov_b32_e32 v84, 0
	ds_load_b64 v[84:85], v84 offset:288
	s_wait_dscnt 0x0
	v_pk_mul_f32 v[86:87], v[82:83], v[84:85] op_sel:[1,1] op_sel_hi:[0,1]
	s_delay_alu instid0(VALU_DEP_1) | instskip(SKIP_1) | instid1(VALU_DEP_2)
	v_pk_fma_f32 v[88:89], v[82:83], v[84:85], v[86:87] op_sel_hi:[1,0,1]
	v_pk_fma_f32 v[82:83], v[82:83], v[84:85], v[86:87] neg_lo:[0,0,1] neg_hi:[0,0,1]
	v_mov_b32_e32 v83, v89
	scratch_store_b64 off, v[82:83], off offset:288
.LBB38_25:
	s_wait_xcnt 0x0
	s_or_b32 exec_lo, exec_lo, s1
	scratch_load_b64 v[82:83], off, off offset:280
	v_cmp_lt_u32_e64 s1, 35, v0
	s_wait_loadcnt 0x0
	ds_store_b64 v1, v[82:83]
	s_wait_storecnt_dscnt 0x0
	s_barrier_signal -1
	s_barrier_wait -1
	s_wait_xcnt 0x0
	s_and_saveexec_b32 s0, s1
	s_cbranch_execz .LBB38_35
; %bb.26:
	s_and_not1_b32 vcc_lo, exec_lo, s3
	s_cbranch_vccnz .LBB38_28
; %bb.27:
	scratch_load_b64 v[82:83], v49, off
	ds_load_b64 v[84:85], v1
	s_wait_loadcnt_dscnt 0x0
	v_pk_mul_f32 v[86:87], v[84:85], v[82:83] op_sel:[1,1] op_sel_hi:[0,1]
	s_delay_alu instid0(VALU_DEP_1) | instskip(SKIP_1) | instid1(VALU_DEP_2)
	v_pk_fma_f32 v[88:89], v[84:85], v[82:83], v[86:87] op_sel_hi:[1,0,1]
	v_pk_fma_f32 v[82:83], v[84:85], v[82:83], v[86:87] neg_lo:[0,0,1] neg_hi:[0,0,1]
	v_mov_b32_e32 v83, v89
	s_cbranch_execz .LBB38_29
	s_branch .LBB38_30
.LBB38_28:
                                        ; implicit-def: $vgpr82_vgpr83
.LBB38_29:
	ds_load_b64 v[82:83], v1
.LBB38_30:
	s_and_saveexec_b32 s24, s2
	s_cbranch_execz .LBB38_34
; %bb.31:
	v_subrev_nc_u32_e32 v84, 36, v0
	s_movk_i32 s25, 0x260
	s_mov_b32 s2, 0
.LBB38_32:                              ; =>This Inner Loop Header: Depth=1
	scratch_load_b64 v[86:87], off, s23
	v_dual_mov_b32 v85, s25 :: v_dual_add_nc_u32 v84, -1, v84
	s_add_co_i32 s25, s25, 8
	s_wait_xcnt 0x0
	s_add_co_i32 s23, s23, 8
	ds_load_b64 v[88:89], v85
	v_cmp_eq_u32_e32 vcc_lo, 0, v84
	s_or_b32 s2, vcc_lo, s2
	s_wait_loadcnt_dscnt 0x0
	v_pk_mul_f32 v[90:91], v[88:89], v[86:87] op_sel:[1,1] op_sel_hi:[0,1]
	s_delay_alu instid0(VALU_DEP_1) | instskip(SKIP_1) | instid1(VALU_DEP_2)
	v_pk_fma_f32 v[92:93], v[88:89], v[86:87], v[90:91] op_sel_hi:[1,0,1]
	v_pk_fma_f32 v[86:87], v[88:89], v[86:87], v[90:91] neg_lo:[0,0,1] neg_hi:[0,0,1]
	v_mov_b32_e32 v87, v93
	s_delay_alu instid0(VALU_DEP_1)
	v_pk_add_f32 v[82:83], v[82:83], v[86:87]
	s_and_not1_b32 exec_lo, exec_lo, s2
	s_cbranch_execnz .LBB38_32
; %bb.33:
	s_or_b32 exec_lo, exec_lo, s2
.LBB38_34:
	s_delay_alu instid0(SALU_CYCLE_1) | instskip(SKIP_4) | instid1(VALU_DEP_1)
	s_or_b32 exec_lo, exec_lo, s24
	v_mov_b32_e32 v84, 0
	ds_load_b64 v[84:85], v84 offset:280
	s_wait_dscnt 0x0
	v_pk_mul_f32 v[86:87], v[82:83], v[84:85] op_sel:[1,1] op_sel_hi:[0,1]
	v_pk_fma_f32 v[88:89], v[82:83], v[84:85], v[86:87] op_sel_hi:[1,0,1]
	v_pk_fma_f32 v[82:83], v[82:83], v[84:85], v[86:87] neg_lo:[0,0,1] neg_hi:[0,0,1]
	s_delay_alu instid0(VALU_DEP_2)
	v_mov_b32_e32 v83, v89
	scratch_store_b64 off, v[82:83], off offset:280
.LBB38_35:
	s_wait_xcnt 0x0
	s_or_b32 exec_lo, exec_lo, s0
	scratch_load_b64 v[82:83], off, off offset:272
	v_cmp_lt_u32_e64 s0, 34, v0
	s_wait_loadcnt 0x0
	ds_store_b64 v1, v[82:83]
	s_wait_storecnt_dscnt 0x0
	s_barrier_signal -1
	s_barrier_wait -1
	s_wait_xcnt 0x0
	s_and_saveexec_b32 s2, s0
	s_cbranch_execz .LBB38_45
; %bb.36:
	s_and_not1_b32 vcc_lo, exec_lo, s3
	s_cbranch_vccnz .LBB38_38
; %bb.37:
	scratch_load_b64 v[82:83], v49, off
	ds_load_b64 v[84:85], v1
	s_wait_loadcnt_dscnt 0x0
	v_pk_mul_f32 v[86:87], v[84:85], v[82:83] op_sel:[1,1] op_sel_hi:[0,1]
	s_delay_alu instid0(VALU_DEP_1) | instskip(SKIP_1) | instid1(VALU_DEP_2)
	v_pk_fma_f32 v[88:89], v[84:85], v[82:83], v[86:87] op_sel_hi:[1,0,1]
	v_pk_fma_f32 v[82:83], v[84:85], v[82:83], v[86:87] neg_lo:[0,0,1] neg_hi:[0,0,1]
	v_mov_b32_e32 v83, v89
	s_cbranch_execz .LBB38_39
	s_branch .LBB38_40
.LBB38_38:
                                        ; implicit-def: $vgpr82_vgpr83
.LBB38_39:
	ds_load_b64 v[82:83], v1
.LBB38_40:
	s_and_saveexec_b32 s23, s1
	s_cbranch_execz .LBB38_44
; %bb.41:
	v_subrev_nc_u32_e32 v84, 35, v0
	s_movk_i32 s1, 0x118
	s_movk_i32 s25, 0x258
	s_mov_b32 s24, 0
.LBB38_42:                              ; =>This Inner Loop Header: Depth=1
	scratch_load_b64 v[86:87], off, s1
	v_dual_mov_b32 v85, s25 :: v_dual_add_nc_u32 v84, -1, v84
	s_add_co_i32 s25, s25, 8
	s_wait_xcnt 0x0
	s_add_co_i32 s1, s1, 8
	ds_load_b64 v[88:89], v85
	v_cmp_eq_u32_e32 vcc_lo, 0, v84
	s_or_b32 s24, vcc_lo, s24
	s_wait_loadcnt_dscnt 0x0
	v_pk_mul_f32 v[90:91], v[88:89], v[86:87] op_sel:[1,1] op_sel_hi:[0,1]
	s_delay_alu instid0(VALU_DEP_1) | instskip(SKIP_1) | instid1(VALU_DEP_2)
	v_pk_fma_f32 v[92:93], v[88:89], v[86:87], v[90:91] op_sel_hi:[1,0,1]
	v_pk_fma_f32 v[86:87], v[88:89], v[86:87], v[90:91] neg_lo:[0,0,1] neg_hi:[0,0,1]
	v_mov_b32_e32 v87, v93
	s_delay_alu instid0(VALU_DEP_1)
	v_pk_add_f32 v[82:83], v[82:83], v[86:87]
	s_and_not1_b32 exec_lo, exec_lo, s24
	s_cbranch_execnz .LBB38_42
; %bb.43:
	s_or_b32 exec_lo, exec_lo, s24
.LBB38_44:
	s_delay_alu instid0(SALU_CYCLE_1) | instskip(SKIP_4) | instid1(VALU_DEP_1)
	s_or_b32 exec_lo, exec_lo, s23
	v_mov_b32_e32 v84, 0
	ds_load_b64 v[84:85], v84 offset:272
	s_wait_dscnt 0x0
	v_pk_mul_f32 v[86:87], v[82:83], v[84:85] op_sel:[1,1] op_sel_hi:[0,1]
	v_pk_fma_f32 v[88:89], v[82:83], v[84:85], v[86:87] op_sel_hi:[1,0,1]
	v_pk_fma_f32 v[82:83], v[82:83], v[84:85], v[86:87] neg_lo:[0,0,1] neg_hi:[0,0,1]
	s_delay_alu instid0(VALU_DEP_2)
	v_mov_b32_e32 v83, v89
	scratch_store_b64 off, v[82:83], off offset:272
.LBB38_45:
	s_wait_xcnt 0x0
	s_or_b32 exec_lo, exec_lo, s2
	scratch_load_b64 v[82:83], off, off offset:264
	v_cmp_lt_u32_e64 s1, 33, v0
	s_wait_loadcnt 0x0
	ds_store_b64 v1, v[82:83]
	s_wait_storecnt_dscnt 0x0
	s_barrier_signal -1
	s_barrier_wait -1
	s_wait_xcnt 0x0
	s_and_saveexec_b32 s2, s1
	s_cbranch_execz .LBB38_55
; %bb.46:
	s_and_not1_b32 vcc_lo, exec_lo, s3
	s_cbranch_vccnz .LBB38_48
; %bb.47:
	scratch_load_b64 v[82:83], v49, off
	ds_load_b64 v[84:85], v1
	s_wait_loadcnt_dscnt 0x0
	v_pk_mul_f32 v[86:87], v[84:85], v[82:83] op_sel:[1,1] op_sel_hi:[0,1]
	s_delay_alu instid0(VALU_DEP_1) | instskip(SKIP_1) | instid1(VALU_DEP_2)
	v_pk_fma_f32 v[88:89], v[84:85], v[82:83], v[86:87] op_sel_hi:[1,0,1]
	v_pk_fma_f32 v[82:83], v[84:85], v[82:83], v[86:87] neg_lo:[0,0,1] neg_hi:[0,0,1]
	v_mov_b32_e32 v83, v89
	s_cbranch_execz .LBB38_49
	s_branch .LBB38_50
.LBB38_48:
                                        ; implicit-def: $vgpr82_vgpr83
.LBB38_49:
	ds_load_b64 v[82:83], v1
.LBB38_50:
	s_and_saveexec_b32 s23, s0
	s_cbranch_execz .LBB38_54
; %bb.51:
	v_subrev_nc_u32_e32 v84, 34, v0
	s_movk_i32 s24, 0x250
	s_mov_b32 s0, 0
.LBB38_52:                              ; =>This Inner Loop Header: Depth=1
	scratch_load_b64 v[86:87], off, s22
	v_dual_mov_b32 v85, s24 :: v_dual_add_nc_u32 v84, -1, v84
	s_add_co_i32 s24, s24, 8
	s_wait_xcnt 0x0
	s_add_co_i32 s22, s22, 8
	ds_load_b64 v[88:89], v85
	v_cmp_eq_u32_e32 vcc_lo, 0, v84
	s_or_b32 s0, vcc_lo, s0
	s_wait_loadcnt_dscnt 0x0
	v_pk_mul_f32 v[90:91], v[88:89], v[86:87] op_sel:[1,1] op_sel_hi:[0,1]
	s_delay_alu instid0(VALU_DEP_1) | instskip(SKIP_1) | instid1(VALU_DEP_2)
	v_pk_fma_f32 v[92:93], v[88:89], v[86:87], v[90:91] op_sel_hi:[1,0,1]
	v_pk_fma_f32 v[86:87], v[88:89], v[86:87], v[90:91] neg_lo:[0,0,1] neg_hi:[0,0,1]
	v_mov_b32_e32 v87, v93
	s_delay_alu instid0(VALU_DEP_1)
	v_pk_add_f32 v[82:83], v[82:83], v[86:87]
	s_and_not1_b32 exec_lo, exec_lo, s0
	s_cbranch_execnz .LBB38_52
; %bb.53:
	s_or_b32 exec_lo, exec_lo, s0
.LBB38_54:
	s_delay_alu instid0(SALU_CYCLE_1) | instskip(SKIP_4) | instid1(VALU_DEP_1)
	s_or_b32 exec_lo, exec_lo, s23
	v_mov_b32_e32 v84, 0
	ds_load_b64 v[84:85], v84 offset:264
	s_wait_dscnt 0x0
	v_pk_mul_f32 v[86:87], v[82:83], v[84:85] op_sel:[1,1] op_sel_hi:[0,1]
	v_pk_fma_f32 v[88:89], v[82:83], v[84:85], v[86:87] op_sel_hi:[1,0,1]
	v_pk_fma_f32 v[82:83], v[82:83], v[84:85], v[86:87] neg_lo:[0,0,1] neg_hi:[0,0,1]
	s_delay_alu instid0(VALU_DEP_2)
	v_mov_b32_e32 v83, v89
	scratch_store_b64 off, v[82:83], off offset:264
.LBB38_55:
	s_wait_xcnt 0x0
	s_or_b32 exec_lo, exec_lo, s2
	scratch_load_b64 v[82:83], off, off offset:256
	v_cmp_lt_u32_e64 s0, 32, v0
	s_wait_loadcnt 0x0
	ds_store_b64 v1, v[82:83]
	s_wait_storecnt_dscnt 0x0
	s_barrier_signal -1
	s_barrier_wait -1
	s_wait_xcnt 0x0
	s_and_saveexec_b32 s2, s0
	s_cbranch_execz .LBB38_65
; %bb.56:
	s_and_not1_b32 vcc_lo, exec_lo, s3
	s_cbranch_vccnz .LBB38_58
; %bb.57:
	scratch_load_b64 v[82:83], v49, off
	ds_load_b64 v[84:85], v1
	s_wait_loadcnt_dscnt 0x0
	v_pk_mul_f32 v[86:87], v[84:85], v[82:83] op_sel:[1,1] op_sel_hi:[0,1]
	s_delay_alu instid0(VALU_DEP_1) | instskip(SKIP_1) | instid1(VALU_DEP_2)
	v_pk_fma_f32 v[88:89], v[84:85], v[82:83], v[86:87] op_sel_hi:[1,0,1]
	v_pk_fma_f32 v[82:83], v[84:85], v[82:83], v[86:87] neg_lo:[0,0,1] neg_hi:[0,0,1]
	v_mov_b32_e32 v83, v89
	s_cbranch_execz .LBB38_59
	s_branch .LBB38_60
.LBB38_58:
                                        ; implicit-def: $vgpr82_vgpr83
.LBB38_59:
	ds_load_b64 v[82:83], v1
.LBB38_60:
	s_and_saveexec_b32 s22, s1
	s_cbranch_execz .LBB38_64
; %bb.61:
	v_subrev_nc_u32_e32 v84, 33, v0
	s_movk_i32 s1, 0x108
	s_movk_i32 s24, 0x248
	s_mov_b32 s23, 0
.LBB38_62:                              ; =>This Inner Loop Header: Depth=1
	scratch_load_b64 v[86:87], off, s1
	v_dual_mov_b32 v85, s24 :: v_dual_add_nc_u32 v84, -1, v84
	s_add_co_i32 s24, s24, 8
	s_wait_xcnt 0x0
	s_add_co_i32 s1, s1, 8
	ds_load_b64 v[88:89], v85
	v_cmp_eq_u32_e32 vcc_lo, 0, v84
	s_or_b32 s23, vcc_lo, s23
	s_wait_loadcnt_dscnt 0x0
	v_pk_mul_f32 v[90:91], v[88:89], v[86:87] op_sel:[1,1] op_sel_hi:[0,1]
	s_delay_alu instid0(VALU_DEP_1) | instskip(SKIP_1) | instid1(VALU_DEP_2)
	v_pk_fma_f32 v[92:93], v[88:89], v[86:87], v[90:91] op_sel_hi:[1,0,1]
	v_pk_fma_f32 v[86:87], v[88:89], v[86:87], v[90:91] neg_lo:[0,0,1] neg_hi:[0,0,1]
	v_mov_b32_e32 v87, v93
	s_delay_alu instid0(VALU_DEP_1)
	v_pk_add_f32 v[82:83], v[82:83], v[86:87]
	s_and_not1_b32 exec_lo, exec_lo, s23
	s_cbranch_execnz .LBB38_62
; %bb.63:
	s_or_b32 exec_lo, exec_lo, s23
.LBB38_64:
	s_delay_alu instid0(SALU_CYCLE_1) | instskip(SKIP_4) | instid1(VALU_DEP_1)
	s_or_b32 exec_lo, exec_lo, s22
	v_mov_b32_e32 v84, 0
	ds_load_b64 v[84:85], v84 offset:256
	s_wait_dscnt 0x0
	v_pk_mul_f32 v[86:87], v[82:83], v[84:85] op_sel:[1,1] op_sel_hi:[0,1]
	v_pk_fma_f32 v[88:89], v[82:83], v[84:85], v[86:87] op_sel_hi:[1,0,1]
	v_pk_fma_f32 v[82:83], v[82:83], v[84:85], v[86:87] neg_lo:[0,0,1] neg_hi:[0,0,1]
	s_delay_alu instid0(VALU_DEP_2)
	v_mov_b32_e32 v83, v89
	scratch_store_b64 off, v[82:83], off offset:256
.LBB38_65:
	s_wait_xcnt 0x0
	s_or_b32 exec_lo, exec_lo, s2
	scratch_load_b64 v[82:83], off, off offset:248
	v_cmp_lt_u32_e64 s1, 31, v0
	s_wait_loadcnt 0x0
	ds_store_b64 v1, v[82:83]
	s_wait_storecnt_dscnt 0x0
	s_barrier_signal -1
	s_barrier_wait -1
	s_wait_xcnt 0x0
	s_and_saveexec_b32 s2, s1
	s_cbranch_execz .LBB38_75
; %bb.66:
	s_and_not1_b32 vcc_lo, exec_lo, s3
	s_cbranch_vccnz .LBB38_68
; %bb.67:
	scratch_load_b64 v[82:83], v49, off
	ds_load_b64 v[84:85], v1
	s_wait_loadcnt_dscnt 0x0
	v_pk_mul_f32 v[86:87], v[84:85], v[82:83] op_sel:[1,1] op_sel_hi:[0,1]
	s_delay_alu instid0(VALU_DEP_1) | instskip(SKIP_1) | instid1(VALU_DEP_2)
	v_pk_fma_f32 v[88:89], v[84:85], v[82:83], v[86:87] op_sel_hi:[1,0,1]
	v_pk_fma_f32 v[82:83], v[84:85], v[82:83], v[86:87] neg_lo:[0,0,1] neg_hi:[0,0,1]
	v_mov_b32_e32 v83, v89
	s_cbranch_execz .LBB38_69
	s_branch .LBB38_70
.LBB38_68:
                                        ; implicit-def: $vgpr82_vgpr83
.LBB38_69:
	ds_load_b64 v[82:83], v1
.LBB38_70:
	s_and_saveexec_b32 s22, s0
	s_cbranch_execz .LBB38_74
; %bb.71:
	v_subrev_nc_u32_e32 v84, 32, v0
	s_movk_i32 s23, 0x240
	s_mov_b32 s0, 0
.LBB38_72:                              ; =>This Inner Loop Header: Depth=1
	scratch_load_b64 v[86:87], off, s21
	v_dual_mov_b32 v85, s23 :: v_dual_add_nc_u32 v84, -1, v84
	s_add_co_i32 s23, s23, 8
	s_wait_xcnt 0x0
	s_add_co_i32 s21, s21, 8
	ds_load_b64 v[88:89], v85
	v_cmp_eq_u32_e32 vcc_lo, 0, v84
	s_or_b32 s0, vcc_lo, s0
	s_wait_loadcnt_dscnt 0x0
	v_pk_mul_f32 v[90:91], v[88:89], v[86:87] op_sel:[1,1] op_sel_hi:[0,1]
	s_delay_alu instid0(VALU_DEP_1) | instskip(SKIP_1) | instid1(VALU_DEP_2)
	v_pk_fma_f32 v[92:93], v[88:89], v[86:87], v[90:91] op_sel_hi:[1,0,1]
	v_pk_fma_f32 v[86:87], v[88:89], v[86:87], v[90:91] neg_lo:[0,0,1] neg_hi:[0,0,1]
	v_mov_b32_e32 v87, v93
	s_delay_alu instid0(VALU_DEP_1)
	v_pk_add_f32 v[82:83], v[82:83], v[86:87]
	s_and_not1_b32 exec_lo, exec_lo, s0
	s_cbranch_execnz .LBB38_72
; %bb.73:
	s_or_b32 exec_lo, exec_lo, s0
.LBB38_74:
	s_delay_alu instid0(SALU_CYCLE_1) | instskip(SKIP_4) | instid1(VALU_DEP_1)
	s_or_b32 exec_lo, exec_lo, s22
	v_mov_b32_e32 v84, 0
	ds_load_b64 v[84:85], v84 offset:248
	s_wait_dscnt 0x0
	v_pk_mul_f32 v[86:87], v[82:83], v[84:85] op_sel:[1,1] op_sel_hi:[0,1]
	v_pk_fma_f32 v[88:89], v[82:83], v[84:85], v[86:87] op_sel_hi:[1,0,1]
	v_pk_fma_f32 v[82:83], v[82:83], v[84:85], v[86:87] neg_lo:[0,0,1] neg_hi:[0,0,1]
	s_delay_alu instid0(VALU_DEP_2)
	v_mov_b32_e32 v83, v89
	scratch_store_b64 off, v[82:83], off offset:248
.LBB38_75:
	s_wait_xcnt 0x0
	s_or_b32 exec_lo, exec_lo, s2
	scratch_load_b64 v[82:83], off, off offset:240
	v_cmp_lt_u32_e64 s0, 30, v0
	s_wait_loadcnt 0x0
	ds_store_b64 v1, v[82:83]
	s_wait_storecnt_dscnt 0x0
	s_barrier_signal -1
	s_barrier_wait -1
	s_wait_xcnt 0x0
	s_and_saveexec_b32 s2, s0
	s_cbranch_execz .LBB38_85
; %bb.76:
	s_and_not1_b32 vcc_lo, exec_lo, s3
	s_cbranch_vccnz .LBB38_78
; %bb.77:
	scratch_load_b64 v[82:83], v49, off
	ds_load_b64 v[84:85], v1
	s_wait_loadcnt_dscnt 0x0
	v_pk_mul_f32 v[86:87], v[84:85], v[82:83] op_sel:[1,1] op_sel_hi:[0,1]
	s_delay_alu instid0(VALU_DEP_1) | instskip(SKIP_1) | instid1(VALU_DEP_2)
	v_pk_fma_f32 v[88:89], v[84:85], v[82:83], v[86:87] op_sel_hi:[1,0,1]
	v_pk_fma_f32 v[82:83], v[84:85], v[82:83], v[86:87] neg_lo:[0,0,1] neg_hi:[0,0,1]
	v_mov_b32_e32 v83, v89
	s_cbranch_execz .LBB38_79
	s_branch .LBB38_80
.LBB38_78:
                                        ; implicit-def: $vgpr82_vgpr83
.LBB38_79:
	ds_load_b64 v[82:83], v1
.LBB38_80:
	s_and_saveexec_b32 s21, s1
	s_cbranch_execz .LBB38_84
; %bb.81:
	v_subrev_nc_u32_e32 v84, 31, v0
	s_movk_i32 s1, 0xf8
	s_movk_i32 s23, 0x238
	s_mov_b32 s22, 0
.LBB38_82:                              ; =>This Inner Loop Header: Depth=1
	scratch_load_b64 v[86:87], off, s1
	v_dual_mov_b32 v85, s23 :: v_dual_add_nc_u32 v84, -1, v84
	s_add_co_i32 s23, s23, 8
	s_wait_xcnt 0x0
	s_add_co_i32 s1, s1, 8
	ds_load_b64 v[88:89], v85
	v_cmp_eq_u32_e32 vcc_lo, 0, v84
	s_or_b32 s22, vcc_lo, s22
	s_wait_loadcnt_dscnt 0x0
	v_pk_mul_f32 v[90:91], v[88:89], v[86:87] op_sel:[1,1] op_sel_hi:[0,1]
	s_delay_alu instid0(VALU_DEP_1) | instskip(SKIP_1) | instid1(VALU_DEP_2)
	v_pk_fma_f32 v[92:93], v[88:89], v[86:87], v[90:91] op_sel_hi:[1,0,1]
	v_pk_fma_f32 v[86:87], v[88:89], v[86:87], v[90:91] neg_lo:[0,0,1] neg_hi:[0,0,1]
	v_mov_b32_e32 v87, v93
	s_delay_alu instid0(VALU_DEP_1)
	v_pk_add_f32 v[82:83], v[82:83], v[86:87]
	s_and_not1_b32 exec_lo, exec_lo, s22
	s_cbranch_execnz .LBB38_82
; %bb.83:
	s_or_b32 exec_lo, exec_lo, s22
.LBB38_84:
	s_delay_alu instid0(SALU_CYCLE_1) | instskip(SKIP_4) | instid1(VALU_DEP_1)
	s_or_b32 exec_lo, exec_lo, s21
	v_mov_b32_e32 v84, 0
	ds_load_b64 v[84:85], v84 offset:240
	s_wait_dscnt 0x0
	v_pk_mul_f32 v[86:87], v[82:83], v[84:85] op_sel:[1,1] op_sel_hi:[0,1]
	v_pk_fma_f32 v[88:89], v[82:83], v[84:85], v[86:87] op_sel_hi:[1,0,1]
	v_pk_fma_f32 v[82:83], v[82:83], v[84:85], v[86:87] neg_lo:[0,0,1] neg_hi:[0,0,1]
	s_delay_alu instid0(VALU_DEP_2)
	v_mov_b32_e32 v83, v89
	scratch_store_b64 off, v[82:83], off offset:240
.LBB38_85:
	s_wait_xcnt 0x0
	s_or_b32 exec_lo, exec_lo, s2
	scratch_load_b64 v[82:83], off, off offset:232
	v_cmp_lt_u32_e64 s1, 29, v0
	s_wait_loadcnt 0x0
	ds_store_b64 v1, v[82:83]
	s_wait_storecnt_dscnt 0x0
	s_barrier_signal -1
	s_barrier_wait -1
	s_wait_xcnt 0x0
	s_and_saveexec_b32 s2, s1
	s_cbranch_execz .LBB38_95
; %bb.86:
	s_and_not1_b32 vcc_lo, exec_lo, s3
	s_cbranch_vccnz .LBB38_88
; %bb.87:
	scratch_load_b64 v[82:83], v49, off
	ds_load_b64 v[84:85], v1
	s_wait_loadcnt_dscnt 0x0
	v_pk_mul_f32 v[86:87], v[84:85], v[82:83] op_sel:[1,1] op_sel_hi:[0,1]
	s_delay_alu instid0(VALU_DEP_1) | instskip(SKIP_1) | instid1(VALU_DEP_2)
	v_pk_fma_f32 v[88:89], v[84:85], v[82:83], v[86:87] op_sel_hi:[1,0,1]
	v_pk_fma_f32 v[82:83], v[84:85], v[82:83], v[86:87] neg_lo:[0,0,1] neg_hi:[0,0,1]
	v_mov_b32_e32 v83, v89
	s_cbranch_execz .LBB38_89
	s_branch .LBB38_90
.LBB38_88:
                                        ; implicit-def: $vgpr82_vgpr83
.LBB38_89:
	ds_load_b64 v[82:83], v1
.LBB38_90:
	s_and_saveexec_b32 s21, s0
	s_cbranch_execz .LBB38_94
; %bb.91:
	v_subrev_nc_u32_e32 v84, 30, v0
	s_movk_i32 s22, 0x230
	s_mov_b32 s0, 0
.LBB38_92:                              ; =>This Inner Loop Header: Depth=1
	scratch_load_b64 v[86:87], off, s20
	v_dual_mov_b32 v85, s22 :: v_dual_add_nc_u32 v84, -1, v84
	s_add_co_i32 s22, s22, 8
	s_wait_xcnt 0x0
	s_add_co_i32 s20, s20, 8
	ds_load_b64 v[88:89], v85
	v_cmp_eq_u32_e32 vcc_lo, 0, v84
	s_or_b32 s0, vcc_lo, s0
	s_wait_loadcnt_dscnt 0x0
	v_pk_mul_f32 v[90:91], v[88:89], v[86:87] op_sel:[1,1] op_sel_hi:[0,1]
	s_delay_alu instid0(VALU_DEP_1) | instskip(SKIP_1) | instid1(VALU_DEP_2)
	v_pk_fma_f32 v[92:93], v[88:89], v[86:87], v[90:91] op_sel_hi:[1,0,1]
	v_pk_fma_f32 v[86:87], v[88:89], v[86:87], v[90:91] neg_lo:[0,0,1] neg_hi:[0,0,1]
	v_mov_b32_e32 v87, v93
	s_delay_alu instid0(VALU_DEP_1)
	v_pk_add_f32 v[82:83], v[82:83], v[86:87]
	s_and_not1_b32 exec_lo, exec_lo, s0
	s_cbranch_execnz .LBB38_92
; %bb.93:
	s_or_b32 exec_lo, exec_lo, s0
.LBB38_94:
	s_delay_alu instid0(SALU_CYCLE_1) | instskip(SKIP_4) | instid1(VALU_DEP_1)
	s_or_b32 exec_lo, exec_lo, s21
	v_mov_b32_e32 v84, 0
	ds_load_b64 v[84:85], v84 offset:232
	s_wait_dscnt 0x0
	v_pk_mul_f32 v[86:87], v[82:83], v[84:85] op_sel:[1,1] op_sel_hi:[0,1]
	v_pk_fma_f32 v[88:89], v[82:83], v[84:85], v[86:87] op_sel_hi:[1,0,1]
	v_pk_fma_f32 v[82:83], v[82:83], v[84:85], v[86:87] neg_lo:[0,0,1] neg_hi:[0,0,1]
	s_delay_alu instid0(VALU_DEP_2)
	v_mov_b32_e32 v83, v89
	scratch_store_b64 off, v[82:83], off offset:232
.LBB38_95:
	s_wait_xcnt 0x0
	s_or_b32 exec_lo, exec_lo, s2
	scratch_load_b64 v[82:83], off, off offset:224
	v_cmp_lt_u32_e64 s0, 28, v0
	s_wait_loadcnt 0x0
	ds_store_b64 v1, v[82:83]
	s_wait_storecnt_dscnt 0x0
	s_barrier_signal -1
	s_barrier_wait -1
	s_wait_xcnt 0x0
	s_and_saveexec_b32 s2, s0
	s_cbranch_execz .LBB38_105
; %bb.96:
	s_and_not1_b32 vcc_lo, exec_lo, s3
	s_cbranch_vccnz .LBB38_98
; %bb.97:
	scratch_load_b64 v[82:83], v49, off
	ds_load_b64 v[84:85], v1
	s_wait_loadcnt_dscnt 0x0
	v_pk_mul_f32 v[86:87], v[84:85], v[82:83] op_sel:[1,1] op_sel_hi:[0,1]
	s_delay_alu instid0(VALU_DEP_1) | instskip(SKIP_1) | instid1(VALU_DEP_2)
	v_pk_fma_f32 v[88:89], v[84:85], v[82:83], v[86:87] op_sel_hi:[1,0,1]
	v_pk_fma_f32 v[82:83], v[84:85], v[82:83], v[86:87] neg_lo:[0,0,1] neg_hi:[0,0,1]
	v_mov_b32_e32 v83, v89
	s_cbranch_execz .LBB38_99
	s_branch .LBB38_100
.LBB38_98:
                                        ; implicit-def: $vgpr82_vgpr83
.LBB38_99:
	ds_load_b64 v[82:83], v1
.LBB38_100:
	s_and_saveexec_b32 s20, s1
	s_cbranch_execz .LBB38_104
; %bb.101:
	v_subrev_nc_u32_e32 v84, 29, v0
	s_movk_i32 s1, 0xe8
	s_movk_i32 s22, 0x228
	s_mov_b32 s21, 0
.LBB38_102:                             ; =>This Inner Loop Header: Depth=1
	scratch_load_b64 v[86:87], off, s1
	v_dual_mov_b32 v85, s22 :: v_dual_add_nc_u32 v84, -1, v84
	s_add_co_i32 s22, s22, 8
	s_wait_xcnt 0x0
	s_add_co_i32 s1, s1, 8
	ds_load_b64 v[88:89], v85
	v_cmp_eq_u32_e32 vcc_lo, 0, v84
	s_or_b32 s21, vcc_lo, s21
	s_wait_loadcnt_dscnt 0x0
	v_pk_mul_f32 v[90:91], v[88:89], v[86:87] op_sel:[1,1] op_sel_hi:[0,1]
	s_delay_alu instid0(VALU_DEP_1) | instskip(SKIP_1) | instid1(VALU_DEP_2)
	v_pk_fma_f32 v[92:93], v[88:89], v[86:87], v[90:91] op_sel_hi:[1,0,1]
	v_pk_fma_f32 v[86:87], v[88:89], v[86:87], v[90:91] neg_lo:[0,0,1] neg_hi:[0,0,1]
	v_mov_b32_e32 v87, v93
	s_delay_alu instid0(VALU_DEP_1)
	v_pk_add_f32 v[82:83], v[82:83], v[86:87]
	s_and_not1_b32 exec_lo, exec_lo, s21
	s_cbranch_execnz .LBB38_102
; %bb.103:
	s_or_b32 exec_lo, exec_lo, s21
.LBB38_104:
	s_delay_alu instid0(SALU_CYCLE_1) | instskip(SKIP_4) | instid1(VALU_DEP_1)
	s_or_b32 exec_lo, exec_lo, s20
	v_mov_b32_e32 v84, 0
	ds_load_b64 v[84:85], v84 offset:224
	s_wait_dscnt 0x0
	v_pk_mul_f32 v[86:87], v[82:83], v[84:85] op_sel:[1,1] op_sel_hi:[0,1]
	v_pk_fma_f32 v[88:89], v[82:83], v[84:85], v[86:87] op_sel_hi:[1,0,1]
	v_pk_fma_f32 v[82:83], v[82:83], v[84:85], v[86:87] neg_lo:[0,0,1] neg_hi:[0,0,1]
	s_delay_alu instid0(VALU_DEP_2)
	v_mov_b32_e32 v83, v89
	scratch_store_b64 off, v[82:83], off offset:224
.LBB38_105:
	s_wait_xcnt 0x0
	s_or_b32 exec_lo, exec_lo, s2
	scratch_load_b64 v[82:83], off, off offset:216
	v_cmp_lt_u32_e64 s1, 27, v0
	s_wait_loadcnt 0x0
	ds_store_b64 v1, v[82:83]
	s_wait_storecnt_dscnt 0x0
	s_barrier_signal -1
	s_barrier_wait -1
	s_wait_xcnt 0x0
	s_and_saveexec_b32 s2, s1
	s_cbranch_execz .LBB38_115
; %bb.106:
	s_and_not1_b32 vcc_lo, exec_lo, s3
	s_cbranch_vccnz .LBB38_108
; %bb.107:
	scratch_load_b64 v[82:83], v49, off
	ds_load_b64 v[84:85], v1
	s_wait_loadcnt_dscnt 0x0
	v_pk_mul_f32 v[86:87], v[84:85], v[82:83] op_sel:[1,1] op_sel_hi:[0,1]
	s_delay_alu instid0(VALU_DEP_1) | instskip(SKIP_1) | instid1(VALU_DEP_2)
	v_pk_fma_f32 v[88:89], v[84:85], v[82:83], v[86:87] op_sel_hi:[1,0,1]
	v_pk_fma_f32 v[82:83], v[84:85], v[82:83], v[86:87] neg_lo:[0,0,1] neg_hi:[0,0,1]
	v_mov_b32_e32 v83, v89
	s_cbranch_execz .LBB38_109
	s_branch .LBB38_110
.LBB38_108:
                                        ; implicit-def: $vgpr82_vgpr83
.LBB38_109:
	ds_load_b64 v[82:83], v1
.LBB38_110:
	s_and_saveexec_b32 s20, s0
	s_cbranch_execz .LBB38_114
; %bb.111:
	v_subrev_nc_u32_e32 v84, 28, v0
	s_movk_i32 s21, 0x220
	s_mov_b32 s0, 0
.LBB38_112:                             ; =>This Inner Loop Header: Depth=1
	scratch_load_b64 v[86:87], off, s19
	v_dual_mov_b32 v85, s21 :: v_dual_add_nc_u32 v84, -1, v84
	s_add_co_i32 s21, s21, 8
	s_wait_xcnt 0x0
	s_add_co_i32 s19, s19, 8
	ds_load_b64 v[88:89], v85
	v_cmp_eq_u32_e32 vcc_lo, 0, v84
	s_or_b32 s0, vcc_lo, s0
	s_wait_loadcnt_dscnt 0x0
	v_pk_mul_f32 v[90:91], v[88:89], v[86:87] op_sel:[1,1] op_sel_hi:[0,1]
	s_delay_alu instid0(VALU_DEP_1) | instskip(SKIP_1) | instid1(VALU_DEP_2)
	v_pk_fma_f32 v[92:93], v[88:89], v[86:87], v[90:91] op_sel_hi:[1,0,1]
	v_pk_fma_f32 v[86:87], v[88:89], v[86:87], v[90:91] neg_lo:[0,0,1] neg_hi:[0,0,1]
	v_mov_b32_e32 v87, v93
	s_delay_alu instid0(VALU_DEP_1)
	v_pk_add_f32 v[82:83], v[82:83], v[86:87]
	s_and_not1_b32 exec_lo, exec_lo, s0
	s_cbranch_execnz .LBB38_112
; %bb.113:
	s_or_b32 exec_lo, exec_lo, s0
.LBB38_114:
	s_delay_alu instid0(SALU_CYCLE_1) | instskip(SKIP_4) | instid1(VALU_DEP_1)
	s_or_b32 exec_lo, exec_lo, s20
	v_mov_b32_e32 v84, 0
	ds_load_b64 v[84:85], v84 offset:216
	s_wait_dscnt 0x0
	v_pk_mul_f32 v[86:87], v[82:83], v[84:85] op_sel:[1,1] op_sel_hi:[0,1]
	v_pk_fma_f32 v[88:89], v[82:83], v[84:85], v[86:87] op_sel_hi:[1,0,1]
	v_pk_fma_f32 v[82:83], v[82:83], v[84:85], v[86:87] neg_lo:[0,0,1] neg_hi:[0,0,1]
	s_delay_alu instid0(VALU_DEP_2)
	v_mov_b32_e32 v83, v89
	scratch_store_b64 off, v[82:83], off offset:216
.LBB38_115:
	s_wait_xcnt 0x0
	s_or_b32 exec_lo, exec_lo, s2
	scratch_load_b64 v[82:83], off, off offset:208
	v_cmp_lt_u32_e64 s0, 26, v0
	s_wait_loadcnt 0x0
	ds_store_b64 v1, v[82:83]
	s_wait_storecnt_dscnt 0x0
	s_barrier_signal -1
	s_barrier_wait -1
	s_wait_xcnt 0x0
	s_and_saveexec_b32 s2, s0
	s_cbranch_execz .LBB38_125
; %bb.116:
	s_and_not1_b32 vcc_lo, exec_lo, s3
	s_cbranch_vccnz .LBB38_118
; %bb.117:
	scratch_load_b64 v[82:83], v49, off
	ds_load_b64 v[84:85], v1
	s_wait_loadcnt_dscnt 0x0
	v_pk_mul_f32 v[86:87], v[84:85], v[82:83] op_sel:[1,1] op_sel_hi:[0,1]
	s_delay_alu instid0(VALU_DEP_1) | instskip(SKIP_1) | instid1(VALU_DEP_2)
	v_pk_fma_f32 v[88:89], v[84:85], v[82:83], v[86:87] op_sel_hi:[1,0,1]
	v_pk_fma_f32 v[82:83], v[84:85], v[82:83], v[86:87] neg_lo:[0,0,1] neg_hi:[0,0,1]
	v_mov_b32_e32 v83, v89
	s_cbranch_execz .LBB38_119
	s_branch .LBB38_120
.LBB38_118:
                                        ; implicit-def: $vgpr82_vgpr83
.LBB38_119:
	ds_load_b64 v[82:83], v1
.LBB38_120:
	s_and_saveexec_b32 s19, s1
	s_cbranch_execz .LBB38_124
; %bb.121:
	v_subrev_nc_u32_e32 v84, 27, v0
	s_movk_i32 s1, 0xd8
	s_movk_i32 s21, 0x218
	s_mov_b32 s20, 0
.LBB38_122:                             ; =>This Inner Loop Header: Depth=1
	scratch_load_b64 v[86:87], off, s1
	v_dual_mov_b32 v85, s21 :: v_dual_add_nc_u32 v84, -1, v84
	s_add_co_i32 s21, s21, 8
	s_wait_xcnt 0x0
	s_add_co_i32 s1, s1, 8
	ds_load_b64 v[88:89], v85
	v_cmp_eq_u32_e32 vcc_lo, 0, v84
	s_or_b32 s20, vcc_lo, s20
	s_wait_loadcnt_dscnt 0x0
	v_pk_mul_f32 v[90:91], v[88:89], v[86:87] op_sel:[1,1] op_sel_hi:[0,1]
	s_delay_alu instid0(VALU_DEP_1) | instskip(SKIP_1) | instid1(VALU_DEP_2)
	v_pk_fma_f32 v[92:93], v[88:89], v[86:87], v[90:91] op_sel_hi:[1,0,1]
	v_pk_fma_f32 v[86:87], v[88:89], v[86:87], v[90:91] neg_lo:[0,0,1] neg_hi:[0,0,1]
	v_mov_b32_e32 v87, v93
	s_delay_alu instid0(VALU_DEP_1)
	v_pk_add_f32 v[82:83], v[82:83], v[86:87]
	s_and_not1_b32 exec_lo, exec_lo, s20
	s_cbranch_execnz .LBB38_122
; %bb.123:
	s_or_b32 exec_lo, exec_lo, s20
.LBB38_124:
	s_delay_alu instid0(SALU_CYCLE_1) | instskip(SKIP_4) | instid1(VALU_DEP_1)
	s_or_b32 exec_lo, exec_lo, s19
	v_mov_b32_e32 v84, 0
	ds_load_b64 v[84:85], v84 offset:208
	s_wait_dscnt 0x0
	v_pk_mul_f32 v[86:87], v[82:83], v[84:85] op_sel:[1,1] op_sel_hi:[0,1]
	v_pk_fma_f32 v[88:89], v[82:83], v[84:85], v[86:87] op_sel_hi:[1,0,1]
	v_pk_fma_f32 v[82:83], v[82:83], v[84:85], v[86:87] neg_lo:[0,0,1] neg_hi:[0,0,1]
	s_delay_alu instid0(VALU_DEP_2)
	v_mov_b32_e32 v83, v89
	scratch_store_b64 off, v[82:83], off offset:208
.LBB38_125:
	s_wait_xcnt 0x0
	s_or_b32 exec_lo, exec_lo, s2
	scratch_load_b64 v[82:83], off, off offset:200
	v_cmp_lt_u32_e64 s1, 25, v0
	s_wait_loadcnt 0x0
	ds_store_b64 v1, v[82:83]
	s_wait_storecnt_dscnt 0x0
	s_barrier_signal -1
	s_barrier_wait -1
	s_wait_xcnt 0x0
	s_and_saveexec_b32 s2, s1
	s_cbranch_execz .LBB38_135
; %bb.126:
	s_and_not1_b32 vcc_lo, exec_lo, s3
	s_cbranch_vccnz .LBB38_128
; %bb.127:
	scratch_load_b64 v[82:83], v49, off
	ds_load_b64 v[84:85], v1
	s_wait_loadcnt_dscnt 0x0
	v_pk_mul_f32 v[86:87], v[84:85], v[82:83] op_sel:[1,1] op_sel_hi:[0,1]
	s_delay_alu instid0(VALU_DEP_1) | instskip(SKIP_1) | instid1(VALU_DEP_2)
	v_pk_fma_f32 v[88:89], v[84:85], v[82:83], v[86:87] op_sel_hi:[1,0,1]
	v_pk_fma_f32 v[82:83], v[84:85], v[82:83], v[86:87] neg_lo:[0,0,1] neg_hi:[0,0,1]
	v_mov_b32_e32 v83, v89
	s_cbranch_execz .LBB38_129
	s_branch .LBB38_130
.LBB38_128:
                                        ; implicit-def: $vgpr82_vgpr83
.LBB38_129:
	ds_load_b64 v[82:83], v1
.LBB38_130:
	s_and_saveexec_b32 s19, s0
	s_cbranch_execz .LBB38_134
; %bb.131:
	v_subrev_nc_u32_e32 v84, 26, v0
	s_movk_i32 s20, 0x210
	s_mov_b32 s0, 0
.LBB38_132:                             ; =>This Inner Loop Header: Depth=1
	scratch_load_b64 v[86:87], off, s18
	v_dual_mov_b32 v85, s20 :: v_dual_add_nc_u32 v84, -1, v84
	s_add_co_i32 s20, s20, 8
	s_wait_xcnt 0x0
	s_add_co_i32 s18, s18, 8
	ds_load_b64 v[88:89], v85
	v_cmp_eq_u32_e32 vcc_lo, 0, v84
	s_or_b32 s0, vcc_lo, s0
	s_wait_loadcnt_dscnt 0x0
	v_pk_mul_f32 v[90:91], v[88:89], v[86:87] op_sel:[1,1] op_sel_hi:[0,1]
	s_delay_alu instid0(VALU_DEP_1) | instskip(SKIP_1) | instid1(VALU_DEP_2)
	v_pk_fma_f32 v[92:93], v[88:89], v[86:87], v[90:91] op_sel_hi:[1,0,1]
	v_pk_fma_f32 v[86:87], v[88:89], v[86:87], v[90:91] neg_lo:[0,0,1] neg_hi:[0,0,1]
	v_mov_b32_e32 v87, v93
	s_delay_alu instid0(VALU_DEP_1)
	v_pk_add_f32 v[82:83], v[82:83], v[86:87]
	s_and_not1_b32 exec_lo, exec_lo, s0
	s_cbranch_execnz .LBB38_132
; %bb.133:
	s_or_b32 exec_lo, exec_lo, s0
.LBB38_134:
	s_delay_alu instid0(SALU_CYCLE_1) | instskip(SKIP_4) | instid1(VALU_DEP_1)
	s_or_b32 exec_lo, exec_lo, s19
	v_mov_b32_e32 v84, 0
	ds_load_b64 v[84:85], v84 offset:200
	s_wait_dscnt 0x0
	v_pk_mul_f32 v[86:87], v[82:83], v[84:85] op_sel:[1,1] op_sel_hi:[0,1]
	v_pk_fma_f32 v[88:89], v[82:83], v[84:85], v[86:87] op_sel_hi:[1,0,1]
	v_pk_fma_f32 v[82:83], v[82:83], v[84:85], v[86:87] neg_lo:[0,0,1] neg_hi:[0,0,1]
	s_delay_alu instid0(VALU_DEP_2)
	v_mov_b32_e32 v83, v89
	scratch_store_b64 off, v[82:83], off offset:200
.LBB38_135:
	s_wait_xcnt 0x0
	s_or_b32 exec_lo, exec_lo, s2
	scratch_load_b64 v[82:83], off, off offset:192
	v_cmp_lt_u32_e64 s0, 24, v0
	s_wait_loadcnt 0x0
	ds_store_b64 v1, v[82:83]
	s_wait_storecnt_dscnt 0x0
	s_barrier_signal -1
	s_barrier_wait -1
	s_wait_xcnt 0x0
	s_and_saveexec_b32 s2, s0
	s_cbranch_execz .LBB38_145
; %bb.136:
	s_and_not1_b32 vcc_lo, exec_lo, s3
	s_cbranch_vccnz .LBB38_138
; %bb.137:
	scratch_load_b64 v[82:83], v49, off
	ds_load_b64 v[84:85], v1
	s_wait_loadcnt_dscnt 0x0
	v_pk_mul_f32 v[86:87], v[84:85], v[82:83] op_sel:[1,1] op_sel_hi:[0,1]
	s_delay_alu instid0(VALU_DEP_1) | instskip(SKIP_1) | instid1(VALU_DEP_2)
	v_pk_fma_f32 v[88:89], v[84:85], v[82:83], v[86:87] op_sel_hi:[1,0,1]
	v_pk_fma_f32 v[82:83], v[84:85], v[82:83], v[86:87] neg_lo:[0,0,1] neg_hi:[0,0,1]
	v_mov_b32_e32 v83, v89
	s_cbranch_execz .LBB38_139
	s_branch .LBB38_140
.LBB38_138:
                                        ; implicit-def: $vgpr82_vgpr83
.LBB38_139:
	ds_load_b64 v[82:83], v1
.LBB38_140:
	s_and_saveexec_b32 s18, s1
	s_cbranch_execz .LBB38_144
; %bb.141:
	v_subrev_nc_u32_e32 v84, 25, v0
	s_movk_i32 s1, 0xc8
	s_movk_i32 s20, 0x208
	s_mov_b32 s19, 0
.LBB38_142:                             ; =>This Inner Loop Header: Depth=1
	scratch_load_b64 v[86:87], off, s1
	v_dual_mov_b32 v85, s20 :: v_dual_add_nc_u32 v84, -1, v84
	s_add_co_i32 s20, s20, 8
	s_wait_xcnt 0x0
	s_add_co_i32 s1, s1, 8
	ds_load_b64 v[88:89], v85
	v_cmp_eq_u32_e32 vcc_lo, 0, v84
	s_or_b32 s19, vcc_lo, s19
	s_wait_loadcnt_dscnt 0x0
	v_pk_mul_f32 v[90:91], v[88:89], v[86:87] op_sel:[1,1] op_sel_hi:[0,1]
	s_delay_alu instid0(VALU_DEP_1) | instskip(SKIP_1) | instid1(VALU_DEP_2)
	v_pk_fma_f32 v[92:93], v[88:89], v[86:87], v[90:91] op_sel_hi:[1,0,1]
	v_pk_fma_f32 v[86:87], v[88:89], v[86:87], v[90:91] neg_lo:[0,0,1] neg_hi:[0,0,1]
	v_mov_b32_e32 v87, v93
	s_delay_alu instid0(VALU_DEP_1)
	v_pk_add_f32 v[82:83], v[82:83], v[86:87]
	s_and_not1_b32 exec_lo, exec_lo, s19
	s_cbranch_execnz .LBB38_142
; %bb.143:
	s_or_b32 exec_lo, exec_lo, s19
.LBB38_144:
	s_delay_alu instid0(SALU_CYCLE_1) | instskip(SKIP_4) | instid1(VALU_DEP_1)
	s_or_b32 exec_lo, exec_lo, s18
	v_mov_b32_e32 v84, 0
	ds_load_b64 v[84:85], v84 offset:192
	s_wait_dscnt 0x0
	v_pk_mul_f32 v[86:87], v[82:83], v[84:85] op_sel:[1,1] op_sel_hi:[0,1]
	v_pk_fma_f32 v[88:89], v[82:83], v[84:85], v[86:87] op_sel_hi:[1,0,1]
	v_pk_fma_f32 v[82:83], v[82:83], v[84:85], v[86:87] neg_lo:[0,0,1] neg_hi:[0,0,1]
	s_delay_alu instid0(VALU_DEP_2)
	v_mov_b32_e32 v83, v89
	scratch_store_b64 off, v[82:83], off offset:192
.LBB38_145:
	s_wait_xcnt 0x0
	s_or_b32 exec_lo, exec_lo, s2
	scratch_load_b64 v[82:83], off, off offset:184
	v_cmp_lt_u32_e64 s1, 23, v0
	s_wait_loadcnt 0x0
	ds_store_b64 v1, v[82:83]
	s_wait_storecnt_dscnt 0x0
	s_barrier_signal -1
	s_barrier_wait -1
	s_wait_xcnt 0x0
	s_and_saveexec_b32 s2, s1
	s_cbranch_execz .LBB38_155
; %bb.146:
	s_and_not1_b32 vcc_lo, exec_lo, s3
	s_cbranch_vccnz .LBB38_148
; %bb.147:
	scratch_load_b64 v[82:83], v49, off
	ds_load_b64 v[84:85], v1
	s_wait_loadcnt_dscnt 0x0
	v_pk_mul_f32 v[86:87], v[84:85], v[82:83] op_sel:[1,1] op_sel_hi:[0,1]
	s_delay_alu instid0(VALU_DEP_1) | instskip(SKIP_1) | instid1(VALU_DEP_2)
	v_pk_fma_f32 v[88:89], v[84:85], v[82:83], v[86:87] op_sel_hi:[1,0,1]
	v_pk_fma_f32 v[82:83], v[84:85], v[82:83], v[86:87] neg_lo:[0,0,1] neg_hi:[0,0,1]
	v_mov_b32_e32 v83, v89
	s_cbranch_execz .LBB38_149
	s_branch .LBB38_150
.LBB38_148:
                                        ; implicit-def: $vgpr82_vgpr83
.LBB38_149:
	ds_load_b64 v[82:83], v1
.LBB38_150:
	s_and_saveexec_b32 s18, s0
	s_cbranch_execz .LBB38_154
; %bb.151:
	v_subrev_nc_u32_e32 v84, 24, v0
	s_movk_i32 s19, 0x200
	s_mov_b32 s0, 0
.LBB38_152:                             ; =>This Inner Loop Header: Depth=1
	scratch_load_b64 v[86:87], off, s17
	v_dual_mov_b32 v85, s19 :: v_dual_add_nc_u32 v84, -1, v84
	s_add_co_i32 s19, s19, 8
	s_wait_xcnt 0x0
	s_add_co_i32 s17, s17, 8
	ds_load_b64 v[88:89], v85
	v_cmp_eq_u32_e32 vcc_lo, 0, v84
	s_or_b32 s0, vcc_lo, s0
	s_wait_loadcnt_dscnt 0x0
	v_pk_mul_f32 v[90:91], v[88:89], v[86:87] op_sel:[1,1] op_sel_hi:[0,1]
	s_delay_alu instid0(VALU_DEP_1) | instskip(SKIP_1) | instid1(VALU_DEP_2)
	v_pk_fma_f32 v[92:93], v[88:89], v[86:87], v[90:91] op_sel_hi:[1,0,1]
	v_pk_fma_f32 v[86:87], v[88:89], v[86:87], v[90:91] neg_lo:[0,0,1] neg_hi:[0,0,1]
	v_mov_b32_e32 v87, v93
	s_delay_alu instid0(VALU_DEP_1)
	v_pk_add_f32 v[82:83], v[82:83], v[86:87]
	s_and_not1_b32 exec_lo, exec_lo, s0
	s_cbranch_execnz .LBB38_152
; %bb.153:
	s_or_b32 exec_lo, exec_lo, s0
.LBB38_154:
	s_delay_alu instid0(SALU_CYCLE_1) | instskip(SKIP_4) | instid1(VALU_DEP_1)
	s_or_b32 exec_lo, exec_lo, s18
	v_mov_b32_e32 v84, 0
	ds_load_b64 v[84:85], v84 offset:184
	s_wait_dscnt 0x0
	v_pk_mul_f32 v[86:87], v[82:83], v[84:85] op_sel:[1,1] op_sel_hi:[0,1]
	v_pk_fma_f32 v[88:89], v[82:83], v[84:85], v[86:87] op_sel_hi:[1,0,1]
	v_pk_fma_f32 v[82:83], v[82:83], v[84:85], v[86:87] neg_lo:[0,0,1] neg_hi:[0,0,1]
	s_delay_alu instid0(VALU_DEP_2)
	v_mov_b32_e32 v83, v89
	scratch_store_b64 off, v[82:83], off offset:184
.LBB38_155:
	s_wait_xcnt 0x0
	s_or_b32 exec_lo, exec_lo, s2
	scratch_load_b64 v[82:83], off, off offset:176
	v_cmp_lt_u32_e64 s0, 22, v0
	s_wait_loadcnt 0x0
	ds_store_b64 v1, v[82:83]
	s_wait_storecnt_dscnt 0x0
	s_barrier_signal -1
	s_barrier_wait -1
	s_wait_xcnt 0x0
	s_and_saveexec_b32 s2, s0
	s_cbranch_execz .LBB38_165
; %bb.156:
	s_and_not1_b32 vcc_lo, exec_lo, s3
	s_cbranch_vccnz .LBB38_158
; %bb.157:
	scratch_load_b64 v[82:83], v49, off
	ds_load_b64 v[84:85], v1
	s_wait_loadcnt_dscnt 0x0
	v_pk_mul_f32 v[86:87], v[84:85], v[82:83] op_sel:[1,1] op_sel_hi:[0,1]
	s_delay_alu instid0(VALU_DEP_1) | instskip(SKIP_1) | instid1(VALU_DEP_2)
	v_pk_fma_f32 v[88:89], v[84:85], v[82:83], v[86:87] op_sel_hi:[1,0,1]
	v_pk_fma_f32 v[82:83], v[84:85], v[82:83], v[86:87] neg_lo:[0,0,1] neg_hi:[0,0,1]
	v_mov_b32_e32 v83, v89
	s_cbranch_execz .LBB38_159
	s_branch .LBB38_160
.LBB38_158:
                                        ; implicit-def: $vgpr82_vgpr83
.LBB38_159:
	ds_load_b64 v[82:83], v1
.LBB38_160:
	s_and_saveexec_b32 s17, s1
	s_cbranch_execz .LBB38_164
; %bb.161:
	v_subrev_nc_u32_e32 v84, 23, v0
	s_movk_i32 s1, 0xb8
	s_movk_i32 s19, 0x1f8
	s_mov_b32 s18, 0
.LBB38_162:                             ; =>This Inner Loop Header: Depth=1
	scratch_load_b64 v[86:87], off, s1
	v_dual_mov_b32 v85, s19 :: v_dual_add_nc_u32 v84, -1, v84
	s_add_co_i32 s19, s19, 8
	s_wait_xcnt 0x0
	s_add_co_i32 s1, s1, 8
	ds_load_b64 v[88:89], v85
	v_cmp_eq_u32_e32 vcc_lo, 0, v84
	s_or_b32 s18, vcc_lo, s18
	s_wait_loadcnt_dscnt 0x0
	v_pk_mul_f32 v[90:91], v[88:89], v[86:87] op_sel:[1,1] op_sel_hi:[0,1]
	s_delay_alu instid0(VALU_DEP_1) | instskip(SKIP_1) | instid1(VALU_DEP_2)
	v_pk_fma_f32 v[92:93], v[88:89], v[86:87], v[90:91] op_sel_hi:[1,0,1]
	v_pk_fma_f32 v[86:87], v[88:89], v[86:87], v[90:91] neg_lo:[0,0,1] neg_hi:[0,0,1]
	v_mov_b32_e32 v87, v93
	s_delay_alu instid0(VALU_DEP_1)
	v_pk_add_f32 v[82:83], v[82:83], v[86:87]
	s_and_not1_b32 exec_lo, exec_lo, s18
	s_cbranch_execnz .LBB38_162
; %bb.163:
	s_or_b32 exec_lo, exec_lo, s18
.LBB38_164:
	s_delay_alu instid0(SALU_CYCLE_1) | instskip(SKIP_4) | instid1(VALU_DEP_1)
	s_or_b32 exec_lo, exec_lo, s17
	v_mov_b32_e32 v84, 0
	ds_load_b64 v[84:85], v84 offset:176
	s_wait_dscnt 0x0
	v_pk_mul_f32 v[86:87], v[82:83], v[84:85] op_sel:[1,1] op_sel_hi:[0,1]
	v_pk_fma_f32 v[88:89], v[82:83], v[84:85], v[86:87] op_sel_hi:[1,0,1]
	v_pk_fma_f32 v[82:83], v[82:83], v[84:85], v[86:87] neg_lo:[0,0,1] neg_hi:[0,0,1]
	s_delay_alu instid0(VALU_DEP_2)
	v_mov_b32_e32 v83, v89
	scratch_store_b64 off, v[82:83], off offset:176
.LBB38_165:
	s_wait_xcnt 0x0
	s_or_b32 exec_lo, exec_lo, s2
	scratch_load_b64 v[82:83], off, off offset:168
	v_cmp_lt_u32_e64 s1, 21, v0
	s_wait_loadcnt 0x0
	ds_store_b64 v1, v[82:83]
	s_wait_storecnt_dscnt 0x0
	s_barrier_signal -1
	s_barrier_wait -1
	s_wait_xcnt 0x0
	s_and_saveexec_b32 s2, s1
	s_cbranch_execz .LBB38_175
; %bb.166:
	s_and_not1_b32 vcc_lo, exec_lo, s3
	s_cbranch_vccnz .LBB38_168
; %bb.167:
	scratch_load_b64 v[82:83], v49, off
	ds_load_b64 v[84:85], v1
	s_wait_loadcnt_dscnt 0x0
	v_pk_mul_f32 v[86:87], v[84:85], v[82:83] op_sel:[1,1] op_sel_hi:[0,1]
	s_delay_alu instid0(VALU_DEP_1) | instskip(SKIP_1) | instid1(VALU_DEP_2)
	v_pk_fma_f32 v[88:89], v[84:85], v[82:83], v[86:87] op_sel_hi:[1,0,1]
	v_pk_fma_f32 v[82:83], v[84:85], v[82:83], v[86:87] neg_lo:[0,0,1] neg_hi:[0,0,1]
	v_mov_b32_e32 v83, v89
	s_cbranch_execz .LBB38_169
	s_branch .LBB38_170
.LBB38_168:
                                        ; implicit-def: $vgpr82_vgpr83
.LBB38_169:
	ds_load_b64 v[82:83], v1
.LBB38_170:
	s_and_saveexec_b32 s17, s0
	s_cbranch_execz .LBB38_174
; %bb.171:
	v_subrev_nc_u32_e32 v84, 22, v0
	s_movk_i32 s18, 0x1f0
	s_mov_b32 s0, 0
.LBB38_172:                             ; =>This Inner Loop Header: Depth=1
	scratch_load_b64 v[86:87], off, s16
	v_dual_mov_b32 v85, s18 :: v_dual_add_nc_u32 v84, -1, v84
	s_add_co_i32 s18, s18, 8
	s_wait_xcnt 0x0
	s_add_co_i32 s16, s16, 8
	ds_load_b64 v[88:89], v85
	v_cmp_eq_u32_e32 vcc_lo, 0, v84
	s_or_b32 s0, vcc_lo, s0
	s_wait_loadcnt_dscnt 0x0
	v_pk_mul_f32 v[90:91], v[88:89], v[86:87] op_sel:[1,1] op_sel_hi:[0,1]
	s_delay_alu instid0(VALU_DEP_1) | instskip(SKIP_1) | instid1(VALU_DEP_2)
	v_pk_fma_f32 v[92:93], v[88:89], v[86:87], v[90:91] op_sel_hi:[1,0,1]
	v_pk_fma_f32 v[86:87], v[88:89], v[86:87], v[90:91] neg_lo:[0,0,1] neg_hi:[0,0,1]
	v_mov_b32_e32 v87, v93
	s_delay_alu instid0(VALU_DEP_1)
	v_pk_add_f32 v[82:83], v[82:83], v[86:87]
	s_and_not1_b32 exec_lo, exec_lo, s0
	s_cbranch_execnz .LBB38_172
; %bb.173:
	s_or_b32 exec_lo, exec_lo, s0
.LBB38_174:
	s_delay_alu instid0(SALU_CYCLE_1) | instskip(SKIP_4) | instid1(VALU_DEP_1)
	s_or_b32 exec_lo, exec_lo, s17
	v_mov_b32_e32 v84, 0
	ds_load_b64 v[84:85], v84 offset:168
	s_wait_dscnt 0x0
	v_pk_mul_f32 v[86:87], v[82:83], v[84:85] op_sel:[1,1] op_sel_hi:[0,1]
	v_pk_fma_f32 v[88:89], v[82:83], v[84:85], v[86:87] op_sel_hi:[1,0,1]
	v_pk_fma_f32 v[82:83], v[82:83], v[84:85], v[86:87] neg_lo:[0,0,1] neg_hi:[0,0,1]
	s_delay_alu instid0(VALU_DEP_2)
	v_mov_b32_e32 v83, v89
	scratch_store_b64 off, v[82:83], off offset:168
.LBB38_175:
	s_wait_xcnt 0x0
	s_or_b32 exec_lo, exec_lo, s2
	scratch_load_b64 v[82:83], off, off offset:160
	v_cmp_lt_u32_e64 s0, 20, v0
	s_wait_loadcnt 0x0
	ds_store_b64 v1, v[82:83]
	s_wait_storecnt_dscnt 0x0
	s_barrier_signal -1
	s_barrier_wait -1
	s_wait_xcnt 0x0
	s_and_saveexec_b32 s2, s0
	s_cbranch_execz .LBB38_185
; %bb.176:
	s_and_not1_b32 vcc_lo, exec_lo, s3
	s_cbranch_vccnz .LBB38_178
; %bb.177:
	scratch_load_b64 v[82:83], v49, off
	ds_load_b64 v[84:85], v1
	s_wait_loadcnt_dscnt 0x0
	v_pk_mul_f32 v[86:87], v[84:85], v[82:83] op_sel:[1,1] op_sel_hi:[0,1]
	s_delay_alu instid0(VALU_DEP_1) | instskip(SKIP_1) | instid1(VALU_DEP_2)
	v_pk_fma_f32 v[88:89], v[84:85], v[82:83], v[86:87] op_sel_hi:[1,0,1]
	v_pk_fma_f32 v[82:83], v[84:85], v[82:83], v[86:87] neg_lo:[0,0,1] neg_hi:[0,0,1]
	v_mov_b32_e32 v83, v89
	s_cbranch_execz .LBB38_179
	s_branch .LBB38_180
.LBB38_178:
                                        ; implicit-def: $vgpr82_vgpr83
.LBB38_179:
	ds_load_b64 v[82:83], v1
.LBB38_180:
	s_and_saveexec_b32 s16, s1
	s_cbranch_execz .LBB38_184
; %bb.181:
	v_subrev_nc_u32_e32 v84, 21, v0
	s_movk_i32 s1, 0xa8
	s_movk_i32 s18, 0x1e8
	s_mov_b32 s17, 0
.LBB38_182:                             ; =>This Inner Loop Header: Depth=1
	scratch_load_b64 v[86:87], off, s1
	v_dual_mov_b32 v85, s18 :: v_dual_add_nc_u32 v84, -1, v84
	s_add_co_i32 s18, s18, 8
	s_wait_xcnt 0x0
	s_add_co_i32 s1, s1, 8
	ds_load_b64 v[88:89], v85
	v_cmp_eq_u32_e32 vcc_lo, 0, v84
	s_or_b32 s17, vcc_lo, s17
	s_wait_loadcnt_dscnt 0x0
	v_pk_mul_f32 v[90:91], v[88:89], v[86:87] op_sel:[1,1] op_sel_hi:[0,1]
	s_delay_alu instid0(VALU_DEP_1) | instskip(SKIP_1) | instid1(VALU_DEP_2)
	v_pk_fma_f32 v[92:93], v[88:89], v[86:87], v[90:91] op_sel_hi:[1,0,1]
	v_pk_fma_f32 v[86:87], v[88:89], v[86:87], v[90:91] neg_lo:[0,0,1] neg_hi:[0,0,1]
	v_mov_b32_e32 v87, v93
	s_delay_alu instid0(VALU_DEP_1)
	v_pk_add_f32 v[82:83], v[82:83], v[86:87]
	s_and_not1_b32 exec_lo, exec_lo, s17
	s_cbranch_execnz .LBB38_182
; %bb.183:
	s_or_b32 exec_lo, exec_lo, s17
.LBB38_184:
	s_delay_alu instid0(SALU_CYCLE_1) | instskip(SKIP_4) | instid1(VALU_DEP_1)
	s_or_b32 exec_lo, exec_lo, s16
	v_mov_b32_e32 v84, 0
	ds_load_b64 v[84:85], v84 offset:160
	s_wait_dscnt 0x0
	v_pk_mul_f32 v[86:87], v[82:83], v[84:85] op_sel:[1,1] op_sel_hi:[0,1]
	v_pk_fma_f32 v[88:89], v[82:83], v[84:85], v[86:87] op_sel_hi:[1,0,1]
	v_pk_fma_f32 v[82:83], v[82:83], v[84:85], v[86:87] neg_lo:[0,0,1] neg_hi:[0,0,1]
	s_delay_alu instid0(VALU_DEP_2)
	v_mov_b32_e32 v83, v89
	scratch_store_b64 off, v[82:83], off offset:160
.LBB38_185:
	s_wait_xcnt 0x0
	s_or_b32 exec_lo, exec_lo, s2
	scratch_load_b64 v[82:83], off, off offset:152
	v_cmp_lt_u32_e64 s1, 19, v0
	s_wait_loadcnt 0x0
	ds_store_b64 v1, v[82:83]
	s_wait_storecnt_dscnt 0x0
	s_barrier_signal -1
	s_barrier_wait -1
	s_wait_xcnt 0x0
	s_and_saveexec_b32 s2, s1
	s_cbranch_execz .LBB38_195
; %bb.186:
	s_and_not1_b32 vcc_lo, exec_lo, s3
	s_cbranch_vccnz .LBB38_188
; %bb.187:
	scratch_load_b64 v[82:83], v49, off
	ds_load_b64 v[84:85], v1
	s_wait_loadcnt_dscnt 0x0
	v_pk_mul_f32 v[86:87], v[84:85], v[82:83] op_sel:[1,1] op_sel_hi:[0,1]
	s_delay_alu instid0(VALU_DEP_1) | instskip(SKIP_1) | instid1(VALU_DEP_2)
	v_pk_fma_f32 v[88:89], v[84:85], v[82:83], v[86:87] op_sel_hi:[1,0,1]
	v_pk_fma_f32 v[82:83], v[84:85], v[82:83], v[86:87] neg_lo:[0,0,1] neg_hi:[0,0,1]
	v_mov_b32_e32 v83, v89
	s_cbranch_execz .LBB38_189
	s_branch .LBB38_190
.LBB38_188:
                                        ; implicit-def: $vgpr82_vgpr83
.LBB38_189:
	ds_load_b64 v[82:83], v1
.LBB38_190:
	s_and_saveexec_b32 s16, s0
	s_cbranch_execz .LBB38_194
; %bb.191:
	v_subrev_nc_u32_e32 v84, 20, v0
	s_movk_i32 s17, 0x1e0
	s_mov_b32 s0, 0
.LBB38_192:                             ; =>This Inner Loop Header: Depth=1
	scratch_load_b64 v[86:87], off, s15
	v_dual_mov_b32 v85, s17 :: v_dual_add_nc_u32 v84, -1, v84
	s_add_co_i32 s17, s17, 8
	s_wait_xcnt 0x0
	s_add_co_i32 s15, s15, 8
	ds_load_b64 v[88:89], v85
	v_cmp_eq_u32_e32 vcc_lo, 0, v84
	s_or_b32 s0, vcc_lo, s0
	s_wait_loadcnt_dscnt 0x0
	v_pk_mul_f32 v[90:91], v[88:89], v[86:87] op_sel:[1,1] op_sel_hi:[0,1]
	s_delay_alu instid0(VALU_DEP_1) | instskip(SKIP_1) | instid1(VALU_DEP_2)
	v_pk_fma_f32 v[92:93], v[88:89], v[86:87], v[90:91] op_sel_hi:[1,0,1]
	v_pk_fma_f32 v[86:87], v[88:89], v[86:87], v[90:91] neg_lo:[0,0,1] neg_hi:[0,0,1]
	v_mov_b32_e32 v87, v93
	s_delay_alu instid0(VALU_DEP_1)
	v_pk_add_f32 v[82:83], v[82:83], v[86:87]
	s_and_not1_b32 exec_lo, exec_lo, s0
	s_cbranch_execnz .LBB38_192
; %bb.193:
	s_or_b32 exec_lo, exec_lo, s0
.LBB38_194:
	s_delay_alu instid0(SALU_CYCLE_1) | instskip(SKIP_4) | instid1(VALU_DEP_1)
	s_or_b32 exec_lo, exec_lo, s16
	v_mov_b32_e32 v84, 0
	ds_load_b64 v[84:85], v84 offset:152
	s_wait_dscnt 0x0
	v_pk_mul_f32 v[86:87], v[82:83], v[84:85] op_sel:[1,1] op_sel_hi:[0,1]
	v_pk_fma_f32 v[88:89], v[82:83], v[84:85], v[86:87] op_sel_hi:[1,0,1]
	v_pk_fma_f32 v[82:83], v[82:83], v[84:85], v[86:87] neg_lo:[0,0,1] neg_hi:[0,0,1]
	s_delay_alu instid0(VALU_DEP_2)
	v_mov_b32_e32 v83, v89
	scratch_store_b64 off, v[82:83], off offset:152
.LBB38_195:
	s_wait_xcnt 0x0
	s_or_b32 exec_lo, exec_lo, s2
	scratch_load_b64 v[82:83], off, off offset:144
	v_cmp_lt_u32_e64 s0, 18, v0
	s_wait_loadcnt 0x0
	ds_store_b64 v1, v[82:83]
	s_wait_storecnt_dscnt 0x0
	s_barrier_signal -1
	s_barrier_wait -1
	s_wait_xcnt 0x0
	s_and_saveexec_b32 s2, s0
	s_cbranch_execz .LBB38_205
; %bb.196:
	s_and_not1_b32 vcc_lo, exec_lo, s3
	s_cbranch_vccnz .LBB38_198
; %bb.197:
	scratch_load_b64 v[82:83], v49, off
	ds_load_b64 v[84:85], v1
	s_wait_loadcnt_dscnt 0x0
	v_pk_mul_f32 v[86:87], v[84:85], v[82:83] op_sel:[1,1] op_sel_hi:[0,1]
	s_delay_alu instid0(VALU_DEP_1) | instskip(SKIP_1) | instid1(VALU_DEP_2)
	v_pk_fma_f32 v[88:89], v[84:85], v[82:83], v[86:87] op_sel_hi:[1,0,1]
	v_pk_fma_f32 v[82:83], v[84:85], v[82:83], v[86:87] neg_lo:[0,0,1] neg_hi:[0,0,1]
	v_mov_b32_e32 v83, v89
	s_cbranch_execz .LBB38_199
	s_branch .LBB38_200
.LBB38_198:
                                        ; implicit-def: $vgpr82_vgpr83
.LBB38_199:
	ds_load_b64 v[82:83], v1
.LBB38_200:
	s_and_saveexec_b32 s15, s1
	s_cbranch_execz .LBB38_204
; %bb.201:
	v_subrev_nc_u32_e32 v84, 19, v0
	s_movk_i32 s1, 0x98
	s_movk_i32 s17, 0x1d8
	s_mov_b32 s16, 0
.LBB38_202:                             ; =>This Inner Loop Header: Depth=1
	scratch_load_b64 v[86:87], off, s1
	v_dual_mov_b32 v85, s17 :: v_dual_add_nc_u32 v84, -1, v84
	s_add_co_i32 s17, s17, 8
	s_wait_xcnt 0x0
	s_add_co_i32 s1, s1, 8
	ds_load_b64 v[88:89], v85
	v_cmp_eq_u32_e32 vcc_lo, 0, v84
	s_or_b32 s16, vcc_lo, s16
	s_wait_loadcnt_dscnt 0x0
	v_pk_mul_f32 v[90:91], v[88:89], v[86:87] op_sel:[1,1] op_sel_hi:[0,1]
	s_delay_alu instid0(VALU_DEP_1) | instskip(SKIP_1) | instid1(VALU_DEP_2)
	v_pk_fma_f32 v[92:93], v[88:89], v[86:87], v[90:91] op_sel_hi:[1,0,1]
	v_pk_fma_f32 v[86:87], v[88:89], v[86:87], v[90:91] neg_lo:[0,0,1] neg_hi:[0,0,1]
	v_mov_b32_e32 v87, v93
	s_delay_alu instid0(VALU_DEP_1)
	v_pk_add_f32 v[82:83], v[82:83], v[86:87]
	s_and_not1_b32 exec_lo, exec_lo, s16
	s_cbranch_execnz .LBB38_202
; %bb.203:
	s_or_b32 exec_lo, exec_lo, s16
.LBB38_204:
	s_delay_alu instid0(SALU_CYCLE_1) | instskip(SKIP_4) | instid1(VALU_DEP_1)
	s_or_b32 exec_lo, exec_lo, s15
	v_mov_b32_e32 v84, 0
	ds_load_b64 v[84:85], v84 offset:144
	s_wait_dscnt 0x0
	v_pk_mul_f32 v[86:87], v[82:83], v[84:85] op_sel:[1,1] op_sel_hi:[0,1]
	v_pk_fma_f32 v[88:89], v[82:83], v[84:85], v[86:87] op_sel_hi:[1,0,1]
	v_pk_fma_f32 v[82:83], v[82:83], v[84:85], v[86:87] neg_lo:[0,0,1] neg_hi:[0,0,1]
	s_delay_alu instid0(VALU_DEP_2)
	v_mov_b32_e32 v83, v89
	scratch_store_b64 off, v[82:83], off offset:144
.LBB38_205:
	s_wait_xcnt 0x0
	s_or_b32 exec_lo, exec_lo, s2
	scratch_load_b64 v[82:83], off, off offset:136
	v_cmp_lt_u32_e64 s1, 17, v0
	s_wait_loadcnt 0x0
	ds_store_b64 v1, v[82:83]
	s_wait_storecnt_dscnt 0x0
	s_barrier_signal -1
	s_barrier_wait -1
	s_wait_xcnt 0x0
	s_and_saveexec_b32 s2, s1
	s_cbranch_execz .LBB38_215
; %bb.206:
	s_and_not1_b32 vcc_lo, exec_lo, s3
	s_cbranch_vccnz .LBB38_208
; %bb.207:
	scratch_load_b64 v[82:83], v49, off
	ds_load_b64 v[84:85], v1
	s_wait_loadcnt_dscnt 0x0
	v_pk_mul_f32 v[86:87], v[84:85], v[82:83] op_sel:[1,1] op_sel_hi:[0,1]
	s_delay_alu instid0(VALU_DEP_1) | instskip(SKIP_1) | instid1(VALU_DEP_2)
	v_pk_fma_f32 v[88:89], v[84:85], v[82:83], v[86:87] op_sel_hi:[1,0,1]
	v_pk_fma_f32 v[82:83], v[84:85], v[82:83], v[86:87] neg_lo:[0,0,1] neg_hi:[0,0,1]
	v_mov_b32_e32 v83, v89
	s_cbranch_execz .LBB38_209
	s_branch .LBB38_210
.LBB38_208:
                                        ; implicit-def: $vgpr82_vgpr83
.LBB38_209:
	ds_load_b64 v[82:83], v1
.LBB38_210:
	s_and_saveexec_b32 s15, s0
	s_cbranch_execz .LBB38_214
; %bb.211:
	v_subrev_nc_u32_e32 v84, 18, v0
	s_movk_i32 s16, 0x1d0
	s_mov_b32 s0, 0
.LBB38_212:                             ; =>This Inner Loop Header: Depth=1
	scratch_load_b64 v[86:87], off, s14
	v_dual_mov_b32 v85, s16 :: v_dual_add_nc_u32 v84, -1, v84
	s_add_co_i32 s16, s16, 8
	s_wait_xcnt 0x0
	s_add_co_i32 s14, s14, 8
	ds_load_b64 v[88:89], v85
	v_cmp_eq_u32_e32 vcc_lo, 0, v84
	s_or_b32 s0, vcc_lo, s0
	s_wait_loadcnt_dscnt 0x0
	v_pk_mul_f32 v[90:91], v[88:89], v[86:87] op_sel:[1,1] op_sel_hi:[0,1]
	s_delay_alu instid0(VALU_DEP_1) | instskip(SKIP_1) | instid1(VALU_DEP_2)
	v_pk_fma_f32 v[92:93], v[88:89], v[86:87], v[90:91] op_sel_hi:[1,0,1]
	v_pk_fma_f32 v[86:87], v[88:89], v[86:87], v[90:91] neg_lo:[0,0,1] neg_hi:[0,0,1]
	v_mov_b32_e32 v87, v93
	s_delay_alu instid0(VALU_DEP_1)
	v_pk_add_f32 v[82:83], v[82:83], v[86:87]
	s_and_not1_b32 exec_lo, exec_lo, s0
	s_cbranch_execnz .LBB38_212
; %bb.213:
	s_or_b32 exec_lo, exec_lo, s0
.LBB38_214:
	s_delay_alu instid0(SALU_CYCLE_1) | instskip(SKIP_4) | instid1(VALU_DEP_1)
	s_or_b32 exec_lo, exec_lo, s15
	v_mov_b32_e32 v84, 0
	ds_load_b64 v[84:85], v84 offset:136
	s_wait_dscnt 0x0
	v_pk_mul_f32 v[86:87], v[82:83], v[84:85] op_sel:[1,1] op_sel_hi:[0,1]
	v_pk_fma_f32 v[88:89], v[82:83], v[84:85], v[86:87] op_sel_hi:[1,0,1]
	v_pk_fma_f32 v[82:83], v[82:83], v[84:85], v[86:87] neg_lo:[0,0,1] neg_hi:[0,0,1]
	s_delay_alu instid0(VALU_DEP_2)
	v_mov_b32_e32 v83, v89
	scratch_store_b64 off, v[82:83], off offset:136
.LBB38_215:
	s_wait_xcnt 0x0
	s_or_b32 exec_lo, exec_lo, s2
	scratch_load_b64 v[82:83], off, off offset:128
	v_cmp_lt_u32_e64 s0, 16, v0
	s_wait_loadcnt 0x0
	ds_store_b64 v1, v[82:83]
	s_wait_storecnt_dscnt 0x0
	s_barrier_signal -1
	s_barrier_wait -1
	s_wait_xcnt 0x0
	s_and_saveexec_b32 s2, s0
	s_cbranch_execz .LBB38_225
; %bb.216:
	s_and_not1_b32 vcc_lo, exec_lo, s3
	s_cbranch_vccnz .LBB38_218
; %bb.217:
	scratch_load_b64 v[82:83], v49, off
	ds_load_b64 v[84:85], v1
	s_wait_loadcnt_dscnt 0x0
	v_pk_mul_f32 v[86:87], v[84:85], v[82:83] op_sel:[1,1] op_sel_hi:[0,1]
	s_delay_alu instid0(VALU_DEP_1) | instskip(SKIP_1) | instid1(VALU_DEP_2)
	v_pk_fma_f32 v[88:89], v[84:85], v[82:83], v[86:87] op_sel_hi:[1,0,1]
	v_pk_fma_f32 v[82:83], v[84:85], v[82:83], v[86:87] neg_lo:[0,0,1] neg_hi:[0,0,1]
	v_mov_b32_e32 v83, v89
	s_cbranch_execz .LBB38_219
	s_branch .LBB38_220
.LBB38_218:
                                        ; implicit-def: $vgpr82_vgpr83
.LBB38_219:
	ds_load_b64 v[82:83], v1
.LBB38_220:
	s_and_saveexec_b32 s14, s1
	s_cbranch_execz .LBB38_224
; %bb.221:
	v_subrev_nc_u32_e32 v84, 17, v0
	s_movk_i32 s1, 0x88
	s_movk_i32 s16, 0x1c8
	s_mov_b32 s15, 0
.LBB38_222:                             ; =>This Inner Loop Header: Depth=1
	scratch_load_b64 v[86:87], off, s1
	v_dual_mov_b32 v85, s16 :: v_dual_add_nc_u32 v84, -1, v84
	s_add_co_i32 s16, s16, 8
	s_wait_xcnt 0x0
	s_add_co_i32 s1, s1, 8
	ds_load_b64 v[88:89], v85
	v_cmp_eq_u32_e32 vcc_lo, 0, v84
	s_or_b32 s15, vcc_lo, s15
	s_wait_loadcnt_dscnt 0x0
	v_pk_mul_f32 v[90:91], v[88:89], v[86:87] op_sel:[1,1] op_sel_hi:[0,1]
	s_delay_alu instid0(VALU_DEP_1) | instskip(SKIP_1) | instid1(VALU_DEP_2)
	v_pk_fma_f32 v[92:93], v[88:89], v[86:87], v[90:91] op_sel_hi:[1,0,1]
	v_pk_fma_f32 v[86:87], v[88:89], v[86:87], v[90:91] neg_lo:[0,0,1] neg_hi:[0,0,1]
	v_mov_b32_e32 v87, v93
	s_delay_alu instid0(VALU_DEP_1)
	v_pk_add_f32 v[82:83], v[82:83], v[86:87]
	s_and_not1_b32 exec_lo, exec_lo, s15
	s_cbranch_execnz .LBB38_222
; %bb.223:
	s_or_b32 exec_lo, exec_lo, s15
.LBB38_224:
	s_delay_alu instid0(SALU_CYCLE_1) | instskip(SKIP_4) | instid1(VALU_DEP_1)
	s_or_b32 exec_lo, exec_lo, s14
	v_mov_b32_e32 v84, 0
	ds_load_b64 v[84:85], v84 offset:128
	s_wait_dscnt 0x0
	v_pk_mul_f32 v[86:87], v[82:83], v[84:85] op_sel:[1,1] op_sel_hi:[0,1]
	v_pk_fma_f32 v[88:89], v[82:83], v[84:85], v[86:87] op_sel_hi:[1,0,1]
	v_pk_fma_f32 v[82:83], v[82:83], v[84:85], v[86:87] neg_lo:[0,0,1] neg_hi:[0,0,1]
	s_delay_alu instid0(VALU_DEP_2)
	v_mov_b32_e32 v83, v89
	scratch_store_b64 off, v[82:83], off offset:128
.LBB38_225:
	s_wait_xcnt 0x0
	s_or_b32 exec_lo, exec_lo, s2
	scratch_load_b64 v[82:83], off, off offset:120
	v_cmp_lt_u32_e64 s1, 15, v0
	s_wait_loadcnt 0x0
	ds_store_b64 v1, v[82:83]
	s_wait_storecnt_dscnt 0x0
	s_barrier_signal -1
	s_barrier_wait -1
	s_wait_xcnt 0x0
	s_and_saveexec_b32 s2, s1
	s_cbranch_execz .LBB38_235
; %bb.226:
	s_and_not1_b32 vcc_lo, exec_lo, s3
	s_cbranch_vccnz .LBB38_228
; %bb.227:
	scratch_load_b64 v[82:83], v49, off
	ds_load_b64 v[84:85], v1
	s_wait_loadcnt_dscnt 0x0
	v_pk_mul_f32 v[86:87], v[84:85], v[82:83] op_sel:[1,1] op_sel_hi:[0,1]
	s_delay_alu instid0(VALU_DEP_1) | instskip(SKIP_1) | instid1(VALU_DEP_2)
	v_pk_fma_f32 v[88:89], v[84:85], v[82:83], v[86:87] op_sel_hi:[1,0,1]
	v_pk_fma_f32 v[82:83], v[84:85], v[82:83], v[86:87] neg_lo:[0,0,1] neg_hi:[0,0,1]
	v_mov_b32_e32 v83, v89
	s_cbranch_execz .LBB38_229
	s_branch .LBB38_230
.LBB38_228:
                                        ; implicit-def: $vgpr82_vgpr83
.LBB38_229:
	ds_load_b64 v[82:83], v1
.LBB38_230:
	s_and_saveexec_b32 s14, s0
	s_cbranch_execz .LBB38_234
; %bb.231:
	v_add_nc_u32_e32 v84, -16, v0
	s_movk_i32 s15, 0x1c0
	s_mov_b32 s0, 0
.LBB38_232:                             ; =>This Inner Loop Header: Depth=1
	scratch_load_b64 v[86:87], off, s13
	v_dual_mov_b32 v85, s15 :: v_dual_add_nc_u32 v84, -1, v84
	s_add_co_i32 s15, s15, 8
	s_wait_xcnt 0x0
	s_add_co_i32 s13, s13, 8
	ds_load_b64 v[88:89], v85
	v_cmp_eq_u32_e32 vcc_lo, 0, v84
	s_or_b32 s0, vcc_lo, s0
	s_wait_loadcnt_dscnt 0x0
	v_pk_mul_f32 v[90:91], v[88:89], v[86:87] op_sel:[1,1] op_sel_hi:[0,1]
	s_delay_alu instid0(VALU_DEP_1) | instskip(SKIP_1) | instid1(VALU_DEP_2)
	v_pk_fma_f32 v[92:93], v[88:89], v[86:87], v[90:91] op_sel_hi:[1,0,1]
	v_pk_fma_f32 v[86:87], v[88:89], v[86:87], v[90:91] neg_lo:[0,0,1] neg_hi:[0,0,1]
	v_mov_b32_e32 v87, v93
	s_delay_alu instid0(VALU_DEP_1)
	v_pk_add_f32 v[82:83], v[82:83], v[86:87]
	s_and_not1_b32 exec_lo, exec_lo, s0
	s_cbranch_execnz .LBB38_232
; %bb.233:
	s_or_b32 exec_lo, exec_lo, s0
.LBB38_234:
	s_delay_alu instid0(SALU_CYCLE_1) | instskip(SKIP_4) | instid1(VALU_DEP_1)
	s_or_b32 exec_lo, exec_lo, s14
	v_mov_b32_e32 v84, 0
	ds_load_b64 v[84:85], v84 offset:120
	s_wait_dscnt 0x0
	v_pk_mul_f32 v[86:87], v[82:83], v[84:85] op_sel:[1,1] op_sel_hi:[0,1]
	v_pk_fma_f32 v[88:89], v[82:83], v[84:85], v[86:87] op_sel_hi:[1,0,1]
	v_pk_fma_f32 v[82:83], v[82:83], v[84:85], v[86:87] neg_lo:[0,0,1] neg_hi:[0,0,1]
	s_delay_alu instid0(VALU_DEP_2)
	v_mov_b32_e32 v83, v89
	scratch_store_b64 off, v[82:83], off offset:120
.LBB38_235:
	s_wait_xcnt 0x0
	s_or_b32 exec_lo, exec_lo, s2
	scratch_load_b64 v[82:83], off, off offset:112
	v_cmp_lt_u32_e64 s0, 14, v0
	s_wait_loadcnt 0x0
	ds_store_b64 v1, v[82:83]
	s_wait_storecnt_dscnt 0x0
	s_barrier_signal -1
	s_barrier_wait -1
	s_wait_xcnt 0x0
	s_and_saveexec_b32 s2, s0
	s_cbranch_execz .LBB38_245
; %bb.236:
	s_and_not1_b32 vcc_lo, exec_lo, s3
	s_cbranch_vccnz .LBB38_238
; %bb.237:
	scratch_load_b64 v[82:83], v49, off
	ds_load_b64 v[84:85], v1
	s_wait_loadcnt_dscnt 0x0
	v_pk_mul_f32 v[86:87], v[84:85], v[82:83] op_sel:[1,1] op_sel_hi:[0,1]
	s_delay_alu instid0(VALU_DEP_1) | instskip(SKIP_1) | instid1(VALU_DEP_2)
	v_pk_fma_f32 v[88:89], v[84:85], v[82:83], v[86:87] op_sel_hi:[1,0,1]
	v_pk_fma_f32 v[82:83], v[84:85], v[82:83], v[86:87] neg_lo:[0,0,1] neg_hi:[0,0,1]
	v_mov_b32_e32 v83, v89
	s_cbranch_execz .LBB38_239
	s_branch .LBB38_240
.LBB38_238:
                                        ; implicit-def: $vgpr82_vgpr83
.LBB38_239:
	ds_load_b64 v[82:83], v1
.LBB38_240:
	s_and_saveexec_b32 s13, s1
	s_cbranch_execz .LBB38_244
; %bb.241:
	v_add_nc_u32_e32 v84, -15, v0
	s_movk_i32 s1, 0x78
	s_movk_i32 s15, 0x1b8
	s_mov_b32 s14, 0
.LBB38_242:                             ; =>This Inner Loop Header: Depth=1
	scratch_load_b64 v[86:87], off, s1
	v_dual_mov_b32 v85, s15 :: v_dual_add_nc_u32 v84, -1, v84
	s_add_co_i32 s15, s15, 8
	s_wait_xcnt 0x0
	s_add_co_i32 s1, s1, 8
	ds_load_b64 v[88:89], v85
	v_cmp_eq_u32_e32 vcc_lo, 0, v84
	s_or_b32 s14, vcc_lo, s14
	s_wait_loadcnt_dscnt 0x0
	v_pk_mul_f32 v[90:91], v[88:89], v[86:87] op_sel:[1,1] op_sel_hi:[0,1]
	s_delay_alu instid0(VALU_DEP_1) | instskip(SKIP_1) | instid1(VALU_DEP_2)
	v_pk_fma_f32 v[92:93], v[88:89], v[86:87], v[90:91] op_sel_hi:[1,0,1]
	v_pk_fma_f32 v[86:87], v[88:89], v[86:87], v[90:91] neg_lo:[0,0,1] neg_hi:[0,0,1]
	v_mov_b32_e32 v87, v93
	s_delay_alu instid0(VALU_DEP_1)
	v_pk_add_f32 v[82:83], v[82:83], v[86:87]
	s_and_not1_b32 exec_lo, exec_lo, s14
	s_cbranch_execnz .LBB38_242
; %bb.243:
	s_or_b32 exec_lo, exec_lo, s14
.LBB38_244:
	s_delay_alu instid0(SALU_CYCLE_1) | instskip(SKIP_4) | instid1(VALU_DEP_1)
	s_or_b32 exec_lo, exec_lo, s13
	v_mov_b32_e32 v84, 0
	ds_load_b64 v[84:85], v84 offset:112
	s_wait_dscnt 0x0
	v_pk_mul_f32 v[86:87], v[82:83], v[84:85] op_sel:[1,1] op_sel_hi:[0,1]
	v_pk_fma_f32 v[88:89], v[82:83], v[84:85], v[86:87] op_sel_hi:[1,0,1]
	v_pk_fma_f32 v[82:83], v[82:83], v[84:85], v[86:87] neg_lo:[0,0,1] neg_hi:[0,0,1]
	s_delay_alu instid0(VALU_DEP_2)
	v_mov_b32_e32 v83, v89
	scratch_store_b64 off, v[82:83], off offset:112
.LBB38_245:
	s_wait_xcnt 0x0
	s_or_b32 exec_lo, exec_lo, s2
	scratch_load_b64 v[82:83], off, off offset:104
	v_cmp_lt_u32_e64 s1, 13, v0
	s_wait_loadcnt 0x0
	ds_store_b64 v1, v[82:83]
	s_wait_storecnt_dscnt 0x0
	s_barrier_signal -1
	s_barrier_wait -1
	s_wait_xcnt 0x0
	s_and_saveexec_b32 s2, s1
	s_cbranch_execz .LBB38_255
; %bb.246:
	s_and_not1_b32 vcc_lo, exec_lo, s3
	s_cbranch_vccnz .LBB38_248
; %bb.247:
	scratch_load_b64 v[82:83], v49, off
	ds_load_b64 v[84:85], v1
	s_wait_loadcnt_dscnt 0x0
	v_pk_mul_f32 v[86:87], v[84:85], v[82:83] op_sel:[1,1] op_sel_hi:[0,1]
	s_delay_alu instid0(VALU_DEP_1) | instskip(SKIP_1) | instid1(VALU_DEP_2)
	v_pk_fma_f32 v[88:89], v[84:85], v[82:83], v[86:87] op_sel_hi:[1,0,1]
	v_pk_fma_f32 v[82:83], v[84:85], v[82:83], v[86:87] neg_lo:[0,0,1] neg_hi:[0,0,1]
	v_mov_b32_e32 v83, v89
	s_cbranch_execz .LBB38_249
	s_branch .LBB38_250
.LBB38_248:
                                        ; implicit-def: $vgpr82_vgpr83
.LBB38_249:
	ds_load_b64 v[82:83], v1
.LBB38_250:
	s_and_saveexec_b32 s13, s0
	s_cbranch_execz .LBB38_254
; %bb.251:
	v_add_nc_u32_e32 v84, -14, v0
	s_movk_i32 s14, 0x1b0
	s_mov_b32 s0, 0
.LBB38_252:                             ; =>This Inner Loop Header: Depth=1
	scratch_load_b64 v[86:87], off, s12
	v_dual_mov_b32 v85, s14 :: v_dual_add_nc_u32 v84, -1, v84
	s_add_co_i32 s14, s14, 8
	s_wait_xcnt 0x0
	s_add_co_i32 s12, s12, 8
	ds_load_b64 v[88:89], v85
	v_cmp_eq_u32_e32 vcc_lo, 0, v84
	s_or_b32 s0, vcc_lo, s0
	s_wait_loadcnt_dscnt 0x0
	v_pk_mul_f32 v[90:91], v[88:89], v[86:87] op_sel:[1,1] op_sel_hi:[0,1]
	s_delay_alu instid0(VALU_DEP_1) | instskip(SKIP_1) | instid1(VALU_DEP_2)
	v_pk_fma_f32 v[92:93], v[88:89], v[86:87], v[90:91] op_sel_hi:[1,0,1]
	v_pk_fma_f32 v[86:87], v[88:89], v[86:87], v[90:91] neg_lo:[0,0,1] neg_hi:[0,0,1]
	v_mov_b32_e32 v87, v93
	s_delay_alu instid0(VALU_DEP_1)
	v_pk_add_f32 v[82:83], v[82:83], v[86:87]
	s_and_not1_b32 exec_lo, exec_lo, s0
	s_cbranch_execnz .LBB38_252
; %bb.253:
	s_or_b32 exec_lo, exec_lo, s0
.LBB38_254:
	s_delay_alu instid0(SALU_CYCLE_1) | instskip(SKIP_4) | instid1(VALU_DEP_1)
	s_or_b32 exec_lo, exec_lo, s13
	v_mov_b32_e32 v84, 0
	ds_load_b64 v[84:85], v84 offset:104
	s_wait_dscnt 0x0
	v_pk_mul_f32 v[86:87], v[82:83], v[84:85] op_sel:[1,1] op_sel_hi:[0,1]
	v_pk_fma_f32 v[88:89], v[82:83], v[84:85], v[86:87] op_sel_hi:[1,0,1]
	v_pk_fma_f32 v[82:83], v[82:83], v[84:85], v[86:87] neg_lo:[0,0,1] neg_hi:[0,0,1]
	s_delay_alu instid0(VALU_DEP_2)
	v_mov_b32_e32 v83, v89
	scratch_store_b64 off, v[82:83], off offset:104
.LBB38_255:
	s_wait_xcnt 0x0
	s_or_b32 exec_lo, exec_lo, s2
	scratch_load_b64 v[82:83], off, off offset:96
	v_cmp_lt_u32_e64 s0, 12, v0
	s_wait_loadcnt 0x0
	ds_store_b64 v1, v[82:83]
	s_wait_storecnt_dscnt 0x0
	s_barrier_signal -1
	s_barrier_wait -1
	s_wait_xcnt 0x0
	s_and_saveexec_b32 s2, s0
	s_cbranch_execz .LBB38_265
; %bb.256:
	s_and_not1_b32 vcc_lo, exec_lo, s3
	s_cbranch_vccnz .LBB38_258
; %bb.257:
	scratch_load_b64 v[82:83], v49, off
	ds_load_b64 v[84:85], v1
	s_wait_loadcnt_dscnt 0x0
	v_pk_mul_f32 v[86:87], v[84:85], v[82:83] op_sel:[1,1] op_sel_hi:[0,1]
	s_delay_alu instid0(VALU_DEP_1) | instskip(SKIP_1) | instid1(VALU_DEP_2)
	v_pk_fma_f32 v[88:89], v[84:85], v[82:83], v[86:87] op_sel_hi:[1,0,1]
	v_pk_fma_f32 v[82:83], v[84:85], v[82:83], v[86:87] neg_lo:[0,0,1] neg_hi:[0,0,1]
	v_mov_b32_e32 v83, v89
	s_cbranch_execz .LBB38_259
	s_branch .LBB38_260
.LBB38_258:
                                        ; implicit-def: $vgpr82_vgpr83
.LBB38_259:
	ds_load_b64 v[82:83], v1
.LBB38_260:
	s_and_saveexec_b32 s12, s1
	s_cbranch_execz .LBB38_264
; %bb.261:
	v_add_nc_u32_e32 v84, -13, v0
	s_movk_i32 s1, 0x68
	s_movk_i32 s14, 0x1a8
	s_mov_b32 s13, 0
.LBB38_262:                             ; =>This Inner Loop Header: Depth=1
	scratch_load_b64 v[86:87], off, s1
	v_dual_mov_b32 v85, s14 :: v_dual_add_nc_u32 v84, -1, v84
	s_add_co_i32 s14, s14, 8
	s_wait_xcnt 0x0
	s_add_co_i32 s1, s1, 8
	ds_load_b64 v[88:89], v85
	v_cmp_eq_u32_e32 vcc_lo, 0, v84
	s_or_b32 s13, vcc_lo, s13
	s_wait_loadcnt_dscnt 0x0
	v_pk_mul_f32 v[90:91], v[88:89], v[86:87] op_sel:[1,1] op_sel_hi:[0,1]
	s_delay_alu instid0(VALU_DEP_1) | instskip(SKIP_1) | instid1(VALU_DEP_2)
	v_pk_fma_f32 v[92:93], v[88:89], v[86:87], v[90:91] op_sel_hi:[1,0,1]
	v_pk_fma_f32 v[86:87], v[88:89], v[86:87], v[90:91] neg_lo:[0,0,1] neg_hi:[0,0,1]
	v_mov_b32_e32 v87, v93
	s_delay_alu instid0(VALU_DEP_1)
	v_pk_add_f32 v[82:83], v[82:83], v[86:87]
	s_and_not1_b32 exec_lo, exec_lo, s13
	s_cbranch_execnz .LBB38_262
; %bb.263:
	s_or_b32 exec_lo, exec_lo, s13
.LBB38_264:
	s_delay_alu instid0(SALU_CYCLE_1) | instskip(SKIP_4) | instid1(VALU_DEP_1)
	s_or_b32 exec_lo, exec_lo, s12
	v_mov_b32_e32 v84, 0
	ds_load_b64 v[84:85], v84 offset:96
	s_wait_dscnt 0x0
	v_pk_mul_f32 v[86:87], v[82:83], v[84:85] op_sel:[1,1] op_sel_hi:[0,1]
	v_pk_fma_f32 v[88:89], v[82:83], v[84:85], v[86:87] op_sel_hi:[1,0,1]
	v_pk_fma_f32 v[82:83], v[82:83], v[84:85], v[86:87] neg_lo:[0,0,1] neg_hi:[0,0,1]
	s_delay_alu instid0(VALU_DEP_2)
	v_mov_b32_e32 v83, v89
	scratch_store_b64 off, v[82:83], off offset:96
.LBB38_265:
	s_wait_xcnt 0x0
	s_or_b32 exec_lo, exec_lo, s2
	scratch_load_b64 v[82:83], off, off offset:88
	v_cmp_lt_u32_e64 s1, 11, v0
	s_wait_loadcnt 0x0
	ds_store_b64 v1, v[82:83]
	s_wait_storecnt_dscnt 0x0
	s_barrier_signal -1
	s_barrier_wait -1
	s_wait_xcnt 0x0
	s_and_saveexec_b32 s2, s1
	s_cbranch_execz .LBB38_275
; %bb.266:
	s_and_not1_b32 vcc_lo, exec_lo, s3
	s_cbranch_vccnz .LBB38_268
; %bb.267:
	scratch_load_b64 v[82:83], v49, off
	ds_load_b64 v[84:85], v1
	s_wait_loadcnt_dscnt 0x0
	v_pk_mul_f32 v[86:87], v[84:85], v[82:83] op_sel:[1,1] op_sel_hi:[0,1]
	s_delay_alu instid0(VALU_DEP_1) | instskip(SKIP_1) | instid1(VALU_DEP_2)
	v_pk_fma_f32 v[88:89], v[84:85], v[82:83], v[86:87] op_sel_hi:[1,0,1]
	v_pk_fma_f32 v[82:83], v[84:85], v[82:83], v[86:87] neg_lo:[0,0,1] neg_hi:[0,0,1]
	v_mov_b32_e32 v83, v89
	s_cbranch_execz .LBB38_269
	s_branch .LBB38_270
.LBB38_268:
                                        ; implicit-def: $vgpr82_vgpr83
.LBB38_269:
	ds_load_b64 v[82:83], v1
.LBB38_270:
	s_and_saveexec_b32 s12, s0
	s_cbranch_execz .LBB38_274
; %bb.271:
	v_add_nc_u32_e32 v84, -12, v0
	s_movk_i32 s13, 0x1a0
	s_mov_b32 s0, 0
.LBB38_272:                             ; =>This Inner Loop Header: Depth=1
	scratch_load_b64 v[86:87], off, s11
	v_dual_mov_b32 v85, s13 :: v_dual_add_nc_u32 v84, -1, v84
	s_add_co_i32 s13, s13, 8
	s_wait_xcnt 0x0
	s_add_co_i32 s11, s11, 8
	ds_load_b64 v[88:89], v85
	v_cmp_eq_u32_e32 vcc_lo, 0, v84
	s_or_b32 s0, vcc_lo, s0
	s_wait_loadcnt_dscnt 0x0
	v_pk_mul_f32 v[90:91], v[88:89], v[86:87] op_sel:[1,1] op_sel_hi:[0,1]
	s_delay_alu instid0(VALU_DEP_1) | instskip(SKIP_1) | instid1(VALU_DEP_2)
	v_pk_fma_f32 v[92:93], v[88:89], v[86:87], v[90:91] op_sel_hi:[1,0,1]
	v_pk_fma_f32 v[86:87], v[88:89], v[86:87], v[90:91] neg_lo:[0,0,1] neg_hi:[0,0,1]
	v_mov_b32_e32 v87, v93
	s_delay_alu instid0(VALU_DEP_1)
	v_pk_add_f32 v[82:83], v[82:83], v[86:87]
	s_and_not1_b32 exec_lo, exec_lo, s0
	s_cbranch_execnz .LBB38_272
; %bb.273:
	s_or_b32 exec_lo, exec_lo, s0
.LBB38_274:
	s_delay_alu instid0(SALU_CYCLE_1) | instskip(SKIP_4) | instid1(VALU_DEP_1)
	s_or_b32 exec_lo, exec_lo, s12
	v_mov_b32_e32 v84, 0
	ds_load_b64 v[84:85], v84 offset:88
	s_wait_dscnt 0x0
	v_pk_mul_f32 v[86:87], v[82:83], v[84:85] op_sel:[1,1] op_sel_hi:[0,1]
	v_pk_fma_f32 v[88:89], v[82:83], v[84:85], v[86:87] op_sel_hi:[1,0,1]
	v_pk_fma_f32 v[82:83], v[82:83], v[84:85], v[86:87] neg_lo:[0,0,1] neg_hi:[0,0,1]
	s_delay_alu instid0(VALU_DEP_2)
	v_mov_b32_e32 v83, v89
	scratch_store_b64 off, v[82:83], off offset:88
.LBB38_275:
	s_wait_xcnt 0x0
	s_or_b32 exec_lo, exec_lo, s2
	scratch_load_b64 v[82:83], off, off offset:80
	v_cmp_lt_u32_e64 s0, 10, v0
	s_wait_loadcnt 0x0
	ds_store_b64 v1, v[82:83]
	s_wait_storecnt_dscnt 0x0
	s_barrier_signal -1
	s_barrier_wait -1
	s_wait_xcnt 0x0
	s_and_saveexec_b32 s2, s0
	s_cbranch_execz .LBB38_285
; %bb.276:
	s_and_not1_b32 vcc_lo, exec_lo, s3
	s_cbranch_vccnz .LBB38_278
; %bb.277:
	scratch_load_b64 v[82:83], v49, off
	ds_load_b64 v[84:85], v1
	s_wait_loadcnt_dscnt 0x0
	v_pk_mul_f32 v[86:87], v[84:85], v[82:83] op_sel:[1,1] op_sel_hi:[0,1]
	s_delay_alu instid0(VALU_DEP_1) | instskip(SKIP_1) | instid1(VALU_DEP_2)
	v_pk_fma_f32 v[88:89], v[84:85], v[82:83], v[86:87] op_sel_hi:[1,0,1]
	v_pk_fma_f32 v[82:83], v[84:85], v[82:83], v[86:87] neg_lo:[0,0,1] neg_hi:[0,0,1]
	v_mov_b32_e32 v83, v89
	s_cbranch_execz .LBB38_279
	s_branch .LBB38_280
.LBB38_278:
                                        ; implicit-def: $vgpr82_vgpr83
.LBB38_279:
	ds_load_b64 v[82:83], v1
.LBB38_280:
	s_and_saveexec_b32 s11, s1
	s_cbranch_execz .LBB38_284
; %bb.281:
	v_add_nc_u32_e32 v84, -11, v0
	s_movk_i32 s1, 0x58
	s_movk_i32 s13, 0x198
	s_mov_b32 s12, 0
.LBB38_282:                             ; =>This Inner Loop Header: Depth=1
	scratch_load_b64 v[86:87], off, s1
	v_dual_mov_b32 v85, s13 :: v_dual_add_nc_u32 v84, -1, v84
	s_add_co_i32 s13, s13, 8
	s_wait_xcnt 0x0
	s_add_co_i32 s1, s1, 8
	ds_load_b64 v[88:89], v85
	v_cmp_eq_u32_e32 vcc_lo, 0, v84
	s_or_b32 s12, vcc_lo, s12
	s_wait_loadcnt_dscnt 0x0
	v_pk_mul_f32 v[90:91], v[88:89], v[86:87] op_sel:[1,1] op_sel_hi:[0,1]
	s_delay_alu instid0(VALU_DEP_1) | instskip(SKIP_1) | instid1(VALU_DEP_2)
	v_pk_fma_f32 v[92:93], v[88:89], v[86:87], v[90:91] op_sel_hi:[1,0,1]
	v_pk_fma_f32 v[86:87], v[88:89], v[86:87], v[90:91] neg_lo:[0,0,1] neg_hi:[0,0,1]
	v_mov_b32_e32 v87, v93
	s_delay_alu instid0(VALU_DEP_1)
	v_pk_add_f32 v[82:83], v[82:83], v[86:87]
	s_and_not1_b32 exec_lo, exec_lo, s12
	s_cbranch_execnz .LBB38_282
; %bb.283:
	s_or_b32 exec_lo, exec_lo, s12
.LBB38_284:
	s_delay_alu instid0(SALU_CYCLE_1) | instskip(SKIP_4) | instid1(VALU_DEP_1)
	s_or_b32 exec_lo, exec_lo, s11
	v_mov_b32_e32 v84, 0
	ds_load_b64 v[84:85], v84 offset:80
	s_wait_dscnt 0x0
	v_pk_mul_f32 v[86:87], v[82:83], v[84:85] op_sel:[1,1] op_sel_hi:[0,1]
	v_pk_fma_f32 v[88:89], v[82:83], v[84:85], v[86:87] op_sel_hi:[1,0,1]
	v_pk_fma_f32 v[82:83], v[82:83], v[84:85], v[86:87] neg_lo:[0,0,1] neg_hi:[0,0,1]
	s_delay_alu instid0(VALU_DEP_2)
	v_mov_b32_e32 v83, v89
	scratch_store_b64 off, v[82:83], off offset:80
.LBB38_285:
	s_wait_xcnt 0x0
	s_or_b32 exec_lo, exec_lo, s2
	scratch_load_b64 v[82:83], off, off offset:72
	v_cmp_lt_u32_e64 s1, 9, v0
	s_wait_loadcnt 0x0
	ds_store_b64 v1, v[82:83]
	s_wait_storecnt_dscnt 0x0
	s_barrier_signal -1
	s_barrier_wait -1
	s_wait_xcnt 0x0
	s_and_saveexec_b32 s2, s1
	s_cbranch_execz .LBB38_295
; %bb.286:
	s_and_not1_b32 vcc_lo, exec_lo, s3
	s_cbranch_vccnz .LBB38_288
; %bb.287:
	scratch_load_b64 v[82:83], v49, off
	ds_load_b64 v[84:85], v1
	s_wait_loadcnt_dscnt 0x0
	v_pk_mul_f32 v[86:87], v[84:85], v[82:83] op_sel:[1,1] op_sel_hi:[0,1]
	s_delay_alu instid0(VALU_DEP_1) | instskip(SKIP_1) | instid1(VALU_DEP_2)
	v_pk_fma_f32 v[88:89], v[84:85], v[82:83], v[86:87] op_sel_hi:[1,0,1]
	v_pk_fma_f32 v[82:83], v[84:85], v[82:83], v[86:87] neg_lo:[0,0,1] neg_hi:[0,0,1]
	v_mov_b32_e32 v83, v89
	s_cbranch_execz .LBB38_289
	s_branch .LBB38_290
.LBB38_288:
                                        ; implicit-def: $vgpr82_vgpr83
.LBB38_289:
	ds_load_b64 v[82:83], v1
.LBB38_290:
	s_and_saveexec_b32 s11, s0
	s_cbranch_execz .LBB38_294
; %bb.291:
	v_add_nc_u32_e32 v84, -10, v0
	s_movk_i32 s12, 0x190
	s_mov_b32 s0, 0
.LBB38_292:                             ; =>This Inner Loop Header: Depth=1
	scratch_load_b64 v[86:87], off, s10
	v_dual_mov_b32 v85, s12 :: v_dual_add_nc_u32 v84, -1, v84
	s_add_co_i32 s12, s12, 8
	s_wait_xcnt 0x0
	s_add_co_i32 s10, s10, 8
	ds_load_b64 v[88:89], v85
	v_cmp_eq_u32_e32 vcc_lo, 0, v84
	s_or_b32 s0, vcc_lo, s0
	s_wait_loadcnt_dscnt 0x0
	v_pk_mul_f32 v[90:91], v[88:89], v[86:87] op_sel:[1,1] op_sel_hi:[0,1]
	s_delay_alu instid0(VALU_DEP_1) | instskip(SKIP_1) | instid1(VALU_DEP_2)
	v_pk_fma_f32 v[92:93], v[88:89], v[86:87], v[90:91] op_sel_hi:[1,0,1]
	v_pk_fma_f32 v[86:87], v[88:89], v[86:87], v[90:91] neg_lo:[0,0,1] neg_hi:[0,0,1]
	v_mov_b32_e32 v87, v93
	s_delay_alu instid0(VALU_DEP_1)
	v_pk_add_f32 v[82:83], v[82:83], v[86:87]
	s_and_not1_b32 exec_lo, exec_lo, s0
	s_cbranch_execnz .LBB38_292
; %bb.293:
	s_or_b32 exec_lo, exec_lo, s0
.LBB38_294:
	s_delay_alu instid0(SALU_CYCLE_1) | instskip(SKIP_4) | instid1(VALU_DEP_1)
	s_or_b32 exec_lo, exec_lo, s11
	v_mov_b32_e32 v84, 0
	ds_load_b64 v[84:85], v84 offset:72
	s_wait_dscnt 0x0
	v_pk_mul_f32 v[86:87], v[82:83], v[84:85] op_sel:[1,1] op_sel_hi:[0,1]
	v_pk_fma_f32 v[88:89], v[82:83], v[84:85], v[86:87] op_sel_hi:[1,0,1]
	v_pk_fma_f32 v[82:83], v[82:83], v[84:85], v[86:87] neg_lo:[0,0,1] neg_hi:[0,0,1]
	s_delay_alu instid0(VALU_DEP_2)
	v_mov_b32_e32 v83, v89
	scratch_store_b64 off, v[82:83], off offset:72
.LBB38_295:
	s_wait_xcnt 0x0
	s_or_b32 exec_lo, exec_lo, s2
	scratch_load_b64 v[82:83], off, off offset:64
	v_cmp_lt_u32_e64 s0, 8, v0
	s_wait_loadcnt 0x0
	ds_store_b64 v1, v[82:83]
	s_wait_storecnt_dscnt 0x0
	s_barrier_signal -1
	s_barrier_wait -1
	s_wait_xcnt 0x0
	s_and_saveexec_b32 s2, s0
	s_cbranch_execz .LBB38_305
; %bb.296:
	s_and_not1_b32 vcc_lo, exec_lo, s3
	s_cbranch_vccnz .LBB38_298
; %bb.297:
	scratch_load_b64 v[82:83], v49, off
	ds_load_b64 v[84:85], v1
	s_wait_loadcnt_dscnt 0x0
	v_pk_mul_f32 v[86:87], v[84:85], v[82:83] op_sel:[1,1] op_sel_hi:[0,1]
	s_delay_alu instid0(VALU_DEP_1) | instskip(SKIP_1) | instid1(VALU_DEP_2)
	v_pk_fma_f32 v[88:89], v[84:85], v[82:83], v[86:87] op_sel_hi:[1,0,1]
	v_pk_fma_f32 v[82:83], v[84:85], v[82:83], v[86:87] neg_lo:[0,0,1] neg_hi:[0,0,1]
	v_mov_b32_e32 v83, v89
	s_cbranch_execz .LBB38_299
	s_branch .LBB38_300
.LBB38_298:
                                        ; implicit-def: $vgpr82_vgpr83
.LBB38_299:
	ds_load_b64 v[82:83], v1
.LBB38_300:
	s_and_saveexec_b32 s10, s1
	s_cbranch_execz .LBB38_304
; %bb.301:
	v_add_nc_u32_e32 v84, -9, v0
	s_movk_i32 s1, 0x48
	s_movk_i32 s12, 0x188
	s_mov_b32 s11, 0
.LBB38_302:                             ; =>This Inner Loop Header: Depth=1
	scratch_load_b64 v[86:87], off, s1
	v_dual_mov_b32 v85, s12 :: v_dual_add_nc_u32 v84, -1, v84
	s_add_co_i32 s12, s12, 8
	s_wait_xcnt 0x0
	s_add_co_i32 s1, s1, 8
	ds_load_b64 v[88:89], v85
	v_cmp_eq_u32_e32 vcc_lo, 0, v84
	s_or_b32 s11, vcc_lo, s11
	s_wait_loadcnt_dscnt 0x0
	v_pk_mul_f32 v[90:91], v[88:89], v[86:87] op_sel:[1,1] op_sel_hi:[0,1]
	s_delay_alu instid0(VALU_DEP_1) | instskip(SKIP_1) | instid1(VALU_DEP_2)
	v_pk_fma_f32 v[92:93], v[88:89], v[86:87], v[90:91] op_sel_hi:[1,0,1]
	v_pk_fma_f32 v[86:87], v[88:89], v[86:87], v[90:91] neg_lo:[0,0,1] neg_hi:[0,0,1]
	v_mov_b32_e32 v87, v93
	s_delay_alu instid0(VALU_DEP_1)
	v_pk_add_f32 v[82:83], v[82:83], v[86:87]
	s_and_not1_b32 exec_lo, exec_lo, s11
	s_cbranch_execnz .LBB38_302
; %bb.303:
	s_or_b32 exec_lo, exec_lo, s11
.LBB38_304:
	s_delay_alu instid0(SALU_CYCLE_1) | instskip(SKIP_4) | instid1(VALU_DEP_1)
	s_or_b32 exec_lo, exec_lo, s10
	v_mov_b32_e32 v84, 0
	ds_load_b64 v[84:85], v84 offset:64
	s_wait_dscnt 0x0
	v_pk_mul_f32 v[86:87], v[82:83], v[84:85] op_sel:[1,1] op_sel_hi:[0,1]
	v_pk_fma_f32 v[88:89], v[82:83], v[84:85], v[86:87] op_sel_hi:[1,0,1]
	v_pk_fma_f32 v[82:83], v[82:83], v[84:85], v[86:87] neg_lo:[0,0,1] neg_hi:[0,0,1]
	s_delay_alu instid0(VALU_DEP_2)
	v_mov_b32_e32 v83, v89
	scratch_store_b64 off, v[82:83], off offset:64
.LBB38_305:
	s_wait_xcnt 0x0
	s_or_b32 exec_lo, exec_lo, s2
	scratch_load_b64 v[82:83], off, off offset:56
	v_cmp_lt_u32_e64 s1, 7, v0
	s_wait_loadcnt 0x0
	ds_store_b64 v1, v[82:83]
	s_wait_storecnt_dscnt 0x0
	s_barrier_signal -1
	s_barrier_wait -1
	s_wait_xcnt 0x0
	s_and_saveexec_b32 s2, s1
	s_cbranch_execz .LBB38_315
; %bb.306:
	s_and_not1_b32 vcc_lo, exec_lo, s3
	s_cbranch_vccnz .LBB38_308
; %bb.307:
	scratch_load_b64 v[82:83], v49, off
	ds_load_b64 v[84:85], v1
	s_wait_loadcnt_dscnt 0x0
	v_pk_mul_f32 v[86:87], v[84:85], v[82:83] op_sel:[1,1] op_sel_hi:[0,1]
	s_delay_alu instid0(VALU_DEP_1) | instskip(SKIP_1) | instid1(VALU_DEP_2)
	v_pk_fma_f32 v[88:89], v[84:85], v[82:83], v[86:87] op_sel_hi:[1,0,1]
	v_pk_fma_f32 v[82:83], v[84:85], v[82:83], v[86:87] neg_lo:[0,0,1] neg_hi:[0,0,1]
	v_mov_b32_e32 v83, v89
	s_cbranch_execz .LBB38_309
	s_branch .LBB38_310
.LBB38_308:
                                        ; implicit-def: $vgpr82_vgpr83
.LBB38_309:
	ds_load_b64 v[82:83], v1
.LBB38_310:
	s_and_saveexec_b32 s10, s0
	s_cbranch_execz .LBB38_314
; %bb.311:
	v_add_nc_u32_e32 v84, -8, v0
	s_movk_i32 s11, 0x180
	s_mov_b32 s0, 0
.LBB38_312:                             ; =>This Inner Loop Header: Depth=1
	scratch_load_b64 v[86:87], off, s9
	v_dual_mov_b32 v85, s11 :: v_dual_add_nc_u32 v84, -1, v84
	s_add_co_i32 s11, s11, 8
	s_wait_xcnt 0x0
	s_add_co_i32 s9, s9, 8
	ds_load_b64 v[88:89], v85
	v_cmp_eq_u32_e32 vcc_lo, 0, v84
	s_or_b32 s0, vcc_lo, s0
	s_wait_loadcnt_dscnt 0x0
	v_pk_mul_f32 v[90:91], v[88:89], v[86:87] op_sel:[1,1] op_sel_hi:[0,1]
	s_delay_alu instid0(VALU_DEP_1) | instskip(SKIP_1) | instid1(VALU_DEP_2)
	v_pk_fma_f32 v[92:93], v[88:89], v[86:87], v[90:91] op_sel_hi:[1,0,1]
	v_pk_fma_f32 v[86:87], v[88:89], v[86:87], v[90:91] neg_lo:[0,0,1] neg_hi:[0,0,1]
	v_mov_b32_e32 v87, v93
	s_delay_alu instid0(VALU_DEP_1)
	v_pk_add_f32 v[82:83], v[82:83], v[86:87]
	s_and_not1_b32 exec_lo, exec_lo, s0
	s_cbranch_execnz .LBB38_312
; %bb.313:
	s_or_b32 exec_lo, exec_lo, s0
.LBB38_314:
	s_delay_alu instid0(SALU_CYCLE_1) | instskip(SKIP_4) | instid1(VALU_DEP_1)
	s_or_b32 exec_lo, exec_lo, s10
	v_mov_b32_e32 v84, 0
	ds_load_b64 v[84:85], v84 offset:56
	s_wait_dscnt 0x0
	v_pk_mul_f32 v[86:87], v[82:83], v[84:85] op_sel:[1,1] op_sel_hi:[0,1]
	v_pk_fma_f32 v[88:89], v[82:83], v[84:85], v[86:87] op_sel_hi:[1,0,1]
	v_pk_fma_f32 v[82:83], v[82:83], v[84:85], v[86:87] neg_lo:[0,0,1] neg_hi:[0,0,1]
	s_delay_alu instid0(VALU_DEP_2)
	v_mov_b32_e32 v83, v89
	scratch_store_b64 off, v[82:83], off offset:56
.LBB38_315:
	s_wait_xcnt 0x0
	s_or_b32 exec_lo, exec_lo, s2
	scratch_load_b64 v[82:83], off, off offset:48
	v_cmp_lt_u32_e64 s0, 6, v0
	s_wait_loadcnt 0x0
	ds_store_b64 v1, v[82:83]
	s_wait_storecnt_dscnt 0x0
	s_barrier_signal -1
	s_barrier_wait -1
	s_wait_xcnt 0x0
	s_and_saveexec_b32 s2, s0
	s_cbranch_execz .LBB38_325
; %bb.316:
	s_and_not1_b32 vcc_lo, exec_lo, s3
	s_cbranch_vccnz .LBB38_318
; %bb.317:
	scratch_load_b64 v[82:83], v49, off
	ds_load_b64 v[84:85], v1
	s_wait_loadcnt_dscnt 0x0
	v_pk_mul_f32 v[86:87], v[84:85], v[82:83] op_sel:[1,1] op_sel_hi:[0,1]
	s_delay_alu instid0(VALU_DEP_1) | instskip(SKIP_1) | instid1(VALU_DEP_2)
	v_pk_fma_f32 v[88:89], v[84:85], v[82:83], v[86:87] op_sel_hi:[1,0,1]
	v_pk_fma_f32 v[82:83], v[84:85], v[82:83], v[86:87] neg_lo:[0,0,1] neg_hi:[0,0,1]
	v_mov_b32_e32 v83, v89
	s_cbranch_execz .LBB38_319
	s_branch .LBB38_320
.LBB38_318:
                                        ; implicit-def: $vgpr82_vgpr83
.LBB38_319:
	ds_load_b64 v[82:83], v1
.LBB38_320:
	s_and_saveexec_b32 s9, s1
	s_cbranch_execz .LBB38_324
; %bb.321:
	v_add_nc_u32_e32 v84, -7, v0
	s_mov_b32 s1, 56
	s_movk_i32 s11, 0x178
	s_mov_b32 s10, 0
.LBB38_322:                             ; =>This Inner Loop Header: Depth=1
	scratch_load_b64 v[86:87], off, s1
	v_dual_mov_b32 v85, s11 :: v_dual_add_nc_u32 v84, -1, v84
	s_add_co_i32 s11, s11, 8
	s_wait_xcnt 0x0
	s_add_co_i32 s1, s1, 8
	ds_load_b64 v[88:89], v85
	v_cmp_eq_u32_e32 vcc_lo, 0, v84
	s_or_b32 s10, vcc_lo, s10
	s_wait_loadcnt_dscnt 0x0
	v_pk_mul_f32 v[90:91], v[88:89], v[86:87] op_sel:[1,1] op_sel_hi:[0,1]
	s_delay_alu instid0(VALU_DEP_1) | instskip(SKIP_1) | instid1(VALU_DEP_2)
	v_pk_fma_f32 v[92:93], v[88:89], v[86:87], v[90:91] op_sel_hi:[1,0,1]
	v_pk_fma_f32 v[86:87], v[88:89], v[86:87], v[90:91] neg_lo:[0,0,1] neg_hi:[0,0,1]
	v_mov_b32_e32 v87, v93
	s_delay_alu instid0(VALU_DEP_1)
	v_pk_add_f32 v[82:83], v[82:83], v[86:87]
	s_and_not1_b32 exec_lo, exec_lo, s10
	s_cbranch_execnz .LBB38_322
; %bb.323:
	s_or_b32 exec_lo, exec_lo, s10
.LBB38_324:
	s_delay_alu instid0(SALU_CYCLE_1) | instskip(SKIP_4) | instid1(VALU_DEP_1)
	s_or_b32 exec_lo, exec_lo, s9
	v_mov_b32_e32 v84, 0
	ds_load_b64 v[84:85], v84 offset:48
	s_wait_dscnt 0x0
	v_pk_mul_f32 v[86:87], v[82:83], v[84:85] op_sel:[1,1] op_sel_hi:[0,1]
	v_pk_fma_f32 v[88:89], v[82:83], v[84:85], v[86:87] op_sel_hi:[1,0,1]
	v_pk_fma_f32 v[82:83], v[82:83], v[84:85], v[86:87] neg_lo:[0,0,1] neg_hi:[0,0,1]
	s_delay_alu instid0(VALU_DEP_2)
	v_mov_b32_e32 v83, v89
	scratch_store_b64 off, v[82:83], off offset:48
.LBB38_325:
	s_wait_xcnt 0x0
	s_or_b32 exec_lo, exec_lo, s2
	scratch_load_b64 v[82:83], off, off offset:40
	v_cmp_lt_u32_e64 s1, 5, v0
	s_wait_loadcnt 0x0
	ds_store_b64 v1, v[82:83]
	s_wait_storecnt_dscnt 0x0
	s_barrier_signal -1
	s_barrier_wait -1
	s_wait_xcnt 0x0
	s_and_saveexec_b32 s2, s1
	s_cbranch_execz .LBB38_335
; %bb.326:
	s_and_not1_b32 vcc_lo, exec_lo, s3
	s_cbranch_vccnz .LBB38_328
; %bb.327:
	scratch_load_b64 v[82:83], v49, off
	ds_load_b64 v[84:85], v1
	s_wait_loadcnt_dscnt 0x0
	v_pk_mul_f32 v[86:87], v[84:85], v[82:83] op_sel:[1,1] op_sel_hi:[0,1]
	s_delay_alu instid0(VALU_DEP_1) | instskip(SKIP_1) | instid1(VALU_DEP_2)
	v_pk_fma_f32 v[88:89], v[84:85], v[82:83], v[86:87] op_sel_hi:[1,0,1]
	v_pk_fma_f32 v[82:83], v[84:85], v[82:83], v[86:87] neg_lo:[0,0,1] neg_hi:[0,0,1]
	v_mov_b32_e32 v83, v89
	s_cbranch_execz .LBB38_329
	s_branch .LBB38_330
.LBB38_328:
                                        ; implicit-def: $vgpr82_vgpr83
.LBB38_329:
	ds_load_b64 v[82:83], v1
.LBB38_330:
	s_and_saveexec_b32 s9, s0
	s_cbranch_execz .LBB38_334
; %bb.331:
	v_add_nc_u32_e32 v84, -6, v0
	s_movk_i32 s10, 0x170
	s_mov_b32 s0, 0
.LBB38_332:                             ; =>This Inner Loop Header: Depth=1
	scratch_load_b64 v[86:87], off, s8
	v_dual_mov_b32 v85, s10 :: v_dual_add_nc_u32 v84, -1, v84
	s_add_co_i32 s10, s10, 8
	s_wait_xcnt 0x0
	s_add_co_i32 s8, s8, 8
	ds_load_b64 v[88:89], v85
	v_cmp_eq_u32_e32 vcc_lo, 0, v84
	s_or_b32 s0, vcc_lo, s0
	s_wait_loadcnt_dscnt 0x0
	v_pk_mul_f32 v[90:91], v[88:89], v[86:87] op_sel:[1,1] op_sel_hi:[0,1]
	s_delay_alu instid0(VALU_DEP_1) | instskip(SKIP_1) | instid1(VALU_DEP_2)
	v_pk_fma_f32 v[92:93], v[88:89], v[86:87], v[90:91] op_sel_hi:[1,0,1]
	v_pk_fma_f32 v[86:87], v[88:89], v[86:87], v[90:91] neg_lo:[0,0,1] neg_hi:[0,0,1]
	v_mov_b32_e32 v87, v93
	s_delay_alu instid0(VALU_DEP_1)
	v_pk_add_f32 v[82:83], v[82:83], v[86:87]
	s_and_not1_b32 exec_lo, exec_lo, s0
	s_cbranch_execnz .LBB38_332
; %bb.333:
	s_or_b32 exec_lo, exec_lo, s0
.LBB38_334:
	s_delay_alu instid0(SALU_CYCLE_1) | instskip(SKIP_4) | instid1(VALU_DEP_1)
	s_or_b32 exec_lo, exec_lo, s9
	v_mov_b32_e32 v84, 0
	ds_load_b64 v[84:85], v84 offset:40
	s_wait_dscnt 0x0
	v_pk_mul_f32 v[86:87], v[82:83], v[84:85] op_sel:[1,1] op_sel_hi:[0,1]
	v_pk_fma_f32 v[88:89], v[82:83], v[84:85], v[86:87] op_sel_hi:[1,0,1]
	v_pk_fma_f32 v[82:83], v[82:83], v[84:85], v[86:87] neg_lo:[0,0,1] neg_hi:[0,0,1]
	s_delay_alu instid0(VALU_DEP_2)
	v_mov_b32_e32 v83, v89
	scratch_store_b64 off, v[82:83], off offset:40
.LBB38_335:
	s_wait_xcnt 0x0
	s_or_b32 exec_lo, exec_lo, s2
	scratch_load_b64 v[82:83], off, off offset:32
	v_cmp_lt_u32_e64 s0, 4, v0
	s_wait_loadcnt 0x0
	ds_store_b64 v1, v[82:83]
	s_wait_storecnt_dscnt 0x0
	s_barrier_signal -1
	s_barrier_wait -1
	s_wait_xcnt 0x0
	s_and_saveexec_b32 s2, s0
	s_cbranch_execz .LBB38_345
; %bb.336:
	s_and_not1_b32 vcc_lo, exec_lo, s3
	s_cbranch_vccnz .LBB38_338
; %bb.337:
	scratch_load_b64 v[82:83], v49, off
	ds_load_b64 v[84:85], v1
	s_wait_loadcnt_dscnt 0x0
	v_pk_mul_f32 v[86:87], v[84:85], v[82:83] op_sel:[1,1] op_sel_hi:[0,1]
	s_delay_alu instid0(VALU_DEP_1) | instskip(SKIP_1) | instid1(VALU_DEP_2)
	v_pk_fma_f32 v[88:89], v[84:85], v[82:83], v[86:87] op_sel_hi:[1,0,1]
	v_pk_fma_f32 v[82:83], v[84:85], v[82:83], v[86:87] neg_lo:[0,0,1] neg_hi:[0,0,1]
	v_mov_b32_e32 v83, v89
	s_cbranch_execz .LBB38_339
	s_branch .LBB38_340
.LBB38_338:
                                        ; implicit-def: $vgpr82_vgpr83
.LBB38_339:
	ds_load_b64 v[82:83], v1
.LBB38_340:
	s_and_saveexec_b32 s8, s1
	s_cbranch_execz .LBB38_344
; %bb.341:
	v_add_nc_u32_e32 v84, -5, v0
	s_mov_b32 s1, 40
	s_movk_i32 s10, 0x168
	s_mov_b32 s9, 0
.LBB38_342:                             ; =>This Inner Loop Header: Depth=1
	scratch_load_b64 v[86:87], off, s1
	v_dual_mov_b32 v85, s10 :: v_dual_add_nc_u32 v84, -1, v84
	s_add_co_i32 s10, s10, 8
	s_wait_xcnt 0x0
	s_add_co_i32 s1, s1, 8
	ds_load_b64 v[88:89], v85
	v_cmp_eq_u32_e32 vcc_lo, 0, v84
	s_or_b32 s9, vcc_lo, s9
	s_wait_loadcnt_dscnt 0x0
	v_pk_mul_f32 v[90:91], v[88:89], v[86:87] op_sel:[1,1] op_sel_hi:[0,1]
	s_delay_alu instid0(VALU_DEP_1) | instskip(SKIP_1) | instid1(VALU_DEP_2)
	v_pk_fma_f32 v[92:93], v[88:89], v[86:87], v[90:91] op_sel_hi:[1,0,1]
	v_pk_fma_f32 v[86:87], v[88:89], v[86:87], v[90:91] neg_lo:[0,0,1] neg_hi:[0,0,1]
	v_mov_b32_e32 v87, v93
	s_delay_alu instid0(VALU_DEP_1)
	v_pk_add_f32 v[82:83], v[82:83], v[86:87]
	s_and_not1_b32 exec_lo, exec_lo, s9
	s_cbranch_execnz .LBB38_342
; %bb.343:
	s_or_b32 exec_lo, exec_lo, s9
.LBB38_344:
	s_delay_alu instid0(SALU_CYCLE_1) | instskip(SKIP_4) | instid1(VALU_DEP_1)
	s_or_b32 exec_lo, exec_lo, s8
	v_mov_b32_e32 v84, 0
	ds_load_b64 v[84:85], v84 offset:32
	s_wait_dscnt 0x0
	v_pk_mul_f32 v[86:87], v[82:83], v[84:85] op_sel:[1,1] op_sel_hi:[0,1]
	v_pk_fma_f32 v[88:89], v[82:83], v[84:85], v[86:87] op_sel_hi:[1,0,1]
	v_pk_fma_f32 v[82:83], v[82:83], v[84:85], v[86:87] neg_lo:[0,0,1] neg_hi:[0,0,1]
	s_delay_alu instid0(VALU_DEP_2)
	v_mov_b32_e32 v83, v89
	scratch_store_b64 off, v[82:83], off offset:32
.LBB38_345:
	s_wait_xcnt 0x0
	s_or_b32 exec_lo, exec_lo, s2
	scratch_load_b64 v[82:83], off, off offset:24
	v_cmp_lt_u32_e64 s2, 3, v0
	s_wait_loadcnt 0x0
	ds_store_b64 v1, v[82:83]
	s_wait_storecnt_dscnt 0x0
	s_barrier_signal -1
	s_barrier_wait -1
	s_wait_xcnt 0x0
	s_and_saveexec_b32 s1, s2
	s_cbranch_execz .LBB38_355
; %bb.346:
	s_and_not1_b32 vcc_lo, exec_lo, s3
	s_cbranch_vccnz .LBB38_348
; %bb.347:
	scratch_load_b64 v[82:83], v49, off
	ds_load_b64 v[84:85], v1
	s_wait_loadcnt_dscnt 0x0
	v_pk_mul_f32 v[86:87], v[84:85], v[82:83] op_sel:[1,1] op_sel_hi:[0,1]
	s_delay_alu instid0(VALU_DEP_1) | instskip(SKIP_1) | instid1(VALU_DEP_2)
	v_pk_fma_f32 v[88:89], v[84:85], v[82:83], v[86:87] op_sel_hi:[1,0,1]
	v_pk_fma_f32 v[82:83], v[84:85], v[82:83], v[86:87] neg_lo:[0,0,1] neg_hi:[0,0,1]
	v_mov_b32_e32 v83, v89
	s_cbranch_execz .LBB38_349
	s_branch .LBB38_350
.LBB38_348:
                                        ; implicit-def: $vgpr82_vgpr83
.LBB38_349:
	ds_load_b64 v[82:83], v1
.LBB38_350:
	s_and_saveexec_b32 s8, s0
	s_cbranch_execz .LBB38_354
; %bb.351:
	v_add_nc_u32_e32 v84, -4, v0
	s_movk_i32 s9, 0x160
	s_mov_b32 s0, 0
.LBB38_352:                             ; =>This Inner Loop Header: Depth=1
	scratch_load_b64 v[86:87], off, s5
	v_dual_mov_b32 v85, s9 :: v_dual_add_nc_u32 v84, -1, v84
	s_add_co_i32 s9, s9, 8
	s_wait_xcnt 0x0
	s_add_co_i32 s5, s5, 8
	ds_load_b64 v[88:89], v85
	v_cmp_eq_u32_e32 vcc_lo, 0, v84
	s_or_b32 s0, vcc_lo, s0
	s_wait_loadcnt_dscnt 0x0
	v_pk_mul_f32 v[90:91], v[88:89], v[86:87] op_sel:[1,1] op_sel_hi:[0,1]
	s_delay_alu instid0(VALU_DEP_1) | instskip(SKIP_1) | instid1(VALU_DEP_2)
	v_pk_fma_f32 v[92:93], v[88:89], v[86:87], v[90:91] op_sel_hi:[1,0,1]
	v_pk_fma_f32 v[86:87], v[88:89], v[86:87], v[90:91] neg_lo:[0,0,1] neg_hi:[0,0,1]
	v_mov_b32_e32 v87, v93
	s_delay_alu instid0(VALU_DEP_1)
	v_pk_add_f32 v[82:83], v[82:83], v[86:87]
	s_and_not1_b32 exec_lo, exec_lo, s0
	s_cbranch_execnz .LBB38_352
; %bb.353:
	s_or_b32 exec_lo, exec_lo, s0
.LBB38_354:
	s_delay_alu instid0(SALU_CYCLE_1) | instskip(SKIP_4) | instid1(VALU_DEP_1)
	s_or_b32 exec_lo, exec_lo, s8
	v_mov_b32_e32 v84, 0
	ds_load_b64 v[84:85], v84 offset:24
	s_wait_dscnt 0x0
	v_pk_mul_f32 v[86:87], v[82:83], v[84:85] op_sel:[1,1] op_sel_hi:[0,1]
	v_pk_fma_f32 v[88:89], v[82:83], v[84:85], v[86:87] op_sel_hi:[1,0,1]
	v_pk_fma_f32 v[82:83], v[82:83], v[84:85], v[86:87] neg_lo:[0,0,1] neg_hi:[0,0,1]
	s_delay_alu instid0(VALU_DEP_2)
	v_mov_b32_e32 v83, v89
	scratch_store_b64 off, v[82:83], off offset:24
.LBB38_355:
	s_wait_xcnt 0x0
	s_or_b32 exec_lo, exec_lo, s1
	scratch_load_b64 v[82:83], off, off offset:16
	v_cmp_lt_u32_e64 s1, 2, v0
	s_wait_loadcnt 0x0
	ds_store_b64 v1, v[82:83]
	s_wait_storecnt_dscnt 0x0
	s_barrier_signal -1
	s_barrier_wait -1
	s_wait_xcnt 0x0
	s_and_saveexec_b32 s0, s1
	s_cbranch_execz .LBB38_365
; %bb.356:
	s_and_not1_b32 vcc_lo, exec_lo, s3
	s_cbranch_vccnz .LBB38_358
; %bb.357:
	scratch_load_b64 v[82:83], v49, off
	ds_load_b64 v[84:85], v1
	s_wait_loadcnt_dscnt 0x0
	v_pk_mul_f32 v[86:87], v[84:85], v[82:83] op_sel:[1,1] op_sel_hi:[0,1]
	s_delay_alu instid0(VALU_DEP_1) | instskip(SKIP_1) | instid1(VALU_DEP_2)
	v_pk_fma_f32 v[88:89], v[84:85], v[82:83], v[86:87] op_sel_hi:[1,0,1]
	v_pk_fma_f32 v[82:83], v[84:85], v[82:83], v[86:87] neg_lo:[0,0,1] neg_hi:[0,0,1]
	v_mov_b32_e32 v83, v89
	s_cbranch_execz .LBB38_359
	s_branch .LBB38_360
.LBB38_358:
                                        ; implicit-def: $vgpr82_vgpr83
.LBB38_359:
	ds_load_b64 v[82:83], v1
.LBB38_360:
	s_and_saveexec_b32 s5, s2
	s_cbranch_execz .LBB38_364
; %bb.361:
	v_add_nc_u32_e32 v84, -3, v0
	s_mov_b32 s2, 24
	s_movk_i32 s9, 0x158
	s_mov_b32 s8, 0
.LBB38_362:                             ; =>This Inner Loop Header: Depth=1
	scratch_load_b64 v[86:87], off, s2
	v_dual_mov_b32 v85, s9 :: v_dual_add_nc_u32 v84, -1, v84
	s_add_co_i32 s9, s9, 8
	s_wait_xcnt 0x0
	s_add_co_i32 s2, s2, 8
	ds_load_b64 v[88:89], v85
	v_cmp_eq_u32_e32 vcc_lo, 0, v84
	s_or_b32 s8, vcc_lo, s8
	s_wait_loadcnt_dscnt 0x0
	v_pk_mul_f32 v[90:91], v[88:89], v[86:87] op_sel:[1,1] op_sel_hi:[0,1]
	s_delay_alu instid0(VALU_DEP_1) | instskip(SKIP_1) | instid1(VALU_DEP_2)
	v_pk_fma_f32 v[92:93], v[88:89], v[86:87], v[90:91] op_sel_hi:[1,0,1]
	v_pk_fma_f32 v[86:87], v[88:89], v[86:87], v[90:91] neg_lo:[0,0,1] neg_hi:[0,0,1]
	v_mov_b32_e32 v87, v93
	s_delay_alu instid0(VALU_DEP_1)
	v_pk_add_f32 v[82:83], v[82:83], v[86:87]
	s_and_not1_b32 exec_lo, exec_lo, s8
	s_cbranch_execnz .LBB38_362
; %bb.363:
	s_or_b32 exec_lo, exec_lo, s8
.LBB38_364:
	s_delay_alu instid0(SALU_CYCLE_1) | instskip(SKIP_4) | instid1(VALU_DEP_1)
	s_or_b32 exec_lo, exec_lo, s5
	v_mov_b32_e32 v84, 0
	ds_load_b64 v[84:85], v84 offset:16
	s_wait_dscnt 0x0
	v_pk_mul_f32 v[86:87], v[82:83], v[84:85] op_sel:[1,1] op_sel_hi:[0,1]
	v_pk_fma_f32 v[88:89], v[82:83], v[84:85], v[86:87] op_sel_hi:[1,0,1]
	v_pk_fma_f32 v[82:83], v[82:83], v[84:85], v[86:87] neg_lo:[0,0,1] neg_hi:[0,0,1]
	s_delay_alu instid0(VALU_DEP_2)
	v_mov_b32_e32 v83, v89
	scratch_store_b64 off, v[82:83], off offset:16
.LBB38_365:
	s_wait_xcnt 0x0
	s_or_b32 exec_lo, exec_lo, s0
	scratch_load_b64 v[82:83], off, off offset:8
	v_cmp_lt_u32_e64 s0, 1, v0
	s_wait_loadcnt 0x0
	ds_store_b64 v1, v[82:83]
	s_wait_storecnt_dscnt 0x0
	s_barrier_signal -1
	s_barrier_wait -1
	s_wait_xcnt 0x0
	s_and_saveexec_b32 s2, s0
	s_cbranch_execz .LBB38_375
; %bb.366:
	s_and_not1_b32 vcc_lo, exec_lo, s3
	s_cbranch_vccnz .LBB38_368
; %bb.367:
	scratch_load_b64 v[82:83], v49, off
	ds_load_b64 v[84:85], v1
	s_wait_loadcnt_dscnt 0x0
	v_pk_mul_f32 v[86:87], v[84:85], v[82:83] op_sel:[1,1] op_sel_hi:[0,1]
	s_delay_alu instid0(VALU_DEP_1) | instskip(SKIP_1) | instid1(VALU_DEP_2)
	v_pk_fma_f32 v[88:89], v[84:85], v[82:83], v[86:87] op_sel_hi:[1,0,1]
	v_pk_fma_f32 v[82:83], v[84:85], v[82:83], v[86:87] neg_lo:[0,0,1] neg_hi:[0,0,1]
	v_mov_b32_e32 v83, v89
	s_cbranch_execz .LBB38_369
	s_branch .LBB38_370
.LBB38_368:
                                        ; implicit-def: $vgpr82_vgpr83
.LBB38_369:
	ds_load_b64 v[82:83], v1
.LBB38_370:
	s_and_saveexec_b32 s5, s1
	s_cbranch_execz .LBB38_374
; %bb.371:
	v_add_nc_u32_e32 v84, -2, v0
	s_movk_i32 s8, 0x150
	s_mov_b32 s1, 0
.LBB38_372:                             ; =>This Inner Loop Header: Depth=1
	scratch_load_b64 v[86:87], off, s4
	v_dual_mov_b32 v85, s8 :: v_dual_add_nc_u32 v84, -1, v84
	s_add_co_i32 s8, s8, 8
	s_wait_xcnt 0x0
	s_add_co_i32 s4, s4, 8
	ds_load_b64 v[88:89], v85
	v_cmp_eq_u32_e32 vcc_lo, 0, v84
	s_or_b32 s1, vcc_lo, s1
	s_wait_loadcnt_dscnt 0x0
	v_pk_mul_f32 v[90:91], v[88:89], v[86:87] op_sel:[1,1] op_sel_hi:[0,1]
	s_delay_alu instid0(VALU_DEP_1) | instskip(SKIP_1) | instid1(VALU_DEP_2)
	v_pk_fma_f32 v[92:93], v[88:89], v[86:87], v[90:91] op_sel_hi:[1,0,1]
	v_pk_fma_f32 v[86:87], v[88:89], v[86:87], v[90:91] neg_lo:[0,0,1] neg_hi:[0,0,1]
	v_mov_b32_e32 v87, v93
	s_delay_alu instid0(VALU_DEP_1)
	v_pk_add_f32 v[82:83], v[82:83], v[86:87]
	s_and_not1_b32 exec_lo, exec_lo, s1
	s_cbranch_execnz .LBB38_372
; %bb.373:
	s_or_b32 exec_lo, exec_lo, s1
.LBB38_374:
	s_delay_alu instid0(SALU_CYCLE_1) | instskip(SKIP_4) | instid1(VALU_DEP_1)
	s_or_b32 exec_lo, exec_lo, s5
	v_mov_b32_e32 v84, 0
	ds_load_b64 v[84:85], v84 offset:8
	s_wait_dscnt 0x0
	v_pk_mul_f32 v[86:87], v[82:83], v[84:85] op_sel:[1,1] op_sel_hi:[0,1]
	v_pk_fma_f32 v[88:89], v[82:83], v[84:85], v[86:87] op_sel_hi:[1,0,1]
	v_pk_fma_f32 v[82:83], v[82:83], v[84:85], v[86:87] neg_lo:[0,0,1] neg_hi:[0,0,1]
	s_delay_alu instid0(VALU_DEP_2)
	v_mov_b32_e32 v83, v89
	scratch_store_b64 off, v[82:83], off offset:8
.LBB38_375:
	s_wait_xcnt 0x0
	s_or_b32 exec_lo, exec_lo, s2
	scratch_load_b64 v[82:83], off, off
	s_mov_b32 s2, 0
	s_mov_b32 s1, 0
	s_mov_b32 s5, exec_lo
                                        ; implicit-def: $vgpr102
                                        ; implicit-def: $sgpr4
	s_wait_loadcnt 0x0
	ds_store_b64 v1, v[82:83]
	s_wait_storecnt_dscnt 0x0
	s_barrier_signal -1
	s_barrier_wait -1
	s_wait_xcnt 0x0
	v_cmpx_ne_u32_e32 0, v0
	s_cbranch_execz .LBB38_385
; %bb.376:
	s_and_not1_b32 vcc_lo, exec_lo, s3
	s_cbranch_vccnz .LBB38_378
; %bb.377:
	scratch_load_b64 v[84:85], v49, off
	ds_load_b64 v[86:87], v1
	s_wait_loadcnt_dscnt 0x0
	v_dual_mul_f32 v82, v87, v85 :: v_dual_mul_f32 v83, v86, v85
	s_delay_alu instid0(VALU_DEP_1)
	v_dual_fma_f32 v82, v86, v84, -v82 :: v_dual_fmac_f32 v83, v87, v84
	s_and_not1_b32 vcc_lo, exec_lo, s1
	s_cbranch_vccz .LBB38_379
	s_branch .LBB38_380
.LBB38_378:
                                        ; implicit-def: $vgpr82
.LBB38_379:
	ds_load_b64 v[82:83], v1
.LBB38_380:
	s_and_saveexec_b32 s1, s0
	s_cbranch_execz .LBB38_384
; %bb.381:
	v_add_nc_u32_e32 v84, -1, v0
	s_or_b32 s0, 0, 8
	s_movk_i32 s8, 0x148
	s_mov_b32 s4, 0
.LBB38_382:                             ; =>This Inner Loop Header: Depth=1
	scratch_load_b64 v[86:87], off, s0
	v_mov_b32_e32 v85, s8
	s_add_co_i32 s8, s8, 8
	s_wait_xcnt 0x0
	s_add_co_i32 s0, s0, 8
	v_add_nc_u32_e32 v84, -1, v84
	ds_load_b64 v[88:89], v85
	v_cmp_eq_u32_e32 vcc_lo, 0, v84
	s_or_b32 s4, vcc_lo, s4
	s_wait_loadcnt_dscnt 0x0
	v_dual_mul_f32 v85, v89, v87 :: v_dual_mul_f32 v87, v88, v87
	s_delay_alu instid0(VALU_DEP_1) | instskip(NEXT) | instid1(VALU_DEP_1)
	v_dual_fma_f32 v85, v88, v86, -v85 :: v_dual_fmac_f32 v87, v89, v86
	v_dual_add_f32 v82, v82, v85 :: v_dual_add_f32 v83, v83, v87
	s_and_not1_b32 exec_lo, exec_lo, s4
	s_cbranch_execnz .LBB38_382
; %bb.383:
	s_or_b32 exec_lo, exec_lo, s4
.LBB38_384:
	s_delay_alu instid0(SALU_CYCLE_1)
	s_or_b32 exec_lo, exec_lo, s1
	v_mov_b32_e32 v84, 0
	s_mov_b32 s1, exec_lo
	s_or_b32 s4, 0, 4
	ds_load_b64 v[84:85], v84
	s_wait_dscnt 0x0
	v_dual_mul_f32 v86, v83, v85 :: v_dual_mul_f32 v102, v82, v85
	s_delay_alu instid0(VALU_DEP_1) | instskip(NEXT) | instid1(VALU_DEP_2)
	v_fma_f32 v82, v82, v84, -v86
	v_fmac_f32_e32 v102, v83, v84
	scratch_store_b32 off, v82, off
.LBB38_385:
	s_wait_xcnt 0x0
	s_or_b32 exec_lo, exec_lo, s5
	s_delay_alu instid0(SALU_CYCLE_1)
	s_and_b32 vcc_lo, exec_lo, s2
	s_cbranch_vccz .LBB38_761
.LBB38_386:
	scratch_load_b64 v[82:83], off, off offset:8
	v_cmp_eq_u32_e64 s0, 0, v0
	s_wait_loadcnt 0x0
	ds_store_b64 v1, v[82:83]
	s_wait_storecnt_dscnt 0x0
	s_barrier_signal -1
	s_barrier_wait -1
	s_wait_xcnt 0x0
	s_and_saveexec_b32 s2, s0
	s_cbranch_execz .LBB38_392
; %bb.387:
	s_and_b32 vcc_lo, exec_lo, s3
	s_cbranch_vccz .LBB38_389
; %bb.388:
	scratch_load_b64 v[82:83], v49, off
	ds_load_b64 v[84:85], v1
	s_wait_loadcnt_dscnt 0x0
	v_pk_mul_f32 v[86:87], v[84:85], v[82:83] op_sel:[1,1] op_sel_hi:[0,1]
	v_pk_mul_f32 v[88:89], v[84:85], v[82:83] op_sel_hi:[1,0]
	s_delay_alu instid0(VALU_DEP_2) | instskip(NEXT) | instid1(VALU_DEP_2)
	v_pk_fma_f32 v[82:83], v[84:85], v[82:83], v[86:87] op_sel_hi:[1,0,1]
	v_sub_f32_e32 v82, v88, v86
	s_cbranch_execz .LBB38_390
	s_branch .LBB38_391
.LBB38_389:
                                        ; implicit-def: $vgpr83
.LBB38_390:
	ds_load_b64 v[82:83], v1
.LBB38_391:
	s_wait_dscnt 0x0
	v_dual_mov_b32 v84, 0 :: v_dual_mov_b32 v86, v83
	v_mov_b32_e32 v87, v82
	ds_load_b64 v[84:85], v84 offset:8
	s_wait_dscnt 0x0
	v_pk_mul_f32 v[86:87], v[86:87], v[84:85] op_sel:[0,1]
	s_delay_alu instid0(VALU_DEP_1) | instskip(SKIP_1) | instid1(VALU_DEP_2)
	v_pk_fma_f32 v[88:89], v[82:83], v[84:85], v[86:87] op_sel_hi:[1,0,1]
	v_pk_fma_f32 v[82:83], v[82:83], v[84:85], v[86:87] neg_lo:[0,0,1] neg_hi:[0,0,1]
	v_mov_b32_e32 v83, v89
	scratch_store_b64 off, v[82:83], off offset:8
.LBB38_392:
	s_wait_xcnt 0x0
	s_or_b32 exec_lo, exec_lo, s2
	scratch_load_b64 v[82:83], off, off offset:16
	v_cndmask_b32_e64 v84, 0, 1, s3
	s_mov_b32 s2, exec_lo
	s_wait_loadcnt 0x0
	ds_store_b64 v1, v[82:83]
	s_wait_storecnt_dscnt 0x0
	s_barrier_signal -1
	s_barrier_wait -1
	s_wait_xcnt 0x0
	v_cmpx_gt_u32_e32 2, v0
	s_cbranch_execz .LBB38_400
; %bb.393:
	s_and_not1_b32 vcc_lo, exec_lo, s3
	s_cbranch_vccnz .LBB38_395
; %bb.394:
	scratch_load_b64 v[82:83], v49, off
	ds_load_b64 v[86:87], v1
	s_wait_loadcnt_dscnt 0x0
	v_pk_mul_f32 v[88:89], v[86:87], v[82:83] op_sel:[1,1] op_sel_hi:[0,1]
	s_delay_alu instid0(VALU_DEP_1) | instskip(SKIP_1) | instid1(VALU_DEP_2)
	v_pk_fma_f32 v[90:91], v[86:87], v[82:83], v[88:89] op_sel_hi:[1,0,1]
	v_pk_fma_f32 v[82:83], v[86:87], v[82:83], v[88:89] neg_lo:[0,0,1] neg_hi:[0,0,1]
	v_mov_b32_e32 v83, v91
	s_cbranch_execz .LBB38_396
	s_branch .LBB38_397
.LBB38_395:
                                        ; implicit-def: $vgpr82_vgpr83
.LBB38_396:
	ds_load_b64 v[82:83], v1
.LBB38_397:
	s_and_saveexec_b32 s3, s0
	s_cbranch_execz .LBB38_399
; %bb.398:
	scratch_load_b64 v[86:87], off, off offset:8
	v_mov_b32_e32 v85, 0
	ds_load_b64 v[88:89], v85 offset:328
	s_wait_loadcnt_dscnt 0x0
	v_pk_mul_f32 v[90:91], v[88:89], v[86:87] op_sel:[1,1] op_sel_hi:[0,1]
	s_delay_alu instid0(VALU_DEP_1) | instskip(SKIP_1) | instid1(VALU_DEP_2)
	v_pk_fma_f32 v[92:93], v[88:89], v[86:87], v[90:91] op_sel_hi:[1,0,1]
	v_pk_fma_f32 v[86:87], v[88:89], v[86:87], v[90:91] neg_lo:[0,0,1] neg_hi:[0,0,1]
	v_mov_b32_e32 v87, v93
	s_delay_alu instid0(VALU_DEP_1)
	v_pk_add_f32 v[82:83], v[82:83], v[86:87]
.LBB38_399:
	s_or_b32 exec_lo, exec_lo, s3
	v_mov_b32_e32 v85, 0
	ds_load_b64 v[86:87], v85 offset:16
	s_wait_dscnt 0x0
	v_pk_mul_f32 v[88:89], v[82:83], v[86:87] op_sel:[1,1] op_sel_hi:[0,1]
	s_delay_alu instid0(VALU_DEP_1) | instskip(SKIP_1) | instid1(VALU_DEP_2)
	v_pk_fma_f32 v[90:91], v[82:83], v[86:87], v[88:89] op_sel_hi:[1,0,1]
	v_pk_fma_f32 v[82:83], v[82:83], v[86:87], v[88:89] neg_lo:[0,0,1] neg_hi:[0,0,1]
	v_mov_b32_e32 v83, v91
	scratch_store_b64 off, v[82:83], off offset:16
.LBB38_400:
	s_wait_xcnt 0x0
	s_or_b32 exec_lo, exec_lo, s2
	scratch_load_b64 v[82:83], off, off offset:24
	s_mov_b32 s2, exec_lo
	s_wait_loadcnt 0x0
	ds_store_b64 v1, v[82:83]
	s_wait_storecnt_dscnt 0x0
	s_barrier_signal -1
	s_barrier_wait -1
	s_wait_xcnt 0x0
	v_cmpx_gt_u32_e32 3, v0
	s_cbranch_execz .LBB38_410
; %bb.401:
	v_cmp_ne_u32_e32 vcc_lo, 1, v84
	s_cbranch_vccnz .LBB38_403
; %bb.402:
	scratch_load_b64 v[82:83], v49, off
	ds_load_b64 v[86:87], v1
	s_wait_loadcnt_dscnt 0x0
	v_pk_mul_f32 v[88:89], v[86:87], v[82:83] op_sel:[1,1] op_sel_hi:[0,1]
	s_delay_alu instid0(VALU_DEP_1) | instskip(SKIP_1) | instid1(VALU_DEP_2)
	v_pk_fma_f32 v[90:91], v[86:87], v[82:83], v[88:89] op_sel_hi:[1,0,1]
	v_pk_fma_f32 v[82:83], v[86:87], v[82:83], v[88:89] neg_lo:[0,0,1] neg_hi:[0,0,1]
	v_mov_b32_e32 v83, v91
	s_cbranch_execz .LBB38_404
	s_branch .LBB38_405
.LBB38_403:
                                        ; implicit-def: $vgpr82_vgpr83
.LBB38_404:
	ds_load_b64 v[82:83], v1
.LBB38_405:
	s_mov_b32 s3, exec_lo
	v_cmpx_ne_u32_e32 2, v0
	s_cbranch_execz .LBB38_409
; %bb.406:
	scratch_load_b64 v[86:87], v49, off offset:8
	ds_load_b64 v[88:89], v1 offset:8
	s_wait_loadcnt_dscnt 0x0
	v_pk_mul_f32 v[90:91], v[88:89], v[86:87] op_sel:[1,1] op_sel_hi:[0,1]
	s_delay_alu instid0(VALU_DEP_1) | instskip(SKIP_1) | instid1(VALU_DEP_2)
	v_pk_fma_f32 v[92:93], v[88:89], v[86:87], v[90:91] op_sel_hi:[1,0,1]
	v_pk_fma_f32 v[86:87], v[88:89], v[86:87], v[90:91] neg_lo:[0,0,1] neg_hi:[0,0,1]
	v_mov_b32_e32 v87, v93
	s_delay_alu instid0(VALU_DEP_1)
	v_pk_add_f32 v[82:83], v[82:83], v[86:87]
	s_and_saveexec_b32 s4, s0
	s_cbranch_execz .LBB38_408
; %bb.407:
	scratch_load_b64 v[86:87], off, off offset:16
	v_mov_b32_e32 v85, 0
	ds_load_b64 v[88:89], v85 offset:336
	s_wait_loadcnt_dscnt 0x0
	v_pk_mul_f32 v[90:91], v[88:89], v[86:87] op_sel:[1,1] op_sel_hi:[0,1]
	s_delay_alu instid0(VALU_DEP_1) | instskip(SKIP_1) | instid1(VALU_DEP_2)
	v_pk_fma_f32 v[92:93], v[88:89], v[86:87], v[90:91] op_sel_hi:[1,0,1]
	v_pk_fma_f32 v[86:87], v[88:89], v[86:87], v[90:91] neg_lo:[0,0,1] neg_hi:[0,0,1]
	v_mov_b32_e32 v87, v93
	s_delay_alu instid0(VALU_DEP_1)
	v_pk_add_f32 v[82:83], v[82:83], v[86:87]
.LBB38_408:
	s_or_b32 exec_lo, exec_lo, s4
.LBB38_409:
	s_delay_alu instid0(SALU_CYCLE_1) | instskip(SKIP_4) | instid1(VALU_DEP_1)
	s_or_b32 exec_lo, exec_lo, s3
	v_mov_b32_e32 v85, 0
	ds_load_b64 v[86:87], v85 offset:24
	s_wait_dscnt 0x0
	v_pk_mul_f32 v[88:89], v[82:83], v[86:87] op_sel:[1,1] op_sel_hi:[0,1]
	v_pk_fma_f32 v[90:91], v[82:83], v[86:87], v[88:89] op_sel_hi:[1,0,1]
	v_pk_fma_f32 v[82:83], v[82:83], v[86:87], v[88:89] neg_lo:[0,0,1] neg_hi:[0,0,1]
	s_delay_alu instid0(VALU_DEP_2)
	v_mov_b32_e32 v83, v91
	scratch_store_b64 off, v[82:83], off offset:24
.LBB38_410:
	s_wait_xcnt 0x0
	s_or_b32 exec_lo, exec_lo, s2
	scratch_load_b64 v[82:83], off, off offset:32
	s_mov_b32 s0, exec_lo
	s_wait_loadcnt 0x0
	ds_store_b64 v1, v[82:83]
	s_wait_storecnt_dscnt 0x0
	s_barrier_signal -1
	s_barrier_wait -1
	s_wait_xcnt 0x0
	v_cmpx_gt_u32_e32 4, v0
	s_cbranch_execz .LBB38_420
; %bb.411:
	v_cmp_ne_u32_e32 vcc_lo, 1, v84
	s_cbranch_vccnz .LBB38_413
; %bb.412:
	scratch_load_b64 v[82:83], v49, off
	ds_load_b64 v[86:87], v1
	s_wait_loadcnt_dscnt 0x0
	v_pk_mul_f32 v[88:89], v[86:87], v[82:83] op_sel:[1,1] op_sel_hi:[0,1]
	s_delay_alu instid0(VALU_DEP_1) | instskip(SKIP_1) | instid1(VALU_DEP_2)
	v_pk_fma_f32 v[90:91], v[86:87], v[82:83], v[88:89] op_sel_hi:[1,0,1]
	v_pk_fma_f32 v[82:83], v[86:87], v[82:83], v[88:89] neg_lo:[0,0,1] neg_hi:[0,0,1]
	v_mov_b32_e32 v83, v91
	s_cbranch_execz .LBB38_414
	s_branch .LBB38_415
.LBB38_413:
                                        ; implicit-def: $vgpr82_vgpr83
.LBB38_414:
	ds_load_b64 v[82:83], v1
.LBB38_415:
	s_mov_b32 s2, exec_lo
	v_cmpx_ne_u32_e32 3, v0
	s_cbranch_execz .LBB38_419
; %bb.416:
	v_add_nc_u32_e32 v85, 0x148, v48
	v_add3_u32 v86, 0, v48, 8
	v_mov_b32_e32 v87, v0
	s_mov_b32 s3, 0
.LBB38_417:                             ; =>This Inner Loop Header: Depth=1
	scratch_load_b64 v[88:89], v86, off
	ds_load_b64 v[90:91], v85
	s_wait_xcnt 0x0
	v_dual_add_nc_u32 v85, 8, v85 :: v_dual_add_nc_u32 v86, 8, v86
	s_wait_loadcnt_dscnt 0x0
	v_pk_mul_f32 v[92:93], v[90:91], v[88:89] op_sel:[1,1] op_sel_hi:[0,1]
	s_delay_alu instid0(VALU_DEP_1) | instskip(SKIP_2) | instid1(VALU_DEP_3)
	v_pk_fma_f32 v[94:95], v[90:91], v[88:89], v[92:93] op_sel_hi:[1,0,1]
	v_add_nc_u32_e32 v87, 1, v87
	v_pk_fma_f32 v[88:89], v[90:91], v[88:89], v[92:93] neg_lo:[0,0,1] neg_hi:[0,0,1]
	v_mov_b32_e32 v89, v95
	s_delay_alu instid0(VALU_DEP_3) | instskip(NEXT) | instid1(VALU_DEP_2)
	v_cmp_lt_u32_e32 vcc_lo, 2, v87
	v_pk_add_f32 v[82:83], v[82:83], v[88:89]
	s_or_b32 s3, vcc_lo, s3
	s_delay_alu instid0(SALU_CYCLE_1)
	s_and_not1_b32 exec_lo, exec_lo, s3
	s_cbranch_execnz .LBB38_417
; %bb.418:
	s_or_b32 exec_lo, exec_lo, s3
.LBB38_419:
	s_delay_alu instid0(SALU_CYCLE_1) | instskip(SKIP_4) | instid1(VALU_DEP_1)
	s_or_b32 exec_lo, exec_lo, s2
	v_mov_b32_e32 v85, 0
	ds_load_b64 v[86:87], v85 offset:32
	s_wait_dscnt 0x0
	v_pk_mul_f32 v[88:89], v[82:83], v[86:87] op_sel:[1,1] op_sel_hi:[0,1]
	v_pk_fma_f32 v[90:91], v[82:83], v[86:87], v[88:89] op_sel_hi:[1,0,1]
	v_pk_fma_f32 v[82:83], v[82:83], v[86:87], v[88:89] neg_lo:[0,0,1] neg_hi:[0,0,1]
	s_delay_alu instid0(VALU_DEP_2)
	v_mov_b32_e32 v83, v91
	scratch_store_b64 off, v[82:83], off offset:32
.LBB38_420:
	s_wait_xcnt 0x0
	s_or_b32 exec_lo, exec_lo, s0
	scratch_load_b64 v[82:83], off, off offset:40
	s_mov_b32 s0, exec_lo
	s_wait_loadcnt 0x0
	ds_store_b64 v1, v[82:83]
	s_wait_storecnt_dscnt 0x0
	s_barrier_signal -1
	s_barrier_wait -1
	s_wait_xcnt 0x0
	v_cmpx_gt_u32_e32 5, v0
	s_cbranch_execz .LBB38_430
; %bb.421:
	v_cmp_ne_u32_e32 vcc_lo, 1, v84
	s_cbranch_vccnz .LBB38_423
; %bb.422:
	scratch_load_b64 v[82:83], v49, off
	ds_load_b64 v[86:87], v1
	s_wait_loadcnt_dscnt 0x0
	v_pk_mul_f32 v[88:89], v[86:87], v[82:83] op_sel:[1,1] op_sel_hi:[0,1]
	s_delay_alu instid0(VALU_DEP_1) | instskip(SKIP_1) | instid1(VALU_DEP_2)
	v_pk_fma_f32 v[90:91], v[86:87], v[82:83], v[88:89] op_sel_hi:[1,0,1]
	v_pk_fma_f32 v[82:83], v[86:87], v[82:83], v[88:89] neg_lo:[0,0,1] neg_hi:[0,0,1]
	v_mov_b32_e32 v83, v91
	s_cbranch_execz .LBB38_424
	s_branch .LBB38_425
.LBB38_423:
                                        ; implicit-def: $vgpr82_vgpr83
.LBB38_424:
	ds_load_b64 v[82:83], v1
.LBB38_425:
	s_mov_b32 s2, exec_lo
	v_cmpx_ne_u32_e32 4, v0
	s_cbranch_execz .LBB38_429
; %bb.426:
	v_add_nc_u32_e32 v85, 0x148, v48
	v_add3_u32 v86, 0, v48, 8
	v_mov_b32_e32 v87, v0
	s_mov_b32 s3, 0
.LBB38_427:                             ; =>This Inner Loop Header: Depth=1
	scratch_load_b64 v[88:89], v86, off
	ds_load_b64 v[90:91], v85
	s_wait_xcnt 0x0
	v_dual_add_nc_u32 v85, 8, v85 :: v_dual_add_nc_u32 v86, 8, v86
	s_wait_loadcnt_dscnt 0x0
	v_pk_mul_f32 v[92:93], v[90:91], v[88:89] op_sel:[1,1] op_sel_hi:[0,1]
	s_delay_alu instid0(VALU_DEP_1) | instskip(SKIP_2) | instid1(VALU_DEP_3)
	v_pk_fma_f32 v[94:95], v[90:91], v[88:89], v[92:93] op_sel_hi:[1,0,1]
	v_add_nc_u32_e32 v87, 1, v87
	v_pk_fma_f32 v[88:89], v[90:91], v[88:89], v[92:93] neg_lo:[0,0,1] neg_hi:[0,0,1]
	v_mov_b32_e32 v89, v95
	s_delay_alu instid0(VALU_DEP_3) | instskip(NEXT) | instid1(VALU_DEP_2)
	v_cmp_lt_u32_e32 vcc_lo, 3, v87
	v_pk_add_f32 v[82:83], v[82:83], v[88:89]
	s_or_b32 s3, vcc_lo, s3
	s_delay_alu instid0(SALU_CYCLE_1)
	s_and_not1_b32 exec_lo, exec_lo, s3
	s_cbranch_execnz .LBB38_427
; %bb.428:
	s_or_b32 exec_lo, exec_lo, s3
.LBB38_429:
	s_delay_alu instid0(SALU_CYCLE_1) | instskip(SKIP_4) | instid1(VALU_DEP_1)
	s_or_b32 exec_lo, exec_lo, s2
	v_mov_b32_e32 v85, 0
	ds_load_b64 v[86:87], v85 offset:40
	s_wait_dscnt 0x0
	v_pk_mul_f32 v[88:89], v[82:83], v[86:87] op_sel:[1,1] op_sel_hi:[0,1]
	v_pk_fma_f32 v[90:91], v[82:83], v[86:87], v[88:89] op_sel_hi:[1,0,1]
	v_pk_fma_f32 v[82:83], v[82:83], v[86:87], v[88:89] neg_lo:[0,0,1] neg_hi:[0,0,1]
	s_delay_alu instid0(VALU_DEP_2)
	v_mov_b32_e32 v83, v91
	scratch_store_b64 off, v[82:83], off offset:40
.LBB38_430:
	s_wait_xcnt 0x0
	s_or_b32 exec_lo, exec_lo, s0
	scratch_load_b64 v[82:83], off, off offset:48
	s_mov_b32 s0, exec_lo
	s_wait_loadcnt 0x0
	ds_store_b64 v1, v[82:83]
	s_wait_storecnt_dscnt 0x0
	s_barrier_signal -1
	s_barrier_wait -1
	s_wait_xcnt 0x0
	v_cmpx_gt_u32_e32 6, v0
	s_cbranch_execz .LBB38_440
; %bb.431:
	v_cmp_ne_u32_e32 vcc_lo, 1, v84
	s_cbranch_vccnz .LBB38_433
; %bb.432:
	scratch_load_b64 v[82:83], v49, off
	ds_load_b64 v[86:87], v1
	s_wait_loadcnt_dscnt 0x0
	v_pk_mul_f32 v[88:89], v[86:87], v[82:83] op_sel:[1,1] op_sel_hi:[0,1]
	s_delay_alu instid0(VALU_DEP_1) | instskip(SKIP_1) | instid1(VALU_DEP_2)
	v_pk_fma_f32 v[90:91], v[86:87], v[82:83], v[88:89] op_sel_hi:[1,0,1]
	v_pk_fma_f32 v[82:83], v[86:87], v[82:83], v[88:89] neg_lo:[0,0,1] neg_hi:[0,0,1]
	v_mov_b32_e32 v83, v91
	s_cbranch_execz .LBB38_434
	s_branch .LBB38_435
.LBB38_433:
                                        ; implicit-def: $vgpr82_vgpr83
.LBB38_434:
	ds_load_b64 v[82:83], v1
.LBB38_435:
	s_mov_b32 s2, exec_lo
	v_cmpx_ne_u32_e32 5, v0
	s_cbranch_execz .LBB38_439
; %bb.436:
	v_add_nc_u32_e32 v85, 0x148, v48
	v_add3_u32 v86, 0, v48, 8
	v_mov_b32_e32 v87, v0
	s_mov_b32 s3, 0
.LBB38_437:                             ; =>This Inner Loop Header: Depth=1
	scratch_load_b64 v[88:89], v86, off
	ds_load_b64 v[90:91], v85
	s_wait_xcnt 0x0
	v_dual_add_nc_u32 v85, 8, v85 :: v_dual_add_nc_u32 v86, 8, v86
	s_wait_loadcnt_dscnt 0x0
	v_pk_mul_f32 v[92:93], v[90:91], v[88:89] op_sel:[1,1] op_sel_hi:[0,1]
	s_delay_alu instid0(VALU_DEP_1) | instskip(SKIP_2) | instid1(VALU_DEP_3)
	v_pk_fma_f32 v[94:95], v[90:91], v[88:89], v[92:93] op_sel_hi:[1,0,1]
	v_add_nc_u32_e32 v87, 1, v87
	v_pk_fma_f32 v[88:89], v[90:91], v[88:89], v[92:93] neg_lo:[0,0,1] neg_hi:[0,0,1]
	v_mov_b32_e32 v89, v95
	s_delay_alu instid0(VALU_DEP_3) | instskip(NEXT) | instid1(VALU_DEP_2)
	v_cmp_lt_u32_e32 vcc_lo, 4, v87
	v_pk_add_f32 v[82:83], v[82:83], v[88:89]
	s_or_b32 s3, vcc_lo, s3
	s_delay_alu instid0(SALU_CYCLE_1)
	s_and_not1_b32 exec_lo, exec_lo, s3
	s_cbranch_execnz .LBB38_437
; %bb.438:
	s_or_b32 exec_lo, exec_lo, s3
.LBB38_439:
	s_delay_alu instid0(SALU_CYCLE_1) | instskip(SKIP_4) | instid1(VALU_DEP_1)
	s_or_b32 exec_lo, exec_lo, s2
	v_mov_b32_e32 v85, 0
	ds_load_b64 v[86:87], v85 offset:48
	s_wait_dscnt 0x0
	v_pk_mul_f32 v[88:89], v[82:83], v[86:87] op_sel:[1,1] op_sel_hi:[0,1]
	v_pk_fma_f32 v[90:91], v[82:83], v[86:87], v[88:89] op_sel_hi:[1,0,1]
	v_pk_fma_f32 v[82:83], v[82:83], v[86:87], v[88:89] neg_lo:[0,0,1] neg_hi:[0,0,1]
	s_delay_alu instid0(VALU_DEP_2)
	v_mov_b32_e32 v83, v91
	scratch_store_b64 off, v[82:83], off offset:48
.LBB38_440:
	s_wait_xcnt 0x0
	s_or_b32 exec_lo, exec_lo, s0
	scratch_load_b64 v[82:83], off, off offset:56
	s_mov_b32 s0, exec_lo
	s_wait_loadcnt 0x0
	ds_store_b64 v1, v[82:83]
	s_wait_storecnt_dscnt 0x0
	s_barrier_signal -1
	s_barrier_wait -1
	s_wait_xcnt 0x0
	v_cmpx_gt_u32_e32 7, v0
	s_cbranch_execz .LBB38_450
; %bb.441:
	v_cmp_ne_u32_e32 vcc_lo, 1, v84
	s_cbranch_vccnz .LBB38_443
; %bb.442:
	scratch_load_b64 v[82:83], v49, off
	ds_load_b64 v[86:87], v1
	s_wait_loadcnt_dscnt 0x0
	v_pk_mul_f32 v[88:89], v[86:87], v[82:83] op_sel:[1,1] op_sel_hi:[0,1]
	s_delay_alu instid0(VALU_DEP_1) | instskip(SKIP_1) | instid1(VALU_DEP_2)
	v_pk_fma_f32 v[90:91], v[86:87], v[82:83], v[88:89] op_sel_hi:[1,0,1]
	v_pk_fma_f32 v[82:83], v[86:87], v[82:83], v[88:89] neg_lo:[0,0,1] neg_hi:[0,0,1]
	v_mov_b32_e32 v83, v91
	s_cbranch_execz .LBB38_444
	s_branch .LBB38_445
.LBB38_443:
                                        ; implicit-def: $vgpr82_vgpr83
.LBB38_444:
	ds_load_b64 v[82:83], v1
.LBB38_445:
	s_mov_b32 s2, exec_lo
	v_cmpx_ne_u32_e32 6, v0
	s_cbranch_execz .LBB38_449
; %bb.446:
	v_add_nc_u32_e32 v85, 0x148, v48
	v_add3_u32 v86, 0, v48, 8
	v_mov_b32_e32 v87, v0
	s_mov_b32 s3, 0
.LBB38_447:                             ; =>This Inner Loop Header: Depth=1
	scratch_load_b64 v[88:89], v86, off
	ds_load_b64 v[90:91], v85
	s_wait_xcnt 0x0
	v_dual_add_nc_u32 v85, 8, v85 :: v_dual_add_nc_u32 v86, 8, v86
	s_wait_loadcnt_dscnt 0x0
	v_pk_mul_f32 v[92:93], v[90:91], v[88:89] op_sel:[1,1] op_sel_hi:[0,1]
	s_delay_alu instid0(VALU_DEP_1) | instskip(SKIP_2) | instid1(VALU_DEP_3)
	v_pk_fma_f32 v[94:95], v[90:91], v[88:89], v[92:93] op_sel_hi:[1,0,1]
	v_add_nc_u32_e32 v87, 1, v87
	v_pk_fma_f32 v[88:89], v[90:91], v[88:89], v[92:93] neg_lo:[0,0,1] neg_hi:[0,0,1]
	v_mov_b32_e32 v89, v95
	s_delay_alu instid0(VALU_DEP_3) | instskip(NEXT) | instid1(VALU_DEP_2)
	v_cmp_lt_u32_e32 vcc_lo, 5, v87
	v_pk_add_f32 v[82:83], v[82:83], v[88:89]
	s_or_b32 s3, vcc_lo, s3
	s_delay_alu instid0(SALU_CYCLE_1)
	s_and_not1_b32 exec_lo, exec_lo, s3
	s_cbranch_execnz .LBB38_447
; %bb.448:
	s_or_b32 exec_lo, exec_lo, s3
.LBB38_449:
	s_delay_alu instid0(SALU_CYCLE_1) | instskip(SKIP_4) | instid1(VALU_DEP_1)
	s_or_b32 exec_lo, exec_lo, s2
	v_mov_b32_e32 v85, 0
	ds_load_b64 v[86:87], v85 offset:56
	s_wait_dscnt 0x0
	v_pk_mul_f32 v[88:89], v[82:83], v[86:87] op_sel:[1,1] op_sel_hi:[0,1]
	v_pk_fma_f32 v[90:91], v[82:83], v[86:87], v[88:89] op_sel_hi:[1,0,1]
	v_pk_fma_f32 v[82:83], v[82:83], v[86:87], v[88:89] neg_lo:[0,0,1] neg_hi:[0,0,1]
	s_delay_alu instid0(VALU_DEP_2)
	v_mov_b32_e32 v83, v91
	scratch_store_b64 off, v[82:83], off offset:56
.LBB38_450:
	s_wait_xcnt 0x0
	s_or_b32 exec_lo, exec_lo, s0
	scratch_load_b64 v[82:83], off, off offset:64
	s_mov_b32 s0, exec_lo
	s_wait_loadcnt 0x0
	ds_store_b64 v1, v[82:83]
	s_wait_storecnt_dscnt 0x0
	s_barrier_signal -1
	s_barrier_wait -1
	s_wait_xcnt 0x0
	v_cmpx_gt_u32_e32 8, v0
	s_cbranch_execz .LBB38_460
; %bb.451:
	v_cmp_ne_u32_e32 vcc_lo, 1, v84
	s_cbranch_vccnz .LBB38_453
; %bb.452:
	scratch_load_b64 v[82:83], v49, off
	ds_load_b64 v[86:87], v1
	s_wait_loadcnt_dscnt 0x0
	v_pk_mul_f32 v[88:89], v[86:87], v[82:83] op_sel:[1,1] op_sel_hi:[0,1]
	s_delay_alu instid0(VALU_DEP_1) | instskip(SKIP_1) | instid1(VALU_DEP_2)
	v_pk_fma_f32 v[90:91], v[86:87], v[82:83], v[88:89] op_sel_hi:[1,0,1]
	v_pk_fma_f32 v[82:83], v[86:87], v[82:83], v[88:89] neg_lo:[0,0,1] neg_hi:[0,0,1]
	v_mov_b32_e32 v83, v91
	s_cbranch_execz .LBB38_454
	s_branch .LBB38_455
.LBB38_453:
                                        ; implicit-def: $vgpr82_vgpr83
.LBB38_454:
	ds_load_b64 v[82:83], v1
.LBB38_455:
	s_mov_b32 s2, exec_lo
	v_cmpx_ne_u32_e32 7, v0
	s_cbranch_execz .LBB38_459
; %bb.456:
	v_add_nc_u32_e32 v85, 0x148, v48
	v_add3_u32 v86, 0, v48, 8
	v_mov_b32_e32 v87, v0
	s_mov_b32 s3, 0
.LBB38_457:                             ; =>This Inner Loop Header: Depth=1
	scratch_load_b64 v[88:89], v86, off
	ds_load_b64 v[90:91], v85
	s_wait_xcnt 0x0
	v_dual_add_nc_u32 v85, 8, v85 :: v_dual_add_nc_u32 v86, 8, v86
	s_wait_loadcnt_dscnt 0x0
	v_pk_mul_f32 v[92:93], v[90:91], v[88:89] op_sel:[1,1] op_sel_hi:[0,1]
	s_delay_alu instid0(VALU_DEP_1) | instskip(SKIP_2) | instid1(VALU_DEP_3)
	v_pk_fma_f32 v[94:95], v[90:91], v[88:89], v[92:93] op_sel_hi:[1,0,1]
	v_add_nc_u32_e32 v87, 1, v87
	v_pk_fma_f32 v[88:89], v[90:91], v[88:89], v[92:93] neg_lo:[0,0,1] neg_hi:[0,0,1]
	v_mov_b32_e32 v89, v95
	s_delay_alu instid0(VALU_DEP_3) | instskip(NEXT) | instid1(VALU_DEP_2)
	v_cmp_lt_u32_e32 vcc_lo, 6, v87
	v_pk_add_f32 v[82:83], v[82:83], v[88:89]
	s_or_b32 s3, vcc_lo, s3
	s_delay_alu instid0(SALU_CYCLE_1)
	s_and_not1_b32 exec_lo, exec_lo, s3
	s_cbranch_execnz .LBB38_457
; %bb.458:
	s_or_b32 exec_lo, exec_lo, s3
.LBB38_459:
	s_delay_alu instid0(SALU_CYCLE_1) | instskip(SKIP_4) | instid1(VALU_DEP_1)
	s_or_b32 exec_lo, exec_lo, s2
	v_mov_b32_e32 v85, 0
	ds_load_b64 v[86:87], v85 offset:64
	s_wait_dscnt 0x0
	v_pk_mul_f32 v[88:89], v[82:83], v[86:87] op_sel:[1,1] op_sel_hi:[0,1]
	v_pk_fma_f32 v[90:91], v[82:83], v[86:87], v[88:89] op_sel_hi:[1,0,1]
	v_pk_fma_f32 v[82:83], v[82:83], v[86:87], v[88:89] neg_lo:[0,0,1] neg_hi:[0,0,1]
	s_delay_alu instid0(VALU_DEP_2)
	v_mov_b32_e32 v83, v91
	scratch_store_b64 off, v[82:83], off offset:64
.LBB38_460:
	s_wait_xcnt 0x0
	s_or_b32 exec_lo, exec_lo, s0
	scratch_load_b64 v[82:83], off, off offset:72
	s_mov_b32 s0, exec_lo
	s_wait_loadcnt 0x0
	ds_store_b64 v1, v[82:83]
	s_wait_storecnt_dscnt 0x0
	s_barrier_signal -1
	s_barrier_wait -1
	s_wait_xcnt 0x0
	v_cmpx_gt_u32_e32 9, v0
	s_cbranch_execz .LBB38_470
; %bb.461:
	v_cmp_ne_u32_e32 vcc_lo, 1, v84
	s_cbranch_vccnz .LBB38_463
; %bb.462:
	scratch_load_b64 v[82:83], v49, off
	ds_load_b64 v[86:87], v1
	s_wait_loadcnt_dscnt 0x0
	v_pk_mul_f32 v[88:89], v[86:87], v[82:83] op_sel:[1,1] op_sel_hi:[0,1]
	s_delay_alu instid0(VALU_DEP_1) | instskip(SKIP_1) | instid1(VALU_DEP_2)
	v_pk_fma_f32 v[90:91], v[86:87], v[82:83], v[88:89] op_sel_hi:[1,0,1]
	v_pk_fma_f32 v[82:83], v[86:87], v[82:83], v[88:89] neg_lo:[0,0,1] neg_hi:[0,0,1]
	v_mov_b32_e32 v83, v91
	s_cbranch_execz .LBB38_464
	s_branch .LBB38_465
.LBB38_463:
                                        ; implicit-def: $vgpr82_vgpr83
.LBB38_464:
	ds_load_b64 v[82:83], v1
.LBB38_465:
	s_mov_b32 s2, exec_lo
	v_cmpx_ne_u32_e32 8, v0
	s_cbranch_execz .LBB38_469
; %bb.466:
	v_add_nc_u32_e32 v85, 0x148, v48
	v_add3_u32 v86, 0, v48, 8
	v_mov_b32_e32 v87, v0
	s_mov_b32 s3, 0
.LBB38_467:                             ; =>This Inner Loop Header: Depth=1
	scratch_load_b64 v[88:89], v86, off
	ds_load_b64 v[90:91], v85
	s_wait_xcnt 0x0
	v_dual_add_nc_u32 v85, 8, v85 :: v_dual_add_nc_u32 v86, 8, v86
	s_wait_loadcnt_dscnt 0x0
	v_pk_mul_f32 v[92:93], v[90:91], v[88:89] op_sel:[1,1] op_sel_hi:[0,1]
	s_delay_alu instid0(VALU_DEP_1) | instskip(SKIP_2) | instid1(VALU_DEP_3)
	v_pk_fma_f32 v[94:95], v[90:91], v[88:89], v[92:93] op_sel_hi:[1,0,1]
	v_add_nc_u32_e32 v87, 1, v87
	v_pk_fma_f32 v[88:89], v[90:91], v[88:89], v[92:93] neg_lo:[0,0,1] neg_hi:[0,0,1]
	v_mov_b32_e32 v89, v95
	s_delay_alu instid0(VALU_DEP_3) | instskip(NEXT) | instid1(VALU_DEP_2)
	v_cmp_lt_u32_e32 vcc_lo, 7, v87
	v_pk_add_f32 v[82:83], v[82:83], v[88:89]
	s_or_b32 s3, vcc_lo, s3
	s_delay_alu instid0(SALU_CYCLE_1)
	s_and_not1_b32 exec_lo, exec_lo, s3
	s_cbranch_execnz .LBB38_467
; %bb.468:
	s_or_b32 exec_lo, exec_lo, s3
.LBB38_469:
	s_delay_alu instid0(SALU_CYCLE_1) | instskip(SKIP_4) | instid1(VALU_DEP_1)
	s_or_b32 exec_lo, exec_lo, s2
	v_mov_b32_e32 v85, 0
	ds_load_b64 v[86:87], v85 offset:72
	s_wait_dscnt 0x0
	v_pk_mul_f32 v[88:89], v[82:83], v[86:87] op_sel:[1,1] op_sel_hi:[0,1]
	v_pk_fma_f32 v[90:91], v[82:83], v[86:87], v[88:89] op_sel_hi:[1,0,1]
	v_pk_fma_f32 v[82:83], v[82:83], v[86:87], v[88:89] neg_lo:[0,0,1] neg_hi:[0,0,1]
	s_delay_alu instid0(VALU_DEP_2)
	v_mov_b32_e32 v83, v91
	scratch_store_b64 off, v[82:83], off offset:72
.LBB38_470:
	s_wait_xcnt 0x0
	s_or_b32 exec_lo, exec_lo, s0
	scratch_load_b64 v[82:83], off, off offset:80
	s_mov_b32 s0, exec_lo
	s_wait_loadcnt 0x0
	ds_store_b64 v1, v[82:83]
	s_wait_storecnt_dscnt 0x0
	s_barrier_signal -1
	s_barrier_wait -1
	s_wait_xcnt 0x0
	v_cmpx_gt_u32_e32 10, v0
	s_cbranch_execz .LBB38_480
; %bb.471:
	v_cmp_ne_u32_e32 vcc_lo, 1, v84
	s_cbranch_vccnz .LBB38_473
; %bb.472:
	scratch_load_b64 v[82:83], v49, off
	ds_load_b64 v[86:87], v1
	s_wait_loadcnt_dscnt 0x0
	v_pk_mul_f32 v[88:89], v[86:87], v[82:83] op_sel:[1,1] op_sel_hi:[0,1]
	s_delay_alu instid0(VALU_DEP_1) | instskip(SKIP_1) | instid1(VALU_DEP_2)
	v_pk_fma_f32 v[90:91], v[86:87], v[82:83], v[88:89] op_sel_hi:[1,0,1]
	v_pk_fma_f32 v[82:83], v[86:87], v[82:83], v[88:89] neg_lo:[0,0,1] neg_hi:[0,0,1]
	v_mov_b32_e32 v83, v91
	s_cbranch_execz .LBB38_474
	s_branch .LBB38_475
.LBB38_473:
                                        ; implicit-def: $vgpr82_vgpr83
.LBB38_474:
	ds_load_b64 v[82:83], v1
.LBB38_475:
	s_mov_b32 s2, exec_lo
	v_cmpx_ne_u32_e32 9, v0
	s_cbranch_execz .LBB38_479
; %bb.476:
	v_add_nc_u32_e32 v85, 0x148, v48
	v_add3_u32 v86, 0, v48, 8
	v_mov_b32_e32 v87, v0
	s_mov_b32 s3, 0
.LBB38_477:                             ; =>This Inner Loop Header: Depth=1
	scratch_load_b64 v[88:89], v86, off
	ds_load_b64 v[90:91], v85
	s_wait_xcnt 0x0
	v_dual_add_nc_u32 v85, 8, v85 :: v_dual_add_nc_u32 v86, 8, v86
	s_wait_loadcnt_dscnt 0x0
	v_pk_mul_f32 v[92:93], v[90:91], v[88:89] op_sel:[1,1] op_sel_hi:[0,1]
	s_delay_alu instid0(VALU_DEP_1) | instskip(SKIP_2) | instid1(VALU_DEP_3)
	v_pk_fma_f32 v[94:95], v[90:91], v[88:89], v[92:93] op_sel_hi:[1,0,1]
	v_add_nc_u32_e32 v87, 1, v87
	v_pk_fma_f32 v[88:89], v[90:91], v[88:89], v[92:93] neg_lo:[0,0,1] neg_hi:[0,0,1]
	v_mov_b32_e32 v89, v95
	s_delay_alu instid0(VALU_DEP_3) | instskip(NEXT) | instid1(VALU_DEP_2)
	v_cmp_lt_u32_e32 vcc_lo, 8, v87
	v_pk_add_f32 v[82:83], v[82:83], v[88:89]
	s_or_b32 s3, vcc_lo, s3
	s_delay_alu instid0(SALU_CYCLE_1)
	s_and_not1_b32 exec_lo, exec_lo, s3
	s_cbranch_execnz .LBB38_477
; %bb.478:
	s_or_b32 exec_lo, exec_lo, s3
.LBB38_479:
	s_delay_alu instid0(SALU_CYCLE_1) | instskip(SKIP_4) | instid1(VALU_DEP_1)
	s_or_b32 exec_lo, exec_lo, s2
	v_mov_b32_e32 v85, 0
	ds_load_b64 v[86:87], v85 offset:80
	s_wait_dscnt 0x0
	v_pk_mul_f32 v[88:89], v[82:83], v[86:87] op_sel:[1,1] op_sel_hi:[0,1]
	v_pk_fma_f32 v[90:91], v[82:83], v[86:87], v[88:89] op_sel_hi:[1,0,1]
	v_pk_fma_f32 v[82:83], v[82:83], v[86:87], v[88:89] neg_lo:[0,0,1] neg_hi:[0,0,1]
	s_delay_alu instid0(VALU_DEP_2)
	v_mov_b32_e32 v83, v91
	scratch_store_b64 off, v[82:83], off offset:80
.LBB38_480:
	s_wait_xcnt 0x0
	s_or_b32 exec_lo, exec_lo, s0
	scratch_load_b64 v[82:83], off, off offset:88
	s_mov_b32 s0, exec_lo
	s_wait_loadcnt 0x0
	ds_store_b64 v1, v[82:83]
	s_wait_storecnt_dscnt 0x0
	s_barrier_signal -1
	s_barrier_wait -1
	s_wait_xcnt 0x0
	v_cmpx_gt_u32_e32 11, v0
	s_cbranch_execz .LBB38_490
; %bb.481:
	v_cmp_ne_u32_e32 vcc_lo, 1, v84
	s_cbranch_vccnz .LBB38_483
; %bb.482:
	scratch_load_b64 v[82:83], v49, off
	ds_load_b64 v[86:87], v1
	s_wait_loadcnt_dscnt 0x0
	v_pk_mul_f32 v[88:89], v[86:87], v[82:83] op_sel:[1,1] op_sel_hi:[0,1]
	s_delay_alu instid0(VALU_DEP_1) | instskip(SKIP_1) | instid1(VALU_DEP_2)
	v_pk_fma_f32 v[90:91], v[86:87], v[82:83], v[88:89] op_sel_hi:[1,0,1]
	v_pk_fma_f32 v[82:83], v[86:87], v[82:83], v[88:89] neg_lo:[0,0,1] neg_hi:[0,0,1]
	v_mov_b32_e32 v83, v91
	s_cbranch_execz .LBB38_484
	s_branch .LBB38_485
.LBB38_483:
                                        ; implicit-def: $vgpr82_vgpr83
.LBB38_484:
	ds_load_b64 v[82:83], v1
.LBB38_485:
	s_mov_b32 s2, exec_lo
	v_cmpx_ne_u32_e32 10, v0
	s_cbranch_execz .LBB38_489
; %bb.486:
	v_add_nc_u32_e32 v85, 0x148, v48
	v_add3_u32 v86, 0, v48, 8
	v_mov_b32_e32 v87, v0
	s_mov_b32 s3, 0
.LBB38_487:                             ; =>This Inner Loop Header: Depth=1
	scratch_load_b64 v[88:89], v86, off
	ds_load_b64 v[90:91], v85
	s_wait_xcnt 0x0
	v_dual_add_nc_u32 v85, 8, v85 :: v_dual_add_nc_u32 v86, 8, v86
	s_wait_loadcnt_dscnt 0x0
	v_pk_mul_f32 v[92:93], v[90:91], v[88:89] op_sel:[1,1] op_sel_hi:[0,1]
	s_delay_alu instid0(VALU_DEP_1) | instskip(SKIP_2) | instid1(VALU_DEP_3)
	v_pk_fma_f32 v[94:95], v[90:91], v[88:89], v[92:93] op_sel_hi:[1,0,1]
	v_add_nc_u32_e32 v87, 1, v87
	v_pk_fma_f32 v[88:89], v[90:91], v[88:89], v[92:93] neg_lo:[0,0,1] neg_hi:[0,0,1]
	v_mov_b32_e32 v89, v95
	s_delay_alu instid0(VALU_DEP_3) | instskip(NEXT) | instid1(VALU_DEP_2)
	v_cmp_lt_u32_e32 vcc_lo, 9, v87
	v_pk_add_f32 v[82:83], v[82:83], v[88:89]
	s_or_b32 s3, vcc_lo, s3
	s_delay_alu instid0(SALU_CYCLE_1)
	s_and_not1_b32 exec_lo, exec_lo, s3
	s_cbranch_execnz .LBB38_487
; %bb.488:
	s_or_b32 exec_lo, exec_lo, s3
.LBB38_489:
	s_delay_alu instid0(SALU_CYCLE_1) | instskip(SKIP_4) | instid1(VALU_DEP_1)
	s_or_b32 exec_lo, exec_lo, s2
	v_mov_b32_e32 v85, 0
	ds_load_b64 v[86:87], v85 offset:88
	s_wait_dscnt 0x0
	v_pk_mul_f32 v[88:89], v[82:83], v[86:87] op_sel:[1,1] op_sel_hi:[0,1]
	v_pk_fma_f32 v[90:91], v[82:83], v[86:87], v[88:89] op_sel_hi:[1,0,1]
	v_pk_fma_f32 v[82:83], v[82:83], v[86:87], v[88:89] neg_lo:[0,0,1] neg_hi:[0,0,1]
	s_delay_alu instid0(VALU_DEP_2)
	v_mov_b32_e32 v83, v91
	scratch_store_b64 off, v[82:83], off offset:88
.LBB38_490:
	s_wait_xcnt 0x0
	s_or_b32 exec_lo, exec_lo, s0
	scratch_load_b64 v[82:83], off, off offset:96
	s_mov_b32 s0, exec_lo
	s_wait_loadcnt 0x0
	ds_store_b64 v1, v[82:83]
	s_wait_storecnt_dscnt 0x0
	s_barrier_signal -1
	s_barrier_wait -1
	s_wait_xcnt 0x0
	v_cmpx_gt_u32_e32 12, v0
	s_cbranch_execz .LBB38_500
; %bb.491:
	v_cmp_ne_u32_e32 vcc_lo, 1, v84
	s_cbranch_vccnz .LBB38_493
; %bb.492:
	scratch_load_b64 v[82:83], v49, off
	ds_load_b64 v[86:87], v1
	s_wait_loadcnt_dscnt 0x0
	v_pk_mul_f32 v[88:89], v[86:87], v[82:83] op_sel:[1,1] op_sel_hi:[0,1]
	s_delay_alu instid0(VALU_DEP_1) | instskip(SKIP_1) | instid1(VALU_DEP_2)
	v_pk_fma_f32 v[90:91], v[86:87], v[82:83], v[88:89] op_sel_hi:[1,0,1]
	v_pk_fma_f32 v[82:83], v[86:87], v[82:83], v[88:89] neg_lo:[0,0,1] neg_hi:[0,0,1]
	v_mov_b32_e32 v83, v91
	s_cbranch_execz .LBB38_494
	s_branch .LBB38_495
.LBB38_493:
                                        ; implicit-def: $vgpr82_vgpr83
.LBB38_494:
	ds_load_b64 v[82:83], v1
.LBB38_495:
	s_mov_b32 s2, exec_lo
	v_cmpx_ne_u32_e32 11, v0
	s_cbranch_execz .LBB38_499
; %bb.496:
	v_add_nc_u32_e32 v85, 0x148, v48
	v_add3_u32 v86, 0, v48, 8
	v_mov_b32_e32 v87, v0
	s_mov_b32 s3, 0
.LBB38_497:                             ; =>This Inner Loop Header: Depth=1
	scratch_load_b64 v[88:89], v86, off
	ds_load_b64 v[90:91], v85
	s_wait_xcnt 0x0
	v_dual_add_nc_u32 v85, 8, v85 :: v_dual_add_nc_u32 v86, 8, v86
	s_wait_loadcnt_dscnt 0x0
	v_pk_mul_f32 v[92:93], v[90:91], v[88:89] op_sel:[1,1] op_sel_hi:[0,1]
	s_delay_alu instid0(VALU_DEP_1) | instskip(SKIP_2) | instid1(VALU_DEP_3)
	v_pk_fma_f32 v[94:95], v[90:91], v[88:89], v[92:93] op_sel_hi:[1,0,1]
	v_add_nc_u32_e32 v87, 1, v87
	v_pk_fma_f32 v[88:89], v[90:91], v[88:89], v[92:93] neg_lo:[0,0,1] neg_hi:[0,0,1]
	v_mov_b32_e32 v89, v95
	s_delay_alu instid0(VALU_DEP_3) | instskip(NEXT) | instid1(VALU_DEP_2)
	v_cmp_lt_u32_e32 vcc_lo, 10, v87
	v_pk_add_f32 v[82:83], v[82:83], v[88:89]
	s_or_b32 s3, vcc_lo, s3
	s_delay_alu instid0(SALU_CYCLE_1)
	s_and_not1_b32 exec_lo, exec_lo, s3
	s_cbranch_execnz .LBB38_497
; %bb.498:
	s_or_b32 exec_lo, exec_lo, s3
.LBB38_499:
	s_delay_alu instid0(SALU_CYCLE_1) | instskip(SKIP_4) | instid1(VALU_DEP_1)
	s_or_b32 exec_lo, exec_lo, s2
	v_mov_b32_e32 v85, 0
	ds_load_b64 v[86:87], v85 offset:96
	s_wait_dscnt 0x0
	v_pk_mul_f32 v[88:89], v[82:83], v[86:87] op_sel:[1,1] op_sel_hi:[0,1]
	v_pk_fma_f32 v[90:91], v[82:83], v[86:87], v[88:89] op_sel_hi:[1,0,1]
	v_pk_fma_f32 v[82:83], v[82:83], v[86:87], v[88:89] neg_lo:[0,0,1] neg_hi:[0,0,1]
	s_delay_alu instid0(VALU_DEP_2)
	v_mov_b32_e32 v83, v91
	scratch_store_b64 off, v[82:83], off offset:96
.LBB38_500:
	s_wait_xcnt 0x0
	s_or_b32 exec_lo, exec_lo, s0
	scratch_load_b64 v[82:83], off, off offset:104
	s_mov_b32 s0, exec_lo
	s_wait_loadcnt 0x0
	ds_store_b64 v1, v[82:83]
	s_wait_storecnt_dscnt 0x0
	s_barrier_signal -1
	s_barrier_wait -1
	s_wait_xcnt 0x0
	v_cmpx_gt_u32_e32 13, v0
	s_cbranch_execz .LBB38_510
; %bb.501:
	v_cmp_ne_u32_e32 vcc_lo, 1, v84
	s_cbranch_vccnz .LBB38_503
; %bb.502:
	scratch_load_b64 v[82:83], v49, off
	ds_load_b64 v[86:87], v1
	s_wait_loadcnt_dscnt 0x0
	v_pk_mul_f32 v[88:89], v[86:87], v[82:83] op_sel:[1,1] op_sel_hi:[0,1]
	s_delay_alu instid0(VALU_DEP_1) | instskip(SKIP_1) | instid1(VALU_DEP_2)
	v_pk_fma_f32 v[90:91], v[86:87], v[82:83], v[88:89] op_sel_hi:[1,0,1]
	v_pk_fma_f32 v[82:83], v[86:87], v[82:83], v[88:89] neg_lo:[0,0,1] neg_hi:[0,0,1]
	v_mov_b32_e32 v83, v91
	s_cbranch_execz .LBB38_504
	s_branch .LBB38_505
.LBB38_503:
                                        ; implicit-def: $vgpr82_vgpr83
.LBB38_504:
	ds_load_b64 v[82:83], v1
.LBB38_505:
	s_mov_b32 s2, exec_lo
	v_cmpx_ne_u32_e32 12, v0
	s_cbranch_execz .LBB38_509
; %bb.506:
	v_add_nc_u32_e32 v85, 0x148, v48
	v_add3_u32 v86, 0, v48, 8
	v_mov_b32_e32 v87, v0
	s_mov_b32 s3, 0
.LBB38_507:                             ; =>This Inner Loop Header: Depth=1
	scratch_load_b64 v[88:89], v86, off
	ds_load_b64 v[90:91], v85
	s_wait_xcnt 0x0
	v_dual_add_nc_u32 v85, 8, v85 :: v_dual_add_nc_u32 v86, 8, v86
	s_wait_loadcnt_dscnt 0x0
	v_pk_mul_f32 v[92:93], v[90:91], v[88:89] op_sel:[1,1] op_sel_hi:[0,1]
	s_delay_alu instid0(VALU_DEP_1) | instskip(SKIP_2) | instid1(VALU_DEP_3)
	v_pk_fma_f32 v[94:95], v[90:91], v[88:89], v[92:93] op_sel_hi:[1,0,1]
	v_add_nc_u32_e32 v87, 1, v87
	v_pk_fma_f32 v[88:89], v[90:91], v[88:89], v[92:93] neg_lo:[0,0,1] neg_hi:[0,0,1]
	v_mov_b32_e32 v89, v95
	s_delay_alu instid0(VALU_DEP_3) | instskip(NEXT) | instid1(VALU_DEP_2)
	v_cmp_lt_u32_e32 vcc_lo, 11, v87
	v_pk_add_f32 v[82:83], v[82:83], v[88:89]
	s_or_b32 s3, vcc_lo, s3
	s_delay_alu instid0(SALU_CYCLE_1)
	s_and_not1_b32 exec_lo, exec_lo, s3
	s_cbranch_execnz .LBB38_507
; %bb.508:
	s_or_b32 exec_lo, exec_lo, s3
.LBB38_509:
	s_delay_alu instid0(SALU_CYCLE_1) | instskip(SKIP_4) | instid1(VALU_DEP_1)
	s_or_b32 exec_lo, exec_lo, s2
	v_mov_b32_e32 v85, 0
	ds_load_b64 v[86:87], v85 offset:104
	s_wait_dscnt 0x0
	v_pk_mul_f32 v[88:89], v[82:83], v[86:87] op_sel:[1,1] op_sel_hi:[0,1]
	v_pk_fma_f32 v[90:91], v[82:83], v[86:87], v[88:89] op_sel_hi:[1,0,1]
	v_pk_fma_f32 v[82:83], v[82:83], v[86:87], v[88:89] neg_lo:[0,0,1] neg_hi:[0,0,1]
	s_delay_alu instid0(VALU_DEP_2)
	v_mov_b32_e32 v83, v91
	scratch_store_b64 off, v[82:83], off offset:104
.LBB38_510:
	s_wait_xcnt 0x0
	s_or_b32 exec_lo, exec_lo, s0
	scratch_load_b64 v[82:83], off, off offset:112
	s_mov_b32 s0, exec_lo
	s_wait_loadcnt 0x0
	ds_store_b64 v1, v[82:83]
	s_wait_storecnt_dscnt 0x0
	s_barrier_signal -1
	s_barrier_wait -1
	s_wait_xcnt 0x0
	v_cmpx_gt_u32_e32 14, v0
	s_cbranch_execz .LBB38_520
; %bb.511:
	v_cmp_ne_u32_e32 vcc_lo, 1, v84
	s_cbranch_vccnz .LBB38_513
; %bb.512:
	scratch_load_b64 v[82:83], v49, off
	ds_load_b64 v[86:87], v1
	s_wait_loadcnt_dscnt 0x0
	v_pk_mul_f32 v[88:89], v[86:87], v[82:83] op_sel:[1,1] op_sel_hi:[0,1]
	s_delay_alu instid0(VALU_DEP_1) | instskip(SKIP_1) | instid1(VALU_DEP_2)
	v_pk_fma_f32 v[90:91], v[86:87], v[82:83], v[88:89] op_sel_hi:[1,0,1]
	v_pk_fma_f32 v[82:83], v[86:87], v[82:83], v[88:89] neg_lo:[0,0,1] neg_hi:[0,0,1]
	v_mov_b32_e32 v83, v91
	s_cbranch_execz .LBB38_514
	s_branch .LBB38_515
.LBB38_513:
                                        ; implicit-def: $vgpr82_vgpr83
.LBB38_514:
	ds_load_b64 v[82:83], v1
.LBB38_515:
	s_mov_b32 s2, exec_lo
	v_cmpx_ne_u32_e32 13, v0
	s_cbranch_execz .LBB38_519
; %bb.516:
	v_add_nc_u32_e32 v85, 0x148, v48
	v_add3_u32 v86, 0, v48, 8
	v_mov_b32_e32 v87, v0
	s_mov_b32 s3, 0
.LBB38_517:                             ; =>This Inner Loop Header: Depth=1
	scratch_load_b64 v[88:89], v86, off
	ds_load_b64 v[90:91], v85
	s_wait_xcnt 0x0
	v_dual_add_nc_u32 v85, 8, v85 :: v_dual_add_nc_u32 v86, 8, v86
	s_wait_loadcnt_dscnt 0x0
	v_pk_mul_f32 v[92:93], v[90:91], v[88:89] op_sel:[1,1] op_sel_hi:[0,1]
	s_delay_alu instid0(VALU_DEP_1) | instskip(SKIP_2) | instid1(VALU_DEP_3)
	v_pk_fma_f32 v[94:95], v[90:91], v[88:89], v[92:93] op_sel_hi:[1,0,1]
	v_add_nc_u32_e32 v87, 1, v87
	v_pk_fma_f32 v[88:89], v[90:91], v[88:89], v[92:93] neg_lo:[0,0,1] neg_hi:[0,0,1]
	v_mov_b32_e32 v89, v95
	s_delay_alu instid0(VALU_DEP_3) | instskip(NEXT) | instid1(VALU_DEP_2)
	v_cmp_lt_u32_e32 vcc_lo, 12, v87
	v_pk_add_f32 v[82:83], v[82:83], v[88:89]
	s_or_b32 s3, vcc_lo, s3
	s_delay_alu instid0(SALU_CYCLE_1)
	s_and_not1_b32 exec_lo, exec_lo, s3
	s_cbranch_execnz .LBB38_517
; %bb.518:
	s_or_b32 exec_lo, exec_lo, s3
.LBB38_519:
	s_delay_alu instid0(SALU_CYCLE_1) | instskip(SKIP_4) | instid1(VALU_DEP_1)
	s_or_b32 exec_lo, exec_lo, s2
	v_mov_b32_e32 v85, 0
	ds_load_b64 v[86:87], v85 offset:112
	s_wait_dscnt 0x0
	v_pk_mul_f32 v[88:89], v[82:83], v[86:87] op_sel:[1,1] op_sel_hi:[0,1]
	v_pk_fma_f32 v[90:91], v[82:83], v[86:87], v[88:89] op_sel_hi:[1,0,1]
	v_pk_fma_f32 v[82:83], v[82:83], v[86:87], v[88:89] neg_lo:[0,0,1] neg_hi:[0,0,1]
	s_delay_alu instid0(VALU_DEP_2)
	v_mov_b32_e32 v83, v91
	scratch_store_b64 off, v[82:83], off offset:112
.LBB38_520:
	s_wait_xcnt 0x0
	s_or_b32 exec_lo, exec_lo, s0
	scratch_load_b64 v[82:83], off, off offset:120
	s_mov_b32 s0, exec_lo
	s_wait_loadcnt 0x0
	ds_store_b64 v1, v[82:83]
	s_wait_storecnt_dscnt 0x0
	s_barrier_signal -1
	s_barrier_wait -1
	s_wait_xcnt 0x0
	v_cmpx_gt_u32_e32 15, v0
	s_cbranch_execz .LBB38_530
; %bb.521:
	v_cmp_ne_u32_e32 vcc_lo, 1, v84
	s_cbranch_vccnz .LBB38_523
; %bb.522:
	scratch_load_b64 v[82:83], v49, off
	ds_load_b64 v[86:87], v1
	s_wait_loadcnt_dscnt 0x0
	v_pk_mul_f32 v[88:89], v[86:87], v[82:83] op_sel:[1,1] op_sel_hi:[0,1]
	s_delay_alu instid0(VALU_DEP_1) | instskip(SKIP_1) | instid1(VALU_DEP_2)
	v_pk_fma_f32 v[90:91], v[86:87], v[82:83], v[88:89] op_sel_hi:[1,0,1]
	v_pk_fma_f32 v[82:83], v[86:87], v[82:83], v[88:89] neg_lo:[0,0,1] neg_hi:[0,0,1]
	v_mov_b32_e32 v83, v91
	s_cbranch_execz .LBB38_524
	s_branch .LBB38_525
.LBB38_523:
                                        ; implicit-def: $vgpr82_vgpr83
.LBB38_524:
	ds_load_b64 v[82:83], v1
.LBB38_525:
	s_mov_b32 s2, exec_lo
	v_cmpx_ne_u32_e32 14, v0
	s_cbranch_execz .LBB38_529
; %bb.526:
	v_add_nc_u32_e32 v85, 0x148, v48
	v_add3_u32 v86, 0, v48, 8
	v_mov_b32_e32 v87, v0
	s_mov_b32 s3, 0
.LBB38_527:                             ; =>This Inner Loop Header: Depth=1
	scratch_load_b64 v[88:89], v86, off
	ds_load_b64 v[90:91], v85
	s_wait_xcnt 0x0
	v_dual_add_nc_u32 v85, 8, v85 :: v_dual_add_nc_u32 v86, 8, v86
	s_wait_loadcnt_dscnt 0x0
	v_pk_mul_f32 v[92:93], v[90:91], v[88:89] op_sel:[1,1] op_sel_hi:[0,1]
	s_delay_alu instid0(VALU_DEP_1) | instskip(SKIP_2) | instid1(VALU_DEP_3)
	v_pk_fma_f32 v[94:95], v[90:91], v[88:89], v[92:93] op_sel_hi:[1,0,1]
	v_add_nc_u32_e32 v87, 1, v87
	v_pk_fma_f32 v[88:89], v[90:91], v[88:89], v[92:93] neg_lo:[0,0,1] neg_hi:[0,0,1]
	v_mov_b32_e32 v89, v95
	s_delay_alu instid0(VALU_DEP_3) | instskip(NEXT) | instid1(VALU_DEP_2)
	v_cmp_lt_u32_e32 vcc_lo, 13, v87
	v_pk_add_f32 v[82:83], v[82:83], v[88:89]
	s_or_b32 s3, vcc_lo, s3
	s_delay_alu instid0(SALU_CYCLE_1)
	s_and_not1_b32 exec_lo, exec_lo, s3
	s_cbranch_execnz .LBB38_527
; %bb.528:
	s_or_b32 exec_lo, exec_lo, s3
.LBB38_529:
	s_delay_alu instid0(SALU_CYCLE_1) | instskip(SKIP_4) | instid1(VALU_DEP_1)
	s_or_b32 exec_lo, exec_lo, s2
	v_mov_b32_e32 v85, 0
	ds_load_b64 v[86:87], v85 offset:120
	s_wait_dscnt 0x0
	v_pk_mul_f32 v[88:89], v[82:83], v[86:87] op_sel:[1,1] op_sel_hi:[0,1]
	v_pk_fma_f32 v[90:91], v[82:83], v[86:87], v[88:89] op_sel_hi:[1,0,1]
	v_pk_fma_f32 v[82:83], v[82:83], v[86:87], v[88:89] neg_lo:[0,0,1] neg_hi:[0,0,1]
	s_delay_alu instid0(VALU_DEP_2)
	v_mov_b32_e32 v83, v91
	scratch_store_b64 off, v[82:83], off offset:120
.LBB38_530:
	s_wait_xcnt 0x0
	s_or_b32 exec_lo, exec_lo, s0
	scratch_load_b64 v[82:83], off, off offset:128
	s_mov_b32 s0, exec_lo
	s_wait_loadcnt 0x0
	ds_store_b64 v1, v[82:83]
	s_wait_storecnt_dscnt 0x0
	s_barrier_signal -1
	s_barrier_wait -1
	s_wait_xcnt 0x0
	v_cmpx_gt_u32_e32 16, v0
	s_cbranch_execz .LBB38_540
; %bb.531:
	v_cmp_ne_u32_e32 vcc_lo, 1, v84
	s_cbranch_vccnz .LBB38_533
; %bb.532:
	scratch_load_b64 v[82:83], v49, off
	ds_load_b64 v[86:87], v1
	s_wait_loadcnt_dscnt 0x0
	v_pk_mul_f32 v[88:89], v[86:87], v[82:83] op_sel:[1,1] op_sel_hi:[0,1]
	s_delay_alu instid0(VALU_DEP_1) | instskip(SKIP_1) | instid1(VALU_DEP_2)
	v_pk_fma_f32 v[90:91], v[86:87], v[82:83], v[88:89] op_sel_hi:[1,0,1]
	v_pk_fma_f32 v[82:83], v[86:87], v[82:83], v[88:89] neg_lo:[0,0,1] neg_hi:[0,0,1]
	v_mov_b32_e32 v83, v91
	s_cbranch_execz .LBB38_534
	s_branch .LBB38_535
.LBB38_533:
                                        ; implicit-def: $vgpr82_vgpr83
.LBB38_534:
	ds_load_b64 v[82:83], v1
.LBB38_535:
	s_mov_b32 s2, exec_lo
	v_cmpx_ne_u32_e32 15, v0
	s_cbranch_execz .LBB38_539
; %bb.536:
	v_add_nc_u32_e32 v85, 0x148, v48
	v_add3_u32 v86, 0, v48, 8
	v_mov_b32_e32 v87, v0
	s_mov_b32 s3, 0
.LBB38_537:                             ; =>This Inner Loop Header: Depth=1
	scratch_load_b64 v[88:89], v86, off
	ds_load_b64 v[90:91], v85
	s_wait_xcnt 0x0
	v_dual_add_nc_u32 v85, 8, v85 :: v_dual_add_nc_u32 v86, 8, v86
	s_wait_loadcnt_dscnt 0x0
	v_pk_mul_f32 v[92:93], v[90:91], v[88:89] op_sel:[1,1] op_sel_hi:[0,1]
	s_delay_alu instid0(VALU_DEP_1) | instskip(SKIP_2) | instid1(VALU_DEP_3)
	v_pk_fma_f32 v[94:95], v[90:91], v[88:89], v[92:93] op_sel_hi:[1,0,1]
	v_add_nc_u32_e32 v87, 1, v87
	v_pk_fma_f32 v[88:89], v[90:91], v[88:89], v[92:93] neg_lo:[0,0,1] neg_hi:[0,0,1]
	v_mov_b32_e32 v89, v95
	s_delay_alu instid0(VALU_DEP_3) | instskip(NEXT) | instid1(VALU_DEP_2)
	v_cmp_lt_u32_e32 vcc_lo, 14, v87
	v_pk_add_f32 v[82:83], v[82:83], v[88:89]
	s_or_b32 s3, vcc_lo, s3
	s_delay_alu instid0(SALU_CYCLE_1)
	s_and_not1_b32 exec_lo, exec_lo, s3
	s_cbranch_execnz .LBB38_537
; %bb.538:
	s_or_b32 exec_lo, exec_lo, s3
.LBB38_539:
	s_delay_alu instid0(SALU_CYCLE_1) | instskip(SKIP_4) | instid1(VALU_DEP_1)
	s_or_b32 exec_lo, exec_lo, s2
	v_mov_b32_e32 v85, 0
	ds_load_b64 v[86:87], v85 offset:128
	s_wait_dscnt 0x0
	v_pk_mul_f32 v[88:89], v[82:83], v[86:87] op_sel:[1,1] op_sel_hi:[0,1]
	v_pk_fma_f32 v[90:91], v[82:83], v[86:87], v[88:89] op_sel_hi:[1,0,1]
	v_pk_fma_f32 v[82:83], v[82:83], v[86:87], v[88:89] neg_lo:[0,0,1] neg_hi:[0,0,1]
	s_delay_alu instid0(VALU_DEP_2)
	v_mov_b32_e32 v83, v91
	scratch_store_b64 off, v[82:83], off offset:128
.LBB38_540:
	s_wait_xcnt 0x0
	s_or_b32 exec_lo, exec_lo, s0
	scratch_load_b64 v[82:83], off, off offset:136
	s_mov_b32 s0, exec_lo
	s_wait_loadcnt 0x0
	ds_store_b64 v1, v[82:83]
	s_wait_storecnt_dscnt 0x0
	s_barrier_signal -1
	s_barrier_wait -1
	s_wait_xcnt 0x0
	v_cmpx_gt_u32_e32 17, v0
	s_cbranch_execz .LBB38_550
; %bb.541:
	v_cmp_ne_u32_e32 vcc_lo, 1, v84
	s_cbranch_vccnz .LBB38_543
; %bb.542:
	scratch_load_b64 v[82:83], v49, off
	ds_load_b64 v[86:87], v1
	s_wait_loadcnt_dscnt 0x0
	v_pk_mul_f32 v[88:89], v[86:87], v[82:83] op_sel:[1,1] op_sel_hi:[0,1]
	s_delay_alu instid0(VALU_DEP_1) | instskip(SKIP_1) | instid1(VALU_DEP_2)
	v_pk_fma_f32 v[90:91], v[86:87], v[82:83], v[88:89] op_sel_hi:[1,0,1]
	v_pk_fma_f32 v[82:83], v[86:87], v[82:83], v[88:89] neg_lo:[0,0,1] neg_hi:[0,0,1]
	v_mov_b32_e32 v83, v91
	s_cbranch_execz .LBB38_544
	s_branch .LBB38_545
.LBB38_543:
                                        ; implicit-def: $vgpr82_vgpr83
.LBB38_544:
	ds_load_b64 v[82:83], v1
.LBB38_545:
	s_mov_b32 s2, exec_lo
	v_cmpx_ne_u32_e32 16, v0
	s_cbranch_execz .LBB38_549
; %bb.546:
	v_add_nc_u32_e32 v85, 0x148, v48
	v_add3_u32 v86, 0, v48, 8
	v_mov_b32_e32 v87, v0
	s_mov_b32 s3, 0
.LBB38_547:                             ; =>This Inner Loop Header: Depth=1
	scratch_load_b64 v[88:89], v86, off
	ds_load_b64 v[90:91], v85
	s_wait_xcnt 0x0
	v_dual_add_nc_u32 v85, 8, v85 :: v_dual_add_nc_u32 v86, 8, v86
	s_wait_loadcnt_dscnt 0x0
	v_pk_mul_f32 v[92:93], v[90:91], v[88:89] op_sel:[1,1] op_sel_hi:[0,1]
	s_delay_alu instid0(VALU_DEP_1) | instskip(SKIP_2) | instid1(VALU_DEP_3)
	v_pk_fma_f32 v[94:95], v[90:91], v[88:89], v[92:93] op_sel_hi:[1,0,1]
	v_add_nc_u32_e32 v87, 1, v87
	v_pk_fma_f32 v[88:89], v[90:91], v[88:89], v[92:93] neg_lo:[0,0,1] neg_hi:[0,0,1]
	v_mov_b32_e32 v89, v95
	s_delay_alu instid0(VALU_DEP_3) | instskip(NEXT) | instid1(VALU_DEP_2)
	v_cmp_lt_u32_e32 vcc_lo, 15, v87
	v_pk_add_f32 v[82:83], v[82:83], v[88:89]
	s_or_b32 s3, vcc_lo, s3
	s_delay_alu instid0(SALU_CYCLE_1)
	s_and_not1_b32 exec_lo, exec_lo, s3
	s_cbranch_execnz .LBB38_547
; %bb.548:
	s_or_b32 exec_lo, exec_lo, s3
.LBB38_549:
	s_delay_alu instid0(SALU_CYCLE_1) | instskip(SKIP_4) | instid1(VALU_DEP_1)
	s_or_b32 exec_lo, exec_lo, s2
	v_mov_b32_e32 v85, 0
	ds_load_b64 v[86:87], v85 offset:136
	s_wait_dscnt 0x0
	v_pk_mul_f32 v[88:89], v[82:83], v[86:87] op_sel:[1,1] op_sel_hi:[0,1]
	v_pk_fma_f32 v[90:91], v[82:83], v[86:87], v[88:89] op_sel_hi:[1,0,1]
	v_pk_fma_f32 v[82:83], v[82:83], v[86:87], v[88:89] neg_lo:[0,0,1] neg_hi:[0,0,1]
	s_delay_alu instid0(VALU_DEP_2)
	v_mov_b32_e32 v83, v91
	scratch_store_b64 off, v[82:83], off offset:136
.LBB38_550:
	s_wait_xcnt 0x0
	s_or_b32 exec_lo, exec_lo, s0
	scratch_load_b64 v[82:83], off, off offset:144
	s_mov_b32 s0, exec_lo
	s_wait_loadcnt 0x0
	ds_store_b64 v1, v[82:83]
	s_wait_storecnt_dscnt 0x0
	s_barrier_signal -1
	s_barrier_wait -1
	s_wait_xcnt 0x0
	v_cmpx_gt_u32_e32 18, v0
	s_cbranch_execz .LBB38_560
; %bb.551:
	v_cmp_ne_u32_e32 vcc_lo, 1, v84
	s_cbranch_vccnz .LBB38_553
; %bb.552:
	scratch_load_b64 v[82:83], v49, off
	ds_load_b64 v[86:87], v1
	s_wait_loadcnt_dscnt 0x0
	v_pk_mul_f32 v[88:89], v[86:87], v[82:83] op_sel:[1,1] op_sel_hi:[0,1]
	s_delay_alu instid0(VALU_DEP_1) | instskip(SKIP_1) | instid1(VALU_DEP_2)
	v_pk_fma_f32 v[90:91], v[86:87], v[82:83], v[88:89] op_sel_hi:[1,0,1]
	v_pk_fma_f32 v[82:83], v[86:87], v[82:83], v[88:89] neg_lo:[0,0,1] neg_hi:[0,0,1]
	v_mov_b32_e32 v83, v91
	s_cbranch_execz .LBB38_554
	s_branch .LBB38_555
.LBB38_553:
                                        ; implicit-def: $vgpr82_vgpr83
.LBB38_554:
	ds_load_b64 v[82:83], v1
.LBB38_555:
	s_mov_b32 s2, exec_lo
	v_cmpx_ne_u32_e32 17, v0
	s_cbranch_execz .LBB38_559
; %bb.556:
	v_add_nc_u32_e32 v85, 0x148, v48
	v_add3_u32 v86, 0, v48, 8
	v_mov_b32_e32 v87, v0
	s_mov_b32 s3, 0
.LBB38_557:                             ; =>This Inner Loop Header: Depth=1
	scratch_load_b64 v[88:89], v86, off
	ds_load_b64 v[90:91], v85
	s_wait_xcnt 0x0
	v_dual_add_nc_u32 v85, 8, v85 :: v_dual_add_nc_u32 v86, 8, v86
	s_wait_loadcnt_dscnt 0x0
	v_pk_mul_f32 v[92:93], v[90:91], v[88:89] op_sel:[1,1] op_sel_hi:[0,1]
	s_delay_alu instid0(VALU_DEP_1) | instskip(SKIP_2) | instid1(VALU_DEP_3)
	v_pk_fma_f32 v[94:95], v[90:91], v[88:89], v[92:93] op_sel_hi:[1,0,1]
	v_add_nc_u32_e32 v87, 1, v87
	v_pk_fma_f32 v[88:89], v[90:91], v[88:89], v[92:93] neg_lo:[0,0,1] neg_hi:[0,0,1]
	v_mov_b32_e32 v89, v95
	s_delay_alu instid0(VALU_DEP_3) | instskip(NEXT) | instid1(VALU_DEP_2)
	v_cmp_lt_u32_e32 vcc_lo, 16, v87
	v_pk_add_f32 v[82:83], v[82:83], v[88:89]
	s_or_b32 s3, vcc_lo, s3
	s_delay_alu instid0(SALU_CYCLE_1)
	s_and_not1_b32 exec_lo, exec_lo, s3
	s_cbranch_execnz .LBB38_557
; %bb.558:
	s_or_b32 exec_lo, exec_lo, s3
.LBB38_559:
	s_delay_alu instid0(SALU_CYCLE_1) | instskip(SKIP_4) | instid1(VALU_DEP_1)
	s_or_b32 exec_lo, exec_lo, s2
	v_mov_b32_e32 v85, 0
	ds_load_b64 v[86:87], v85 offset:144
	s_wait_dscnt 0x0
	v_pk_mul_f32 v[88:89], v[82:83], v[86:87] op_sel:[1,1] op_sel_hi:[0,1]
	v_pk_fma_f32 v[90:91], v[82:83], v[86:87], v[88:89] op_sel_hi:[1,0,1]
	v_pk_fma_f32 v[82:83], v[82:83], v[86:87], v[88:89] neg_lo:[0,0,1] neg_hi:[0,0,1]
	s_delay_alu instid0(VALU_DEP_2)
	v_mov_b32_e32 v83, v91
	scratch_store_b64 off, v[82:83], off offset:144
.LBB38_560:
	s_wait_xcnt 0x0
	s_or_b32 exec_lo, exec_lo, s0
	scratch_load_b64 v[82:83], off, off offset:152
	s_mov_b32 s0, exec_lo
	s_wait_loadcnt 0x0
	ds_store_b64 v1, v[82:83]
	s_wait_storecnt_dscnt 0x0
	s_barrier_signal -1
	s_barrier_wait -1
	s_wait_xcnt 0x0
	v_cmpx_gt_u32_e32 19, v0
	s_cbranch_execz .LBB38_570
; %bb.561:
	v_cmp_ne_u32_e32 vcc_lo, 1, v84
	s_cbranch_vccnz .LBB38_563
; %bb.562:
	scratch_load_b64 v[82:83], v49, off
	ds_load_b64 v[86:87], v1
	s_wait_loadcnt_dscnt 0x0
	v_pk_mul_f32 v[88:89], v[86:87], v[82:83] op_sel:[1,1] op_sel_hi:[0,1]
	s_delay_alu instid0(VALU_DEP_1) | instskip(SKIP_1) | instid1(VALU_DEP_2)
	v_pk_fma_f32 v[90:91], v[86:87], v[82:83], v[88:89] op_sel_hi:[1,0,1]
	v_pk_fma_f32 v[82:83], v[86:87], v[82:83], v[88:89] neg_lo:[0,0,1] neg_hi:[0,0,1]
	v_mov_b32_e32 v83, v91
	s_cbranch_execz .LBB38_564
	s_branch .LBB38_565
.LBB38_563:
                                        ; implicit-def: $vgpr82_vgpr83
.LBB38_564:
	ds_load_b64 v[82:83], v1
.LBB38_565:
	s_mov_b32 s2, exec_lo
	v_cmpx_ne_u32_e32 18, v0
	s_cbranch_execz .LBB38_569
; %bb.566:
	v_add_nc_u32_e32 v85, 0x148, v48
	v_add3_u32 v86, 0, v48, 8
	v_mov_b32_e32 v87, v0
	s_mov_b32 s3, 0
.LBB38_567:                             ; =>This Inner Loop Header: Depth=1
	scratch_load_b64 v[88:89], v86, off
	ds_load_b64 v[90:91], v85
	s_wait_xcnt 0x0
	v_dual_add_nc_u32 v85, 8, v85 :: v_dual_add_nc_u32 v86, 8, v86
	s_wait_loadcnt_dscnt 0x0
	v_pk_mul_f32 v[92:93], v[90:91], v[88:89] op_sel:[1,1] op_sel_hi:[0,1]
	s_delay_alu instid0(VALU_DEP_1) | instskip(SKIP_2) | instid1(VALU_DEP_3)
	v_pk_fma_f32 v[94:95], v[90:91], v[88:89], v[92:93] op_sel_hi:[1,0,1]
	v_add_nc_u32_e32 v87, 1, v87
	v_pk_fma_f32 v[88:89], v[90:91], v[88:89], v[92:93] neg_lo:[0,0,1] neg_hi:[0,0,1]
	v_mov_b32_e32 v89, v95
	s_delay_alu instid0(VALU_DEP_3) | instskip(NEXT) | instid1(VALU_DEP_2)
	v_cmp_lt_u32_e32 vcc_lo, 17, v87
	v_pk_add_f32 v[82:83], v[82:83], v[88:89]
	s_or_b32 s3, vcc_lo, s3
	s_delay_alu instid0(SALU_CYCLE_1)
	s_and_not1_b32 exec_lo, exec_lo, s3
	s_cbranch_execnz .LBB38_567
; %bb.568:
	s_or_b32 exec_lo, exec_lo, s3
.LBB38_569:
	s_delay_alu instid0(SALU_CYCLE_1) | instskip(SKIP_4) | instid1(VALU_DEP_1)
	s_or_b32 exec_lo, exec_lo, s2
	v_mov_b32_e32 v85, 0
	ds_load_b64 v[86:87], v85 offset:152
	s_wait_dscnt 0x0
	v_pk_mul_f32 v[88:89], v[82:83], v[86:87] op_sel:[1,1] op_sel_hi:[0,1]
	v_pk_fma_f32 v[90:91], v[82:83], v[86:87], v[88:89] op_sel_hi:[1,0,1]
	v_pk_fma_f32 v[82:83], v[82:83], v[86:87], v[88:89] neg_lo:[0,0,1] neg_hi:[0,0,1]
	s_delay_alu instid0(VALU_DEP_2)
	v_mov_b32_e32 v83, v91
	scratch_store_b64 off, v[82:83], off offset:152
.LBB38_570:
	s_wait_xcnt 0x0
	s_or_b32 exec_lo, exec_lo, s0
	scratch_load_b64 v[82:83], off, off offset:160
	s_mov_b32 s0, exec_lo
	s_wait_loadcnt 0x0
	ds_store_b64 v1, v[82:83]
	s_wait_storecnt_dscnt 0x0
	s_barrier_signal -1
	s_barrier_wait -1
	s_wait_xcnt 0x0
	v_cmpx_gt_u32_e32 20, v0
	s_cbranch_execz .LBB38_580
; %bb.571:
	v_cmp_ne_u32_e32 vcc_lo, 1, v84
	s_cbranch_vccnz .LBB38_573
; %bb.572:
	scratch_load_b64 v[82:83], v49, off
	ds_load_b64 v[86:87], v1
	s_wait_loadcnt_dscnt 0x0
	v_pk_mul_f32 v[88:89], v[86:87], v[82:83] op_sel:[1,1] op_sel_hi:[0,1]
	s_delay_alu instid0(VALU_DEP_1) | instskip(SKIP_1) | instid1(VALU_DEP_2)
	v_pk_fma_f32 v[90:91], v[86:87], v[82:83], v[88:89] op_sel_hi:[1,0,1]
	v_pk_fma_f32 v[82:83], v[86:87], v[82:83], v[88:89] neg_lo:[0,0,1] neg_hi:[0,0,1]
	v_mov_b32_e32 v83, v91
	s_cbranch_execz .LBB38_574
	s_branch .LBB38_575
.LBB38_573:
                                        ; implicit-def: $vgpr82_vgpr83
.LBB38_574:
	ds_load_b64 v[82:83], v1
.LBB38_575:
	s_mov_b32 s2, exec_lo
	v_cmpx_ne_u32_e32 19, v0
	s_cbranch_execz .LBB38_579
; %bb.576:
	v_add_nc_u32_e32 v85, 0x148, v48
	v_add3_u32 v86, 0, v48, 8
	v_mov_b32_e32 v87, v0
	s_mov_b32 s3, 0
.LBB38_577:                             ; =>This Inner Loop Header: Depth=1
	scratch_load_b64 v[88:89], v86, off
	ds_load_b64 v[90:91], v85
	s_wait_xcnt 0x0
	v_dual_add_nc_u32 v85, 8, v85 :: v_dual_add_nc_u32 v86, 8, v86
	s_wait_loadcnt_dscnt 0x0
	v_pk_mul_f32 v[92:93], v[90:91], v[88:89] op_sel:[1,1] op_sel_hi:[0,1]
	s_delay_alu instid0(VALU_DEP_1) | instskip(SKIP_2) | instid1(VALU_DEP_3)
	v_pk_fma_f32 v[94:95], v[90:91], v[88:89], v[92:93] op_sel_hi:[1,0,1]
	v_add_nc_u32_e32 v87, 1, v87
	v_pk_fma_f32 v[88:89], v[90:91], v[88:89], v[92:93] neg_lo:[0,0,1] neg_hi:[0,0,1]
	v_mov_b32_e32 v89, v95
	s_delay_alu instid0(VALU_DEP_3) | instskip(NEXT) | instid1(VALU_DEP_2)
	v_cmp_lt_u32_e32 vcc_lo, 18, v87
	v_pk_add_f32 v[82:83], v[82:83], v[88:89]
	s_or_b32 s3, vcc_lo, s3
	s_delay_alu instid0(SALU_CYCLE_1)
	s_and_not1_b32 exec_lo, exec_lo, s3
	s_cbranch_execnz .LBB38_577
; %bb.578:
	s_or_b32 exec_lo, exec_lo, s3
.LBB38_579:
	s_delay_alu instid0(SALU_CYCLE_1) | instskip(SKIP_4) | instid1(VALU_DEP_1)
	s_or_b32 exec_lo, exec_lo, s2
	v_mov_b32_e32 v85, 0
	ds_load_b64 v[86:87], v85 offset:160
	s_wait_dscnt 0x0
	v_pk_mul_f32 v[88:89], v[82:83], v[86:87] op_sel:[1,1] op_sel_hi:[0,1]
	v_pk_fma_f32 v[90:91], v[82:83], v[86:87], v[88:89] op_sel_hi:[1,0,1]
	v_pk_fma_f32 v[82:83], v[82:83], v[86:87], v[88:89] neg_lo:[0,0,1] neg_hi:[0,0,1]
	s_delay_alu instid0(VALU_DEP_2)
	v_mov_b32_e32 v83, v91
	scratch_store_b64 off, v[82:83], off offset:160
.LBB38_580:
	s_wait_xcnt 0x0
	s_or_b32 exec_lo, exec_lo, s0
	scratch_load_b64 v[82:83], off, off offset:168
	s_mov_b32 s0, exec_lo
	s_wait_loadcnt 0x0
	ds_store_b64 v1, v[82:83]
	s_wait_storecnt_dscnt 0x0
	s_barrier_signal -1
	s_barrier_wait -1
	s_wait_xcnt 0x0
	v_cmpx_gt_u32_e32 21, v0
	s_cbranch_execz .LBB38_590
; %bb.581:
	v_cmp_ne_u32_e32 vcc_lo, 1, v84
	s_cbranch_vccnz .LBB38_583
; %bb.582:
	scratch_load_b64 v[82:83], v49, off
	ds_load_b64 v[86:87], v1
	s_wait_loadcnt_dscnt 0x0
	v_pk_mul_f32 v[88:89], v[86:87], v[82:83] op_sel:[1,1] op_sel_hi:[0,1]
	s_delay_alu instid0(VALU_DEP_1) | instskip(SKIP_1) | instid1(VALU_DEP_2)
	v_pk_fma_f32 v[90:91], v[86:87], v[82:83], v[88:89] op_sel_hi:[1,0,1]
	v_pk_fma_f32 v[82:83], v[86:87], v[82:83], v[88:89] neg_lo:[0,0,1] neg_hi:[0,0,1]
	v_mov_b32_e32 v83, v91
	s_cbranch_execz .LBB38_584
	s_branch .LBB38_585
.LBB38_583:
                                        ; implicit-def: $vgpr82_vgpr83
.LBB38_584:
	ds_load_b64 v[82:83], v1
.LBB38_585:
	s_mov_b32 s2, exec_lo
	v_cmpx_ne_u32_e32 20, v0
	s_cbranch_execz .LBB38_589
; %bb.586:
	v_add_nc_u32_e32 v85, 0x148, v48
	v_add3_u32 v86, 0, v48, 8
	v_mov_b32_e32 v87, v0
	s_mov_b32 s3, 0
.LBB38_587:                             ; =>This Inner Loop Header: Depth=1
	scratch_load_b64 v[88:89], v86, off
	ds_load_b64 v[90:91], v85
	s_wait_xcnt 0x0
	v_dual_add_nc_u32 v85, 8, v85 :: v_dual_add_nc_u32 v86, 8, v86
	s_wait_loadcnt_dscnt 0x0
	v_pk_mul_f32 v[92:93], v[90:91], v[88:89] op_sel:[1,1] op_sel_hi:[0,1]
	s_delay_alu instid0(VALU_DEP_1) | instskip(SKIP_2) | instid1(VALU_DEP_3)
	v_pk_fma_f32 v[94:95], v[90:91], v[88:89], v[92:93] op_sel_hi:[1,0,1]
	v_add_nc_u32_e32 v87, 1, v87
	v_pk_fma_f32 v[88:89], v[90:91], v[88:89], v[92:93] neg_lo:[0,0,1] neg_hi:[0,0,1]
	v_mov_b32_e32 v89, v95
	s_delay_alu instid0(VALU_DEP_3) | instskip(NEXT) | instid1(VALU_DEP_2)
	v_cmp_lt_u32_e32 vcc_lo, 19, v87
	v_pk_add_f32 v[82:83], v[82:83], v[88:89]
	s_or_b32 s3, vcc_lo, s3
	s_delay_alu instid0(SALU_CYCLE_1)
	s_and_not1_b32 exec_lo, exec_lo, s3
	s_cbranch_execnz .LBB38_587
; %bb.588:
	s_or_b32 exec_lo, exec_lo, s3
.LBB38_589:
	s_delay_alu instid0(SALU_CYCLE_1) | instskip(SKIP_4) | instid1(VALU_DEP_1)
	s_or_b32 exec_lo, exec_lo, s2
	v_mov_b32_e32 v85, 0
	ds_load_b64 v[86:87], v85 offset:168
	s_wait_dscnt 0x0
	v_pk_mul_f32 v[88:89], v[82:83], v[86:87] op_sel:[1,1] op_sel_hi:[0,1]
	v_pk_fma_f32 v[90:91], v[82:83], v[86:87], v[88:89] op_sel_hi:[1,0,1]
	v_pk_fma_f32 v[82:83], v[82:83], v[86:87], v[88:89] neg_lo:[0,0,1] neg_hi:[0,0,1]
	s_delay_alu instid0(VALU_DEP_2)
	v_mov_b32_e32 v83, v91
	scratch_store_b64 off, v[82:83], off offset:168
.LBB38_590:
	s_wait_xcnt 0x0
	s_or_b32 exec_lo, exec_lo, s0
	scratch_load_b64 v[82:83], off, off offset:176
	s_mov_b32 s0, exec_lo
	s_wait_loadcnt 0x0
	ds_store_b64 v1, v[82:83]
	s_wait_storecnt_dscnt 0x0
	s_barrier_signal -1
	s_barrier_wait -1
	s_wait_xcnt 0x0
	v_cmpx_gt_u32_e32 22, v0
	s_cbranch_execz .LBB38_600
; %bb.591:
	v_cmp_ne_u32_e32 vcc_lo, 1, v84
	s_cbranch_vccnz .LBB38_593
; %bb.592:
	scratch_load_b64 v[82:83], v49, off
	ds_load_b64 v[86:87], v1
	s_wait_loadcnt_dscnt 0x0
	v_pk_mul_f32 v[88:89], v[86:87], v[82:83] op_sel:[1,1] op_sel_hi:[0,1]
	s_delay_alu instid0(VALU_DEP_1) | instskip(SKIP_1) | instid1(VALU_DEP_2)
	v_pk_fma_f32 v[90:91], v[86:87], v[82:83], v[88:89] op_sel_hi:[1,0,1]
	v_pk_fma_f32 v[82:83], v[86:87], v[82:83], v[88:89] neg_lo:[0,0,1] neg_hi:[0,0,1]
	v_mov_b32_e32 v83, v91
	s_cbranch_execz .LBB38_594
	s_branch .LBB38_595
.LBB38_593:
                                        ; implicit-def: $vgpr82_vgpr83
.LBB38_594:
	ds_load_b64 v[82:83], v1
.LBB38_595:
	s_mov_b32 s2, exec_lo
	v_cmpx_ne_u32_e32 21, v0
	s_cbranch_execz .LBB38_599
; %bb.596:
	v_add_nc_u32_e32 v85, 0x148, v48
	v_add3_u32 v86, 0, v48, 8
	v_mov_b32_e32 v87, v0
	s_mov_b32 s3, 0
.LBB38_597:                             ; =>This Inner Loop Header: Depth=1
	scratch_load_b64 v[88:89], v86, off
	ds_load_b64 v[90:91], v85
	s_wait_xcnt 0x0
	v_dual_add_nc_u32 v85, 8, v85 :: v_dual_add_nc_u32 v86, 8, v86
	s_wait_loadcnt_dscnt 0x0
	v_pk_mul_f32 v[92:93], v[90:91], v[88:89] op_sel:[1,1] op_sel_hi:[0,1]
	s_delay_alu instid0(VALU_DEP_1) | instskip(SKIP_2) | instid1(VALU_DEP_3)
	v_pk_fma_f32 v[94:95], v[90:91], v[88:89], v[92:93] op_sel_hi:[1,0,1]
	v_add_nc_u32_e32 v87, 1, v87
	v_pk_fma_f32 v[88:89], v[90:91], v[88:89], v[92:93] neg_lo:[0,0,1] neg_hi:[0,0,1]
	v_mov_b32_e32 v89, v95
	s_delay_alu instid0(VALU_DEP_3) | instskip(NEXT) | instid1(VALU_DEP_2)
	v_cmp_lt_u32_e32 vcc_lo, 20, v87
	v_pk_add_f32 v[82:83], v[82:83], v[88:89]
	s_or_b32 s3, vcc_lo, s3
	s_delay_alu instid0(SALU_CYCLE_1)
	s_and_not1_b32 exec_lo, exec_lo, s3
	s_cbranch_execnz .LBB38_597
; %bb.598:
	s_or_b32 exec_lo, exec_lo, s3
.LBB38_599:
	s_delay_alu instid0(SALU_CYCLE_1) | instskip(SKIP_4) | instid1(VALU_DEP_1)
	s_or_b32 exec_lo, exec_lo, s2
	v_mov_b32_e32 v85, 0
	ds_load_b64 v[86:87], v85 offset:176
	s_wait_dscnt 0x0
	v_pk_mul_f32 v[88:89], v[82:83], v[86:87] op_sel:[1,1] op_sel_hi:[0,1]
	v_pk_fma_f32 v[90:91], v[82:83], v[86:87], v[88:89] op_sel_hi:[1,0,1]
	v_pk_fma_f32 v[82:83], v[82:83], v[86:87], v[88:89] neg_lo:[0,0,1] neg_hi:[0,0,1]
	s_delay_alu instid0(VALU_DEP_2)
	v_mov_b32_e32 v83, v91
	scratch_store_b64 off, v[82:83], off offset:176
.LBB38_600:
	s_wait_xcnt 0x0
	s_or_b32 exec_lo, exec_lo, s0
	scratch_load_b64 v[82:83], off, off offset:184
	s_mov_b32 s0, exec_lo
	s_wait_loadcnt 0x0
	ds_store_b64 v1, v[82:83]
	s_wait_storecnt_dscnt 0x0
	s_barrier_signal -1
	s_barrier_wait -1
	s_wait_xcnt 0x0
	v_cmpx_gt_u32_e32 23, v0
	s_cbranch_execz .LBB38_610
; %bb.601:
	v_cmp_ne_u32_e32 vcc_lo, 1, v84
	s_cbranch_vccnz .LBB38_603
; %bb.602:
	scratch_load_b64 v[82:83], v49, off
	ds_load_b64 v[86:87], v1
	s_wait_loadcnt_dscnt 0x0
	v_pk_mul_f32 v[88:89], v[86:87], v[82:83] op_sel:[1,1] op_sel_hi:[0,1]
	s_delay_alu instid0(VALU_DEP_1) | instskip(SKIP_1) | instid1(VALU_DEP_2)
	v_pk_fma_f32 v[90:91], v[86:87], v[82:83], v[88:89] op_sel_hi:[1,0,1]
	v_pk_fma_f32 v[82:83], v[86:87], v[82:83], v[88:89] neg_lo:[0,0,1] neg_hi:[0,0,1]
	v_mov_b32_e32 v83, v91
	s_cbranch_execz .LBB38_604
	s_branch .LBB38_605
.LBB38_603:
                                        ; implicit-def: $vgpr82_vgpr83
.LBB38_604:
	ds_load_b64 v[82:83], v1
.LBB38_605:
	s_mov_b32 s2, exec_lo
	v_cmpx_ne_u32_e32 22, v0
	s_cbranch_execz .LBB38_609
; %bb.606:
	v_add_nc_u32_e32 v85, 0x148, v48
	v_add3_u32 v86, 0, v48, 8
	v_mov_b32_e32 v87, v0
	s_mov_b32 s3, 0
.LBB38_607:                             ; =>This Inner Loop Header: Depth=1
	scratch_load_b64 v[88:89], v86, off
	ds_load_b64 v[90:91], v85
	s_wait_xcnt 0x0
	v_dual_add_nc_u32 v85, 8, v85 :: v_dual_add_nc_u32 v86, 8, v86
	s_wait_loadcnt_dscnt 0x0
	v_pk_mul_f32 v[92:93], v[90:91], v[88:89] op_sel:[1,1] op_sel_hi:[0,1]
	s_delay_alu instid0(VALU_DEP_1) | instskip(SKIP_2) | instid1(VALU_DEP_3)
	v_pk_fma_f32 v[94:95], v[90:91], v[88:89], v[92:93] op_sel_hi:[1,0,1]
	v_add_nc_u32_e32 v87, 1, v87
	v_pk_fma_f32 v[88:89], v[90:91], v[88:89], v[92:93] neg_lo:[0,0,1] neg_hi:[0,0,1]
	v_mov_b32_e32 v89, v95
	s_delay_alu instid0(VALU_DEP_3) | instskip(NEXT) | instid1(VALU_DEP_2)
	v_cmp_lt_u32_e32 vcc_lo, 21, v87
	v_pk_add_f32 v[82:83], v[82:83], v[88:89]
	s_or_b32 s3, vcc_lo, s3
	s_delay_alu instid0(SALU_CYCLE_1)
	s_and_not1_b32 exec_lo, exec_lo, s3
	s_cbranch_execnz .LBB38_607
; %bb.608:
	s_or_b32 exec_lo, exec_lo, s3
.LBB38_609:
	s_delay_alu instid0(SALU_CYCLE_1) | instskip(SKIP_4) | instid1(VALU_DEP_1)
	s_or_b32 exec_lo, exec_lo, s2
	v_mov_b32_e32 v85, 0
	ds_load_b64 v[86:87], v85 offset:184
	s_wait_dscnt 0x0
	v_pk_mul_f32 v[88:89], v[82:83], v[86:87] op_sel:[1,1] op_sel_hi:[0,1]
	v_pk_fma_f32 v[90:91], v[82:83], v[86:87], v[88:89] op_sel_hi:[1,0,1]
	v_pk_fma_f32 v[82:83], v[82:83], v[86:87], v[88:89] neg_lo:[0,0,1] neg_hi:[0,0,1]
	s_delay_alu instid0(VALU_DEP_2)
	v_mov_b32_e32 v83, v91
	scratch_store_b64 off, v[82:83], off offset:184
.LBB38_610:
	s_wait_xcnt 0x0
	s_or_b32 exec_lo, exec_lo, s0
	scratch_load_b64 v[82:83], off, off offset:192
	s_mov_b32 s0, exec_lo
	s_wait_loadcnt 0x0
	ds_store_b64 v1, v[82:83]
	s_wait_storecnt_dscnt 0x0
	s_barrier_signal -1
	s_barrier_wait -1
	s_wait_xcnt 0x0
	v_cmpx_gt_u32_e32 24, v0
	s_cbranch_execz .LBB38_620
; %bb.611:
	v_cmp_ne_u32_e32 vcc_lo, 1, v84
	s_cbranch_vccnz .LBB38_613
; %bb.612:
	scratch_load_b64 v[82:83], v49, off
	ds_load_b64 v[86:87], v1
	s_wait_loadcnt_dscnt 0x0
	v_pk_mul_f32 v[88:89], v[86:87], v[82:83] op_sel:[1,1] op_sel_hi:[0,1]
	s_delay_alu instid0(VALU_DEP_1) | instskip(SKIP_1) | instid1(VALU_DEP_2)
	v_pk_fma_f32 v[90:91], v[86:87], v[82:83], v[88:89] op_sel_hi:[1,0,1]
	v_pk_fma_f32 v[82:83], v[86:87], v[82:83], v[88:89] neg_lo:[0,0,1] neg_hi:[0,0,1]
	v_mov_b32_e32 v83, v91
	s_cbranch_execz .LBB38_614
	s_branch .LBB38_615
.LBB38_613:
                                        ; implicit-def: $vgpr82_vgpr83
.LBB38_614:
	ds_load_b64 v[82:83], v1
.LBB38_615:
	s_mov_b32 s2, exec_lo
	v_cmpx_ne_u32_e32 23, v0
	s_cbranch_execz .LBB38_619
; %bb.616:
	v_add_nc_u32_e32 v85, 0x148, v48
	v_add3_u32 v86, 0, v48, 8
	v_mov_b32_e32 v87, v0
	s_mov_b32 s3, 0
.LBB38_617:                             ; =>This Inner Loop Header: Depth=1
	scratch_load_b64 v[88:89], v86, off
	ds_load_b64 v[90:91], v85
	s_wait_xcnt 0x0
	v_dual_add_nc_u32 v85, 8, v85 :: v_dual_add_nc_u32 v86, 8, v86
	s_wait_loadcnt_dscnt 0x0
	v_pk_mul_f32 v[92:93], v[90:91], v[88:89] op_sel:[1,1] op_sel_hi:[0,1]
	s_delay_alu instid0(VALU_DEP_1) | instskip(SKIP_2) | instid1(VALU_DEP_3)
	v_pk_fma_f32 v[94:95], v[90:91], v[88:89], v[92:93] op_sel_hi:[1,0,1]
	v_add_nc_u32_e32 v87, 1, v87
	v_pk_fma_f32 v[88:89], v[90:91], v[88:89], v[92:93] neg_lo:[0,0,1] neg_hi:[0,0,1]
	v_mov_b32_e32 v89, v95
	s_delay_alu instid0(VALU_DEP_3) | instskip(NEXT) | instid1(VALU_DEP_2)
	v_cmp_lt_u32_e32 vcc_lo, 22, v87
	v_pk_add_f32 v[82:83], v[82:83], v[88:89]
	s_or_b32 s3, vcc_lo, s3
	s_delay_alu instid0(SALU_CYCLE_1)
	s_and_not1_b32 exec_lo, exec_lo, s3
	s_cbranch_execnz .LBB38_617
; %bb.618:
	s_or_b32 exec_lo, exec_lo, s3
.LBB38_619:
	s_delay_alu instid0(SALU_CYCLE_1) | instskip(SKIP_4) | instid1(VALU_DEP_1)
	s_or_b32 exec_lo, exec_lo, s2
	v_mov_b32_e32 v85, 0
	ds_load_b64 v[86:87], v85 offset:192
	s_wait_dscnt 0x0
	v_pk_mul_f32 v[88:89], v[82:83], v[86:87] op_sel:[1,1] op_sel_hi:[0,1]
	v_pk_fma_f32 v[90:91], v[82:83], v[86:87], v[88:89] op_sel_hi:[1,0,1]
	v_pk_fma_f32 v[82:83], v[82:83], v[86:87], v[88:89] neg_lo:[0,0,1] neg_hi:[0,0,1]
	s_delay_alu instid0(VALU_DEP_2)
	v_mov_b32_e32 v83, v91
	scratch_store_b64 off, v[82:83], off offset:192
.LBB38_620:
	s_wait_xcnt 0x0
	s_or_b32 exec_lo, exec_lo, s0
	scratch_load_b64 v[82:83], off, off offset:200
	s_mov_b32 s0, exec_lo
	s_wait_loadcnt 0x0
	ds_store_b64 v1, v[82:83]
	s_wait_storecnt_dscnt 0x0
	s_barrier_signal -1
	s_barrier_wait -1
	s_wait_xcnt 0x0
	v_cmpx_gt_u32_e32 25, v0
	s_cbranch_execz .LBB38_630
; %bb.621:
	v_cmp_ne_u32_e32 vcc_lo, 1, v84
	s_cbranch_vccnz .LBB38_623
; %bb.622:
	scratch_load_b64 v[82:83], v49, off
	ds_load_b64 v[86:87], v1
	s_wait_loadcnt_dscnt 0x0
	v_pk_mul_f32 v[88:89], v[86:87], v[82:83] op_sel:[1,1] op_sel_hi:[0,1]
	s_delay_alu instid0(VALU_DEP_1) | instskip(SKIP_1) | instid1(VALU_DEP_2)
	v_pk_fma_f32 v[90:91], v[86:87], v[82:83], v[88:89] op_sel_hi:[1,0,1]
	v_pk_fma_f32 v[82:83], v[86:87], v[82:83], v[88:89] neg_lo:[0,0,1] neg_hi:[0,0,1]
	v_mov_b32_e32 v83, v91
	s_cbranch_execz .LBB38_624
	s_branch .LBB38_625
.LBB38_623:
                                        ; implicit-def: $vgpr82_vgpr83
.LBB38_624:
	ds_load_b64 v[82:83], v1
.LBB38_625:
	s_mov_b32 s2, exec_lo
	v_cmpx_ne_u32_e32 24, v0
	s_cbranch_execz .LBB38_629
; %bb.626:
	v_add_nc_u32_e32 v85, 0x148, v48
	v_add3_u32 v86, 0, v48, 8
	v_mov_b32_e32 v87, v0
	s_mov_b32 s3, 0
.LBB38_627:                             ; =>This Inner Loop Header: Depth=1
	scratch_load_b64 v[88:89], v86, off
	ds_load_b64 v[90:91], v85
	s_wait_xcnt 0x0
	v_dual_add_nc_u32 v85, 8, v85 :: v_dual_add_nc_u32 v86, 8, v86
	s_wait_loadcnt_dscnt 0x0
	v_pk_mul_f32 v[92:93], v[90:91], v[88:89] op_sel:[1,1] op_sel_hi:[0,1]
	s_delay_alu instid0(VALU_DEP_1) | instskip(SKIP_2) | instid1(VALU_DEP_3)
	v_pk_fma_f32 v[94:95], v[90:91], v[88:89], v[92:93] op_sel_hi:[1,0,1]
	v_add_nc_u32_e32 v87, 1, v87
	v_pk_fma_f32 v[88:89], v[90:91], v[88:89], v[92:93] neg_lo:[0,0,1] neg_hi:[0,0,1]
	v_mov_b32_e32 v89, v95
	s_delay_alu instid0(VALU_DEP_3) | instskip(NEXT) | instid1(VALU_DEP_2)
	v_cmp_lt_u32_e32 vcc_lo, 23, v87
	v_pk_add_f32 v[82:83], v[82:83], v[88:89]
	s_or_b32 s3, vcc_lo, s3
	s_delay_alu instid0(SALU_CYCLE_1)
	s_and_not1_b32 exec_lo, exec_lo, s3
	s_cbranch_execnz .LBB38_627
; %bb.628:
	s_or_b32 exec_lo, exec_lo, s3
.LBB38_629:
	s_delay_alu instid0(SALU_CYCLE_1) | instskip(SKIP_4) | instid1(VALU_DEP_1)
	s_or_b32 exec_lo, exec_lo, s2
	v_mov_b32_e32 v85, 0
	ds_load_b64 v[86:87], v85 offset:200
	s_wait_dscnt 0x0
	v_pk_mul_f32 v[88:89], v[82:83], v[86:87] op_sel:[1,1] op_sel_hi:[0,1]
	v_pk_fma_f32 v[90:91], v[82:83], v[86:87], v[88:89] op_sel_hi:[1,0,1]
	v_pk_fma_f32 v[82:83], v[82:83], v[86:87], v[88:89] neg_lo:[0,0,1] neg_hi:[0,0,1]
	s_delay_alu instid0(VALU_DEP_2)
	v_mov_b32_e32 v83, v91
	scratch_store_b64 off, v[82:83], off offset:200
.LBB38_630:
	s_wait_xcnt 0x0
	s_or_b32 exec_lo, exec_lo, s0
	scratch_load_b64 v[82:83], off, off offset:208
	s_mov_b32 s0, exec_lo
	s_wait_loadcnt 0x0
	ds_store_b64 v1, v[82:83]
	s_wait_storecnt_dscnt 0x0
	s_barrier_signal -1
	s_barrier_wait -1
	s_wait_xcnt 0x0
	v_cmpx_gt_u32_e32 26, v0
	s_cbranch_execz .LBB38_640
; %bb.631:
	v_cmp_ne_u32_e32 vcc_lo, 1, v84
	s_cbranch_vccnz .LBB38_633
; %bb.632:
	scratch_load_b64 v[82:83], v49, off
	ds_load_b64 v[86:87], v1
	s_wait_loadcnt_dscnt 0x0
	v_pk_mul_f32 v[88:89], v[86:87], v[82:83] op_sel:[1,1] op_sel_hi:[0,1]
	s_delay_alu instid0(VALU_DEP_1) | instskip(SKIP_1) | instid1(VALU_DEP_2)
	v_pk_fma_f32 v[90:91], v[86:87], v[82:83], v[88:89] op_sel_hi:[1,0,1]
	v_pk_fma_f32 v[82:83], v[86:87], v[82:83], v[88:89] neg_lo:[0,0,1] neg_hi:[0,0,1]
	v_mov_b32_e32 v83, v91
	s_cbranch_execz .LBB38_634
	s_branch .LBB38_635
.LBB38_633:
                                        ; implicit-def: $vgpr82_vgpr83
.LBB38_634:
	ds_load_b64 v[82:83], v1
.LBB38_635:
	s_mov_b32 s2, exec_lo
	v_cmpx_ne_u32_e32 25, v0
	s_cbranch_execz .LBB38_639
; %bb.636:
	v_add_nc_u32_e32 v85, 0x148, v48
	v_add3_u32 v86, 0, v48, 8
	v_mov_b32_e32 v87, v0
	s_mov_b32 s3, 0
.LBB38_637:                             ; =>This Inner Loop Header: Depth=1
	scratch_load_b64 v[88:89], v86, off
	ds_load_b64 v[90:91], v85
	s_wait_xcnt 0x0
	v_dual_add_nc_u32 v85, 8, v85 :: v_dual_add_nc_u32 v86, 8, v86
	s_wait_loadcnt_dscnt 0x0
	v_pk_mul_f32 v[92:93], v[90:91], v[88:89] op_sel:[1,1] op_sel_hi:[0,1]
	s_delay_alu instid0(VALU_DEP_1) | instskip(SKIP_2) | instid1(VALU_DEP_3)
	v_pk_fma_f32 v[94:95], v[90:91], v[88:89], v[92:93] op_sel_hi:[1,0,1]
	v_add_nc_u32_e32 v87, 1, v87
	v_pk_fma_f32 v[88:89], v[90:91], v[88:89], v[92:93] neg_lo:[0,0,1] neg_hi:[0,0,1]
	v_mov_b32_e32 v89, v95
	s_delay_alu instid0(VALU_DEP_3) | instskip(NEXT) | instid1(VALU_DEP_2)
	v_cmp_lt_u32_e32 vcc_lo, 24, v87
	v_pk_add_f32 v[82:83], v[82:83], v[88:89]
	s_or_b32 s3, vcc_lo, s3
	s_delay_alu instid0(SALU_CYCLE_1)
	s_and_not1_b32 exec_lo, exec_lo, s3
	s_cbranch_execnz .LBB38_637
; %bb.638:
	s_or_b32 exec_lo, exec_lo, s3
.LBB38_639:
	s_delay_alu instid0(SALU_CYCLE_1) | instskip(SKIP_4) | instid1(VALU_DEP_1)
	s_or_b32 exec_lo, exec_lo, s2
	v_mov_b32_e32 v85, 0
	ds_load_b64 v[86:87], v85 offset:208
	s_wait_dscnt 0x0
	v_pk_mul_f32 v[88:89], v[82:83], v[86:87] op_sel:[1,1] op_sel_hi:[0,1]
	v_pk_fma_f32 v[90:91], v[82:83], v[86:87], v[88:89] op_sel_hi:[1,0,1]
	v_pk_fma_f32 v[82:83], v[82:83], v[86:87], v[88:89] neg_lo:[0,0,1] neg_hi:[0,0,1]
	s_delay_alu instid0(VALU_DEP_2)
	v_mov_b32_e32 v83, v91
	scratch_store_b64 off, v[82:83], off offset:208
.LBB38_640:
	s_wait_xcnt 0x0
	s_or_b32 exec_lo, exec_lo, s0
	scratch_load_b64 v[82:83], off, off offset:216
	s_mov_b32 s0, exec_lo
	s_wait_loadcnt 0x0
	ds_store_b64 v1, v[82:83]
	s_wait_storecnt_dscnt 0x0
	s_barrier_signal -1
	s_barrier_wait -1
	s_wait_xcnt 0x0
	v_cmpx_gt_u32_e32 27, v0
	s_cbranch_execz .LBB38_650
; %bb.641:
	v_cmp_ne_u32_e32 vcc_lo, 1, v84
	s_cbranch_vccnz .LBB38_643
; %bb.642:
	scratch_load_b64 v[82:83], v49, off
	ds_load_b64 v[86:87], v1
	s_wait_loadcnt_dscnt 0x0
	v_pk_mul_f32 v[88:89], v[86:87], v[82:83] op_sel:[1,1] op_sel_hi:[0,1]
	s_delay_alu instid0(VALU_DEP_1) | instskip(SKIP_1) | instid1(VALU_DEP_2)
	v_pk_fma_f32 v[90:91], v[86:87], v[82:83], v[88:89] op_sel_hi:[1,0,1]
	v_pk_fma_f32 v[82:83], v[86:87], v[82:83], v[88:89] neg_lo:[0,0,1] neg_hi:[0,0,1]
	v_mov_b32_e32 v83, v91
	s_cbranch_execz .LBB38_644
	s_branch .LBB38_645
.LBB38_643:
                                        ; implicit-def: $vgpr82_vgpr83
.LBB38_644:
	ds_load_b64 v[82:83], v1
.LBB38_645:
	s_mov_b32 s2, exec_lo
	v_cmpx_ne_u32_e32 26, v0
	s_cbranch_execz .LBB38_649
; %bb.646:
	v_add_nc_u32_e32 v85, 0x148, v48
	v_add3_u32 v86, 0, v48, 8
	v_mov_b32_e32 v87, v0
	s_mov_b32 s3, 0
.LBB38_647:                             ; =>This Inner Loop Header: Depth=1
	scratch_load_b64 v[88:89], v86, off
	ds_load_b64 v[90:91], v85
	s_wait_xcnt 0x0
	v_dual_add_nc_u32 v85, 8, v85 :: v_dual_add_nc_u32 v86, 8, v86
	s_wait_loadcnt_dscnt 0x0
	v_pk_mul_f32 v[92:93], v[90:91], v[88:89] op_sel:[1,1] op_sel_hi:[0,1]
	s_delay_alu instid0(VALU_DEP_1) | instskip(SKIP_2) | instid1(VALU_DEP_3)
	v_pk_fma_f32 v[94:95], v[90:91], v[88:89], v[92:93] op_sel_hi:[1,0,1]
	v_add_nc_u32_e32 v87, 1, v87
	v_pk_fma_f32 v[88:89], v[90:91], v[88:89], v[92:93] neg_lo:[0,0,1] neg_hi:[0,0,1]
	v_mov_b32_e32 v89, v95
	s_delay_alu instid0(VALU_DEP_3) | instskip(NEXT) | instid1(VALU_DEP_2)
	v_cmp_lt_u32_e32 vcc_lo, 25, v87
	v_pk_add_f32 v[82:83], v[82:83], v[88:89]
	s_or_b32 s3, vcc_lo, s3
	s_delay_alu instid0(SALU_CYCLE_1)
	s_and_not1_b32 exec_lo, exec_lo, s3
	s_cbranch_execnz .LBB38_647
; %bb.648:
	s_or_b32 exec_lo, exec_lo, s3
.LBB38_649:
	s_delay_alu instid0(SALU_CYCLE_1) | instskip(SKIP_4) | instid1(VALU_DEP_1)
	s_or_b32 exec_lo, exec_lo, s2
	v_mov_b32_e32 v85, 0
	ds_load_b64 v[86:87], v85 offset:216
	s_wait_dscnt 0x0
	v_pk_mul_f32 v[88:89], v[82:83], v[86:87] op_sel:[1,1] op_sel_hi:[0,1]
	v_pk_fma_f32 v[90:91], v[82:83], v[86:87], v[88:89] op_sel_hi:[1,0,1]
	v_pk_fma_f32 v[82:83], v[82:83], v[86:87], v[88:89] neg_lo:[0,0,1] neg_hi:[0,0,1]
	s_delay_alu instid0(VALU_DEP_2)
	v_mov_b32_e32 v83, v91
	scratch_store_b64 off, v[82:83], off offset:216
.LBB38_650:
	s_wait_xcnt 0x0
	s_or_b32 exec_lo, exec_lo, s0
	scratch_load_b64 v[82:83], off, off offset:224
	s_mov_b32 s0, exec_lo
	s_wait_loadcnt 0x0
	ds_store_b64 v1, v[82:83]
	s_wait_storecnt_dscnt 0x0
	s_barrier_signal -1
	s_barrier_wait -1
	s_wait_xcnt 0x0
	v_cmpx_gt_u32_e32 28, v0
	s_cbranch_execz .LBB38_660
; %bb.651:
	v_cmp_ne_u32_e32 vcc_lo, 1, v84
	s_cbranch_vccnz .LBB38_653
; %bb.652:
	scratch_load_b64 v[82:83], v49, off
	ds_load_b64 v[86:87], v1
	s_wait_loadcnt_dscnt 0x0
	v_pk_mul_f32 v[88:89], v[86:87], v[82:83] op_sel:[1,1] op_sel_hi:[0,1]
	s_delay_alu instid0(VALU_DEP_1) | instskip(SKIP_1) | instid1(VALU_DEP_2)
	v_pk_fma_f32 v[90:91], v[86:87], v[82:83], v[88:89] op_sel_hi:[1,0,1]
	v_pk_fma_f32 v[82:83], v[86:87], v[82:83], v[88:89] neg_lo:[0,0,1] neg_hi:[0,0,1]
	v_mov_b32_e32 v83, v91
	s_cbranch_execz .LBB38_654
	s_branch .LBB38_655
.LBB38_653:
                                        ; implicit-def: $vgpr82_vgpr83
.LBB38_654:
	ds_load_b64 v[82:83], v1
.LBB38_655:
	s_mov_b32 s2, exec_lo
	v_cmpx_ne_u32_e32 27, v0
	s_cbranch_execz .LBB38_659
; %bb.656:
	v_add_nc_u32_e32 v85, 0x148, v48
	v_add3_u32 v86, 0, v48, 8
	v_mov_b32_e32 v87, v0
	s_mov_b32 s3, 0
.LBB38_657:                             ; =>This Inner Loop Header: Depth=1
	scratch_load_b64 v[88:89], v86, off
	ds_load_b64 v[90:91], v85
	s_wait_xcnt 0x0
	v_dual_add_nc_u32 v85, 8, v85 :: v_dual_add_nc_u32 v86, 8, v86
	s_wait_loadcnt_dscnt 0x0
	v_pk_mul_f32 v[92:93], v[90:91], v[88:89] op_sel:[1,1] op_sel_hi:[0,1]
	s_delay_alu instid0(VALU_DEP_1) | instskip(SKIP_2) | instid1(VALU_DEP_3)
	v_pk_fma_f32 v[94:95], v[90:91], v[88:89], v[92:93] op_sel_hi:[1,0,1]
	v_add_nc_u32_e32 v87, 1, v87
	v_pk_fma_f32 v[88:89], v[90:91], v[88:89], v[92:93] neg_lo:[0,0,1] neg_hi:[0,0,1]
	v_mov_b32_e32 v89, v95
	s_delay_alu instid0(VALU_DEP_3) | instskip(NEXT) | instid1(VALU_DEP_2)
	v_cmp_lt_u32_e32 vcc_lo, 26, v87
	v_pk_add_f32 v[82:83], v[82:83], v[88:89]
	s_or_b32 s3, vcc_lo, s3
	s_delay_alu instid0(SALU_CYCLE_1)
	s_and_not1_b32 exec_lo, exec_lo, s3
	s_cbranch_execnz .LBB38_657
; %bb.658:
	s_or_b32 exec_lo, exec_lo, s3
.LBB38_659:
	s_delay_alu instid0(SALU_CYCLE_1) | instskip(SKIP_4) | instid1(VALU_DEP_1)
	s_or_b32 exec_lo, exec_lo, s2
	v_mov_b32_e32 v85, 0
	ds_load_b64 v[86:87], v85 offset:224
	s_wait_dscnt 0x0
	v_pk_mul_f32 v[88:89], v[82:83], v[86:87] op_sel:[1,1] op_sel_hi:[0,1]
	v_pk_fma_f32 v[90:91], v[82:83], v[86:87], v[88:89] op_sel_hi:[1,0,1]
	v_pk_fma_f32 v[82:83], v[82:83], v[86:87], v[88:89] neg_lo:[0,0,1] neg_hi:[0,0,1]
	s_delay_alu instid0(VALU_DEP_2)
	v_mov_b32_e32 v83, v91
	scratch_store_b64 off, v[82:83], off offset:224
.LBB38_660:
	s_wait_xcnt 0x0
	s_or_b32 exec_lo, exec_lo, s0
	scratch_load_b64 v[82:83], off, off offset:232
	s_mov_b32 s0, exec_lo
	s_wait_loadcnt 0x0
	ds_store_b64 v1, v[82:83]
	s_wait_storecnt_dscnt 0x0
	s_barrier_signal -1
	s_barrier_wait -1
	s_wait_xcnt 0x0
	v_cmpx_gt_u32_e32 29, v0
	s_cbranch_execz .LBB38_670
; %bb.661:
	v_cmp_ne_u32_e32 vcc_lo, 1, v84
	s_cbranch_vccnz .LBB38_663
; %bb.662:
	scratch_load_b64 v[82:83], v49, off
	ds_load_b64 v[86:87], v1
	s_wait_loadcnt_dscnt 0x0
	v_pk_mul_f32 v[88:89], v[86:87], v[82:83] op_sel:[1,1] op_sel_hi:[0,1]
	s_delay_alu instid0(VALU_DEP_1) | instskip(SKIP_1) | instid1(VALU_DEP_2)
	v_pk_fma_f32 v[90:91], v[86:87], v[82:83], v[88:89] op_sel_hi:[1,0,1]
	v_pk_fma_f32 v[82:83], v[86:87], v[82:83], v[88:89] neg_lo:[0,0,1] neg_hi:[0,0,1]
	v_mov_b32_e32 v83, v91
	s_cbranch_execz .LBB38_664
	s_branch .LBB38_665
.LBB38_663:
                                        ; implicit-def: $vgpr82_vgpr83
.LBB38_664:
	ds_load_b64 v[82:83], v1
.LBB38_665:
	s_mov_b32 s2, exec_lo
	v_cmpx_ne_u32_e32 28, v0
	s_cbranch_execz .LBB38_669
; %bb.666:
	v_add_nc_u32_e32 v85, 0x148, v48
	v_add3_u32 v86, 0, v48, 8
	v_mov_b32_e32 v87, v0
	s_mov_b32 s3, 0
.LBB38_667:                             ; =>This Inner Loop Header: Depth=1
	scratch_load_b64 v[88:89], v86, off
	ds_load_b64 v[90:91], v85
	s_wait_xcnt 0x0
	v_dual_add_nc_u32 v85, 8, v85 :: v_dual_add_nc_u32 v86, 8, v86
	s_wait_loadcnt_dscnt 0x0
	v_pk_mul_f32 v[92:93], v[90:91], v[88:89] op_sel:[1,1] op_sel_hi:[0,1]
	s_delay_alu instid0(VALU_DEP_1) | instskip(SKIP_2) | instid1(VALU_DEP_3)
	v_pk_fma_f32 v[94:95], v[90:91], v[88:89], v[92:93] op_sel_hi:[1,0,1]
	v_add_nc_u32_e32 v87, 1, v87
	v_pk_fma_f32 v[88:89], v[90:91], v[88:89], v[92:93] neg_lo:[0,0,1] neg_hi:[0,0,1]
	v_mov_b32_e32 v89, v95
	s_delay_alu instid0(VALU_DEP_3) | instskip(NEXT) | instid1(VALU_DEP_2)
	v_cmp_lt_u32_e32 vcc_lo, 27, v87
	v_pk_add_f32 v[82:83], v[82:83], v[88:89]
	s_or_b32 s3, vcc_lo, s3
	s_delay_alu instid0(SALU_CYCLE_1)
	s_and_not1_b32 exec_lo, exec_lo, s3
	s_cbranch_execnz .LBB38_667
; %bb.668:
	s_or_b32 exec_lo, exec_lo, s3
.LBB38_669:
	s_delay_alu instid0(SALU_CYCLE_1) | instskip(SKIP_4) | instid1(VALU_DEP_1)
	s_or_b32 exec_lo, exec_lo, s2
	v_mov_b32_e32 v85, 0
	ds_load_b64 v[86:87], v85 offset:232
	s_wait_dscnt 0x0
	v_pk_mul_f32 v[88:89], v[82:83], v[86:87] op_sel:[1,1] op_sel_hi:[0,1]
	v_pk_fma_f32 v[90:91], v[82:83], v[86:87], v[88:89] op_sel_hi:[1,0,1]
	v_pk_fma_f32 v[82:83], v[82:83], v[86:87], v[88:89] neg_lo:[0,0,1] neg_hi:[0,0,1]
	s_delay_alu instid0(VALU_DEP_2)
	v_mov_b32_e32 v83, v91
	scratch_store_b64 off, v[82:83], off offset:232
.LBB38_670:
	s_wait_xcnt 0x0
	s_or_b32 exec_lo, exec_lo, s0
	scratch_load_b64 v[82:83], off, off offset:240
	s_mov_b32 s0, exec_lo
	s_wait_loadcnt 0x0
	ds_store_b64 v1, v[82:83]
	s_wait_storecnt_dscnt 0x0
	s_barrier_signal -1
	s_barrier_wait -1
	s_wait_xcnt 0x0
	v_cmpx_gt_u32_e32 30, v0
	s_cbranch_execz .LBB38_680
; %bb.671:
	v_cmp_ne_u32_e32 vcc_lo, 1, v84
	s_cbranch_vccnz .LBB38_673
; %bb.672:
	scratch_load_b64 v[82:83], v49, off
	ds_load_b64 v[86:87], v1
	s_wait_loadcnt_dscnt 0x0
	v_pk_mul_f32 v[88:89], v[86:87], v[82:83] op_sel:[1,1] op_sel_hi:[0,1]
	s_delay_alu instid0(VALU_DEP_1) | instskip(SKIP_1) | instid1(VALU_DEP_2)
	v_pk_fma_f32 v[90:91], v[86:87], v[82:83], v[88:89] op_sel_hi:[1,0,1]
	v_pk_fma_f32 v[82:83], v[86:87], v[82:83], v[88:89] neg_lo:[0,0,1] neg_hi:[0,0,1]
	v_mov_b32_e32 v83, v91
	s_cbranch_execz .LBB38_674
	s_branch .LBB38_675
.LBB38_673:
                                        ; implicit-def: $vgpr82_vgpr83
.LBB38_674:
	ds_load_b64 v[82:83], v1
.LBB38_675:
	s_mov_b32 s2, exec_lo
	v_cmpx_ne_u32_e32 29, v0
	s_cbranch_execz .LBB38_679
; %bb.676:
	v_add_nc_u32_e32 v85, 0x148, v48
	v_add3_u32 v86, 0, v48, 8
	v_mov_b32_e32 v87, v0
	s_mov_b32 s3, 0
.LBB38_677:                             ; =>This Inner Loop Header: Depth=1
	scratch_load_b64 v[88:89], v86, off
	ds_load_b64 v[90:91], v85
	s_wait_xcnt 0x0
	v_dual_add_nc_u32 v85, 8, v85 :: v_dual_add_nc_u32 v86, 8, v86
	s_wait_loadcnt_dscnt 0x0
	v_pk_mul_f32 v[92:93], v[90:91], v[88:89] op_sel:[1,1] op_sel_hi:[0,1]
	s_delay_alu instid0(VALU_DEP_1) | instskip(SKIP_2) | instid1(VALU_DEP_3)
	v_pk_fma_f32 v[94:95], v[90:91], v[88:89], v[92:93] op_sel_hi:[1,0,1]
	v_add_nc_u32_e32 v87, 1, v87
	v_pk_fma_f32 v[88:89], v[90:91], v[88:89], v[92:93] neg_lo:[0,0,1] neg_hi:[0,0,1]
	v_mov_b32_e32 v89, v95
	s_delay_alu instid0(VALU_DEP_3) | instskip(NEXT) | instid1(VALU_DEP_2)
	v_cmp_lt_u32_e32 vcc_lo, 28, v87
	v_pk_add_f32 v[82:83], v[82:83], v[88:89]
	s_or_b32 s3, vcc_lo, s3
	s_delay_alu instid0(SALU_CYCLE_1)
	s_and_not1_b32 exec_lo, exec_lo, s3
	s_cbranch_execnz .LBB38_677
; %bb.678:
	s_or_b32 exec_lo, exec_lo, s3
.LBB38_679:
	s_delay_alu instid0(SALU_CYCLE_1) | instskip(SKIP_4) | instid1(VALU_DEP_1)
	s_or_b32 exec_lo, exec_lo, s2
	v_mov_b32_e32 v85, 0
	ds_load_b64 v[86:87], v85 offset:240
	s_wait_dscnt 0x0
	v_pk_mul_f32 v[88:89], v[82:83], v[86:87] op_sel:[1,1] op_sel_hi:[0,1]
	v_pk_fma_f32 v[90:91], v[82:83], v[86:87], v[88:89] op_sel_hi:[1,0,1]
	v_pk_fma_f32 v[82:83], v[82:83], v[86:87], v[88:89] neg_lo:[0,0,1] neg_hi:[0,0,1]
	s_delay_alu instid0(VALU_DEP_2)
	v_mov_b32_e32 v83, v91
	scratch_store_b64 off, v[82:83], off offset:240
.LBB38_680:
	s_wait_xcnt 0x0
	s_or_b32 exec_lo, exec_lo, s0
	scratch_load_b64 v[82:83], off, off offset:248
	s_mov_b32 s0, exec_lo
	s_wait_loadcnt 0x0
	ds_store_b64 v1, v[82:83]
	s_wait_storecnt_dscnt 0x0
	s_barrier_signal -1
	s_barrier_wait -1
	s_wait_xcnt 0x0
	v_cmpx_gt_u32_e32 31, v0
	s_cbranch_execz .LBB38_690
; %bb.681:
	v_cmp_ne_u32_e32 vcc_lo, 1, v84
	s_cbranch_vccnz .LBB38_683
; %bb.682:
	scratch_load_b64 v[82:83], v49, off
	ds_load_b64 v[86:87], v1
	s_wait_loadcnt_dscnt 0x0
	v_pk_mul_f32 v[88:89], v[86:87], v[82:83] op_sel:[1,1] op_sel_hi:[0,1]
	s_delay_alu instid0(VALU_DEP_1) | instskip(SKIP_1) | instid1(VALU_DEP_2)
	v_pk_fma_f32 v[90:91], v[86:87], v[82:83], v[88:89] op_sel_hi:[1,0,1]
	v_pk_fma_f32 v[82:83], v[86:87], v[82:83], v[88:89] neg_lo:[0,0,1] neg_hi:[0,0,1]
	v_mov_b32_e32 v83, v91
	s_cbranch_execz .LBB38_684
	s_branch .LBB38_685
.LBB38_683:
                                        ; implicit-def: $vgpr82_vgpr83
.LBB38_684:
	ds_load_b64 v[82:83], v1
.LBB38_685:
	s_mov_b32 s2, exec_lo
	v_cmpx_ne_u32_e32 30, v0
	s_cbranch_execz .LBB38_689
; %bb.686:
	v_add_nc_u32_e32 v85, 0x148, v48
	v_add3_u32 v86, 0, v48, 8
	v_mov_b32_e32 v87, v0
	s_mov_b32 s3, 0
.LBB38_687:                             ; =>This Inner Loop Header: Depth=1
	scratch_load_b64 v[88:89], v86, off
	ds_load_b64 v[90:91], v85
	s_wait_xcnt 0x0
	v_dual_add_nc_u32 v85, 8, v85 :: v_dual_add_nc_u32 v86, 8, v86
	s_wait_loadcnt_dscnt 0x0
	v_pk_mul_f32 v[92:93], v[90:91], v[88:89] op_sel:[1,1] op_sel_hi:[0,1]
	s_delay_alu instid0(VALU_DEP_1) | instskip(SKIP_2) | instid1(VALU_DEP_3)
	v_pk_fma_f32 v[94:95], v[90:91], v[88:89], v[92:93] op_sel_hi:[1,0,1]
	v_add_nc_u32_e32 v87, 1, v87
	v_pk_fma_f32 v[88:89], v[90:91], v[88:89], v[92:93] neg_lo:[0,0,1] neg_hi:[0,0,1]
	v_mov_b32_e32 v89, v95
	s_delay_alu instid0(VALU_DEP_3) | instskip(NEXT) | instid1(VALU_DEP_2)
	v_cmp_lt_u32_e32 vcc_lo, 29, v87
	v_pk_add_f32 v[82:83], v[82:83], v[88:89]
	s_or_b32 s3, vcc_lo, s3
	s_delay_alu instid0(SALU_CYCLE_1)
	s_and_not1_b32 exec_lo, exec_lo, s3
	s_cbranch_execnz .LBB38_687
; %bb.688:
	s_or_b32 exec_lo, exec_lo, s3
.LBB38_689:
	s_delay_alu instid0(SALU_CYCLE_1) | instskip(SKIP_4) | instid1(VALU_DEP_1)
	s_or_b32 exec_lo, exec_lo, s2
	v_mov_b32_e32 v85, 0
	ds_load_b64 v[86:87], v85 offset:248
	s_wait_dscnt 0x0
	v_pk_mul_f32 v[88:89], v[82:83], v[86:87] op_sel:[1,1] op_sel_hi:[0,1]
	v_pk_fma_f32 v[90:91], v[82:83], v[86:87], v[88:89] op_sel_hi:[1,0,1]
	v_pk_fma_f32 v[82:83], v[82:83], v[86:87], v[88:89] neg_lo:[0,0,1] neg_hi:[0,0,1]
	s_delay_alu instid0(VALU_DEP_2)
	v_mov_b32_e32 v83, v91
	scratch_store_b64 off, v[82:83], off offset:248
.LBB38_690:
	s_wait_xcnt 0x0
	s_or_b32 exec_lo, exec_lo, s0
	scratch_load_b64 v[82:83], off, off offset:256
	s_mov_b32 s0, exec_lo
	s_wait_loadcnt 0x0
	ds_store_b64 v1, v[82:83]
	s_wait_storecnt_dscnt 0x0
	s_barrier_signal -1
	s_barrier_wait -1
	s_wait_xcnt 0x0
	v_cmpx_gt_u32_e32 32, v0
	s_cbranch_execz .LBB38_700
; %bb.691:
	v_cmp_ne_u32_e32 vcc_lo, 1, v84
	s_cbranch_vccnz .LBB38_693
; %bb.692:
	scratch_load_b64 v[82:83], v49, off
	ds_load_b64 v[86:87], v1
	s_wait_loadcnt_dscnt 0x0
	v_pk_mul_f32 v[88:89], v[86:87], v[82:83] op_sel:[1,1] op_sel_hi:[0,1]
	s_delay_alu instid0(VALU_DEP_1) | instskip(SKIP_1) | instid1(VALU_DEP_2)
	v_pk_fma_f32 v[90:91], v[86:87], v[82:83], v[88:89] op_sel_hi:[1,0,1]
	v_pk_fma_f32 v[82:83], v[86:87], v[82:83], v[88:89] neg_lo:[0,0,1] neg_hi:[0,0,1]
	v_mov_b32_e32 v83, v91
	s_cbranch_execz .LBB38_694
	s_branch .LBB38_695
.LBB38_693:
                                        ; implicit-def: $vgpr82_vgpr83
.LBB38_694:
	ds_load_b64 v[82:83], v1
.LBB38_695:
	s_mov_b32 s2, exec_lo
	v_cmpx_ne_u32_e32 31, v0
	s_cbranch_execz .LBB38_699
; %bb.696:
	v_add_nc_u32_e32 v85, 0x148, v48
	v_add3_u32 v86, 0, v48, 8
	v_mov_b32_e32 v87, v0
	s_mov_b32 s3, 0
.LBB38_697:                             ; =>This Inner Loop Header: Depth=1
	scratch_load_b64 v[88:89], v86, off
	ds_load_b64 v[90:91], v85
	s_wait_xcnt 0x0
	v_dual_add_nc_u32 v85, 8, v85 :: v_dual_add_nc_u32 v86, 8, v86
	s_wait_loadcnt_dscnt 0x0
	v_pk_mul_f32 v[92:93], v[90:91], v[88:89] op_sel:[1,1] op_sel_hi:[0,1]
	s_delay_alu instid0(VALU_DEP_1) | instskip(SKIP_2) | instid1(VALU_DEP_3)
	v_pk_fma_f32 v[94:95], v[90:91], v[88:89], v[92:93] op_sel_hi:[1,0,1]
	v_add_nc_u32_e32 v87, 1, v87
	v_pk_fma_f32 v[88:89], v[90:91], v[88:89], v[92:93] neg_lo:[0,0,1] neg_hi:[0,0,1]
	v_mov_b32_e32 v89, v95
	s_delay_alu instid0(VALU_DEP_3) | instskip(NEXT) | instid1(VALU_DEP_2)
	v_cmp_lt_u32_e32 vcc_lo, 30, v87
	v_pk_add_f32 v[82:83], v[82:83], v[88:89]
	s_or_b32 s3, vcc_lo, s3
	s_delay_alu instid0(SALU_CYCLE_1)
	s_and_not1_b32 exec_lo, exec_lo, s3
	s_cbranch_execnz .LBB38_697
; %bb.698:
	s_or_b32 exec_lo, exec_lo, s3
.LBB38_699:
	s_delay_alu instid0(SALU_CYCLE_1) | instskip(SKIP_4) | instid1(VALU_DEP_1)
	s_or_b32 exec_lo, exec_lo, s2
	v_mov_b32_e32 v85, 0
	ds_load_b64 v[86:87], v85 offset:256
	s_wait_dscnt 0x0
	v_pk_mul_f32 v[88:89], v[82:83], v[86:87] op_sel:[1,1] op_sel_hi:[0,1]
	v_pk_fma_f32 v[90:91], v[82:83], v[86:87], v[88:89] op_sel_hi:[1,0,1]
	v_pk_fma_f32 v[82:83], v[82:83], v[86:87], v[88:89] neg_lo:[0,0,1] neg_hi:[0,0,1]
	s_delay_alu instid0(VALU_DEP_2)
	v_mov_b32_e32 v83, v91
	scratch_store_b64 off, v[82:83], off offset:256
.LBB38_700:
	s_wait_xcnt 0x0
	s_or_b32 exec_lo, exec_lo, s0
	scratch_load_b64 v[82:83], off, off offset:264
	s_mov_b32 s0, exec_lo
	s_wait_loadcnt 0x0
	ds_store_b64 v1, v[82:83]
	s_wait_storecnt_dscnt 0x0
	s_barrier_signal -1
	s_barrier_wait -1
	s_wait_xcnt 0x0
	v_cmpx_gt_u32_e32 33, v0
	s_cbranch_execz .LBB38_710
; %bb.701:
	v_cmp_ne_u32_e32 vcc_lo, 1, v84
	s_cbranch_vccnz .LBB38_703
; %bb.702:
	scratch_load_b64 v[82:83], v49, off
	ds_load_b64 v[86:87], v1
	s_wait_loadcnt_dscnt 0x0
	v_pk_mul_f32 v[88:89], v[86:87], v[82:83] op_sel:[1,1] op_sel_hi:[0,1]
	s_delay_alu instid0(VALU_DEP_1) | instskip(SKIP_1) | instid1(VALU_DEP_2)
	v_pk_fma_f32 v[90:91], v[86:87], v[82:83], v[88:89] op_sel_hi:[1,0,1]
	v_pk_fma_f32 v[82:83], v[86:87], v[82:83], v[88:89] neg_lo:[0,0,1] neg_hi:[0,0,1]
	v_mov_b32_e32 v83, v91
	s_cbranch_execz .LBB38_704
	s_branch .LBB38_705
.LBB38_703:
                                        ; implicit-def: $vgpr82_vgpr83
.LBB38_704:
	ds_load_b64 v[82:83], v1
.LBB38_705:
	s_mov_b32 s2, exec_lo
	v_cmpx_ne_u32_e32 32, v0
	s_cbranch_execz .LBB38_709
; %bb.706:
	v_add_nc_u32_e32 v85, 0x148, v48
	v_add3_u32 v86, 0, v48, 8
	v_mov_b32_e32 v87, v0
	s_mov_b32 s3, 0
.LBB38_707:                             ; =>This Inner Loop Header: Depth=1
	scratch_load_b64 v[88:89], v86, off
	ds_load_b64 v[90:91], v85
	s_wait_xcnt 0x0
	v_dual_add_nc_u32 v85, 8, v85 :: v_dual_add_nc_u32 v86, 8, v86
	s_wait_loadcnt_dscnt 0x0
	v_pk_mul_f32 v[92:93], v[90:91], v[88:89] op_sel:[1,1] op_sel_hi:[0,1]
	s_delay_alu instid0(VALU_DEP_1) | instskip(SKIP_2) | instid1(VALU_DEP_3)
	v_pk_fma_f32 v[94:95], v[90:91], v[88:89], v[92:93] op_sel_hi:[1,0,1]
	v_add_nc_u32_e32 v87, 1, v87
	v_pk_fma_f32 v[88:89], v[90:91], v[88:89], v[92:93] neg_lo:[0,0,1] neg_hi:[0,0,1]
	v_mov_b32_e32 v89, v95
	s_delay_alu instid0(VALU_DEP_3) | instskip(NEXT) | instid1(VALU_DEP_2)
	v_cmp_lt_u32_e32 vcc_lo, 31, v87
	v_pk_add_f32 v[82:83], v[82:83], v[88:89]
	s_or_b32 s3, vcc_lo, s3
	s_delay_alu instid0(SALU_CYCLE_1)
	s_and_not1_b32 exec_lo, exec_lo, s3
	s_cbranch_execnz .LBB38_707
; %bb.708:
	s_or_b32 exec_lo, exec_lo, s3
.LBB38_709:
	s_delay_alu instid0(SALU_CYCLE_1) | instskip(SKIP_4) | instid1(VALU_DEP_1)
	s_or_b32 exec_lo, exec_lo, s2
	v_mov_b32_e32 v85, 0
	ds_load_b64 v[86:87], v85 offset:264
	s_wait_dscnt 0x0
	v_pk_mul_f32 v[88:89], v[82:83], v[86:87] op_sel:[1,1] op_sel_hi:[0,1]
	v_pk_fma_f32 v[90:91], v[82:83], v[86:87], v[88:89] op_sel_hi:[1,0,1]
	v_pk_fma_f32 v[82:83], v[82:83], v[86:87], v[88:89] neg_lo:[0,0,1] neg_hi:[0,0,1]
	s_delay_alu instid0(VALU_DEP_2)
	v_mov_b32_e32 v83, v91
	scratch_store_b64 off, v[82:83], off offset:264
.LBB38_710:
	s_wait_xcnt 0x0
	s_or_b32 exec_lo, exec_lo, s0
	scratch_load_b64 v[82:83], off, off offset:272
	s_mov_b32 s0, exec_lo
	s_wait_loadcnt 0x0
	ds_store_b64 v1, v[82:83]
	s_wait_storecnt_dscnt 0x0
	s_barrier_signal -1
	s_barrier_wait -1
	s_wait_xcnt 0x0
	v_cmpx_gt_u32_e32 34, v0
	s_cbranch_execz .LBB38_720
; %bb.711:
	v_cmp_ne_u32_e32 vcc_lo, 1, v84
	s_cbranch_vccnz .LBB38_713
; %bb.712:
	scratch_load_b64 v[82:83], v49, off
	ds_load_b64 v[86:87], v1
	s_wait_loadcnt_dscnt 0x0
	v_pk_mul_f32 v[88:89], v[86:87], v[82:83] op_sel:[1,1] op_sel_hi:[0,1]
	s_delay_alu instid0(VALU_DEP_1) | instskip(SKIP_1) | instid1(VALU_DEP_2)
	v_pk_fma_f32 v[90:91], v[86:87], v[82:83], v[88:89] op_sel_hi:[1,0,1]
	v_pk_fma_f32 v[82:83], v[86:87], v[82:83], v[88:89] neg_lo:[0,0,1] neg_hi:[0,0,1]
	v_mov_b32_e32 v83, v91
	s_cbranch_execz .LBB38_714
	s_branch .LBB38_715
.LBB38_713:
                                        ; implicit-def: $vgpr82_vgpr83
.LBB38_714:
	ds_load_b64 v[82:83], v1
.LBB38_715:
	s_mov_b32 s2, exec_lo
	v_cmpx_ne_u32_e32 33, v0
	s_cbranch_execz .LBB38_719
; %bb.716:
	v_add_nc_u32_e32 v85, 0x148, v48
	v_add3_u32 v86, 0, v48, 8
	v_mov_b32_e32 v87, v0
	s_mov_b32 s3, 0
.LBB38_717:                             ; =>This Inner Loop Header: Depth=1
	scratch_load_b64 v[88:89], v86, off
	ds_load_b64 v[90:91], v85
	s_wait_xcnt 0x0
	v_dual_add_nc_u32 v85, 8, v85 :: v_dual_add_nc_u32 v86, 8, v86
	s_wait_loadcnt_dscnt 0x0
	v_pk_mul_f32 v[92:93], v[90:91], v[88:89] op_sel:[1,1] op_sel_hi:[0,1]
	s_delay_alu instid0(VALU_DEP_1) | instskip(SKIP_2) | instid1(VALU_DEP_3)
	v_pk_fma_f32 v[94:95], v[90:91], v[88:89], v[92:93] op_sel_hi:[1,0,1]
	v_add_nc_u32_e32 v87, 1, v87
	v_pk_fma_f32 v[88:89], v[90:91], v[88:89], v[92:93] neg_lo:[0,0,1] neg_hi:[0,0,1]
	v_mov_b32_e32 v89, v95
	s_delay_alu instid0(VALU_DEP_3) | instskip(NEXT) | instid1(VALU_DEP_2)
	v_cmp_lt_u32_e32 vcc_lo, 32, v87
	v_pk_add_f32 v[82:83], v[82:83], v[88:89]
	s_or_b32 s3, vcc_lo, s3
	s_delay_alu instid0(SALU_CYCLE_1)
	s_and_not1_b32 exec_lo, exec_lo, s3
	s_cbranch_execnz .LBB38_717
; %bb.718:
	s_or_b32 exec_lo, exec_lo, s3
.LBB38_719:
	s_delay_alu instid0(SALU_CYCLE_1) | instskip(SKIP_4) | instid1(VALU_DEP_1)
	s_or_b32 exec_lo, exec_lo, s2
	v_mov_b32_e32 v85, 0
	ds_load_b64 v[86:87], v85 offset:272
	s_wait_dscnt 0x0
	v_pk_mul_f32 v[88:89], v[82:83], v[86:87] op_sel:[1,1] op_sel_hi:[0,1]
	v_pk_fma_f32 v[90:91], v[82:83], v[86:87], v[88:89] op_sel_hi:[1,0,1]
	v_pk_fma_f32 v[82:83], v[82:83], v[86:87], v[88:89] neg_lo:[0,0,1] neg_hi:[0,0,1]
	s_delay_alu instid0(VALU_DEP_2)
	v_mov_b32_e32 v83, v91
	scratch_store_b64 off, v[82:83], off offset:272
.LBB38_720:
	s_wait_xcnt 0x0
	s_or_b32 exec_lo, exec_lo, s0
	scratch_load_b64 v[82:83], off, off offset:280
	s_mov_b32 s0, exec_lo
	s_wait_loadcnt 0x0
	ds_store_b64 v1, v[82:83]
	s_wait_storecnt_dscnt 0x0
	s_barrier_signal -1
	s_barrier_wait -1
	s_wait_xcnt 0x0
	v_cmpx_gt_u32_e32 35, v0
	s_cbranch_execz .LBB38_730
; %bb.721:
	v_cmp_ne_u32_e32 vcc_lo, 1, v84
	s_cbranch_vccnz .LBB38_723
; %bb.722:
	scratch_load_b64 v[82:83], v49, off
	ds_load_b64 v[86:87], v1
	s_wait_loadcnt_dscnt 0x0
	v_pk_mul_f32 v[88:89], v[86:87], v[82:83] op_sel:[1,1] op_sel_hi:[0,1]
	s_delay_alu instid0(VALU_DEP_1) | instskip(SKIP_1) | instid1(VALU_DEP_2)
	v_pk_fma_f32 v[90:91], v[86:87], v[82:83], v[88:89] op_sel_hi:[1,0,1]
	v_pk_fma_f32 v[82:83], v[86:87], v[82:83], v[88:89] neg_lo:[0,0,1] neg_hi:[0,0,1]
	v_mov_b32_e32 v83, v91
	s_cbranch_execz .LBB38_724
	s_branch .LBB38_725
.LBB38_723:
                                        ; implicit-def: $vgpr82_vgpr83
.LBB38_724:
	ds_load_b64 v[82:83], v1
.LBB38_725:
	s_mov_b32 s2, exec_lo
	v_cmpx_ne_u32_e32 34, v0
	s_cbranch_execz .LBB38_729
; %bb.726:
	v_add_nc_u32_e32 v85, 0x148, v48
	v_add3_u32 v86, 0, v48, 8
	v_mov_b32_e32 v87, v0
	s_mov_b32 s3, 0
.LBB38_727:                             ; =>This Inner Loop Header: Depth=1
	scratch_load_b64 v[88:89], v86, off
	ds_load_b64 v[90:91], v85
	s_wait_xcnt 0x0
	v_dual_add_nc_u32 v85, 8, v85 :: v_dual_add_nc_u32 v86, 8, v86
	s_wait_loadcnt_dscnt 0x0
	v_pk_mul_f32 v[92:93], v[90:91], v[88:89] op_sel:[1,1] op_sel_hi:[0,1]
	s_delay_alu instid0(VALU_DEP_1) | instskip(SKIP_2) | instid1(VALU_DEP_3)
	v_pk_fma_f32 v[94:95], v[90:91], v[88:89], v[92:93] op_sel_hi:[1,0,1]
	v_add_nc_u32_e32 v87, 1, v87
	v_pk_fma_f32 v[88:89], v[90:91], v[88:89], v[92:93] neg_lo:[0,0,1] neg_hi:[0,0,1]
	v_mov_b32_e32 v89, v95
	s_delay_alu instid0(VALU_DEP_3) | instskip(NEXT) | instid1(VALU_DEP_2)
	v_cmp_lt_u32_e32 vcc_lo, 33, v87
	v_pk_add_f32 v[82:83], v[82:83], v[88:89]
	s_or_b32 s3, vcc_lo, s3
	s_delay_alu instid0(SALU_CYCLE_1)
	s_and_not1_b32 exec_lo, exec_lo, s3
	s_cbranch_execnz .LBB38_727
; %bb.728:
	s_or_b32 exec_lo, exec_lo, s3
.LBB38_729:
	s_delay_alu instid0(SALU_CYCLE_1) | instskip(SKIP_4) | instid1(VALU_DEP_1)
	s_or_b32 exec_lo, exec_lo, s2
	v_mov_b32_e32 v85, 0
	ds_load_b64 v[86:87], v85 offset:280
	s_wait_dscnt 0x0
	v_pk_mul_f32 v[88:89], v[82:83], v[86:87] op_sel:[1,1] op_sel_hi:[0,1]
	v_pk_fma_f32 v[90:91], v[82:83], v[86:87], v[88:89] op_sel_hi:[1,0,1]
	v_pk_fma_f32 v[82:83], v[82:83], v[86:87], v[88:89] neg_lo:[0,0,1] neg_hi:[0,0,1]
	s_delay_alu instid0(VALU_DEP_2)
	v_mov_b32_e32 v83, v91
	scratch_store_b64 off, v[82:83], off offset:280
.LBB38_730:
	s_wait_xcnt 0x0
	s_or_b32 exec_lo, exec_lo, s0
	scratch_load_b64 v[82:83], off, off offset:288
	s_mov_b32 s0, exec_lo
	s_wait_loadcnt 0x0
	ds_store_b64 v1, v[82:83]
	s_wait_storecnt_dscnt 0x0
	s_barrier_signal -1
	s_barrier_wait -1
	s_wait_xcnt 0x0
	v_cmpx_gt_u32_e32 36, v0
	s_cbranch_execz .LBB38_740
; %bb.731:
	v_cmp_ne_u32_e32 vcc_lo, 1, v84
	s_cbranch_vccnz .LBB38_733
; %bb.732:
	scratch_load_b64 v[82:83], v49, off
	ds_load_b64 v[86:87], v1
	s_wait_loadcnt_dscnt 0x0
	v_pk_mul_f32 v[88:89], v[86:87], v[82:83] op_sel:[1,1] op_sel_hi:[0,1]
	s_delay_alu instid0(VALU_DEP_1) | instskip(SKIP_1) | instid1(VALU_DEP_2)
	v_pk_fma_f32 v[90:91], v[86:87], v[82:83], v[88:89] op_sel_hi:[1,0,1]
	v_pk_fma_f32 v[82:83], v[86:87], v[82:83], v[88:89] neg_lo:[0,0,1] neg_hi:[0,0,1]
	v_mov_b32_e32 v83, v91
	s_cbranch_execz .LBB38_734
	s_branch .LBB38_735
.LBB38_733:
                                        ; implicit-def: $vgpr82_vgpr83
.LBB38_734:
	ds_load_b64 v[82:83], v1
.LBB38_735:
	s_mov_b32 s2, exec_lo
	v_cmpx_ne_u32_e32 35, v0
	s_cbranch_execz .LBB38_739
; %bb.736:
	v_add_nc_u32_e32 v85, 0x148, v48
	v_add3_u32 v86, 0, v48, 8
	v_mov_b32_e32 v87, v0
	s_mov_b32 s3, 0
.LBB38_737:                             ; =>This Inner Loop Header: Depth=1
	scratch_load_b64 v[88:89], v86, off
	ds_load_b64 v[90:91], v85
	s_wait_xcnt 0x0
	v_dual_add_nc_u32 v85, 8, v85 :: v_dual_add_nc_u32 v86, 8, v86
	s_wait_loadcnt_dscnt 0x0
	v_pk_mul_f32 v[92:93], v[90:91], v[88:89] op_sel:[1,1] op_sel_hi:[0,1]
	s_delay_alu instid0(VALU_DEP_1) | instskip(SKIP_2) | instid1(VALU_DEP_3)
	v_pk_fma_f32 v[94:95], v[90:91], v[88:89], v[92:93] op_sel_hi:[1,0,1]
	v_add_nc_u32_e32 v87, 1, v87
	v_pk_fma_f32 v[88:89], v[90:91], v[88:89], v[92:93] neg_lo:[0,0,1] neg_hi:[0,0,1]
	v_mov_b32_e32 v89, v95
	s_delay_alu instid0(VALU_DEP_3) | instskip(NEXT) | instid1(VALU_DEP_2)
	v_cmp_lt_u32_e32 vcc_lo, 34, v87
	v_pk_add_f32 v[82:83], v[82:83], v[88:89]
	s_or_b32 s3, vcc_lo, s3
	s_delay_alu instid0(SALU_CYCLE_1)
	s_and_not1_b32 exec_lo, exec_lo, s3
	s_cbranch_execnz .LBB38_737
; %bb.738:
	s_or_b32 exec_lo, exec_lo, s3
.LBB38_739:
	s_delay_alu instid0(SALU_CYCLE_1) | instskip(SKIP_4) | instid1(VALU_DEP_1)
	s_or_b32 exec_lo, exec_lo, s2
	v_mov_b32_e32 v85, 0
	ds_load_b64 v[86:87], v85 offset:288
	s_wait_dscnt 0x0
	v_pk_mul_f32 v[88:89], v[82:83], v[86:87] op_sel:[1,1] op_sel_hi:[0,1]
	v_pk_fma_f32 v[90:91], v[82:83], v[86:87], v[88:89] op_sel_hi:[1,0,1]
	v_pk_fma_f32 v[82:83], v[82:83], v[86:87], v[88:89] neg_lo:[0,0,1] neg_hi:[0,0,1]
	s_delay_alu instid0(VALU_DEP_2)
	v_mov_b32_e32 v83, v91
	scratch_store_b64 off, v[82:83], off offset:288
.LBB38_740:
	s_wait_xcnt 0x0
	s_or_b32 exec_lo, exec_lo, s0
	scratch_load_b64 v[82:83], off, off offset:296
	v_cmp_gt_u32_e64 s0, 37, v0
	s_wait_loadcnt 0x0
	ds_store_b64 v1, v[82:83]
	s_wait_storecnt_dscnt 0x0
	s_barrier_signal -1
	s_barrier_wait -1
	s_wait_xcnt 0x0
	s_and_saveexec_b32 s2, s0
	s_cbranch_execz .LBB38_750
; %bb.741:
	v_cmp_ne_u32_e32 vcc_lo, 1, v84
	s_cbranch_vccnz .LBB38_743
; %bb.742:
	scratch_load_b64 v[82:83], v49, off
	ds_load_b64 v[86:87], v1
	s_wait_loadcnt_dscnt 0x0
	v_pk_mul_f32 v[88:89], v[86:87], v[82:83] op_sel:[1,1] op_sel_hi:[0,1]
	s_delay_alu instid0(VALU_DEP_1) | instskip(SKIP_1) | instid1(VALU_DEP_2)
	v_pk_fma_f32 v[90:91], v[86:87], v[82:83], v[88:89] op_sel_hi:[1,0,1]
	v_pk_fma_f32 v[82:83], v[86:87], v[82:83], v[88:89] neg_lo:[0,0,1] neg_hi:[0,0,1]
	v_mov_b32_e32 v83, v91
	s_cbranch_execz .LBB38_744
	s_branch .LBB38_745
.LBB38_743:
                                        ; implicit-def: $vgpr82_vgpr83
.LBB38_744:
	ds_load_b64 v[82:83], v1
.LBB38_745:
	s_mov_b32 s3, exec_lo
	v_cmpx_ne_u32_e32 36, v0
	s_cbranch_execz .LBB38_749
; %bb.746:
	v_add_nc_u32_e32 v85, 0x148, v48
	v_add3_u32 v86, 0, v48, 8
	v_mov_b32_e32 v87, v0
	s_mov_b32 s4, 0
.LBB38_747:                             ; =>This Inner Loop Header: Depth=1
	scratch_load_b64 v[88:89], v86, off
	ds_load_b64 v[90:91], v85
	s_wait_xcnt 0x0
	v_dual_add_nc_u32 v85, 8, v85 :: v_dual_add_nc_u32 v86, 8, v86
	s_wait_loadcnt_dscnt 0x0
	v_pk_mul_f32 v[92:93], v[90:91], v[88:89] op_sel:[1,1] op_sel_hi:[0,1]
	s_delay_alu instid0(VALU_DEP_1) | instskip(SKIP_2) | instid1(VALU_DEP_3)
	v_pk_fma_f32 v[94:95], v[90:91], v[88:89], v[92:93] op_sel_hi:[1,0,1]
	v_add_nc_u32_e32 v87, 1, v87
	v_pk_fma_f32 v[88:89], v[90:91], v[88:89], v[92:93] neg_lo:[0,0,1] neg_hi:[0,0,1]
	v_mov_b32_e32 v89, v95
	s_delay_alu instid0(VALU_DEP_3) | instskip(NEXT) | instid1(VALU_DEP_2)
	v_cmp_lt_u32_e32 vcc_lo, 35, v87
	v_pk_add_f32 v[82:83], v[82:83], v[88:89]
	s_or_b32 s4, vcc_lo, s4
	s_delay_alu instid0(SALU_CYCLE_1)
	s_and_not1_b32 exec_lo, exec_lo, s4
	s_cbranch_execnz .LBB38_747
; %bb.748:
	s_or_b32 exec_lo, exec_lo, s4
.LBB38_749:
	s_delay_alu instid0(SALU_CYCLE_1) | instskip(SKIP_4) | instid1(VALU_DEP_1)
	s_or_b32 exec_lo, exec_lo, s3
	v_mov_b32_e32 v85, 0
	ds_load_b64 v[86:87], v85 offset:296
	s_wait_dscnt 0x0
	v_pk_mul_f32 v[88:89], v[82:83], v[86:87] op_sel:[1,1] op_sel_hi:[0,1]
	v_pk_fma_f32 v[90:91], v[82:83], v[86:87], v[88:89] op_sel_hi:[1,0,1]
	v_pk_fma_f32 v[82:83], v[82:83], v[86:87], v[88:89] neg_lo:[0,0,1] neg_hi:[0,0,1]
	s_delay_alu instid0(VALU_DEP_2)
	v_mov_b32_e32 v83, v91
	scratch_store_b64 off, v[82:83], off offset:296
.LBB38_750:
	s_wait_xcnt 0x0
	s_or_b32 exec_lo, exec_lo, s2
	scratch_load_b64 v[82:83], off, off offset:304
	s_mov_b32 s2, exec_lo
                                        ; implicit-def: $vgpr102
                                        ; implicit-def: $sgpr4
	s_wait_loadcnt 0x0
	ds_store_b64 v1, v[82:83]
	s_wait_storecnt_dscnt 0x0
	s_barrier_signal -1
	s_barrier_wait -1
	s_wait_xcnt 0x0
	v_cmpx_ne_u32_e32 38, v0
	s_cbranch_execz .LBB38_760
; %bb.751:
	v_cmp_ne_u32_e32 vcc_lo, 1, v84
	s_cbranch_vccnz .LBB38_753
; %bb.752:
	scratch_load_b64 v[84:85], v49, off
	ds_load_b64 v[86:87], v1
	s_wait_loadcnt_dscnt 0x0
	v_dual_mul_f32 v49, v87, v85 :: v_dual_mul_f32 v83, v86, v85
	s_delay_alu instid0(VALU_DEP_1)
	v_dual_fma_f32 v82, v86, v84, -v49 :: v_dual_fmac_f32 v83, v87, v84
	s_cbranch_execz .LBB38_754
	s_branch .LBB38_755
.LBB38_753:
                                        ; implicit-def: $vgpr83
.LBB38_754:
	ds_load_b64 v[82:83], v1
.LBB38_755:
	s_and_saveexec_b32 s3, s0
	s_cbranch_execz .LBB38_759
; %bb.756:
	v_add_nc_u32_e32 v1, 0x148, v48
	v_add3_u32 v48, 0, v48, 8
	s_mov_b32 s0, 0
.LBB38_757:                             ; =>This Inner Loop Header: Depth=1
	scratch_load_b64 v[84:85], v48, off
	ds_load_b64 v[86:87], v1
	v_dual_add_nc_u32 v0, 1, v0 :: v_dual_add_nc_u32 v1, 8, v1
	s_wait_xcnt 0x0
	v_add_nc_u32_e32 v48, 8, v48
	s_delay_alu instid0(VALU_DEP_2) | instskip(SKIP_3) | instid1(VALU_DEP_1)
	v_cmp_lt_u32_e32 vcc_lo, 36, v0
	s_or_b32 s0, vcc_lo, s0
	s_wait_loadcnt_dscnt 0x0
	v_dual_mul_f32 v49, v87, v85 :: v_dual_mul_f32 v85, v86, v85
	v_fmac_f32_e32 v85, v87, v84
	s_delay_alu instid0(VALU_DEP_1) | instskip(NEXT) | instid1(VALU_DEP_1)
	v_dual_fma_f32 v49, v86, v84, -v49 :: v_dual_add_f32 v83, v83, v85
	v_add_f32_e32 v82, v82, v49
	s_and_not1_b32 exec_lo, exec_lo, s0
	s_cbranch_execnz .LBB38_757
; %bb.758:
	s_or_b32 exec_lo, exec_lo, s0
.LBB38_759:
	s_delay_alu instid0(SALU_CYCLE_1)
	s_or_b32 exec_lo, exec_lo, s3
	v_mov_b32_e32 v0, 0
	s_movk_i32 s4, 0x134
	s_or_b32 s1, s1, exec_lo
	ds_load_b64 v[0:1], v0 offset:304
	s_wait_dscnt 0x0
	v_dual_mul_f32 v48, v83, v1 :: v_dual_mul_f32 v102, v82, v1
	s_delay_alu instid0(VALU_DEP_1)
	v_dual_fma_f32 v1, v82, v0, -v48 :: v_dual_fmac_f32 v102, v83, v0
	scratch_store_b32 off, v1, off offset:304
.LBB38_760:
	s_wait_xcnt 0x0
	s_or_b32 exec_lo, exec_lo, s2
.LBB38_761:
	v_lshl_add_u64 v[100:101], v[6:7], 3, s[6:7]
	v_lshl_add_u64 v[98:99], v[8:9], 3, s[6:7]
	;; [unrolled: 1-line block ×37, first 2 shown]
	s_and_saveexec_b32 s0, s1
	s_cbranch_execz .LBB38_763
; %bb.762:
	scratch_store_b32 off, v102, s4
.LBB38_763:
	s_wait_xcnt 0x0
	s_or_b32 exec_lo, exec_lo, s0
	s_clause 0x7
	scratch_load_b128 v[58:61], off, off
	scratch_load_b128 v[62:65], off, off offset:16
	scratch_load_b128 v[66:69], off, off offset:32
	;; [unrolled: 1-line block ×7, first 2 shown]
	s_wait_loadcnt 0x7
	s_clause 0x1
	global_store_b64 v[2:3], v[58:59], off
	global_store_b64 v[4:5], v[60:61], off
	s_wait_loadcnt 0x6
	s_clause 0x1
	global_store_b64 v[100:101], v[62:63], off
	global_store_b64 v[98:99], v[64:65], off
	;; [unrolled: 4-line block ×6, first 2 shown]
	s_clause 0xb
	scratch_load_b128 v[2:5], off, off offset:128
	scratch_load_b128 v[58:61], off, off offset:144
	;; [unrolled: 1-line block ×11, first 2 shown]
	scratch_load_b64 v[82:83], off, off offset:304
	s_wait_loadcnt 0xd
	s_clause 0x1
	global_store_b64 v[0:1], v[102:103], off
	global_store_b64 v[6:7], v[104:105], off
	s_wait_loadcnt 0xc
	s_clause 0x1
	global_store_b64 v[8:9], v[106:107], off
	global_store_b64 v[10:11], v[108:109], off
	;; [unrolled: 4-line block ×13, first 2 shown]
	s_wait_loadcnt 0x0
	global_store_b64 v[56:57], v[82:83], off
.LBB38_764:
	s_sendmsg sendmsg(MSG_DEALLOC_VGPRS)
	s_endpgm
	.section	.rodata,"a",@progbits
	.p2align	6, 0x0
	.amdhsa_kernel _ZN9rocsolver6v33100L18trti2_kernel_smallILi39E19rocblas_complex_numIfEPS3_EEv13rocblas_fill_17rocblas_diagonal_T1_iil
		.amdhsa_group_segment_fixed_size 632
		.amdhsa_private_segment_fixed_size 320
		.amdhsa_kernarg_size 32
		.amdhsa_user_sgpr_count 2
		.amdhsa_user_sgpr_dispatch_ptr 0
		.amdhsa_user_sgpr_queue_ptr 0
		.amdhsa_user_sgpr_kernarg_segment_ptr 1
		.amdhsa_user_sgpr_dispatch_id 0
		.amdhsa_user_sgpr_kernarg_preload_length 0
		.amdhsa_user_sgpr_kernarg_preload_offset 0
		.amdhsa_user_sgpr_private_segment_size 0
		.amdhsa_wavefront_size32 1
		.amdhsa_uses_dynamic_stack 0
		.amdhsa_enable_private_segment 1
		.amdhsa_system_sgpr_workgroup_id_x 1
		.amdhsa_system_sgpr_workgroup_id_y 0
		.amdhsa_system_sgpr_workgroup_id_z 0
		.amdhsa_system_sgpr_workgroup_info 0
		.amdhsa_system_vgpr_workitem_id 0
		.amdhsa_next_free_vgpr 112
		.amdhsa_next_free_sgpr 26
		.amdhsa_named_barrier_count 0
		.amdhsa_reserve_vcc 1
		.amdhsa_float_round_mode_32 0
		.amdhsa_float_round_mode_16_64 0
		.amdhsa_float_denorm_mode_32 3
		.amdhsa_float_denorm_mode_16_64 3
		.amdhsa_fp16_overflow 0
		.amdhsa_memory_ordered 1
		.amdhsa_forward_progress 1
		.amdhsa_inst_pref_size 231
		.amdhsa_round_robin_scheduling 0
		.amdhsa_exception_fp_ieee_invalid_op 0
		.amdhsa_exception_fp_denorm_src 0
		.amdhsa_exception_fp_ieee_div_zero 0
		.amdhsa_exception_fp_ieee_overflow 0
		.amdhsa_exception_fp_ieee_underflow 0
		.amdhsa_exception_fp_ieee_inexact 0
		.amdhsa_exception_int_div_zero 0
	.end_amdhsa_kernel
	.section	.text._ZN9rocsolver6v33100L18trti2_kernel_smallILi39E19rocblas_complex_numIfEPS3_EEv13rocblas_fill_17rocblas_diagonal_T1_iil,"axG",@progbits,_ZN9rocsolver6v33100L18trti2_kernel_smallILi39E19rocblas_complex_numIfEPS3_EEv13rocblas_fill_17rocblas_diagonal_T1_iil,comdat
.Lfunc_end38:
	.size	_ZN9rocsolver6v33100L18trti2_kernel_smallILi39E19rocblas_complex_numIfEPS3_EEv13rocblas_fill_17rocblas_diagonal_T1_iil, .Lfunc_end38-_ZN9rocsolver6v33100L18trti2_kernel_smallILi39E19rocblas_complex_numIfEPS3_EEv13rocblas_fill_17rocblas_diagonal_T1_iil
                                        ; -- End function
	.set _ZN9rocsolver6v33100L18trti2_kernel_smallILi39E19rocblas_complex_numIfEPS3_EEv13rocblas_fill_17rocblas_diagonal_T1_iil.num_vgpr, 112
	.set _ZN9rocsolver6v33100L18trti2_kernel_smallILi39E19rocblas_complex_numIfEPS3_EEv13rocblas_fill_17rocblas_diagonal_T1_iil.num_agpr, 0
	.set _ZN9rocsolver6v33100L18trti2_kernel_smallILi39E19rocblas_complex_numIfEPS3_EEv13rocblas_fill_17rocblas_diagonal_T1_iil.numbered_sgpr, 26
	.set _ZN9rocsolver6v33100L18trti2_kernel_smallILi39E19rocblas_complex_numIfEPS3_EEv13rocblas_fill_17rocblas_diagonal_T1_iil.num_named_barrier, 0
	.set _ZN9rocsolver6v33100L18trti2_kernel_smallILi39E19rocblas_complex_numIfEPS3_EEv13rocblas_fill_17rocblas_diagonal_T1_iil.private_seg_size, 320
	.set _ZN9rocsolver6v33100L18trti2_kernel_smallILi39E19rocblas_complex_numIfEPS3_EEv13rocblas_fill_17rocblas_diagonal_T1_iil.uses_vcc, 1
	.set _ZN9rocsolver6v33100L18trti2_kernel_smallILi39E19rocblas_complex_numIfEPS3_EEv13rocblas_fill_17rocblas_diagonal_T1_iil.uses_flat_scratch, 1
	.set _ZN9rocsolver6v33100L18trti2_kernel_smallILi39E19rocblas_complex_numIfEPS3_EEv13rocblas_fill_17rocblas_diagonal_T1_iil.has_dyn_sized_stack, 0
	.set _ZN9rocsolver6v33100L18trti2_kernel_smallILi39E19rocblas_complex_numIfEPS3_EEv13rocblas_fill_17rocblas_diagonal_T1_iil.has_recursion, 0
	.set _ZN9rocsolver6v33100L18trti2_kernel_smallILi39E19rocblas_complex_numIfEPS3_EEv13rocblas_fill_17rocblas_diagonal_T1_iil.has_indirect_call, 0
	.section	.AMDGPU.csdata,"",@progbits
; Kernel info:
; codeLenInByte = 29496
; TotalNumSgprs: 28
; NumVgprs: 112
; ScratchSize: 320
; MemoryBound: 0
; FloatMode: 240
; IeeeMode: 1
; LDSByteSize: 632 bytes/workgroup (compile time only)
; SGPRBlocks: 0
; VGPRBlocks: 6
; NumSGPRsForWavesPerEU: 28
; NumVGPRsForWavesPerEU: 112
; NamedBarCnt: 0
; Occupancy: 9
; WaveLimiterHint : 0
; COMPUTE_PGM_RSRC2:SCRATCH_EN: 1
; COMPUTE_PGM_RSRC2:USER_SGPR: 2
; COMPUTE_PGM_RSRC2:TRAP_HANDLER: 0
; COMPUTE_PGM_RSRC2:TGID_X_EN: 1
; COMPUTE_PGM_RSRC2:TGID_Y_EN: 0
; COMPUTE_PGM_RSRC2:TGID_Z_EN: 0
; COMPUTE_PGM_RSRC2:TIDIG_COMP_CNT: 0
	.section	.text._ZN9rocsolver6v33100L18trti2_kernel_smallILi40E19rocblas_complex_numIfEPS3_EEv13rocblas_fill_17rocblas_diagonal_T1_iil,"axG",@progbits,_ZN9rocsolver6v33100L18trti2_kernel_smallILi40E19rocblas_complex_numIfEPS3_EEv13rocblas_fill_17rocblas_diagonal_T1_iil,comdat
	.globl	_ZN9rocsolver6v33100L18trti2_kernel_smallILi40E19rocblas_complex_numIfEPS3_EEv13rocblas_fill_17rocblas_diagonal_T1_iil ; -- Begin function _ZN9rocsolver6v33100L18trti2_kernel_smallILi40E19rocblas_complex_numIfEPS3_EEv13rocblas_fill_17rocblas_diagonal_T1_iil
	.p2align	8
	.type	_ZN9rocsolver6v33100L18trti2_kernel_smallILi40E19rocblas_complex_numIfEPS3_EEv13rocblas_fill_17rocblas_diagonal_T1_iil,@function
_ZN9rocsolver6v33100L18trti2_kernel_smallILi40E19rocblas_complex_numIfEPS3_EEv13rocblas_fill_17rocblas_diagonal_T1_iil: ; @_ZN9rocsolver6v33100L18trti2_kernel_smallILi40E19rocblas_complex_numIfEPS3_EEv13rocblas_fill_17rocblas_diagonal_T1_iil
; %bb.0:
	s_mov_b32 s2, exec_lo
	v_cmpx_gt_u32_e32 40, v0
	s_cbranch_execz .LBB39_784
; %bb.1:
	s_load_b256 s[4:11], s[0:1], 0x0
	s_wait_xcnt 0x0
	s_bfe_u32 s0, ttmp6, 0x4000c
	s_and_b32 s1, ttmp6, 15
	s_add_co_i32 s0, s0, 1
	s_getreg_b32 s2, hwreg(HW_REG_IB_STS2, 6, 4)
	s_mul_i32 s0, ttmp9, s0
	v_dual_mov_b32 v37, 0 :: v_dual_lshlrev_b32 v36, 3, v0
	s_add_co_i32 s0, s1, s0
	s_wait_kmcnt 0x0
	v_add3_u32 v6, s9, s9, v0
	s_ashr_i32 s1, s8, 31
	s_cmp_eq_u32 s2, 0
	s_cselect_b32 s2, ttmp9, s0
	s_delay_alu instid0(VALU_DEP_1)
	v_add_nc_u32_e32 v8, s9, v6
	s_ashr_i32 s3, s2, 31
	s_mov_b32 s0, s8
	s_mul_u64 s[2:3], s[10:11], s[2:3]
	s_lshl_b64 s[0:1], s[0:1], 3
	v_add_nc_u32_e32 v10, s9, v8
	s_lshl_b64 s[2:3], s[2:3], 3
	s_delay_alu instid0(SALU_CYCLE_1) | instskip(NEXT) | instid1(SALU_CYCLE_1)
	s_add_nc_u64 s[2:3], s[6:7], s[2:3]
	s_add_nc_u64 s[6:7], s[2:3], s[0:1]
	s_delay_alu instid0(VALU_DEP_1)
	v_add_nc_u32_e32 v12, s9, v10
	v_add_nc_u64_e32 v[2:3], s[6:7], v[36:37]
	s_mov_b32 s0, s9
	s_ashr_i32 s1, s9, 31
	s_cmp_lg_u32 s5, 0x84
	v_add_nc_u32_e32 v14, s9, v12
	s_cselect_b32 s3, -1, 0
	s_delay_alu instid0(VALU_DEP_2) | instskip(SKIP_1) | instid1(VALU_DEP_2)
	v_lshl_add_u64 v[4:5], s[0:1], 3, v[2:3]
	s_mov_b32 s0, -1
	v_add_nc_u32_e32 v16, s9, v14
	s_and_b32 vcc_lo, exec_lo, s3
	s_delay_alu instid0(VALU_DEP_1)
	v_add_nc_u32_e32 v18, s9, v16
	s_clause 0x7
	global_load_b64 v[60:61], v10, s[6:7] scale_offset
	global_load_b64 v[62:63], v12, s[6:7] scale_offset
	;; [unrolled: 1-line block ×3, first 2 shown]
	global_load_b64 v[66:67], v[4:5], off
	global_load_b64 v[68:69], v6, s[6:7] scale_offset
	global_load_b64 v[70:71], v8, s[6:7] scale_offset
	;; [unrolled: 1-line block ×4, first 2 shown]
	v_add_nc_u32_e32 v20, s9, v18
	s_delay_alu instid0(VALU_DEP_1) | instskip(NEXT) | instid1(VALU_DEP_1)
	v_add_nc_u32_e32 v22, s9, v20
	v_add_nc_u32_e32 v24, s9, v22
	s_delay_alu instid0(VALU_DEP_1) | instskip(SKIP_4) | instid1(VALU_DEP_1)
	v_add_nc_u32_e32 v26, s9, v24
	s_clause 0x1
	global_load_b64 v[76:77], v18, s[6:7] scale_offset
	global_load_b64 v[78:79], v20, s[6:7] scale_offset
	v_add_nc_u32_e32 v28, s9, v26
	v_add_nc_u32_e32 v30, s9, v28
	s_clause 0x3
	global_load_b64 v[80:81], v22, s[6:7] scale_offset
	global_load_b64 v[82:83], v24, s[6:7] scale_offset
	;; [unrolled: 1-line block ×4, first 2 shown]
	v_add_nc_u32_e32 v32, s9, v30
	s_delay_alu instid0(VALU_DEP_1) | instskip(NEXT) | instid1(VALU_DEP_1)
	v_add_nc_u32_e32 v34, s9, v32
	v_add_nc_u32_e32 v38, s9, v34
	s_delay_alu instid0(VALU_DEP_1) | instskip(NEXT) | instid1(VALU_DEP_1)
	v_add_nc_u32_e32 v40, s9, v38
	v_add_nc_u32_e32 v42, s9, v40
	s_clause 0x1
	global_load_b64 v[88:89], v30, s[6:7] scale_offset
	global_load_b64 v[90:91], v32, s[6:7] scale_offset
	v_add_nc_u32_e32 v44, s9, v42
	s_delay_alu instid0(VALU_DEP_1)
	v_add_nc_u32_e32 v46, s9, v44
	s_clause 0x3
	global_load_b64 v[92:93], v34, s[6:7] scale_offset
	global_load_b64 v[94:95], v38, s[6:7] scale_offset
	;; [unrolled: 1-line block ×4, first 2 shown]
	v_add_nc_u32_e32 v48, s9, v46
	s_delay_alu instid0(VALU_DEP_1) | instskip(NEXT) | instid1(VALU_DEP_1)
	v_add_nc_u32_e32 v50, s9, v48
	v_add_nc_u32_e32 v52, s9, v50
	s_delay_alu instid0(VALU_DEP_1)
	v_add_nc_u32_e32 v54, s9, v52
	s_clause 0x3
	global_load_b64 v[100:101], v44, s[6:7] scale_offset
	global_load_b64 v[102:103], v46, s[6:7] scale_offset
	;; [unrolled: 1-line block ×4, first 2 shown]
	s_wait_loadcnt 0x16
	scratch_store_b128 off, v[60:63], off offset:32
	s_wait_loadcnt 0x14
	scratch_store_b128 off, v[64:67], off
	v_add_nc_u32_e32 v56, s9, v54
	s_delay_alu instid0(VALU_DEP_1) | instskip(SKIP_1) | instid1(VALU_DEP_1)
	v_add_nc_u32_e32 v58, s9, v56
	s_wait_xcnt 0x1
	v_add_nc_u32_e32 v60, s9, v58
	s_delay_alu instid0(VALU_DEP_1)
	v_add_nc_u32_e32 v62, s9, v60
	s_clause 0x3
	global_load_b64 v[108:109], v52, s[6:7] scale_offset
	global_load_b64 v[110:111], v54, s[6:7] scale_offset
	;; [unrolled: 1-line block ×4, first 2 shown]
	s_wait_loadcnt 0x16
	scratch_store_b128 off, v[68:71], off offset:16
	s_wait_loadcnt 0x14
	scratch_store_b128 off, v[72:75], off offset:48
	;; [unrolled: 2-line block ×3, first 2 shown]
	s_wait_xcnt 0x7
	v_add_nc_u32_e32 v64, s9, v62
	s_delay_alu instid0(VALU_DEP_1)
	v_add_nc_u32_e32 v66, s9, v64
	s_wait_loadcnt 0x10
	scratch_store_b128 off, v[80:83], off offset:80
	s_wait_xcnt 0x3
	v_add_nc_u32_e32 v68, s9, v66
	s_wait_loadcnt 0xe
	scratch_store_b128 off, v[84:87], off offset:96
	s_wait_loadcnt 0xc
	scratch_store_b128 off, v[88:91], off offset:112
	;; [unrolled: 2-line block ×3, first 2 shown]
	v_add_nc_u32_e32 v70, s9, v68
	s_clause 0x3
	global_load_b64 v[84:85], v60, s[6:7] scale_offset
	global_load_b64 v[86:87], v62, s[6:7] scale_offset
	;; [unrolled: 1-line block ×4, first 2 shown]
	s_wait_loadcnt 0xc
	scratch_store_b128 off, v[96:99], off offset:144
	s_wait_loadcnt 0xa
	scratch_store_b128 off, v[100:103], off offset:160
	;; [unrolled: 2-line block ×3, first 2 shown]
	v_add_nc_u32_e32 v72, s9, v70
	s_delay_alu instid0(VALU_DEP_1) | instskip(NEXT) | instid1(VALU_DEP_1)
	v_add_nc_u32_e32 v74, s9, v72
	v_add_nc_u32_e32 v76, s9, v74
	s_delay_alu instid0(VALU_DEP_1)
	v_add_nc_u32_e32 v78, s9, v76
	s_clause 0x3
	global_load_b64 v[92:93], v68, s[6:7] scale_offset
	global_load_b64 v[94:95], v70, s[6:7] scale_offset
	;; [unrolled: 1-line block ×4, first 2 shown]
	s_wait_loadcnt 0xa
	scratch_store_b128 off, v[108:111], off offset:192
	s_wait_loadcnt 0x8
	scratch_store_b128 off, v[112:115], off offset:208
	v_add_nc_u32_e32 v80, s9, v78
	s_delay_alu instid0(VALU_DEP_1)
	v_add_nc_u32_e32 v82, s9, v80
	s_clause 0x3
	global_load_b64 v[100:101], v76, s[6:7] scale_offset
	global_load_b64 v[102:103], v78, s[6:7] scale_offset
	;; [unrolled: 1-line block ×4, first 2 shown]
	s_wait_loadcnt 0xa
	scratch_store_b128 off, v[84:87], off offset:224
	s_wait_loadcnt 0x8
	scratch_store_b128 off, v[88:91], off offset:240
	;; [unrolled: 2-line block ×6, first 2 shown]
	s_cbranch_vccz .LBB39_7
; %bb.2:
	scratch_load_b64 v[84:85], v0, off scale_offset
                                        ; implicit-def: $vgpr89
                                        ; implicit-def: $vgpr86
	s_wait_loadcnt 0x0
	v_cmp_ngt_f32_e64 s0, |v84|, |v85|
	s_wait_xcnt 0x0
	s_and_saveexec_b32 s1, s0
	s_delay_alu instid0(SALU_CYCLE_1)
	s_xor_b32 s0, exec_lo, s1
	s_cbranch_execz .LBB39_4
; %bb.3:
	v_div_scale_f32 v1, null, v85, v85, v84
	v_div_scale_f32 v11, vcc_lo, v84, v85, v84
	s_delay_alu instid0(VALU_DEP_2) | instskip(SKIP_1) | instid1(TRANS32_DEP_1)
	v_rcp_f32_e32 v7, v1
	v_nop
	v_fma_f32 v9, -v1, v7, 1.0
	s_delay_alu instid0(VALU_DEP_1) | instskip(NEXT) | instid1(VALU_DEP_1)
	v_fmac_f32_e32 v7, v9, v7
	v_mul_f32_e32 v9, v11, v7
	s_delay_alu instid0(VALU_DEP_1) | instskip(NEXT) | instid1(VALU_DEP_1)
	v_fma_f32 v13, -v1, v9, v11
	v_fmac_f32_e32 v9, v13, v7
	s_delay_alu instid0(VALU_DEP_1) | instskip(NEXT) | instid1(VALU_DEP_1)
	v_fma_f32 v1, -v1, v9, v11
	v_div_fmas_f32 v1, v1, v7, v9
	s_delay_alu instid0(VALU_DEP_1) | instskip(NEXT) | instid1(VALU_DEP_1)
	v_div_fixup_f32 v1, v1, v85, v84
	v_fmac_f32_e32 v85, v84, v1
	s_delay_alu instid0(VALU_DEP_1) | instskip(NEXT) | instid1(VALU_DEP_1)
	v_div_scale_f32 v7, null, v85, v85, -1.0
	v_rcp_f32_e32 v9, v7
	v_nop
	s_delay_alu instid0(TRANS32_DEP_1) | instskip(NEXT) | instid1(VALU_DEP_1)
	v_fma_f32 v11, -v7, v9, 1.0
	v_fmac_f32_e32 v9, v11, v9
	v_div_scale_f32 v11, vcc_lo, -1.0, v85, -1.0
	s_delay_alu instid0(VALU_DEP_1) | instskip(NEXT) | instid1(VALU_DEP_1)
	v_mul_f32_e32 v13, v11, v9
	v_fma_f32 v15, -v7, v13, v11
	s_delay_alu instid0(VALU_DEP_1) | instskip(NEXT) | instid1(VALU_DEP_1)
	v_fmac_f32_e32 v13, v15, v9
	v_fma_f32 v7, -v7, v13, v11
	s_delay_alu instid0(VALU_DEP_1) | instskip(NEXT) | instid1(VALU_DEP_1)
	v_div_fmas_f32 v7, v7, v9, v13
	v_div_fixup_f32 v89, v7, v85, -1.0
                                        ; implicit-def: $vgpr84_vgpr85
	s_delay_alu instid0(VALU_DEP_1) | instskip(NEXT) | instid1(VALU_DEP_1)
	v_mul_f32_e32 v86, v1, v89
	v_xor_b32_e32 v88, 0x80000000, v86
.LBB39_4:
	s_or_saveexec_b32 s0, s0
	v_lshl_add_u32 v1, v0, 3, 0
	s_xor_b32 exec_lo, exec_lo, s0
	s_cbranch_execz .LBB39_6
; %bb.5:
	v_div_scale_f32 v7, null, v84, v84, v85
	v_div_scale_f32 v13, vcc_lo, v85, v84, v85
	s_delay_alu instid0(VALU_DEP_2) | instskip(SKIP_1) | instid1(TRANS32_DEP_1)
	v_rcp_f32_e32 v9, v7
	v_nop
	v_fma_f32 v11, -v7, v9, 1.0
	s_delay_alu instid0(VALU_DEP_1) | instskip(NEXT) | instid1(VALU_DEP_1)
	v_fmac_f32_e32 v9, v11, v9
	v_mul_f32_e32 v11, v13, v9
	s_delay_alu instid0(VALU_DEP_1) | instskip(NEXT) | instid1(VALU_DEP_1)
	v_fma_f32 v15, -v7, v11, v13
	v_fmac_f32_e32 v11, v15, v9
	s_delay_alu instid0(VALU_DEP_1) | instskip(NEXT) | instid1(VALU_DEP_1)
	v_fma_f32 v7, -v7, v11, v13
	v_div_fmas_f32 v7, v7, v9, v11
	s_delay_alu instid0(VALU_DEP_1) | instskip(NEXT) | instid1(VALU_DEP_1)
	v_div_fixup_f32 v7, v7, v84, v85
	v_fmac_f32_e32 v84, v85, v7
	s_delay_alu instid0(VALU_DEP_1) | instskip(SKIP_1) | instid1(VALU_DEP_2)
	v_div_scale_f32 v9, null, v84, v84, 1.0
	v_div_scale_f32 v15, vcc_lo, 1.0, v84, 1.0
	v_rcp_f32_e32 v11, v9
	v_nop
	s_delay_alu instid0(TRANS32_DEP_1) | instskip(NEXT) | instid1(VALU_DEP_1)
	v_fma_f32 v13, -v9, v11, 1.0
	v_fmac_f32_e32 v11, v13, v11
	s_delay_alu instid0(VALU_DEP_1) | instskip(NEXT) | instid1(VALU_DEP_1)
	v_mul_f32_e32 v13, v15, v11
	v_fma_f32 v17, -v9, v13, v15
	s_delay_alu instid0(VALU_DEP_1) | instskip(NEXT) | instid1(VALU_DEP_1)
	v_fmac_f32_e32 v13, v17, v11
	v_fma_f32 v9, -v9, v13, v15
	s_delay_alu instid0(VALU_DEP_1) | instskip(NEXT) | instid1(VALU_DEP_1)
	v_div_fmas_f32 v9, v9, v11, v13
	v_div_fixup_f32 v88, v9, v84, 1.0
	s_delay_alu instid0(VALU_DEP_1)
	v_xor_b32_e32 v86, 0x80000000, v88
	v_mul_f32_e64 v89, v7, -v88
.LBB39_6:
	s_or_b32 exec_lo, exec_lo, s0
	s_delay_alu instid0(VALU_DEP_1)
	v_xor_b32_e32 v87, 0x80000000, v89
	s_mov_b32 s0, 0
	scratch_store_b64 v1, v[88:89], off
	ds_store_b64 v36, v[86:87]
.LBB39_7:
	s_and_b32 vcc_lo, exec_lo, s0
	s_cbranch_vccz .LBB39_9
; %bb.8:
	s_mov_b64 s[0:1], 0xbf800000
	s_wait_xcnt 0x5
	v_mov_b64_e32 v[84:85], s[0:1]
	ds_store_b64 v36, v[84:85]
.LBB39_9:
	v_dual_ashrrev_i32 v7, 31, v6 :: v_dual_ashrrev_i32 v9, 31, v8
	v_dual_ashrrev_i32 v11, 31, v10 :: v_dual_ashrrev_i32 v13, 31, v12
	;; [unrolled: 1-line block ×18, first 2 shown]
	v_dual_ashrrev_i32 v79, 31, v78 :: v_dual_mov_b32 v37, v36
	v_ashrrev_i32_e32 v83, 31, v82
	s_wait_xcnt 0x0
	v_add_nc_u32_e32 v1, 0x140, v36
	s_cmp_eq_u32 s4, 0x79
	s_cbranch_scc1 .LBB39_13
; %bb.10:
	scratch_load_b64 v[84:85], off, off offset:304
	v_cmp_eq_u32_e64 s0, 39, v0
	s_movk_i32 s1, 0x50
	s_movk_i32 s10, 0x60
	;; [unrolled: 1-line block ×14, first 2 shown]
	s_wait_loadcnt 0x0
	ds_store_b64 v1, v[84:85]
	s_wait_storecnt_dscnt 0x0
	s_barrier_signal -1
	s_barrier_wait -1
	s_wait_xcnt 0x0
	s_and_saveexec_b32 s2, s0
	s_cbranch_execz .LBB39_17
; %bb.11:
	s_and_b32 vcc_lo, exec_lo, s3
	s_cbranch_vccz .LBB39_14
; %bb.12:
	scratch_load_b64 v[84:85], v37, off
	ds_load_b64 v[86:87], v1
	s_wait_loadcnt_dscnt 0x0
	v_pk_mul_f32 v[88:89], v[86:87], v[84:85] op_sel:[1,1] op_sel_hi:[0,1]
	v_pk_mul_f32 v[90:91], v[86:87], v[84:85] op_sel_hi:[1,0]
	s_delay_alu instid0(VALU_DEP_2) | instskip(NEXT) | instid1(VALU_DEP_2)
	v_pk_fma_f32 v[84:85], v[86:87], v[84:85], v[88:89] op_sel_hi:[1,0,1]
	v_sub_f32_e32 v84, v90, v88
	s_cbranch_execz .LBB39_15
	s_branch .LBB39_16
.LBB39_13:
	s_mov_b32 s1, 0
                                        ; implicit-def: $vgpr108
                                        ; implicit-def: $sgpr4
	s_cbranch_execnz .LBB39_396
	s_branch .LBB39_781
.LBB39_14:
                                        ; implicit-def: $vgpr85
.LBB39_15:
	ds_load_b64 v[84:85], v1
.LBB39_16:
	s_wait_dscnt 0x0
	v_dual_mov_b32 v86, 0 :: v_dual_mov_b32 v88, v85
	v_mov_b32_e32 v89, v84
	ds_load_b64 v[86:87], v86 offset:304
	s_wait_dscnt 0x0
	v_pk_mul_f32 v[88:89], v[88:89], v[86:87] op_sel:[0,1]
	s_delay_alu instid0(VALU_DEP_1) | instskip(SKIP_1) | instid1(VALU_DEP_2)
	v_pk_fma_f32 v[90:91], v[84:85], v[86:87], v[88:89] op_sel_hi:[1,0,1]
	v_pk_fma_f32 v[84:85], v[84:85], v[86:87], v[88:89] neg_lo:[0,0,1] neg_hi:[0,0,1]
	v_mov_b32_e32 v85, v91
	scratch_store_b64 off, v[84:85], off offset:304
.LBB39_17:
	s_wait_xcnt 0x0
	s_or_b32 exec_lo, exec_lo, s2
	scratch_load_b64 v[84:85], off, off offset:296
	s_mov_b32 s9, s1
	v_cmp_lt_u32_e64 s1, 37, v0
	s_mov_b32 s4, 16
	s_mov_b32 s5, 32
	;; [unrolled: 1-line block ×4, first 2 shown]
	s_wait_loadcnt 0x0
	ds_store_b64 v1, v[84:85]
	s_wait_storecnt_dscnt 0x0
	s_barrier_signal -1
	s_barrier_wait -1
	s_wait_xcnt 0x0
	s_and_saveexec_b32 s23, s1
	s_cbranch_execz .LBB39_25
; %bb.18:
	s_and_not1_b32 vcc_lo, exec_lo, s3
	s_cbranch_vccnz .LBB39_20
; %bb.19:
	scratch_load_b64 v[84:85], v37, off
	ds_load_b64 v[86:87], v1
	s_wait_loadcnt_dscnt 0x0
	v_pk_mul_f32 v[88:89], v[86:87], v[84:85] op_sel:[1,1] op_sel_hi:[0,1]
	s_delay_alu instid0(VALU_DEP_1) | instskip(SKIP_1) | instid1(VALU_DEP_2)
	v_pk_fma_f32 v[90:91], v[86:87], v[84:85], v[88:89] op_sel_hi:[1,0,1]
	v_pk_fma_f32 v[84:85], v[86:87], v[84:85], v[88:89] neg_lo:[0,0,1] neg_hi:[0,0,1]
	v_mov_b32_e32 v85, v91
	s_cbranch_execz .LBB39_21
	s_branch .LBB39_22
.LBB39_20:
                                        ; implicit-def: $vgpr84_vgpr85
.LBB39_21:
	ds_load_b64 v[84:85], v1
.LBB39_22:
	s_and_saveexec_b32 s24, s0
	s_cbranch_execz .LBB39_24
; %bb.23:
	scratch_load_b64 v[86:87], off, off offset:304
	v_mov_b32_e32 v88, 0
	ds_load_b64 v[88:89], v88 offset:624
	s_wait_loadcnt_dscnt 0x0
	v_pk_mul_f32 v[90:91], v[88:89], v[86:87] op_sel:[1,1] op_sel_hi:[0,1]
	s_delay_alu instid0(VALU_DEP_1) | instskip(SKIP_1) | instid1(VALU_DEP_2)
	v_pk_fma_f32 v[92:93], v[88:89], v[86:87], v[90:91] op_sel_hi:[1,0,1]
	v_pk_fma_f32 v[86:87], v[88:89], v[86:87], v[90:91] neg_lo:[0,0,1] neg_hi:[0,0,1]
	v_mov_b32_e32 v87, v93
	s_delay_alu instid0(VALU_DEP_1)
	v_pk_add_f32 v[84:85], v[84:85], v[86:87]
.LBB39_24:
	s_or_b32 exec_lo, exec_lo, s24
	v_mov_b32_e32 v86, 0
	ds_load_b64 v[86:87], v86 offset:296
	s_wait_dscnt 0x0
	v_pk_mul_f32 v[88:89], v[84:85], v[86:87] op_sel:[1,1] op_sel_hi:[0,1]
	s_delay_alu instid0(VALU_DEP_1) | instskip(SKIP_1) | instid1(VALU_DEP_2)
	v_pk_fma_f32 v[90:91], v[84:85], v[86:87], v[88:89] op_sel_hi:[1,0,1]
	v_pk_fma_f32 v[84:85], v[84:85], v[86:87], v[88:89] neg_lo:[0,0,1] neg_hi:[0,0,1]
	v_mov_b32_e32 v85, v91
	scratch_store_b64 off, v[84:85], off offset:296
.LBB39_25:
	s_wait_xcnt 0x0
	s_or_b32 exec_lo, exec_lo, s23
	scratch_load_b64 v[84:85], off, off offset:288
	v_cmp_lt_u32_e64 s0, 36, v0
	s_wait_loadcnt 0x0
	ds_store_b64 v1, v[84:85]
	s_wait_storecnt_dscnt 0x0
	s_barrier_signal -1
	s_barrier_wait -1
	s_wait_xcnt 0x0
	s_and_saveexec_b32 s23, s0
	s_cbranch_execz .LBB39_35
; %bb.26:
	s_and_not1_b32 vcc_lo, exec_lo, s3
	s_cbranch_vccnz .LBB39_28
; %bb.27:
	scratch_load_b64 v[84:85], v37, off
	ds_load_b64 v[86:87], v1
	s_wait_loadcnt_dscnt 0x0
	v_pk_mul_f32 v[88:89], v[86:87], v[84:85] op_sel:[1,1] op_sel_hi:[0,1]
	s_delay_alu instid0(VALU_DEP_1) | instskip(SKIP_1) | instid1(VALU_DEP_2)
	v_pk_fma_f32 v[90:91], v[86:87], v[84:85], v[88:89] op_sel_hi:[1,0,1]
	v_pk_fma_f32 v[84:85], v[86:87], v[84:85], v[88:89] neg_lo:[0,0,1] neg_hi:[0,0,1]
	v_mov_b32_e32 v85, v91
	s_cbranch_execz .LBB39_29
	s_branch .LBB39_30
.LBB39_28:
                                        ; implicit-def: $vgpr84_vgpr85
.LBB39_29:
	ds_load_b64 v[84:85], v1
.LBB39_30:
	s_and_saveexec_b32 s24, s1
	s_cbranch_execz .LBB39_34
; %bb.31:
	v_subrev_nc_u32_e32 v86, 37, v0
	s_movk_i32 s1, 0x128
	s_movk_i32 s26, 0x268
	s_mov_b32 s25, 0
.LBB39_32:                              ; =>This Inner Loop Header: Depth=1
	scratch_load_b64 v[88:89], off, s1
	v_dual_mov_b32 v87, s26 :: v_dual_add_nc_u32 v86, -1, v86
	s_add_co_i32 s26, s26, 8
	s_wait_xcnt 0x0
	s_add_co_i32 s1, s1, 8
	ds_load_b64 v[90:91], v87
	v_cmp_eq_u32_e32 vcc_lo, 0, v86
	s_or_b32 s25, vcc_lo, s25
	s_wait_loadcnt_dscnt 0x0
	v_pk_mul_f32 v[92:93], v[90:91], v[88:89] op_sel:[1,1] op_sel_hi:[0,1]
	s_delay_alu instid0(VALU_DEP_1) | instskip(SKIP_1) | instid1(VALU_DEP_2)
	v_pk_fma_f32 v[94:95], v[90:91], v[88:89], v[92:93] op_sel_hi:[1,0,1]
	v_pk_fma_f32 v[88:89], v[90:91], v[88:89], v[92:93] neg_lo:[0,0,1] neg_hi:[0,0,1]
	v_mov_b32_e32 v89, v95
	s_delay_alu instid0(VALU_DEP_1)
	v_pk_add_f32 v[84:85], v[84:85], v[88:89]
	s_and_not1_b32 exec_lo, exec_lo, s25
	s_cbranch_execnz .LBB39_32
; %bb.33:
	s_or_b32 exec_lo, exec_lo, s25
.LBB39_34:
	s_delay_alu instid0(SALU_CYCLE_1) | instskip(SKIP_4) | instid1(VALU_DEP_1)
	s_or_b32 exec_lo, exec_lo, s24
	v_mov_b32_e32 v86, 0
	ds_load_b64 v[86:87], v86 offset:288
	s_wait_dscnt 0x0
	v_pk_mul_f32 v[88:89], v[84:85], v[86:87] op_sel:[1,1] op_sel_hi:[0,1]
	v_pk_fma_f32 v[90:91], v[84:85], v[86:87], v[88:89] op_sel_hi:[1,0,1]
	v_pk_fma_f32 v[84:85], v[84:85], v[86:87], v[88:89] neg_lo:[0,0,1] neg_hi:[0,0,1]
	s_delay_alu instid0(VALU_DEP_2)
	v_mov_b32_e32 v85, v91
	scratch_store_b64 off, v[84:85], off offset:288
.LBB39_35:
	s_wait_xcnt 0x0
	s_or_b32 exec_lo, exec_lo, s23
	scratch_load_b64 v[84:85], off, off offset:280
	v_cmp_lt_u32_e64 s1, 35, v0
	s_wait_loadcnt 0x0
	ds_store_b64 v1, v[84:85]
	s_wait_storecnt_dscnt 0x0
	s_barrier_signal -1
	s_barrier_wait -1
	s_wait_xcnt 0x0
	s_and_saveexec_b32 s23, s1
	s_cbranch_execz .LBB39_45
; %bb.36:
	s_and_not1_b32 vcc_lo, exec_lo, s3
	s_cbranch_vccnz .LBB39_38
; %bb.37:
	scratch_load_b64 v[84:85], v37, off
	ds_load_b64 v[86:87], v1
	s_wait_loadcnt_dscnt 0x0
	v_pk_mul_f32 v[88:89], v[86:87], v[84:85] op_sel:[1,1] op_sel_hi:[0,1]
	s_delay_alu instid0(VALU_DEP_1) | instskip(SKIP_1) | instid1(VALU_DEP_2)
	v_pk_fma_f32 v[90:91], v[86:87], v[84:85], v[88:89] op_sel_hi:[1,0,1]
	v_pk_fma_f32 v[84:85], v[86:87], v[84:85], v[88:89] neg_lo:[0,0,1] neg_hi:[0,0,1]
	v_mov_b32_e32 v85, v91
	s_cbranch_execz .LBB39_39
	s_branch .LBB39_40
.LBB39_38:
                                        ; implicit-def: $vgpr84_vgpr85
.LBB39_39:
	ds_load_b64 v[84:85], v1
.LBB39_40:
	s_and_saveexec_b32 s24, s0
	s_cbranch_execz .LBB39_44
; %bb.41:
	v_subrev_nc_u32_e32 v86, 36, v0
	s_movk_i32 s25, 0x260
	s_mov_b32 s0, 0
.LBB39_42:                              ; =>This Inner Loop Header: Depth=1
	scratch_load_b64 v[88:89], off, s22
	v_dual_mov_b32 v87, s25 :: v_dual_add_nc_u32 v86, -1, v86
	s_add_co_i32 s25, s25, 8
	s_wait_xcnt 0x0
	s_add_co_i32 s22, s22, 8
	ds_load_b64 v[90:91], v87
	v_cmp_eq_u32_e32 vcc_lo, 0, v86
	s_or_b32 s0, vcc_lo, s0
	s_wait_loadcnt_dscnt 0x0
	v_pk_mul_f32 v[92:93], v[90:91], v[88:89] op_sel:[1,1] op_sel_hi:[0,1]
	s_delay_alu instid0(VALU_DEP_1) | instskip(SKIP_1) | instid1(VALU_DEP_2)
	v_pk_fma_f32 v[94:95], v[90:91], v[88:89], v[92:93] op_sel_hi:[1,0,1]
	v_pk_fma_f32 v[88:89], v[90:91], v[88:89], v[92:93] neg_lo:[0,0,1] neg_hi:[0,0,1]
	v_mov_b32_e32 v89, v95
	s_delay_alu instid0(VALU_DEP_1)
	v_pk_add_f32 v[84:85], v[84:85], v[88:89]
	s_and_not1_b32 exec_lo, exec_lo, s0
	s_cbranch_execnz .LBB39_42
; %bb.43:
	s_or_b32 exec_lo, exec_lo, s0
.LBB39_44:
	s_delay_alu instid0(SALU_CYCLE_1) | instskip(SKIP_4) | instid1(VALU_DEP_1)
	s_or_b32 exec_lo, exec_lo, s24
	v_mov_b32_e32 v86, 0
	ds_load_b64 v[86:87], v86 offset:280
	s_wait_dscnt 0x0
	v_pk_mul_f32 v[88:89], v[84:85], v[86:87] op_sel:[1,1] op_sel_hi:[0,1]
	v_pk_fma_f32 v[90:91], v[84:85], v[86:87], v[88:89] op_sel_hi:[1,0,1]
	v_pk_fma_f32 v[84:85], v[84:85], v[86:87], v[88:89] neg_lo:[0,0,1] neg_hi:[0,0,1]
	s_delay_alu instid0(VALU_DEP_2)
	v_mov_b32_e32 v85, v91
	scratch_store_b64 off, v[84:85], off offset:280
.LBB39_45:
	s_wait_xcnt 0x0
	s_or_b32 exec_lo, exec_lo, s23
	scratch_load_b64 v[84:85], off, off offset:272
	v_cmp_lt_u32_e64 s0, 34, v0
	s_wait_loadcnt 0x0
	ds_store_b64 v1, v[84:85]
	s_wait_storecnt_dscnt 0x0
	s_barrier_signal -1
	s_barrier_wait -1
	s_wait_xcnt 0x0
	s_and_saveexec_b32 s22, s0
	s_cbranch_execz .LBB39_55
; %bb.46:
	s_and_not1_b32 vcc_lo, exec_lo, s3
	s_cbranch_vccnz .LBB39_48
; %bb.47:
	scratch_load_b64 v[84:85], v37, off
	ds_load_b64 v[86:87], v1
	s_wait_loadcnt_dscnt 0x0
	v_pk_mul_f32 v[88:89], v[86:87], v[84:85] op_sel:[1,1] op_sel_hi:[0,1]
	s_delay_alu instid0(VALU_DEP_1) | instskip(SKIP_1) | instid1(VALU_DEP_2)
	v_pk_fma_f32 v[90:91], v[86:87], v[84:85], v[88:89] op_sel_hi:[1,0,1]
	v_pk_fma_f32 v[84:85], v[86:87], v[84:85], v[88:89] neg_lo:[0,0,1] neg_hi:[0,0,1]
	v_mov_b32_e32 v85, v91
	s_cbranch_execz .LBB39_49
	s_branch .LBB39_50
.LBB39_48:
                                        ; implicit-def: $vgpr84_vgpr85
.LBB39_49:
	ds_load_b64 v[84:85], v1
.LBB39_50:
	s_and_saveexec_b32 s23, s1
	s_cbranch_execz .LBB39_54
; %bb.51:
	v_subrev_nc_u32_e32 v86, 35, v0
	s_movk_i32 s1, 0x118
	s_movk_i32 s25, 0x258
	s_mov_b32 s24, 0
.LBB39_52:                              ; =>This Inner Loop Header: Depth=1
	scratch_load_b64 v[88:89], off, s1
	v_dual_mov_b32 v87, s25 :: v_dual_add_nc_u32 v86, -1, v86
	s_add_co_i32 s25, s25, 8
	s_wait_xcnt 0x0
	s_add_co_i32 s1, s1, 8
	ds_load_b64 v[90:91], v87
	v_cmp_eq_u32_e32 vcc_lo, 0, v86
	s_or_b32 s24, vcc_lo, s24
	s_wait_loadcnt_dscnt 0x0
	v_pk_mul_f32 v[92:93], v[90:91], v[88:89] op_sel:[1,1] op_sel_hi:[0,1]
	s_delay_alu instid0(VALU_DEP_1) | instskip(SKIP_1) | instid1(VALU_DEP_2)
	v_pk_fma_f32 v[94:95], v[90:91], v[88:89], v[92:93] op_sel_hi:[1,0,1]
	v_pk_fma_f32 v[88:89], v[90:91], v[88:89], v[92:93] neg_lo:[0,0,1] neg_hi:[0,0,1]
	v_mov_b32_e32 v89, v95
	s_delay_alu instid0(VALU_DEP_1)
	v_pk_add_f32 v[84:85], v[84:85], v[88:89]
	s_and_not1_b32 exec_lo, exec_lo, s24
	s_cbranch_execnz .LBB39_52
; %bb.53:
	s_or_b32 exec_lo, exec_lo, s24
.LBB39_54:
	s_delay_alu instid0(SALU_CYCLE_1) | instskip(SKIP_4) | instid1(VALU_DEP_1)
	s_or_b32 exec_lo, exec_lo, s23
	v_mov_b32_e32 v86, 0
	ds_load_b64 v[86:87], v86 offset:272
	s_wait_dscnt 0x0
	v_pk_mul_f32 v[88:89], v[84:85], v[86:87] op_sel:[1,1] op_sel_hi:[0,1]
	v_pk_fma_f32 v[90:91], v[84:85], v[86:87], v[88:89] op_sel_hi:[1,0,1]
	v_pk_fma_f32 v[84:85], v[84:85], v[86:87], v[88:89] neg_lo:[0,0,1] neg_hi:[0,0,1]
	s_delay_alu instid0(VALU_DEP_2)
	v_mov_b32_e32 v85, v91
	scratch_store_b64 off, v[84:85], off offset:272
.LBB39_55:
	s_wait_xcnt 0x0
	s_or_b32 exec_lo, exec_lo, s22
	scratch_load_b64 v[84:85], off, off offset:264
	v_cmp_lt_u32_e64 s1, 33, v0
	s_wait_loadcnt 0x0
	ds_store_b64 v1, v[84:85]
	s_wait_storecnt_dscnt 0x0
	s_barrier_signal -1
	s_barrier_wait -1
	s_wait_xcnt 0x0
	s_and_saveexec_b32 s22, s1
	s_cbranch_execz .LBB39_65
; %bb.56:
	s_and_not1_b32 vcc_lo, exec_lo, s3
	s_cbranch_vccnz .LBB39_58
; %bb.57:
	scratch_load_b64 v[84:85], v37, off
	ds_load_b64 v[86:87], v1
	s_wait_loadcnt_dscnt 0x0
	v_pk_mul_f32 v[88:89], v[86:87], v[84:85] op_sel:[1,1] op_sel_hi:[0,1]
	s_delay_alu instid0(VALU_DEP_1) | instskip(SKIP_1) | instid1(VALU_DEP_2)
	v_pk_fma_f32 v[90:91], v[86:87], v[84:85], v[88:89] op_sel_hi:[1,0,1]
	v_pk_fma_f32 v[84:85], v[86:87], v[84:85], v[88:89] neg_lo:[0,0,1] neg_hi:[0,0,1]
	v_mov_b32_e32 v85, v91
	s_cbranch_execz .LBB39_59
	s_branch .LBB39_60
.LBB39_58:
                                        ; implicit-def: $vgpr84_vgpr85
.LBB39_59:
	ds_load_b64 v[84:85], v1
.LBB39_60:
	s_and_saveexec_b32 s23, s0
	s_cbranch_execz .LBB39_64
; %bb.61:
	v_subrev_nc_u32_e32 v86, 34, v0
	s_movk_i32 s24, 0x250
	s_mov_b32 s0, 0
.LBB39_62:                              ; =>This Inner Loop Header: Depth=1
	scratch_load_b64 v[88:89], off, s21
	v_dual_mov_b32 v87, s24 :: v_dual_add_nc_u32 v86, -1, v86
	s_add_co_i32 s24, s24, 8
	s_wait_xcnt 0x0
	s_add_co_i32 s21, s21, 8
	ds_load_b64 v[90:91], v87
	v_cmp_eq_u32_e32 vcc_lo, 0, v86
	s_or_b32 s0, vcc_lo, s0
	s_wait_loadcnt_dscnt 0x0
	v_pk_mul_f32 v[92:93], v[90:91], v[88:89] op_sel:[1,1] op_sel_hi:[0,1]
	s_delay_alu instid0(VALU_DEP_1) | instskip(SKIP_1) | instid1(VALU_DEP_2)
	v_pk_fma_f32 v[94:95], v[90:91], v[88:89], v[92:93] op_sel_hi:[1,0,1]
	v_pk_fma_f32 v[88:89], v[90:91], v[88:89], v[92:93] neg_lo:[0,0,1] neg_hi:[0,0,1]
	v_mov_b32_e32 v89, v95
	s_delay_alu instid0(VALU_DEP_1)
	v_pk_add_f32 v[84:85], v[84:85], v[88:89]
	s_and_not1_b32 exec_lo, exec_lo, s0
	s_cbranch_execnz .LBB39_62
; %bb.63:
	s_or_b32 exec_lo, exec_lo, s0
.LBB39_64:
	s_delay_alu instid0(SALU_CYCLE_1) | instskip(SKIP_4) | instid1(VALU_DEP_1)
	s_or_b32 exec_lo, exec_lo, s23
	v_mov_b32_e32 v86, 0
	ds_load_b64 v[86:87], v86 offset:264
	s_wait_dscnt 0x0
	v_pk_mul_f32 v[88:89], v[84:85], v[86:87] op_sel:[1,1] op_sel_hi:[0,1]
	v_pk_fma_f32 v[90:91], v[84:85], v[86:87], v[88:89] op_sel_hi:[1,0,1]
	v_pk_fma_f32 v[84:85], v[84:85], v[86:87], v[88:89] neg_lo:[0,0,1] neg_hi:[0,0,1]
	s_delay_alu instid0(VALU_DEP_2)
	v_mov_b32_e32 v85, v91
	scratch_store_b64 off, v[84:85], off offset:264
.LBB39_65:
	s_wait_xcnt 0x0
	s_or_b32 exec_lo, exec_lo, s22
	scratch_load_b64 v[84:85], off, off offset:256
	v_cmp_lt_u32_e64 s0, 32, v0
	s_wait_loadcnt 0x0
	ds_store_b64 v1, v[84:85]
	s_wait_storecnt_dscnt 0x0
	s_barrier_signal -1
	s_barrier_wait -1
	s_wait_xcnt 0x0
	s_and_saveexec_b32 s21, s0
	s_cbranch_execz .LBB39_75
; %bb.66:
	s_and_not1_b32 vcc_lo, exec_lo, s3
	s_cbranch_vccnz .LBB39_68
; %bb.67:
	scratch_load_b64 v[84:85], v37, off
	ds_load_b64 v[86:87], v1
	s_wait_loadcnt_dscnt 0x0
	v_pk_mul_f32 v[88:89], v[86:87], v[84:85] op_sel:[1,1] op_sel_hi:[0,1]
	s_delay_alu instid0(VALU_DEP_1) | instskip(SKIP_1) | instid1(VALU_DEP_2)
	v_pk_fma_f32 v[90:91], v[86:87], v[84:85], v[88:89] op_sel_hi:[1,0,1]
	v_pk_fma_f32 v[84:85], v[86:87], v[84:85], v[88:89] neg_lo:[0,0,1] neg_hi:[0,0,1]
	v_mov_b32_e32 v85, v91
	s_cbranch_execz .LBB39_69
	s_branch .LBB39_70
.LBB39_68:
                                        ; implicit-def: $vgpr84_vgpr85
.LBB39_69:
	ds_load_b64 v[84:85], v1
.LBB39_70:
	s_and_saveexec_b32 s22, s1
	s_cbranch_execz .LBB39_74
; %bb.71:
	v_subrev_nc_u32_e32 v86, 33, v0
	s_movk_i32 s1, 0x108
	s_movk_i32 s24, 0x248
	s_mov_b32 s23, 0
.LBB39_72:                              ; =>This Inner Loop Header: Depth=1
	scratch_load_b64 v[88:89], off, s1
	v_dual_mov_b32 v87, s24 :: v_dual_add_nc_u32 v86, -1, v86
	s_add_co_i32 s24, s24, 8
	s_wait_xcnt 0x0
	s_add_co_i32 s1, s1, 8
	ds_load_b64 v[90:91], v87
	v_cmp_eq_u32_e32 vcc_lo, 0, v86
	s_or_b32 s23, vcc_lo, s23
	s_wait_loadcnt_dscnt 0x0
	v_pk_mul_f32 v[92:93], v[90:91], v[88:89] op_sel:[1,1] op_sel_hi:[0,1]
	s_delay_alu instid0(VALU_DEP_1) | instskip(SKIP_1) | instid1(VALU_DEP_2)
	v_pk_fma_f32 v[94:95], v[90:91], v[88:89], v[92:93] op_sel_hi:[1,0,1]
	v_pk_fma_f32 v[88:89], v[90:91], v[88:89], v[92:93] neg_lo:[0,0,1] neg_hi:[0,0,1]
	v_mov_b32_e32 v89, v95
	s_delay_alu instid0(VALU_DEP_1)
	v_pk_add_f32 v[84:85], v[84:85], v[88:89]
	s_and_not1_b32 exec_lo, exec_lo, s23
	s_cbranch_execnz .LBB39_72
; %bb.73:
	s_or_b32 exec_lo, exec_lo, s23
.LBB39_74:
	s_delay_alu instid0(SALU_CYCLE_1) | instskip(SKIP_4) | instid1(VALU_DEP_1)
	s_or_b32 exec_lo, exec_lo, s22
	v_mov_b32_e32 v86, 0
	ds_load_b64 v[86:87], v86 offset:256
	s_wait_dscnt 0x0
	v_pk_mul_f32 v[88:89], v[84:85], v[86:87] op_sel:[1,1] op_sel_hi:[0,1]
	v_pk_fma_f32 v[90:91], v[84:85], v[86:87], v[88:89] op_sel_hi:[1,0,1]
	v_pk_fma_f32 v[84:85], v[84:85], v[86:87], v[88:89] neg_lo:[0,0,1] neg_hi:[0,0,1]
	s_delay_alu instid0(VALU_DEP_2)
	v_mov_b32_e32 v85, v91
	scratch_store_b64 off, v[84:85], off offset:256
.LBB39_75:
	s_wait_xcnt 0x0
	s_or_b32 exec_lo, exec_lo, s21
	scratch_load_b64 v[84:85], off, off offset:248
	v_cmp_lt_u32_e64 s1, 31, v0
	s_wait_loadcnt 0x0
	ds_store_b64 v1, v[84:85]
	s_wait_storecnt_dscnt 0x0
	s_barrier_signal -1
	s_barrier_wait -1
	s_wait_xcnt 0x0
	s_and_saveexec_b32 s21, s1
	s_cbranch_execz .LBB39_85
; %bb.76:
	s_and_not1_b32 vcc_lo, exec_lo, s3
	s_cbranch_vccnz .LBB39_78
; %bb.77:
	scratch_load_b64 v[84:85], v37, off
	ds_load_b64 v[86:87], v1
	s_wait_loadcnt_dscnt 0x0
	v_pk_mul_f32 v[88:89], v[86:87], v[84:85] op_sel:[1,1] op_sel_hi:[0,1]
	s_delay_alu instid0(VALU_DEP_1) | instskip(SKIP_1) | instid1(VALU_DEP_2)
	v_pk_fma_f32 v[90:91], v[86:87], v[84:85], v[88:89] op_sel_hi:[1,0,1]
	v_pk_fma_f32 v[84:85], v[86:87], v[84:85], v[88:89] neg_lo:[0,0,1] neg_hi:[0,0,1]
	v_mov_b32_e32 v85, v91
	s_cbranch_execz .LBB39_79
	s_branch .LBB39_80
.LBB39_78:
                                        ; implicit-def: $vgpr84_vgpr85
.LBB39_79:
	ds_load_b64 v[84:85], v1
.LBB39_80:
	s_and_saveexec_b32 s22, s0
	s_cbranch_execz .LBB39_84
; %bb.81:
	v_subrev_nc_u32_e32 v86, 32, v0
	s_movk_i32 s23, 0x240
	s_mov_b32 s0, 0
.LBB39_82:                              ; =>This Inner Loop Header: Depth=1
	scratch_load_b64 v[88:89], off, s20
	v_dual_mov_b32 v87, s23 :: v_dual_add_nc_u32 v86, -1, v86
	s_add_co_i32 s23, s23, 8
	s_wait_xcnt 0x0
	s_add_co_i32 s20, s20, 8
	ds_load_b64 v[90:91], v87
	v_cmp_eq_u32_e32 vcc_lo, 0, v86
	s_or_b32 s0, vcc_lo, s0
	s_wait_loadcnt_dscnt 0x0
	v_pk_mul_f32 v[92:93], v[90:91], v[88:89] op_sel:[1,1] op_sel_hi:[0,1]
	s_delay_alu instid0(VALU_DEP_1) | instskip(SKIP_1) | instid1(VALU_DEP_2)
	v_pk_fma_f32 v[94:95], v[90:91], v[88:89], v[92:93] op_sel_hi:[1,0,1]
	v_pk_fma_f32 v[88:89], v[90:91], v[88:89], v[92:93] neg_lo:[0,0,1] neg_hi:[0,0,1]
	v_mov_b32_e32 v89, v95
	s_delay_alu instid0(VALU_DEP_1)
	v_pk_add_f32 v[84:85], v[84:85], v[88:89]
	s_and_not1_b32 exec_lo, exec_lo, s0
	s_cbranch_execnz .LBB39_82
; %bb.83:
	s_or_b32 exec_lo, exec_lo, s0
.LBB39_84:
	s_delay_alu instid0(SALU_CYCLE_1) | instskip(SKIP_4) | instid1(VALU_DEP_1)
	s_or_b32 exec_lo, exec_lo, s22
	v_mov_b32_e32 v86, 0
	ds_load_b64 v[86:87], v86 offset:248
	s_wait_dscnt 0x0
	v_pk_mul_f32 v[88:89], v[84:85], v[86:87] op_sel:[1,1] op_sel_hi:[0,1]
	v_pk_fma_f32 v[90:91], v[84:85], v[86:87], v[88:89] op_sel_hi:[1,0,1]
	v_pk_fma_f32 v[84:85], v[84:85], v[86:87], v[88:89] neg_lo:[0,0,1] neg_hi:[0,0,1]
	s_delay_alu instid0(VALU_DEP_2)
	v_mov_b32_e32 v85, v91
	scratch_store_b64 off, v[84:85], off offset:248
.LBB39_85:
	s_wait_xcnt 0x0
	s_or_b32 exec_lo, exec_lo, s21
	scratch_load_b64 v[84:85], off, off offset:240
	v_cmp_lt_u32_e64 s0, 30, v0
	s_wait_loadcnt 0x0
	ds_store_b64 v1, v[84:85]
	s_wait_storecnt_dscnt 0x0
	s_barrier_signal -1
	s_barrier_wait -1
	s_wait_xcnt 0x0
	s_and_saveexec_b32 s20, s0
	s_cbranch_execz .LBB39_95
; %bb.86:
	s_and_not1_b32 vcc_lo, exec_lo, s3
	s_cbranch_vccnz .LBB39_88
; %bb.87:
	scratch_load_b64 v[84:85], v37, off
	ds_load_b64 v[86:87], v1
	s_wait_loadcnt_dscnt 0x0
	v_pk_mul_f32 v[88:89], v[86:87], v[84:85] op_sel:[1,1] op_sel_hi:[0,1]
	s_delay_alu instid0(VALU_DEP_1) | instskip(SKIP_1) | instid1(VALU_DEP_2)
	v_pk_fma_f32 v[90:91], v[86:87], v[84:85], v[88:89] op_sel_hi:[1,0,1]
	v_pk_fma_f32 v[84:85], v[86:87], v[84:85], v[88:89] neg_lo:[0,0,1] neg_hi:[0,0,1]
	v_mov_b32_e32 v85, v91
	s_cbranch_execz .LBB39_89
	s_branch .LBB39_90
.LBB39_88:
                                        ; implicit-def: $vgpr84_vgpr85
.LBB39_89:
	ds_load_b64 v[84:85], v1
.LBB39_90:
	s_and_saveexec_b32 s21, s1
	s_cbranch_execz .LBB39_94
; %bb.91:
	v_subrev_nc_u32_e32 v86, 31, v0
	s_movk_i32 s1, 0xf8
	s_movk_i32 s23, 0x238
	s_mov_b32 s22, 0
.LBB39_92:                              ; =>This Inner Loop Header: Depth=1
	scratch_load_b64 v[88:89], off, s1
	v_dual_mov_b32 v87, s23 :: v_dual_add_nc_u32 v86, -1, v86
	s_add_co_i32 s23, s23, 8
	s_wait_xcnt 0x0
	s_add_co_i32 s1, s1, 8
	ds_load_b64 v[90:91], v87
	v_cmp_eq_u32_e32 vcc_lo, 0, v86
	s_or_b32 s22, vcc_lo, s22
	s_wait_loadcnt_dscnt 0x0
	v_pk_mul_f32 v[92:93], v[90:91], v[88:89] op_sel:[1,1] op_sel_hi:[0,1]
	s_delay_alu instid0(VALU_DEP_1) | instskip(SKIP_1) | instid1(VALU_DEP_2)
	v_pk_fma_f32 v[94:95], v[90:91], v[88:89], v[92:93] op_sel_hi:[1,0,1]
	v_pk_fma_f32 v[88:89], v[90:91], v[88:89], v[92:93] neg_lo:[0,0,1] neg_hi:[0,0,1]
	v_mov_b32_e32 v89, v95
	s_delay_alu instid0(VALU_DEP_1)
	v_pk_add_f32 v[84:85], v[84:85], v[88:89]
	s_and_not1_b32 exec_lo, exec_lo, s22
	s_cbranch_execnz .LBB39_92
; %bb.93:
	s_or_b32 exec_lo, exec_lo, s22
.LBB39_94:
	s_delay_alu instid0(SALU_CYCLE_1) | instskip(SKIP_4) | instid1(VALU_DEP_1)
	s_or_b32 exec_lo, exec_lo, s21
	v_mov_b32_e32 v86, 0
	ds_load_b64 v[86:87], v86 offset:240
	s_wait_dscnt 0x0
	v_pk_mul_f32 v[88:89], v[84:85], v[86:87] op_sel:[1,1] op_sel_hi:[0,1]
	v_pk_fma_f32 v[90:91], v[84:85], v[86:87], v[88:89] op_sel_hi:[1,0,1]
	v_pk_fma_f32 v[84:85], v[84:85], v[86:87], v[88:89] neg_lo:[0,0,1] neg_hi:[0,0,1]
	s_delay_alu instid0(VALU_DEP_2)
	v_mov_b32_e32 v85, v91
	scratch_store_b64 off, v[84:85], off offset:240
.LBB39_95:
	s_wait_xcnt 0x0
	s_or_b32 exec_lo, exec_lo, s20
	scratch_load_b64 v[84:85], off, off offset:232
	v_cmp_lt_u32_e64 s1, 29, v0
	s_wait_loadcnt 0x0
	ds_store_b64 v1, v[84:85]
	s_wait_storecnt_dscnt 0x0
	s_barrier_signal -1
	s_barrier_wait -1
	s_wait_xcnt 0x0
	s_and_saveexec_b32 s20, s1
	s_cbranch_execz .LBB39_105
; %bb.96:
	s_and_not1_b32 vcc_lo, exec_lo, s3
	s_cbranch_vccnz .LBB39_98
; %bb.97:
	scratch_load_b64 v[84:85], v37, off
	ds_load_b64 v[86:87], v1
	s_wait_loadcnt_dscnt 0x0
	v_pk_mul_f32 v[88:89], v[86:87], v[84:85] op_sel:[1,1] op_sel_hi:[0,1]
	s_delay_alu instid0(VALU_DEP_1) | instskip(SKIP_1) | instid1(VALU_DEP_2)
	v_pk_fma_f32 v[90:91], v[86:87], v[84:85], v[88:89] op_sel_hi:[1,0,1]
	v_pk_fma_f32 v[84:85], v[86:87], v[84:85], v[88:89] neg_lo:[0,0,1] neg_hi:[0,0,1]
	v_mov_b32_e32 v85, v91
	s_cbranch_execz .LBB39_99
	s_branch .LBB39_100
.LBB39_98:
                                        ; implicit-def: $vgpr84_vgpr85
.LBB39_99:
	ds_load_b64 v[84:85], v1
.LBB39_100:
	s_and_saveexec_b32 s21, s0
	s_cbranch_execz .LBB39_104
; %bb.101:
	v_subrev_nc_u32_e32 v86, 30, v0
	s_movk_i32 s22, 0x230
	s_mov_b32 s0, 0
.LBB39_102:                             ; =>This Inner Loop Header: Depth=1
	scratch_load_b64 v[88:89], off, s19
	v_dual_mov_b32 v87, s22 :: v_dual_add_nc_u32 v86, -1, v86
	s_add_co_i32 s22, s22, 8
	s_wait_xcnt 0x0
	s_add_co_i32 s19, s19, 8
	ds_load_b64 v[90:91], v87
	v_cmp_eq_u32_e32 vcc_lo, 0, v86
	s_or_b32 s0, vcc_lo, s0
	s_wait_loadcnt_dscnt 0x0
	v_pk_mul_f32 v[92:93], v[90:91], v[88:89] op_sel:[1,1] op_sel_hi:[0,1]
	s_delay_alu instid0(VALU_DEP_1) | instskip(SKIP_1) | instid1(VALU_DEP_2)
	v_pk_fma_f32 v[94:95], v[90:91], v[88:89], v[92:93] op_sel_hi:[1,0,1]
	v_pk_fma_f32 v[88:89], v[90:91], v[88:89], v[92:93] neg_lo:[0,0,1] neg_hi:[0,0,1]
	v_mov_b32_e32 v89, v95
	s_delay_alu instid0(VALU_DEP_1)
	v_pk_add_f32 v[84:85], v[84:85], v[88:89]
	s_and_not1_b32 exec_lo, exec_lo, s0
	s_cbranch_execnz .LBB39_102
; %bb.103:
	s_or_b32 exec_lo, exec_lo, s0
.LBB39_104:
	s_delay_alu instid0(SALU_CYCLE_1) | instskip(SKIP_4) | instid1(VALU_DEP_1)
	s_or_b32 exec_lo, exec_lo, s21
	v_mov_b32_e32 v86, 0
	ds_load_b64 v[86:87], v86 offset:232
	s_wait_dscnt 0x0
	v_pk_mul_f32 v[88:89], v[84:85], v[86:87] op_sel:[1,1] op_sel_hi:[0,1]
	v_pk_fma_f32 v[90:91], v[84:85], v[86:87], v[88:89] op_sel_hi:[1,0,1]
	v_pk_fma_f32 v[84:85], v[84:85], v[86:87], v[88:89] neg_lo:[0,0,1] neg_hi:[0,0,1]
	s_delay_alu instid0(VALU_DEP_2)
	v_mov_b32_e32 v85, v91
	scratch_store_b64 off, v[84:85], off offset:232
.LBB39_105:
	s_wait_xcnt 0x0
	s_or_b32 exec_lo, exec_lo, s20
	scratch_load_b64 v[84:85], off, off offset:224
	v_cmp_lt_u32_e64 s0, 28, v0
	s_wait_loadcnt 0x0
	ds_store_b64 v1, v[84:85]
	s_wait_storecnt_dscnt 0x0
	s_barrier_signal -1
	s_barrier_wait -1
	s_wait_xcnt 0x0
	s_and_saveexec_b32 s19, s0
	s_cbranch_execz .LBB39_115
; %bb.106:
	s_and_not1_b32 vcc_lo, exec_lo, s3
	s_cbranch_vccnz .LBB39_108
; %bb.107:
	scratch_load_b64 v[84:85], v37, off
	ds_load_b64 v[86:87], v1
	s_wait_loadcnt_dscnt 0x0
	v_pk_mul_f32 v[88:89], v[86:87], v[84:85] op_sel:[1,1] op_sel_hi:[0,1]
	s_delay_alu instid0(VALU_DEP_1) | instskip(SKIP_1) | instid1(VALU_DEP_2)
	v_pk_fma_f32 v[90:91], v[86:87], v[84:85], v[88:89] op_sel_hi:[1,0,1]
	v_pk_fma_f32 v[84:85], v[86:87], v[84:85], v[88:89] neg_lo:[0,0,1] neg_hi:[0,0,1]
	v_mov_b32_e32 v85, v91
	s_cbranch_execz .LBB39_109
	s_branch .LBB39_110
.LBB39_108:
                                        ; implicit-def: $vgpr84_vgpr85
.LBB39_109:
	ds_load_b64 v[84:85], v1
.LBB39_110:
	s_and_saveexec_b32 s20, s1
	s_cbranch_execz .LBB39_114
; %bb.111:
	v_subrev_nc_u32_e32 v86, 29, v0
	s_movk_i32 s1, 0xe8
	s_movk_i32 s22, 0x228
	s_mov_b32 s21, 0
.LBB39_112:                             ; =>This Inner Loop Header: Depth=1
	scratch_load_b64 v[88:89], off, s1
	v_dual_mov_b32 v87, s22 :: v_dual_add_nc_u32 v86, -1, v86
	s_add_co_i32 s22, s22, 8
	s_wait_xcnt 0x0
	s_add_co_i32 s1, s1, 8
	ds_load_b64 v[90:91], v87
	v_cmp_eq_u32_e32 vcc_lo, 0, v86
	s_or_b32 s21, vcc_lo, s21
	s_wait_loadcnt_dscnt 0x0
	v_pk_mul_f32 v[92:93], v[90:91], v[88:89] op_sel:[1,1] op_sel_hi:[0,1]
	s_delay_alu instid0(VALU_DEP_1) | instskip(SKIP_1) | instid1(VALU_DEP_2)
	v_pk_fma_f32 v[94:95], v[90:91], v[88:89], v[92:93] op_sel_hi:[1,0,1]
	v_pk_fma_f32 v[88:89], v[90:91], v[88:89], v[92:93] neg_lo:[0,0,1] neg_hi:[0,0,1]
	v_mov_b32_e32 v89, v95
	s_delay_alu instid0(VALU_DEP_1)
	v_pk_add_f32 v[84:85], v[84:85], v[88:89]
	s_and_not1_b32 exec_lo, exec_lo, s21
	s_cbranch_execnz .LBB39_112
; %bb.113:
	s_or_b32 exec_lo, exec_lo, s21
.LBB39_114:
	s_delay_alu instid0(SALU_CYCLE_1) | instskip(SKIP_4) | instid1(VALU_DEP_1)
	s_or_b32 exec_lo, exec_lo, s20
	v_mov_b32_e32 v86, 0
	ds_load_b64 v[86:87], v86 offset:224
	s_wait_dscnt 0x0
	v_pk_mul_f32 v[88:89], v[84:85], v[86:87] op_sel:[1,1] op_sel_hi:[0,1]
	v_pk_fma_f32 v[90:91], v[84:85], v[86:87], v[88:89] op_sel_hi:[1,0,1]
	v_pk_fma_f32 v[84:85], v[84:85], v[86:87], v[88:89] neg_lo:[0,0,1] neg_hi:[0,0,1]
	s_delay_alu instid0(VALU_DEP_2)
	v_mov_b32_e32 v85, v91
	scratch_store_b64 off, v[84:85], off offset:224
.LBB39_115:
	s_wait_xcnt 0x0
	s_or_b32 exec_lo, exec_lo, s19
	scratch_load_b64 v[84:85], off, off offset:216
	v_cmp_lt_u32_e64 s1, 27, v0
	s_wait_loadcnt 0x0
	ds_store_b64 v1, v[84:85]
	s_wait_storecnt_dscnt 0x0
	s_barrier_signal -1
	s_barrier_wait -1
	s_wait_xcnt 0x0
	s_and_saveexec_b32 s19, s1
	s_cbranch_execz .LBB39_125
; %bb.116:
	s_and_not1_b32 vcc_lo, exec_lo, s3
	s_cbranch_vccnz .LBB39_118
; %bb.117:
	scratch_load_b64 v[84:85], v37, off
	ds_load_b64 v[86:87], v1
	s_wait_loadcnt_dscnt 0x0
	v_pk_mul_f32 v[88:89], v[86:87], v[84:85] op_sel:[1,1] op_sel_hi:[0,1]
	s_delay_alu instid0(VALU_DEP_1) | instskip(SKIP_1) | instid1(VALU_DEP_2)
	v_pk_fma_f32 v[90:91], v[86:87], v[84:85], v[88:89] op_sel_hi:[1,0,1]
	v_pk_fma_f32 v[84:85], v[86:87], v[84:85], v[88:89] neg_lo:[0,0,1] neg_hi:[0,0,1]
	v_mov_b32_e32 v85, v91
	s_cbranch_execz .LBB39_119
	s_branch .LBB39_120
.LBB39_118:
                                        ; implicit-def: $vgpr84_vgpr85
.LBB39_119:
	ds_load_b64 v[84:85], v1
.LBB39_120:
	s_and_saveexec_b32 s20, s0
	s_cbranch_execz .LBB39_124
; %bb.121:
	v_subrev_nc_u32_e32 v86, 28, v0
	s_movk_i32 s21, 0x220
	s_mov_b32 s0, 0
.LBB39_122:                             ; =>This Inner Loop Header: Depth=1
	scratch_load_b64 v[88:89], off, s18
	v_dual_mov_b32 v87, s21 :: v_dual_add_nc_u32 v86, -1, v86
	s_add_co_i32 s21, s21, 8
	s_wait_xcnt 0x0
	s_add_co_i32 s18, s18, 8
	ds_load_b64 v[90:91], v87
	v_cmp_eq_u32_e32 vcc_lo, 0, v86
	s_or_b32 s0, vcc_lo, s0
	s_wait_loadcnt_dscnt 0x0
	v_pk_mul_f32 v[92:93], v[90:91], v[88:89] op_sel:[1,1] op_sel_hi:[0,1]
	s_delay_alu instid0(VALU_DEP_1) | instskip(SKIP_1) | instid1(VALU_DEP_2)
	v_pk_fma_f32 v[94:95], v[90:91], v[88:89], v[92:93] op_sel_hi:[1,0,1]
	v_pk_fma_f32 v[88:89], v[90:91], v[88:89], v[92:93] neg_lo:[0,0,1] neg_hi:[0,0,1]
	v_mov_b32_e32 v89, v95
	s_delay_alu instid0(VALU_DEP_1)
	v_pk_add_f32 v[84:85], v[84:85], v[88:89]
	s_and_not1_b32 exec_lo, exec_lo, s0
	s_cbranch_execnz .LBB39_122
; %bb.123:
	s_or_b32 exec_lo, exec_lo, s0
.LBB39_124:
	s_delay_alu instid0(SALU_CYCLE_1) | instskip(SKIP_4) | instid1(VALU_DEP_1)
	s_or_b32 exec_lo, exec_lo, s20
	v_mov_b32_e32 v86, 0
	ds_load_b64 v[86:87], v86 offset:216
	s_wait_dscnt 0x0
	v_pk_mul_f32 v[88:89], v[84:85], v[86:87] op_sel:[1,1] op_sel_hi:[0,1]
	v_pk_fma_f32 v[90:91], v[84:85], v[86:87], v[88:89] op_sel_hi:[1,0,1]
	v_pk_fma_f32 v[84:85], v[84:85], v[86:87], v[88:89] neg_lo:[0,0,1] neg_hi:[0,0,1]
	s_delay_alu instid0(VALU_DEP_2)
	v_mov_b32_e32 v85, v91
	scratch_store_b64 off, v[84:85], off offset:216
.LBB39_125:
	s_wait_xcnt 0x0
	s_or_b32 exec_lo, exec_lo, s19
	scratch_load_b64 v[84:85], off, off offset:208
	v_cmp_lt_u32_e64 s0, 26, v0
	s_wait_loadcnt 0x0
	ds_store_b64 v1, v[84:85]
	s_wait_storecnt_dscnt 0x0
	s_barrier_signal -1
	s_barrier_wait -1
	s_wait_xcnt 0x0
	s_and_saveexec_b32 s18, s0
	s_cbranch_execz .LBB39_135
; %bb.126:
	s_and_not1_b32 vcc_lo, exec_lo, s3
	s_cbranch_vccnz .LBB39_128
; %bb.127:
	scratch_load_b64 v[84:85], v37, off
	ds_load_b64 v[86:87], v1
	s_wait_loadcnt_dscnt 0x0
	v_pk_mul_f32 v[88:89], v[86:87], v[84:85] op_sel:[1,1] op_sel_hi:[0,1]
	s_delay_alu instid0(VALU_DEP_1) | instskip(SKIP_1) | instid1(VALU_DEP_2)
	v_pk_fma_f32 v[90:91], v[86:87], v[84:85], v[88:89] op_sel_hi:[1,0,1]
	v_pk_fma_f32 v[84:85], v[86:87], v[84:85], v[88:89] neg_lo:[0,0,1] neg_hi:[0,0,1]
	v_mov_b32_e32 v85, v91
	s_cbranch_execz .LBB39_129
	s_branch .LBB39_130
.LBB39_128:
                                        ; implicit-def: $vgpr84_vgpr85
.LBB39_129:
	ds_load_b64 v[84:85], v1
.LBB39_130:
	s_and_saveexec_b32 s19, s1
	s_cbranch_execz .LBB39_134
; %bb.131:
	v_subrev_nc_u32_e32 v86, 27, v0
	s_movk_i32 s1, 0xd8
	s_movk_i32 s21, 0x218
	s_mov_b32 s20, 0
.LBB39_132:                             ; =>This Inner Loop Header: Depth=1
	scratch_load_b64 v[88:89], off, s1
	v_dual_mov_b32 v87, s21 :: v_dual_add_nc_u32 v86, -1, v86
	s_add_co_i32 s21, s21, 8
	s_wait_xcnt 0x0
	s_add_co_i32 s1, s1, 8
	ds_load_b64 v[90:91], v87
	v_cmp_eq_u32_e32 vcc_lo, 0, v86
	s_or_b32 s20, vcc_lo, s20
	s_wait_loadcnt_dscnt 0x0
	v_pk_mul_f32 v[92:93], v[90:91], v[88:89] op_sel:[1,1] op_sel_hi:[0,1]
	s_delay_alu instid0(VALU_DEP_1) | instskip(SKIP_1) | instid1(VALU_DEP_2)
	v_pk_fma_f32 v[94:95], v[90:91], v[88:89], v[92:93] op_sel_hi:[1,0,1]
	v_pk_fma_f32 v[88:89], v[90:91], v[88:89], v[92:93] neg_lo:[0,0,1] neg_hi:[0,0,1]
	v_mov_b32_e32 v89, v95
	s_delay_alu instid0(VALU_DEP_1)
	v_pk_add_f32 v[84:85], v[84:85], v[88:89]
	s_and_not1_b32 exec_lo, exec_lo, s20
	s_cbranch_execnz .LBB39_132
; %bb.133:
	s_or_b32 exec_lo, exec_lo, s20
.LBB39_134:
	s_delay_alu instid0(SALU_CYCLE_1) | instskip(SKIP_4) | instid1(VALU_DEP_1)
	s_or_b32 exec_lo, exec_lo, s19
	v_mov_b32_e32 v86, 0
	ds_load_b64 v[86:87], v86 offset:208
	s_wait_dscnt 0x0
	v_pk_mul_f32 v[88:89], v[84:85], v[86:87] op_sel:[1,1] op_sel_hi:[0,1]
	v_pk_fma_f32 v[90:91], v[84:85], v[86:87], v[88:89] op_sel_hi:[1,0,1]
	v_pk_fma_f32 v[84:85], v[84:85], v[86:87], v[88:89] neg_lo:[0,0,1] neg_hi:[0,0,1]
	s_delay_alu instid0(VALU_DEP_2)
	v_mov_b32_e32 v85, v91
	scratch_store_b64 off, v[84:85], off offset:208
.LBB39_135:
	s_wait_xcnt 0x0
	s_or_b32 exec_lo, exec_lo, s18
	scratch_load_b64 v[84:85], off, off offset:200
	v_cmp_lt_u32_e64 s1, 25, v0
	s_wait_loadcnt 0x0
	ds_store_b64 v1, v[84:85]
	s_wait_storecnt_dscnt 0x0
	s_barrier_signal -1
	s_barrier_wait -1
	s_wait_xcnt 0x0
	s_and_saveexec_b32 s18, s1
	s_cbranch_execz .LBB39_145
; %bb.136:
	s_and_not1_b32 vcc_lo, exec_lo, s3
	s_cbranch_vccnz .LBB39_138
; %bb.137:
	scratch_load_b64 v[84:85], v37, off
	ds_load_b64 v[86:87], v1
	s_wait_loadcnt_dscnt 0x0
	v_pk_mul_f32 v[88:89], v[86:87], v[84:85] op_sel:[1,1] op_sel_hi:[0,1]
	s_delay_alu instid0(VALU_DEP_1) | instskip(SKIP_1) | instid1(VALU_DEP_2)
	v_pk_fma_f32 v[90:91], v[86:87], v[84:85], v[88:89] op_sel_hi:[1,0,1]
	v_pk_fma_f32 v[84:85], v[86:87], v[84:85], v[88:89] neg_lo:[0,0,1] neg_hi:[0,0,1]
	v_mov_b32_e32 v85, v91
	s_cbranch_execz .LBB39_139
	s_branch .LBB39_140
.LBB39_138:
                                        ; implicit-def: $vgpr84_vgpr85
.LBB39_139:
	ds_load_b64 v[84:85], v1
.LBB39_140:
	s_and_saveexec_b32 s19, s0
	s_cbranch_execz .LBB39_144
; %bb.141:
	v_subrev_nc_u32_e32 v86, 26, v0
	s_movk_i32 s20, 0x210
	s_mov_b32 s0, 0
.LBB39_142:                             ; =>This Inner Loop Header: Depth=1
	scratch_load_b64 v[88:89], off, s17
	v_dual_mov_b32 v87, s20 :: v_dual_add_nc_u32 v86, -1, v86
	s_add_co_i32 s20, s20, 8
	s_wait_xcnt 0x0
	s_add_co_i32 s17, s17, 8
	ds_load_b64 v[90:91], v87
	v_cmp_eq_u32_e32 vcc_lo, 0, v86
	s_or_b32 s0, vcc_lo, s0
	s_wait_loadcnt_dscnt 0x0
	v_pk_mul_f32 v[92:93], v[90:91], v[88:89] op_sel:[1,1] op_sel_hi:[0,1]
	s_delay_alu instid0(VALU_DEP_1) | instskip(SKIP_1) | instid1(VALU_DEP_2)
	v_pk_fma_f32 v[94:95], v[90:91], v[88:89], v[92:93] op_sel_hi:[1,0,1]
	v_pk_fma_f32 v[88:89], v[90:91], v[88:89], v[92:93] neg_lo:[0,0,1] neg_hi:[0,0,1]
	v_mov_b32_e32 v89, v95
	s_delay_alu instid0(VALU_DEP_1)
	v_pk_add_f32 v[84:85], v[84:85], v[88:89]
	s_and_not1_b32 exec_lo, exec_lo, s0
	s_cbranch_execnz .LBB39_142
; %bb.143:
	s_or_b32 exec_lo, exec_lo, s0
.LBB39_144:
	s_delay_alu instid0(SALU_CYCLE_1) | instskip(SKIP_4) | instid1(VALU_DEP_1)
	s_or_b32 exec_lo, exec_lo, s19
	v_mov_b32_e32 v86, 0
	ds_load_b64 v[86:87], v86 offset:200
	s_wait_dscnt 0x0
	v_pk_mul_f32 v[88:89], v[84:85], v[86:87] op_sel:[1,1] op_sel_hi:[0,1]
	v_pk_fma_f32 v[90:91], v[84:85], v[86:87], v[88:89] op_sel_hi:[1,0,1]
	v_pk_fma_f32 v[84:85], v[84:85], v[86:87], v[88:89] neg_lo:[0,0,1] neg_hi:[0,0,1]
	s_delay_alu instid0(VALU_DEP_2)
	v_mov_b32_e32 v85, v91
	scratch_store_b64 off, v[84:85], off offset:200
.LBB39_145:
	s_wait_xcnt 0x0
	s_or_b32 exec_lo, exec_lo, s18
	scratch_load_b64 v[84:85], off, off offset:192
	v_cmp_lt_u32_e64 s0, 24, v0
	s_wait_loadcnt 0x0
	ds_store_b64 v1, v[84:85]
	s_wait_storecnt_dscnt 0x0
	s_barrier_signal -1
	s_barrier_wait -1
	s_wait_xcnt 0x0
	s_and_saveexec_b32 s17, s0
	s_cbranch_execz .LBB39_155
; %bb.146:
	s_and_not1_b32 vcc_lo, exec_lo, s3
	s_cbranch_vccnz .LBB39_148
; %bb.147:
	scratch_load_b64 v[84:85], v37, off
	ds_load_b64 v[86:87], v1
	s_wait_loadcnt_dscnt 0x0
	v_pk_mul_f32 v[88:89], v[86:87], v[84:85] op_sel:[1,1] op_sel_hi:[0,1]
	s_delay_alu instid0(VALU_DEP_1) | instskip(SKIP_1) | instid1(VALU_DEP_2)
	v_pk_fma_f32 v[90:91], v[86:87], v[84:85], v[88:89] op_sel_hi:[1,0,1]
	v_pk_fma_f32 v[84:85], v[86:87], v[84:85], v[88:89] neg_lo:[0,0,1] neg_hi:[0,0,1]
	v_mov_b32_e32 v85, v91
	s_cbranch_execz .LBB39_149
	s_branch .LBB39_150
.LBB39_148:
                                        ; implicit-def: $vgpr84_vgpr85
.LBB39_149:
	ds_load_b64 v[84:85], v1
.LBB39_150:
	s_and_saveexec_b32 s18, s1
	s_cbranch_execz .LBB39_154
; %bb.151:
	v_subrev_nc_u32_e32 v86, 25, v0
	s_movk_i32 s1, 0xc8
	s_movk_i32 s20, 0x208
	s_mov_b32 s19, 0
.LBB39_152:                             ; =>This Inner Loop Header: Depth=1
	scratch_load_b64 v[88:89], off, s1
	v_dual_mov_b32 v87, s20 :: v_dual_add_nc_u32 v86, -1, v86
	s_add_co_i32 s20, s20, 8
	s_wait_xcnt 0x0
	s_add_co_i32 s1, s1, 8
	ds_load_b64 v[90:91], v87
	v_cmp_eq_u32_e32 vcc_lo, 0, v86
	s_or_b32 s19, vcc_lo, s19
	s_wait_loadcnt_dscnt 0x0
	v_pk_mul_f32 v[92:93], v[90:91], v[88:89] op_sel:[1,1] op_sel_hi:[0,1]
	s_delay_alu instid0(VALU_DEP_1) | instskip(SKIP_1) | instid1(VALU_DEP_2)
	v_pk_fma_f32 v[94:95], v[90:91], v[88:89], v[92:93] op_sel_hi:[1,0,1]
	v_pk_fma_f32 v[88:89], v[90:91], v[88:89], v[92:93] neg_lo:[0,0,1] neg_hi:[0,0,1]
	v_mov_b32_e32 v89, v95
	s_delay_alu instid0(VALU_DEP_1)
	v_pk_add_f32 v[84:85], v[84:85], v[88:89]
	s_and_not1_b32 exec_lo, exec_lo, s19
	s_cbranch_execnz .LBB39_152
; %bb.153:
	s_or_b32 exec_lo, exec_lo, s19
.LBB39_154:
	s_delay_alu instid0(SALU_CYCLE_1) | instskip(SKIP_4) | instid1(VALU_DEP_1)
	s_or_b32 exec_lo, exec_lo, s18
	v_mov_b32_e32 v86, 0
	ds_load_b64 v[86:87], v86 offset:192
	s_wait_dscnt 0x0
	v_pk_mul_f32 v[88:89], v[84:85], v[86:87] op_sel:[1,1] op_sel_hi:[0,1]
	v_pk_fma_f32 v[90:91], v[84:85], v[86:87], v[88:89] op_sel_hi:[1,0,1]
	v_pk_fma_f32 v[84:85], v[84:85], v[86:87], v[88:89] neg_lo:[0,0,1] neg_hi:[0,0,1]
	s_delay_alu instid0(VALU_DEP_2)
	v_mov_b32_e32 v85, v91
	scratch_store_b64 off, v[84:85], off offset:192
.LBB39_155:
	s_wait_xcnt 0x0
	s_or_b32 exec_lo, exec_lo, s17
	scratch_load_b64 v[84:85], off, off offset:184
	v_cmp_lt_u32_e64 s1, 23, v0
	s_wait_loadcnt 0x0
	ds_store_b64 v1, v[84:85]
	s_wait_storecnt_dscnt 0x0
	s_barrier_signal -1
	s_barrier_wait -1
	s_wait_xcnt 0x0
	s_and_saveexec_b32 s17, s1
	s_cbranch_execz .LBB39_165
; %bb.156:
	s_and_not1_b32 vcc_lo, exec_lo, s3
	s_cbranch_vccnz .LBB39_158
; %bb.157:
	scratch_load_b64 v[84:85], v37, off
	ds_load_b64 v[86:87], v1
	s_wait_loadcnt_dscnt 0x0
	v_pk_mul_f32 v[88:89], v[86:87], v[84:85] op_sel:[1,1] op_sel_hi:[0,1]
	s_delay_alu instid0(VALU_DEP_1) | instskip(SKIP_1) | instid1(VALU_DEP_2)
	v_pk_fma_f32 v[90:91], v[86:87], v[84:85], v[88:89] op_sel_hi:[1,0,1]
	v_pk_fma_f32 v[84:85], v[86:87], v[84:85], v[88:89] neg_lo:[0,0,1] neg_hi:[0,0,1]
	v_mov_b32_e32 v85, v91
	s_cbranch_execz .LBB39_159
	s_branch .LBB39_160
.LBB39_158:
                                        ; implicit-def: $vgpr84_vgpr85
.LBB39_159:
	ds_load_b64 v[84:85], v1
.LBB39_160:
	s_and_saveexec_b32 s18, s0
	s_cbranch_execz .LBB39_164
; %bb.161:
	v_subrev_nc_u32_e32 v86, 24, v0
	s_movk_i32 s19, 0x200
	s_mov_b32 s0, 0
.LBB39_162:                             ; =>This Inner Loop Header: Depth=1
	scratch_load_b64 v[88:89], off, s16
	v_dual_mov_b32 v87, s19 :: v_dual_add_nc_u32 v86, -1, v86
	s_add_co_i32 s19, s19, 8
	s_wait_xcnt 0x0
	s_add_co_i32 s16, s16, 8
	ds_load_b64 v[90:91], v87
	v_cmp_eq_u32_e32 vcc_lo, 0, v86
	s_or_b32 s0, vcc_lo, s0
	s_wait_loadcnt_dscnt 0x0
	v_pk_mul_f32 v[92:93], v[90:91], v[88:89] op_sel:[1,1] op_sel_hi:[0,1]
	s_delay_alu instid0(VALU_DEP_1) | instskip(SKIP_1) | instid1(VALU_DEP_2)
	v_pk_fma_f32 v[94:95], v[90:91], v[88:89], v[92:93] op_sel_hi:[1,0,1]
	v_pk_fma_f32 v[88:89], v[90:91], v[88:89], v[92:93] neg_lo:[0,0,1] neg_hi:[0,0,1]
	v_mov_b32_e32 v89, v95
	s_delay_alu instid0(VALU_DEP_1)
	v_pk_add_f32 v[84:85], v[84:85], v[88:89]
	s_and_not1_b32 exec_lo, exec_lo, s0
	s_cbranch_execnz .LBB39_162
; %bb.163:
	s_or_b32 exec_lo, exec_lo, s0
.LBB39_164:
	s_delay_alu instid0(SALU_CYCLE_1) | instskip(SKIP_4) | instid1(VALU_DEP_1)
	s_or_b32 exec_lo, exec_lo, s18
	v_mov_b32_e32 v86, 0
	ds_load_b64 v[86:87], v86 offset:184
	s_wait_dscnt 0x0
	v_pk_mul_f32 v[88:89], v[84:85], v[86:87] op_sel:[1,1] op_sel_hi:[0,1]
	v_pk_fma_f32 v[90:91], v[84:85], v[86:87], v[88:89] op_sel_hi:[1,0,1]
	v_pk_fma_f32 v[84:85], v[84:85], v[86:87], v[88:89] neg_lo:[0,0,1] neg_hi:[0,0,1]
	s_delay_alu instid0(VALU_DEP_2)
	v_mov_b32_e32 v85, v91
	scratch_store_b64 off, v[84:85], off offset:184
.LBB39_165:
	s_wait_xcnt 0x0
	s_or_b32 exec_lo, exec_lo, s17
	scratch_load_b64 v[84:85], off, off offset:176
	v_cmp_lt_u32_e64 s0, 22, v0
	s_wait_loadcnt 0x0
	ds_store_b64 v1, v[84:85]
	s_wait_storecnt_dscnt 0x0
	s_barrier_signal -1
	s_barrier_wait -1
	s_wait_xcnt 0x0
	s_and_saveexec_b32 s16, s0
	s_cbranch_execz .LBB39_175
; %bb.166:
	s_and_not1_b32 vcc_lo, exec_lo, s3
	s_cbranch_vccnz .LBB39_168
; %bb.167:
	scratch_load_b64 v[84:85], v37, off
	ds_load_b64 v[86:87], v1
	s_wait_loadcnt_dscnt 0x0
	v_pk_mul_f32 v[88:89], v[86:87], v[84:85] op_sel:[1,1] op_sel_hi:[0,1]
	s_delay_alu instid0(VALU_DEP_1) | instskip(SKIP_1) | instid1(VALU_DEP_2)
	v_pk_fma_f32 v[90:91], v[86:87], v[84:85], v[88:89] op_sel_hi:[1,0,1]
	v_pk_fma_f32 v[84:85], v[86:87], v[84:85], v[88:89] neg_lo:[0,0,1] neg_hi:[0,0,1]
	v_mov_b32_e32 v85, v91
	s_cbranch_execz .LBB39_169
	s_branch .LBB39_170
.LBB39_168:
                                        ; implicit-def: $vgpr84_vgpr85
.LBB39_169:
	ds_load_b64 v[84:85], v1
.LBB39_170:
	s_and_saveexec_b32 s17, s1
	s_cbranch_execz .LBB39_174
; %bb.171:
	v_subrev_nc_u32_e32 v86, 23, v0
	s_movk_i32 s1, 0xb8
	s_movk_i32 s19, 0x1f8
	s_mov_b32 s18, 0
.LBB39_172:                             ; =>This Inner Loop Header: Depth=1
	scratch_load_b64 v[88:89], off, s1
	v_dual_mov_b32 v87, s19 :: v_dual_add_nc_u32 v86, -1, v86
	s_add_co_i32 s19, s19, 8
	s_wait_xcnt 0x0
	s_add_co_i32 s1, s1, 8
	ds_load_b64 v[90:91], v87
	v_cmp_eq_u32_e32 vcc_lo, 0, v86
	s_or_b32 s18, vcc_lo, s18
	s_wait_loadcnt_dscnt 0x0
	v_pk_mul_f32 v[92:93], v[90:91], v[88:89] op_sel:[1,1] op_sel_hi:[0,1]
	s_delay_alu instid0(VALU_DEP_1) | instskip(SKIP_1) | instid1(VALU_DEP_2)
	v_pk_fma_f32 v[94:95], v[90:91], v[88:89], v[92:93] op_sel_hi:[1,0,1]
	v_pk_fma_f32 v[88:89], v[90:91], v[88:89], v[92:93] neg_lo:[0,0,1] neg_hi:[0,0,1]
	v_mov_b32_e32 v89, v95
	s_delay_alu instid0(VALU_DEP_1)
	v_pk_add_f32 v[84:85], v[84:85], v[88:89]
	s_and_not1_b32 exec_lo, exec_lo, s18
	s_cbranch_execnz .LBB39_172
; %bb.173:
	s_or_b32 exec_lo, exec_lo, s18
.LBB39_174:
	s_delay_alu instid0(SALU_CYCLE_1) | instskip(SKIP_4) | instid1(VALU_DEP_1)
	s_or_b32 exec_lo, exec_lo, s17
	v_mov_b32_e32 v86, 0
	ds_load_b64 v[86:87], v86 offset:176
	s_wait_dscnt 0x0
	v_pk_mul_f32 v[88:89], v[84:85], v[86:87] op_sel:[1,1] op_sel_hi:[0,1]
	v_pk_fma_f32 v[90:91], v[84:85], v[86:87], v[88:89] op_sel_hi:[1,0,1]
	v_pk_fma_f32 v[84:85], v[84:85], v[86:87], v[88:89] neg_lo:[0,0,1] neg_hi:[0,0,1]
	s_delay_alu instid0(VALU_DEP_2)
	v_mov_b32_e32 v85, v91
	scratch_store_b64 off, v[84:85], off offset:176
.LBB39_175:
	s_wait_xcnt 0x0
	s_or_b32 exec_lo, exec_lo, s16
	scratch_load_b64 v[84:85], off, off offset:168
	v_cmp_lt_u32_e64 s1, 21, v0
	s_wait_loadcnt 0x0
	ds_store_b64 v1, v[84:85]
	s_wait_storecnt_dscnt 0x0
	s_barrier_signal -1
	s_barrier_wait -1
	s_wait_xcnt 0x0
	s_and_saveexec_b32 s16, s1
	s_cbranch_execz .LBB39_185
; %bb.176:
	s_and_not1_b32 vcc_lo, exec_lo, s3
	s_cbranch_vccnz .LBB39_178
; %bb.177:
	scratch_load_b64 v[84:85], v37, off
	ds_load_b64 v[86:87], v1
	s_wait_loadcnt_dscnt 0x0
	v_pk_mul_f32 v[88:89], v[86:87], v[84:85] op_sel:[1,1] op_sel_hi:[0,1]
	s_delay_alu instid0(VALU_DEP_1) | instskip(SKIP_1) | instid1(VALU_DEP_2)
	v_pk_fma_f32 v[90:91], v[86:87], v[84:85], v[88:89] op_sel_hi:[1,0,1]
	v_pk_fma_f32 v[84:85], v[86:87], v[84:85], v[88:89] neg_lo:[0,0,1] neg_hi:[0,0,1]
	v_mov_b32_e32 v85, v91
	s_cbranch_execz .LBB39_179
	s_branch .LBB39_180
.LBB39_178:
                                        ; implicit-def: $vgpr84_vgpr85
.LBB39_179:
	ds_load_b64 v[84:85], v1
.LBB39_180:
	s_and_saveexec_b32 s17, s0
	s_cbranch_execz .LBB39_184
; %bb.181:
	v_subrev_nc_u32_e32 v86, 22, v0
	s_movk_i32 s18, 0x1f0
	s_mov_b32 s0, 0
.LBB39_182:                             ; =>This Inner Loop Header: Depth=1
	scratch_load_b64 v[88:89], off, s15
	v_dual_mov_b32 v87, s18 :: v_dual_add_nc_u32 v86, -1, v86
	s_add_co_i32 s18, s18, 8
	s_wait_xcnt 0x0
	s_add_co_i32 s15, s15, 8
	ds_load_b64 v[90:91], v87
	v_cmp_eq_u32_e32 vcc_lo, 0, v86
	s_or_b32 s0, vcc_lo, s0
	s_wait_loadcnt_dscnt 0x0
	v_pk_mul_f32 v[92:93], v[90:91], v[88:89] op_sel:[1,1] op_sel_hi:[0,1]
	s_delay_alu instid0(VALU_DEP_1) | instskip(SKIP_1) | instid1(VALU_DEP_2)
	v_pk_fma_f32 v[94:95], v[90:91], v[88:89], v[92:93] op_sel_hi:[1,0,1]
	v_pk_fma_f32 v[88:89], v[90:91], v[88:89], v[92:93] neg_lo:[0,0,1] neg_hi:[0,0,1]
	v_mov_b32_e32 v89, v95
	s_delay_alu instid0(VALU_DEP_1)
	v_pk_add_f32 v[84:85], v[84:85], v[88:89]
	s_and_not1_b32 exec_lo, exec_lo, s0
	s_cbranch_execnz .LBB39_182
; %bb.183:
	s_or_b32 exec_lo, exec_lo, s0
.LBB39_184:
	s_delay_alu instid0(SALU_CYCLE_1) | instskip(SKIP_4) | instid1(VALU_DEP_1)
	s_or_b32 exec_lo, exec_lo, s17
	v_mov_b32_e32 v86, 0
	ds_load_b64 v[86:87], v86 offset:168
	s_wait_dscnt 0x0
	v_pk_mul_f32 v[88:89], v[84:85], v[86:87] op_sel:[1,1] op_sel_hi:[0,1]
	v_pk_fma_f32 v[90:91], v[84:85], v[86:87], v[88:89] op_sel_hi:[1,0,1]
	v_pk_fma_f32 v[84:85], v[84:85], v[86:87], v[88:89] neg_lo:[0,0,1] neg_hi:[0,0,1]
	s_delay_alu instid0(VALU_DEP_2)
	v_mov_b32_e32 v85, v91
	scratch_store_b64 off, v[84:85], off offset:168
.LBB39_185:
	s_wait_xcnt 0x0
	s_or_b32 exec_lo, exec_lo, s16
	scratch_load_b64 v[84:85], off, off offset:160
	v_cmp_lt_u32_e64 s0, 20, v0
	s_wait_loadcnt 0x0
	ds_store_b64 v1, v[84:85]
	s_wait_storecnt_dscnt 0x0
	s_barrier_signal -1
	s_barrier_wait -1
	s_wait_xcnt 0x0
	s_and_saveexec_b32 s15, s0
	s_cbranch_execz .LBB39_195
; %bb.186:
	s_and_not1_b32 vcc_lo, exec_lo, s3
	s_cbranch_vccnz .LBB39_188
; %bb.187:
	scratch_load_b64 v[84:85], v37, off
	ds_load_b64 v[86:87], v1
	s_wait_loadcnt_dscnt 0x0
	v_pk_mul_f32 v[88:89], v[86:87], v[84:85] op_sel:[1,1] op_sel_hi:[0,1]
	s_delay_alu instid0(VALU_DEP_1) | instskip(SKIP_1) | instid1(VALU_DEP_2)
	v_pk_fma_f32 v[90:91], v[86:87], v[84:85], v[88:89] op_sel_hi:[1,0,1]
	v_pk_fma_f32 v[84:85], v[86:87], v[84:85], v[88:89] neg_lo:[0,0,1] neg_hi:[0,0,1]
	v_mov_b32_e32 v85, v91
	s_cbranch_execz .LBB39_189
	s_branch .LBB39_190
.LBB39_188:
                                        ; implicit-def: $vgpr84_vgpr85
.LBB39_189:
	ds_load_b64 v[84:85], v1
.LBB39_190:
	s_and_saveexec_b32 s16, s1
	s_cbranch_execz .LBB39_194
; %bb.191:
	v_subrev_nc_u32_e32 v86, 21, v0
	s_movk_i32 s1, 0xa8
	s_movk_i32 s18, 0x1e8
	s_mov_b32 s17, 0
.LBB39_192:                             ; =>This Inner Loop Header: Depth=1
	scratch_load_b64 v[88:89], off, s1
	v_dual_mov_b32 v87, s18 :: v_dual_add_nc_u32 v86, -1, v86
	s_add_co_i32 s18, s18, 8
	s_wait_xcnt 0x0
	s_add_co_i32 s1, s1, 8
	ds_load_b64 v[90:91], v87
	v_cmp_eq_u32_e32 vcc_lo, 0, v86
	s_or_b32 s17, vcc_lo, s17
	s_wait_loadcnt_dscnt 0x0
	v_pk_mul_f32 v[92:93], v[90:91], v[88:89] op_sel:[1,1] op_sel_hi:[0,1]
	s_delay_alu instid0(VALU_DEP_1) | instskip(SKIP_1) | instid1(VALU_DEP_2)
	v_pk_fma_f32 v[94:95], v[90:91], v[88:89], v[92:93] op_sel_hi:[1,0,1]
	v_pk_fma_f32 v[88:89], v[90:91], v[88:89], v[92:93] neg_lo:[0,0,1] neg_hi:[0,0,1]
	v_mov_b32_e32 v89, v95
	s_delay_alu instid0(VALU_DEP_1)
	v_pk_add_f32 v[84:85], v[84:85], v[88:89]
	s_and_not1_b32 exec_lo, exec_lo, s17
	s_cbranch_execnz .LBB39_192
; %bb.193:
	s_or_b32 exec_lo, exec_lo, s17
.LBB39_194:
	s_delay_alu instid0(SALU_CYCLE_1) | instskip(SKIP_4) | instid1(VALU_DEP_1)
	s_or_b32 exec_lo, exec_lo, s16
	v_mov_b32_e32 v86, 0
	ds_load_b64 v[86:87], v86 offset:160
	s_wait_dscnt 0x0
	v_pk_mul_f32 v[88:89], v[84:85], v[86:87] op_sel:[1,1] op_sel_hi:[0,1]
	v_pk_fma_f32 v[90:91], v[84:85], v[86:87], v[88:89] op_sel_hi:[1,0,1]
	v_pk_fma_f32 v[84:85], v[84:85], v[86:87], v[88:89] neg_lo:[0,0,1] neg_hi:[0,0,1]
	s_delay_alu instid0(VALU_DEP_2)
	v_mov_b32_e32 v85, v91
	scratch_store_b64 off, v[84:85], off offset:160
.LBB39_195:
	s_wait_xcnt 0x0
	s_or_b32 exec_lo, exec_lo, s15
	scratch_load_b64 v[84:85], off, off offset:152
	v_cmp_lt_u32_e64 s1, 19, v0
	s_wait_loadcnt 0x0
	ds_store_b64 v1, v[84:85]
	s_wait_storecnt_dscnt 0x0
	s_barrier_signal -1
	s_barrier_wait -1
	s_wait_xcnt 0x0
	s_and_saveexec_b32 s15, s1
	s_cbranch_execz .LBB39_205
; %bb.196:
	s_and_not1_b32 vcc_lo, exec_lo, s3
	s_cbranch_vccnz .LBB39_198
; %bb.197:
	scratch_load_b64 v[84:85], v37, off
	ds_load_b64 v[86:87], v1
	s_wait_loadcnt_dscnt 0x0
	v_pk_mul_f32 v[88:89], v[86:87], v[84:85] op_sel:[1,1] op_sel_hi:[0,1]
	s_delay_alu instid0(VALU_DEP_1) | instskip(SKIP_1) | instid1(VALU_DEP_2)
	v_pk_fma_f32 v[90:91], v[86:87], v[84:85], v[88:89] op_sel_hi:[1,0,1]
	v_pk_fma_f32 v[84:85], v[86:87], v[84:85], v[88:89] neg_lo:[0,0,1] neg_hi:[0,0,1]
	v_mov_b32_e32 v85, v91
	s_cbranch_execz .LBB39_199
	s_branch .LBB39_200
.LBB39_198:
                                        ; implicit-def: $vgpr84_vgpr85
.LBB39_199:
	ds_load_b64 v[84:85], v1
.LBB39_200:
	s_and_saveexec_b32 s16, s0
	s_cbranch_execz .LBB39_204
; %bb.201:
	v_subrev_nc_u32_e32 v86, 20, v0
	s_movk_i32 s17, 0x1e0
	s_mov_b32 s0, 0
.LBB39_202:                             ; =>This Inner Loop Header: Depth=1
	scratch_load_b64 v[88:89], off, s14
	v_dual_mov_b32 v87, s17 :: v_dual_add_nc_u32 v86, -1, v86
	s_add_co_i32 s17, s17, 8
	s_wait_xcnt 0x0
	s_add_co_i32 s14, s14, 8
	ds_load_b64 v[90:91], v87
	v_cmp_eq_u32_e32 vcc_lo, 0, v86
	s_or_b32 s0, vcc_lo, s0
	s_wait_loadcnt_dscnt 0x0
	v_pk_mul_f32 v[92:93], v[90:91], v[88:89] op_sel:[1,1] op_sel_hi:[0,1]
	s_delay_alu instid0(VALU_DEP_1) | instskip(SKIP_1) | instid1(VALU_DEP_2)
	v_pk_fma_f32 v[94:95], v[90:91], v[88:89], v[92:93] op_sel_hi:[1,0,1]
	v_pk_fma_f32 v[88:89], v[90:91], v[88:89], v[92:93] neg_lo:[0,0,1] neg_hi:[0,0,1]
	v_mov_b32_e32 v89, v95
	s_delay_alu instid0(VALU_DEP_1)
	v_pk_add_f32 v[84:85], v[84:85], v[88:89]
	s_and_not1_b32 exec_lo, exec_lo, s0
	s_cbranch_execnz .LBB39_202
; %bb.203:
	s_or_b32 exec_lo, exec_lo, s0
.LBB39_204:
	s_delay_alu instid0(SALU_CYCLE_1) | instskip(SKIP_4) | instid1(VALU_DEP_1)
	s_or_b32 exec_lo, exec_lo, s16
	v_mov_b32_e32 v86, 0
	ds_load_b64 v[86:87], v86 offset:152
	s_wait_dscnt 0x0
	v_pk_mul_f32 v[88:89], v[84:85], v[86:87] op_sel:[1,1] op_sel_hi:[0,1]
	v_pk_fma_f32 v[90:91], v[84:85], v[86:87], v[88:89] op_sel_hi:[1,0,1]
	v_pk_fma_f32 v[84:85], v[84:85], v[86:87], v[88:89] neg_lo:[0,0,1] neg_hi:[0,0,1]
	s_delay_alu instid0(VALU_DEP_2)
	v_mov_b32_e32 v85, v91
	scratch_store_b64 off, v[84:85], off offset:152
.LBB39_205:
	s_wait_xcnt 0x0
	s_or_b32 exec_lo, exec_lo, s15
	scratch_load_b64 v[84:85], off, off offset:144
	v_cmp_lt_u32_e64 s0, 18, v0
	s_wait_loadcnt 0x0
	ds_store_b64 v1, v[84:85]
	s_wait_storecnt_dscnt 0x0
	s_barrier_signal -1
	s_barrier_wait -1
	s_wait_xcnt 0x0
	s_and_saveexec_b32 s14, s0
	s_cbranch_execz .LBB39_215
; %bb.206:
	s_and_not1_b32 vcc_lo, exec_lo, s3
	s_cbranch_vccnz .LBB39_208
; %bb.207:
	scratch_load_b64 v[84:85], v37, off
	ds_load_b64 v[86:87], v1
	s_wait_loadcnt_dscnt 0x0
	v_pk_mul_f32 v[88:89], v[86:87], v[84:85] op_sel:[1,1] op_sel_hi:[0,1]
	s_delay_alu instid0(VALU_DEP_1) | instskip(SKIP_1) | instid1(VALU_DEP_2)
	v_pk_fma_f32 v[90:91], v[86:87], v[84:85], v[88:89] op_sel_hi:[1,0,1]
	v_pk_fma_f32 v[84:85], v[86:87], v[84:85], v[88:89] neg_lo:[0,0,1] neg_hi:[0,0,1]
	v_mov_b32_e32 v85, v91
	s_cbranch_execz .LBB39_209
	s_branch .LBB39_210
.LBB39_208:
                                        ; implicit-def: $vgpr84_vgpr85
.LBB39_209:
	ds_load_b64 v[84:85], v1
.LBB39_210:
	s_and_saveexec_b32 s15, s1
	s_cbranch_execz .LBB39_214
; %bb.211:
	v_subrev_nc_u32_e32 v86, 19, v0
	s_movk_i32 s1, 0x98
	s_movk_i32 s17, 0x1d8
	s_mov_b32 s16, 0
.LBB39_212:                             ; =>This Inner Loop Header: Depth=1
	scratch_load_b64 v[88:89], off, s1
	v_dual_mov_b32 v87, s17 :: v_dual_add_nc_u32 v86, -1, v86
	s_add_co_i32 s17, s17, 8
	s_wait_xcnt 0x0
	s_add_co_i32 s1, s1, 8
	ds_load_b64 v[90:91], v87
	v_cmp_eq_u32_e32 vcc_lo, 0, v86
	s_or_b32 s16, vcc_lo, s16
	s_wait_loadcnt_dscnt 0x0
	v_pk_mul_f32 v[92:93], v[90:91], v[88:89] op_sel:[1,1] op_sel_hi:[0,1]
	s_delay_alu instid0(VALU_DEP_1) | instskip(SKIP_1) | instid1(VALU_DEP_2)
	v_pk_fma_f32 v[94:95], v[90:91], v[88:89], v[92:93] op_sel_hi:[1,0,1]
	v_pk_fma_f32 v[88:89], v[90:91], v[88:89], v[92:93] neg_lo:[0,0,1] neg_hi:[0,0,1]
	v_mov_b32_e32 v89, v95
	s_delay_alu instid0(VALU_DEP_1)
	v_pk_add_f32 v[84:85], v[84:85], v[88:89]
	s_and_not1_b32 exec_lo, exec_lo, s16
	s_cbranch_execnz .LBB39_212
; %bb.213:
	s_or_b32 exec_lo, exec_lo, s16
.LBB39_214:
	s_delay_alu instid0(SALU_CYCLE_1) | instskip(SKIP_4) | instid1(VALU_DEP_1)
	s_or_b32 exec_lo, exec_lo, s15
	v_mov_b32_e32 v86, 0
	ds_load_b64 v[86:87], v86 offset:144
	s_wait_dscnt 0x0
	v_pk_mul_f32 v[88:89], v[84:85], v[86:87] op_sel:[1,1] op_sel_hi:[0,1]
	v_pk_fma_f32 v[90:91], v[84:85], v[86:87], v[88:89] op_sel_hi:[1,0,1]
	v_pk_fma_f32 v[84:85], v[84:85], v[86:87], v[88:89] neg_lo:[0,0,1] neg_hi:[0,0,1]
	s_delay_alu instid0(VALU_DEP_2)
	v_mov_b32_e32 v85, v91
	scratch_store_b64 off, v[84:85], off offset:144
.LBB39_215:
	s_wait_xcnt 0x0
	s_or_b32 exec_lo, exec_lo, s14
	scratch_load_b64 v[84:85], off, off offset:136
	v_cmp_lt_u32_e64 s1, 17, v0
	s_wait_loadcnt 0x0
	ds_store_b64 v1, v[84:85]
	s_wait_storecnt_dscnt 0x0
	s_barrier_signal -1
	s_barrier_wait -1
	s_wait_xcnt 0x0
	s_and_saveexec_b32 s14, s1
	s_cbranch_execz .LBB39_225
; %bb.216:
	s_and_not1_b32 vcc_lo, exec_lo, s3
	s_cbranch_vccnz .LBB39_218
; %bb.217:
	scratch_load_b64 v[84:85], v37, off
	ds_load_b64 v[86:87], v1
	s_wait_loadcnt_dscnt 0x0
	v_pk_mul_f32 v[88:89], v[86:87], v[84:85] op_sel:[1,1] op_sel_hi:[0,1]
	s_delay_alu instid0(VALU_DEP_1) | instskip(SKIP_1) | instid1(VALU_DEP_2)
	v_pk_fma_f32 v[90:91], v[86:87], v[84:85], v[88:89] op_sel_hi:[1,0,1]
	v_pk_fma_f32 v[84:85], v[86:87], v[84:85], v[88:89] neg_lo:[0,0,1] neg_hi:[0,0,1]
	v_mov_b32_e32 v85, v91
	s_cbranch_execz .LBB39_219
	s_branch .LBB39_220
.LBB39_218:
                                        ; implicit-def: $vgpr84_vgpr85
.LBB39_219:
	ds_load_b64 v[84:85], v1
.LBB39_220:
	s_and_saveexec_b32 s15, s0
	s_cbranch_execz .LBB39_224
; %bb.221:
	v_subrev_nc_u32_e32 v86, 18, v0
	s_movk_i32 s16, 0x1d0
	s_mov_b32 s0, 0
.LBB39_222:                             ; =>This Inner Loop Header: Depth=1
	scratch_load_b64 v[88:89], off, s13
	v_dual_mov_b32 v87, s16 :: v_dual_add_nc_u32 v86, -1, v86
	s_add_co_i32 s16, s16, 8
	s_wait_xcnt 0x0
	s_add_co_i32 s13, s13, 8
	ds_load_b64 v[90:91], v87
	v_cmp_eq_u32_e32 vcc_lo, 0, v86
	s_or_b32 s0, vcc_lo, s0
	s_wait_loadcnt_dscnt 0x0
	v_pk_mul_f32 v[92:93], v[90:91], v[88:89] op_sel:[1,1] op_sel_hi:[0,1]
	s_delay_alu instid0(VALU_DEP_1) | instskip(SKIP_1) | instid1(VALU_DEP_2)
	v_pk_fma_f32 v[94:95], v[90:91], v[88:89], v[92:93] op_sel_hi:[1,0,1]
	v_pk_fma_f32 v[88:89], v[90:91], v[88:89], v[92:93] neg_lo:[0,0,1] neg_hi:[0,0,1]
	v_mov_b32_e32 v89, v95
	s_delay_alu instid0(VALU_DEP_1)
	v_pk_add_f32 v[84:85], v[84:85], v[88:89]
	s_and_not1_b32 exec_lo, exec_lo, s0
	s_cbranch_execnz .LBB39_222
; %bb.223:
	s_or_b32 exec_lo, exec_lo, s0
.LBB39_224:
	s_delay_alu instid0(SALU_CYCLE_1) | instskip(SKIP_4) | instid1(VALU_DEP_1)
	s_or_b32 exec_lo, exec_lo, s15
	v_mov_b32_e32 v86, 0
	ds_load_b64 v[86:87], v86 offset:136
	s_wait_dscnt 0x0
	v_pk_mul_f32 v[88:89], v[84:85], v[86:87] op_sel:[1,1] op_sel_hi:[0,1]
	v_pk_fma_f32 v[90:91], v[84:85], v[86:87], v[88:89] op_sel_hi:[1,0,1]
	v_pk_fma_f32 v[84:85], v[84:85], v[86:87], v[88:89] neg_lo:[0,0,1] neg_hi:[0,0,1]
	s_delay_alu instid0(VALU_DEP_2)
	v_mov_b32_e32 v85, v91
	scratch_store_b64 off, v[84:85], off offset:136
.LBB39_225:
	s_wait_xcnt 0x0
	s_or_b32 exec_lo, exec_lo, s14
	scratch_load_b64 v[84:85], off, off offset:128
	v_cmp_lt_u32_e64 s0, 16, v0
	s_wait_loadcnt 0x0
	ds_store_b64 v1, v[84:85]
	s_wait_storecnt_dscnt 0x0
	s_barrier_signal -1
	s_barrier_wait -1
	s_wait_xcnt 0x0
	s_and_saveexec_b32 s13, s0
	s_cbranch_execz .LBB39_235
; %bb.226:
	s_and_not1_b32 vcc_lo, exec_lo, s3
	s_cbranch_vccnz .LBB39_228
; %bb.227:
	scratch_load_b64 v[84:85], v37, off
	ds_load_b64 v[86:87], v1
	s_wait_loadcnt_dscnt 0x0
	v_pk_mul_f32 v[88:89], v[86:87], v[84:85] op_sel:[1,1] op_sel_hi:[0,1]
	s_delay_alu instid0(VALU_DEP_1) | instskip(SKIP_1) | instid1(VALU_DEP_2)
	v_pk_fma_f32 v[90:91], v[86:87], v[84:85], v[88:89] op_sel_hi:[1,0,1]
	v_pk_fma_f32 v[84:85], v[86:87], v[84:85], v[88:89] neg_lo:[0,0,1] neg_hi:[0,0,1]
	v_mov_b32_e32 v85, v91
	s_cbranch_execz .LBB39_229
	s_branch .LBB39_230
.LBB39_228:
                                        ; implicit-def: $vgpr84_vgpr85
.LBB39_229:
	ds_load_b64 v[84:85], v1
.LBB39_230:
	s_and_saveexec_b32 s14, s1
	s_cbranch_execz .LBB39_234
; %bb.231:
	v_subrev_nc_u32_e32 v86, 17, v0
	s_movk_i32 s1, 0x88
	s_movk_i32 s16, 0x1c8
	s_mov_b32 s15, 0
.LBB39_232:                             ; =>This Inner Loop Header: Depth=1
	scratch_load_b64 v[88:89], off, s1
	v_dual_mov_b32 v87, s16 :: v_dual_add_nc_u32 v86, -1, v86
	s_add_co_i32 s16, s16, 8
	s_wait_xcnt 0x0
	s_add_co_i32 s1, s1, 8
	ds_load_b64 v[90:91], v87
	v_cmp_eq_u32_e32 vcc_lo, 0, v86
	s_or_b32 s15, vcc_lo, s15
	s_wait_loadcnt_dscnt 0x0
	v_pk_mul_f32 v[92:93], v[90:91], v[88:89] op_sel:[1,1] op_sel_hi:[0,1]
	s_delay_alu instid0(VALU_DEP_1) | instskip(SKIP_1) | instid1(VALU_DEP_2)
	v_pk_fma_f32 v[94:95], v[90:91], v[88:89], v[92:93] op_sel_hi:[1,0,1]
	v_pk_fma_f32 v[88:89], v[90:91], v[88:89], v[92:93] neg_lo:[0,0,1] neg_hi:[0,0,1]
	v_mov_b32_e32 v89, v95
	s_delay_alu instid0(VALU_DEP_1)
	v_pk_add_f32 v[84:85], v[84:85], v[88:89]
	s_and_not1_b32 exec_lo, exec_lo, s15
	s_cbranch_execnz .LBB39_232
; %bb.233:
	s_or_b32 exec_lo, exec_lo, s15
.LBB39_234:
	s_delay_alu instid0(SALU_CYCLE_1) | instskip(SKIP_4) | instid1(VALU_DEP_1)
	s_or_b32 exec_lo, exec_lo, s14
	v_mov_b32_e32 v86, 0
	ds_load_b64 v[86:87], v86 offset:128
	s_wait_dscnt 0x0
	v_pk_mul_f32 v[88:89], v[84:85], v[86:87] op_sel:[1,1] op_sel_hi:[0,1]
	v_pk_fma_f32 v[90:91], v[84:85], v[86:87], v[88:89] op_sel_hi:[1,0,1]
	v_pk_fma_f32 v[84:85], v[84:85], v[86:87], v[88:89] neg_lo:[0,0,1] neg_hi:[0,0,1]
	s_delay_alu instid0(VALU_DEP_2)
	v_mov_b32_e32 v85, v91
	scratch_store_b64 off, v[84:85], off offset:128
.LBB39_235:
	s_wait_xcnt 0x0
	s_or_b32 exec_lo, exec_lo, s13
	scratch_load_b64 v[84:85], off, off offset:120
	v_cmp_lt_u32_e64 s1, 15, v0
	s_wait_loadcnt 0x0
	ds_store_b64 v1, v[84:85]
	s_wait_storecnt_dscnt 0x0
	s_barrier_signal -1
	s_barrier_wait -1
	s_wait_xcnt 0x0
	s_and_saveexec_b32 s13, s1
	s_cbranch_execz .LBB39_245
; %bb.236:
	s_and_not1_b32 vcc_lo, exec_lo, s3
	s_cbranch_vccnz .LBB39_238
; %bb.237:
	scratch_load_b64 v[84:85], v37, off
	ds_load_b64 v[86:87], v1
	s_wait_loadcnt_dscnt 0x0
	v_pk_mul_f32 v[88:89], v[86:87], v[84:85] op_sel:[1,1] op_sel_hi:[0,1]
	s_delay_alu instid0(VALU_DEP_1) | instskip(SKIP_1) | instid1(VALU_DEP_2)
	v_pk_fma_f32 v[90:91], v[86:87], v[84:85], v[88:89] op_sel_hi:[1,0,1]
	v_pk_fma_f32 v[84:85], v[86:87], v[84:85], v[88:89] neg_lo:[0,0,1] neg_hi:[0,0,1]
	v_mov_b32_e32 v85, v91
	s_cbranch_execz .LBB39_239
	s_branch .LBB39_240
.LBB39_238:
                                        ; implicit-def: $vgpr84_vgpr85
.LBB39_239:
	ds_load_b64 v[84:85], v1
.LBB39_240:
	s_and_saveexec_b32 s14, s0
	s_cbranch_execz .LBB39_244
; %bb.241:
	v_add_nc_u32_e32 v86, -16, v0
	s_movk_i32 s15, 0x1c0
	s_mov_b32 s0, 0
.LBB39_242:                             ; =>This Inner Loop Header: Depth=1
	scratch_load_b64 v[88:89], off, s12
	v_dual_mov_b32 v87, s15 :: v_dual_add_nc_u32 v86, -1, v86
	s_add_co_i32 s15, s15, 8
	s_wait_xcnt 0x0
	s_add_co_i32 s12, s12, 8
	ds_load_b64 v[90:91], v87
	v_cmp_eq_u32_e32 vcc_lo, 0, v86
	s_or_b32 s0, vcc_lo, s0
	s_wait_loadcnt_dscnt 0x0
	v_pk_mul_f32 v[92:93], v[90:91], v[88:89] op_sel:[1,1] op_sel_hi:[0,1]
	s_delay_alu instid0(VALU_DEP_1) | instskip(SKIP_1) | instid1(VALU_DEP_2)
	v_pk_fma_f32 v[94:95], v[90:91], v[88:89], v[92:93] op_sel_hi:[1,0,1]
	v_pk_fma_f32 v[88:89], v[90:91], v[88:89], v[92:93] neg_lo:[0,0,1] neg_hi:[0,0,1]
	v_mov_b32_e32 v89, v95
	s_delay_alu instid0(VALU_DEP_1)
	v_pk_add_f32 v[84:85], v[84:85], v[88:89]
	s_and_not1_b32 exec_lo, exec_lo, s0
	s_cbranch_execnz .LBB39_242
; %bb.243:
	s_or_b32 exec_lo, exec_lo, s0
.LBB39_244:
	s_delay_alu instid0(SALU_CYCLE_1) | instskip(SKIP_4) | instid1(VALU_DEP_1)
	s_or_b32 exec_lo, exec_lo, s14
	v_mov_b32_e32 v86, 0
	ds_load_b64 v[86:87], v86 offset:120
	s_wait_dscnt 0x0
	v_pk_mul_f32 v[88:89], v[84:85], v[86:87] op_sel:[1,1] op_sel_hi:[0,1]
	v_pk_fma_f32 v[90:91], v[84:85], v[86:87], v[88:89] op_sel_hi:[1,0,1]
	v_pk_fma_f32 v[84:85], v[84:85], v[86:87], v[88:89] neg_lo:[0,0,1] neg_hi:[0,0,1]
	s_delay_alu instid0(VALU_DEP_2)
	v_mov_b32_e32 v85, v91
	scratch_store_b64 off, v[84:85], off offset:120
.LBB39_245:
	s_wait_xcnt 0x0
	s_or_b32 exec_lo, exec_lo, s13
	scratch_load_b64 v[84:85], off, off offset:112
	v_cmp_lt_u32_e64 s0, 14, v0
	s_wait_loadcnt 0x0
	ds_store_b64 v1, v[84:85]
	s_wait_storecnt_dscnt 0x0
	s_barrier_signal -1
	s_barrier_wait -1
	s_wait_xcnt 0x0
	s_and_saveexec_b32 s12, s0
	s_cbranch_execz .LBB39_255
; %bb.246:
	s_and_not1_b32 vcc_lo, exec_lo, s3
	s_cbranch_vccnz .LBB39_248
; %bb.247:
	scratch_load_b64 v[84:85], v37, off
	ds_load_b64 v[86:87], v1
	s_wait_loadcnt_dscnt 0x0
	v_pk_mul_f32 v[88:89], v[86:87], v[84:85] op_sel:[1,1] op_sel_hi:[0,1]
	s_delay_alu instid0(VALU_DEP_1) | instskip(SKIP_1) | instid1(VALU_DEP_2)
	v_pk_fma_f32 v[90:91], v[86:87], v[84:85], v[88:89] op_sel_hi:[1,0,1]
	v_pk_fma_f32 v[84:85], v[86:87], v[84:85], v[88:89] neg_lo:[0,0,1] neg_hi:[0,0,1]
	v_mov_b32_e32 v85, v91
	s_cbranch_execz .LBB39_249
	s_branch .LBB39_250
.LBB39_248:
                                        ; implicit-def: $vgpr84_vgpr85
.LBB39_249:
	ds_load_b64 v[84:85], v1
.LBB39_250:
	s_and_saveexec_b32 s13, s1
	s_cbranch_execz .LBB39_254
; %bb.251:
	v_add_nc_u32_e32 v86, -15, v0
	s_movk_i32 s1, 0x78
	s_movk_i32 s15, 0x1b8
	s_mov_b32 s14, 0
.LBB39_252:                             ; =>This Inner Loop Header: Depth=1
	scratch_load_b64 v[88:89], off, s1
	v_dual_mov_b32 v87, s15 :: v_dual_add_nc_u32 v86, -1, v86
	s_add_co_i32 s15, s15, 8
	s_wait_xcnt 0x0
	s_add_co_i32 s1, s1, 8
	ds_load_b64 v[90:91], v87
	v_cmp_eq_u32_e32 vcc_lo, 0, v86
	s_or_b32 s14, vcc_lo, s14
	s_wait_loadcnt_dscnt 0x0
	v_pk_mul_f32 v[92:93], v[90:91], v[88:89] op_sel:[1,1] op_sel_hi:[0,1]
	s_delay_alu instid0(VALU_DEP_1) | instskip(SKIP_1) | instid1(VALU_DEP_2)
	v_pk_fma_f32 v[94:95], v[90:91], v[88:89], v[92:93] op_sel_hi:[1,0,1]
	v_pk_fma_f32 v[88:89], v[90:91], v[88:89], v[92:93] neg_lo:[0,0,1] neg_hi:[0,0,1]
	v_mov_b32_e32 v89, v95
	s_delay_alu instid0(VALU_DEP_1)
	v_pk_add_f32 v[84:85], v[84:85], v[88:89]
	s_and_not1_b32 exec_lo, exec_lo, s14
	s_cbranch_execnz .LBB39_252
; %bb.253:
	s_or_b32 exec_lo, exec_lo, s14
.LBB39_254:
	s_delay_alu instid0(SALU_CYCLE_1) | instskip(SKIP_4) | instid1(VALU_DEP_1)
	s_or_b32 exec_lo, exec_lo, s13
	v_mov_b32_e32 v86, 0
	ds_load_b64 v[86:87], v86 offset:112
	s_wait_dscnt 0x0
	v_pk_mul_f32 v[88:89], v[84:85], v[86:87] op_sel:[1,1] op_sel_hi:[0,1]
	v_pk_fma_f32 v[90:91], v[84:85], v[86:87], v[88:89] op_sel_hi:[1,0,1]
	v_pk_fma_f32 v[84:85], v[84:85], v[86:87], v[88:89] neg_lo:[0,0,1] neg_hi:[0,0,1]
	s_delay_alu instid0(VALU_DEP_2)
	v_mov_b32_e32 v85, v91
	scratch_store_b64 off, v[84:85], off offset:112
.LBB39_255:
	s_wait_xcnt 0x0
	s_or_b32 exec_lo, exec_lo, s12
	scratch_load_b64 v[84:85], off, off offset:104
	v_cmp_lt_u32_e64 s1, 13, v0
	s_wait_loadcnt 0x0
	ds_store_b64 v1, v[84:85]
	s_wait_storecnt_dscnt 0x0
	s_barrier_signal -1
	s_barrier_wait -1
	s_wait_xcnt 0x0
	s_and_saveexec_b32 s12, s1
	s_cbranch_execz .LBB39_265
; %bb.256:
	s_and_not1_b32 vcc_lo, exec_lo, s3
	s_cbranch_vccnz .LBB39_258
; %bb.257:
	scratch_load_b64 v[84:85], v37, off
	ds_load_b64 v[86:87], v1
	s_wait_loadcnt_dscnt 0x0
	v_pk_mul_f32 v[88:89], v[86:87], v[84:85] op_sel:[1,1] op_sel_hi:[0,1]
	s_delay_alu instid0(VALU_DEP_1) | instskip(SKIP_1) | instid1(VALU_DEP_2)
	v_pk_fma_f32 v[90:91], v[86:87], v[84:85], v[88:89] op_sel_hi:[1,0,1]
	v_pk_fma_f32 v[84:85], v[86:87], v[84:85], v[88:89] neg_lo:[0,0,1] neg_hi:[0,0,1]
	v_mov_b32_e32 v85, v91
	s_cbranch_execz .LBB39_259
	s_branch .LBB39_260
.LBB39_258:
                                        ; implicit-def: $vgpr84_vgpr85
.LBB39_259:
	ds_load_b64 v[84:85], v1
.LBB39_260:
	s_and_saveexec_b32 s13, s0
	s_cbranch_execz .LBB39_264
; %bb.261:
	v_add_nc_u32_e32 v86, -14, v0
	s_movk_i32 s14, 0x1b0
	s_mov_b32 s0, 0
.LBB39_262:                             ; =>This Inner Loop Header: Depth=1
	scratch_load_b64 v[88:89], off, s11
	v_dual_mov_b32 v87, s14 :: v_dual_add_nc_u32 v86, -1, v86
	s_add_co_i32 s14, s14, 8
	s_wait_xcnt 0x0
	s_add_co_i32 s11, s11, 8
	ds_load_b64 v[90:91], v87
	v_cmp_eq_u32_e32 vcc_lo, 0, v86
	s_or_b32 s0, vcc_lo, s0
	s_wait_loadcnt_dscnt 0x0
	v_pk_mul_f32 v[92:93], v[90:91], v[88:89] op_sel:[1,1] op_sel_hi:[0,1]
	s_delay_alu instid0(VALU_DEP_1) | instskip(SKIP_1) | instid1(VALU_DEP_2)
	v_pk_fma_f32 v[94:95], v[90:91], v[88:89], v[92:93] op_sel_hi:[1,0,1]
	v_pk_fma_f32 v[88:89], v[90:91], v[88:89], v[92:93] neg_lo:[0,0,1] neg_hi:[0,0,1]
	v_mov_b32_e32 v89, v95
	s_delay_alu instid0(VALU_DEP_1)
	v_pk_add_f32 v[84:85], v[84:85], v[88:89]
	s_and_not1_b32 exec_lo, exec_lo, s0
	s_cbranch_execnz .LBB39_262
; %bb.263:
	s_or_b32 exec_lo, exec_lo, s0
.LBB39_264:
	s_delay_alu instid0(SALU_CYCLE_1) | instskip(SKIP_4) | instid1(VALU_DEP_1)
	s_or_b32 exec_lo, exec_lo, s13
	v_mov_b32_e32 v86, 0
	ds_load_b64 v[86:87], v86 offset:104
	s_wait_dscnt 0x0
	v_pk_mul_f32 v[88:89], v[84:85], v[86:87] op_sel:[1,1] op_sel_hi:[0,1]
	v_pk_fma_f32 v[90:91], v[84:85], v[86:87], v[88:89] op_sel_hi:[1,0,1]
	v_pk_fma_f32 v[84:85], v[84:85], v[86:87], v[88:89] neg_lo:[0,0,1] neg_hi:[0,0,1]
	s_delay_alu instid0(VALU_DEP_2)
	v_mov_b32_e32 v85, v91
	scratch_store_b64 off, v[84:85], off offset:104
.LBB39_265:
	s_wait_xcnt 0x0
	s_or_b32 exec_lo, exec_lo, s12
	scratch_load_b64 v[84:85], off, off offset:96
	v_cmp_lt_u32_e64 s0, 12, v0
	s_wait_loadcnt 0x0
	ds_store_b64 v1, v[84:85]
	s_wait_storecnt_dscnt 0x0
	s_barrier_signal -1
	s_barrier_wait -1
	s_wait_xcnt 0x0
	s_and_saveexec_b32 s11, s0
	s_cbranch_execz .LBB39_275
; %bb.266:
	s_and_not1_b32 vcc_lo, exec_lo, s3
	s_cbranch_vccnz .LBB39_268
; %bb.267:
	scratch_load_b64 v[84:85], v37, off
	ds_load_b64 v[86:87], v1
	s_wait_loadcnt_dscnt 0x0
	v_pk_mul_f32 v[88:89], v[86:87], v[84:85] op_sel:[1,1] op_sel_hi:[0,1]
	s_delay_alu instid0(VALU_DEP_1) | instskip(SKIP_1) | instid1(VALU_DEP_2)
	v_pk_fma_f32 v[90:91], v[86:87], v[84:85], v[88:89] op_sel_hi:[1,0,1]
	v_pk_fma_f32 v[84:85], v[86:87], v[84:85], v[88:89] neg_lo:[0,0,1] neg_hi:[0,0,1]
	v_mov_b32_e32 v85, v91
	s_cbranch_execz .LBB39_269
	s_branch .LBB39_270
.LBB39_268:
                                        ; implicit-def: $vgpr84_vgpr85
.LBB39_269:
	ds_load_b64 v[84:85], v1
.LBB39_270:
	s_and_saveexec_b32 s12, s1
	s_cbranch_execz .LBB39_274
; %bb.271:
	v_add_nc_u32_e32 v86, -13, v0
	s_movk_i32 s1, 0x68
	s_movk_i32 s14, 0x1a8
	s_mov_b32 s13, 0
.LBB39_272:                             ; =>This Inner Loop Header: Depth=1
	scratch_load_b64 v[88:89], off, s1
	v_dual_mov_b32 v87, s14 :: v_dual_add_nc_u32 v86, -1, v86
	s_add_co_i32 s14, s14, 8
	s_wait_xcnt 0x0
	s_add_co_i32 s1, s1, 8
	ds_load_b64 v[90:91], v87
	v_cmp_eq_u32_e32 vcc_lo, 0, v86
	s_or_b32 s13, vcc_lo, s13
	s_wait_loadcnt_dscnt 0x0
	v_pk_mul_f32 v[92:93], v[90:91], v[88:89] op_sel:[1,1] op_sel_hi:[0,1]
	s_delay_alu instid0(VALU_DEP_1) | instskip(SKIP_1) | instid1(VALU_DEP_2)
	v_pk_fma_f32 v[94:95], v[90:91], v[88:89], v[92:93] op_sel_hi:[1,0,1]
	v_pk_fma_f32 v[88:89], v[90:91], v[88:89], v[92:93] neg_lo:[0,0,1] neg_hi:[0,0,1]
	v_mov_b32_e32 v89, v95
	s_delay_alu instid0(VALU_DEP_1)
	v_pk_add_f32 v[84:85], v[84:85], v[88:89]
	s_and_not1_b32 exec_lo, exec_lo, s13
	s_cbranch_execnz .LBB39_272
; %bb.273:
	s_or_b32 exec_lo, exec_lo, s13
.LBB39_274:
	s_delay_alu instid0(SALU_CYCLE_1) | instskip(SKIP_4) | instid1(VALU_DEP_1)
	s_or_b32 exec_lo, exec_lo, s12
	v_mov_b32_e32 v86, 0
	ds_load_b64 v[86:87], v86 offset:96
	s_wait_dscnt 0x0
	v_pk_mul_f32 v[88:89], v[84:85], v[86:87] op_sel:[1,1] op_sel_hi:[0,1]
	v_pk_fma_f32 v[90:91], v[84:85], v[86:87], v[88:89] op_sel_hi:[1,0,1]
	v_pk_fma_f32 v[84:85], v[84:85], v[86:87], v[88:89] neg_lo:[0,0,1] neg_hi:[0,0,1]
	s_delay_alu instid0(VALU_DEP_2)
	v_mov_b32_e32 v85, v91
	scratch_store_b64 off, v[84:85], off offset:96
.LBB39_275:
	s_wait_xcnt 0x0
	s_or_b32 exec_lo, exec_lo, s11
	scratch_load_b64 v[84:85], off, off offset:88
	v_cmp_lt_u32_e64 s1, 11, v0
	s_wait_loadcnt 0x0
	ds_store_b64 v1, v[84:85]
	s_wait_storecnt_dscnt 0x0
	s_barrier_signal -1
	s_barrier_wait -1
	s_wait_xcnt 0x0
	s_and_saveexec_b32 s11, s1
	s_cbranch_execz .LBB39_285
; %bb.276:
	s_and_not1_b32 vcc_lo, exec_lo, s3
	s_cbranch_vccnz .LBB39_278
; %bb.277:
	scratch_load_b64 v[84:85], v37, off
	ds_load_b64 v[86:87], v1
	s_wait_loadcnt_dscnt 0x0
	v_pk_mul_f32 v[88:89], v[86:87], v[84:85] op_sel:[1,1] op_sel_hi:[0,1]
	s_delay_alu instid0(VALU_DEP_1) | instskip(SKIP_1) | instid1(VALU_DEP_2)
	v_pk_fma_f32 v[90:91], v[86:87], v[84:85], v[88:89] op_sel_hi:[1,0,1]
	v_pk_fma_f32 v[84:85], v[86:87], v[84:85], v[88:89] neg_lo:[0,0,1] neg_hi:[0,0,1]
	v_mov_b32_e32 v85, v91
	s_cbranch_execz .LBB39_279
	s_branch .LBB39_280
.LBB39_278:
                                        ; implicit-def: $vgpr84_vgpr85
.LBB39_279:
	ds_load_b64 v[84:85], v1
.LBB39_280:
	s_and_saveexec_b32 s12, s0
	s_cbranch_execz .LBB39_284
; %bb.281:
	v_add_nc_u32_e32 v86, -12, v0
	s_movk_i32 s13, 0x1a0
	s_mov_b32 s0, 0
.LBB39_282:                             ; =>This Inner Loop Header: Depth=1
	scratch_load_b64 v[88:89], off, s10
	v_dual_mov_b32 v87, s13 :: v_dual_add_nc_u32 v86, -1, v86
	s_add_co_i32 s13, s13, 8
	s_wait_xcnt 0x0
	s_add_co_i32 s10, s10, 8
	ds_load_b64 v[90:91], v87
	v_cmp_eq_u32_e32 vcc_lo, 0, v86
	s_or_b32 s0, vcc_lo, s0
	s_wait_loadcnt_dscnt 0x0
	v_pk_mul_f32 v[92:93], v[90:91], v[88:89] op_sel:[1,1] op_sel_hi:[0,1]
	s_delay_alu instid0(VALU_DEP_1) | instskip(SKIP_1) | instid1(VALU_DEP_2)
	v_pk_fma_f32 v[94:95], v[90:91], v[88:89], v[92:93] op_sel_hi:[1,0,1]
	v_pk_fma_f32 v[88:89], v[90:91], v[88:89], v[92:93] neg_lo:[0,0,1] neg_hi:[0,0,1]
	v_mov_b32_e32 v89, v95
	s_delay_alu instid0(VALU_DEP_1)
	v_pk_add_f32 v[84:85], v[84:85], v[88:89]
	s_and_not1_b32 exec_lo, exec_lo, s0
	s_cbranch_execnz .LBB39_282
; %bb.283:
	s_or_b32 exec_lo, exec_lo, s0
.LBB39_284:
	s_delay_alu instid0(SALU_CYCLE_1) | instskip(SKIP_4) | instid1(VALU_DEP_1)
	s_or_b32 exec_lo, exec_lo, s12
	v_mov_b32_e32 v86, 0
	ds_load_b64 v[86:87], v86 offset:88
	s_wait_dscnt 0x0
	v_pk_mul_f32 v[88:89], v[84:85], v[86:87] op_sel:[1,1] op_sel_hi:[0,1]
	v_pk_fma_f32 v[90:91], v[84:85], v[86:87], v[88:89] op_sel_hi:[1,0,1]
	v_pk_fma_f32 v[84:85], v[84:85], v[86:87], v[88:89] neg_lo:[0,0,1] neg_hi:[0,0,1]
	s_delay_alu instid0(VALU_DEP_2)
	v_mov_b32_e32 v85, v91
	scratch_store_b64 off, v[84:85], off offset:88
.LBB39_285:
	s_wait_xcnt 0x0
	s_or_b32 exec_lo, exec_lo, s11
	scratch_load_b64 v[84:85], off, off offset:80
	v_cmp_lt_u32_e64 s0, 10, v0
	s_wait_loadcnt 0x0
	ds_store_b64 v1, v[84:85]
	s_wait_storecnt_dscnt 0x0
	s_barrier_signal -1
	s_barrier_wait -1
	s_wait_xcnt 0x0
	s_and_saveexec_b32 s10, s0
	s_cbranch_execz .LBB39_295
; %bb.286:
	s_and_not1_b32 vcc_lo, exec_lo, s3
	s_cbranch_vccnz .LBB39_288
; %bb.287:
	scratch_load_b64 v[84:85], v37, off
	ds_load_b64 v[86:87], v1
	s_wait_loadcnt_dscnt 0x0
	v_pk_mul_f32 v[88:89], v[86:87], v[84:85] op_sel:[1,1] op_sel_hi:[0,1]
	s_delay_alu instid0(VALU_DEP_1) | instskip(SKIP_1) | instid1(VALU_DEP_2)
	v_pk_fma_f32 v[90:91], v[86:87], v[84:85], v[88:89] op_sel_hi:[1,0,1]
	v_pk_fma_f32 v[84:85], v[86:87], v[84:85], v[88:89] neg_lo:[0,0,1] neg_hi:[0,0,1]
	v_mov_b32_e32 v85, v91
	s_cbranch_execz .LBB39_289
	s_branch .LBB39_290
.LBB39_288:
                                        ; implicit-def: $vgpr84_vgpr85
.LBB39_289:
	ds_load_b64 v[84:85], v1
.LBB39_290:
	s_and_saveexec_b32 s11, s1
	s_cbranch_execz .LBB39_294
; %bb.291:
	v_add_nc_u32_e32 v86, -11, v0
	s_movk_i32 s1, 0x58
	s_movk_i32 s13, 0x198
	s_mov_b32 s12, 0
.LBB39_292:                             ; =>This Inner Loop Header: Depth=1
	scratch_load_b64 v[88:89], off, s1
	v_dual_mov_b32 v87, s13 :: v_dual_add_nc_u32 v86, -1, v86
	s_add_co_i32 s13, s13, 8
	s_wait_xcnt 0x0
	s_add_co_i32 s1, s1, 8
	ds_load_b64 v[90:91], v87
	v_cmp_eq_u32_e32 vcc_lo, 0, v86
	s_or_b32 s12, vcc_lo, s12
	s_wait_loadcnt_dscnt 0x0
	v_pk_mul_f32 v[92:93], v[90:91], v[88:89] op_sel:[1,1] op_sel_hi:[0,1]
	s_delay_alu instid0(VALU_DEP_1) | instskip(SKIP_1) | instid1(VALU_DEP_2)
	v_pk_fma_f32 v[94:95], v[90:91], v[88:89], v[92:93] op_sel_hi:[1,0,1]
	v_pk_fma_f32 v[88:89], v[90:91], v[88:89], v[92:93] neg_lo:[0,0,1] neg_hi:[0,0,1]
	v_mov_b32_e32 v89, v95
	s_delay_alu instid0(VALU_DEP_1)
	v_pk_add_f32 v[84:85], v[84:85], v[88:89]
	s_and_not1_b32 exec_lo, exec_lo, s12
	s_cbranch_execnz .LBB39_292
; %bb.293:
	s_or_b32 exec_lo, exec_lo, s12
.LBB39_294:
	s_delay_alu instid0(SALU_CYCLE_1) | instskip(SKIP_4) | instid1(VALU_DEP_1)
	s_or_b32 exec_lo, exec_lo, s11
	v_mov_b32_e32 v86, 0
	ds_load_b64 v[86:87], v86 offset:80
	s_wait_dscnt 0x0
	v_pk_mul_f32 v[88:89], v[84:85], v[86:87] op_sel:[1,1] op_sel_hi:[0,1]
	v_pk_fma_f32 v[90:91], v[84:85], v[86:87], v[88:89] op_sel_hi:[1,0,1]
	v_pk_fma_f32 v[84:85], v[84:85], v[86:87], v[88:89] neg_lo:[0,0,1] neg_hi:[0,0,1]
	s_delay_alu instid0(VALU_DEP_2)
	v_mov_b32_e32 v85, v91
	scratch_store_b64 off, v[84:85], off offset:80
.LBB39_295:
	s_wait_xcnt 0x0
	s_or_b32 exec_lo, exec_lo, s10
	scratch_load_b64 v[84:85], off, off offset:72
	v_cmp_lt_u32_e64 s1, 9, v0
	s_wait_loadcnt 0x0
	ds_store_b64 v1, v[84:85]
	s_wait_storecnt_dscnt 0x0
	s_barrier_signal -1
	s_barrier_wait -1
	s_wait_xcnt 0x0
	s_and_saveexec_b32 s10, s1
	s_cbranch_execz .LBB39_305
; %bb.296:
	s_and_not1_b32 vcc_lo, exec_lo, s3
	s_cbranch_vccnz .LBB39_298
; %bb.297:
	scratch_load_b64 v[84:85], v37, off
	ds_load_b64 v[86:87], v1
	s_wait_loadcnt_dscnt 0x0
	v_pk_mul_f32 v[88:89], v[86:87], v[84:85] op_sel:[1,1] op_sel_hi:[0,1]
	s_delay_alu instid0(VALU_DEP_1) | instskip(SKIP_1) | instid1(VALU_DEP_2)
	v_pk_fma_f32 v[90:91], v[86:87], v[84:85], v[88:89] op_sel_hi:[1,0,1]
	v_pk_fma_f32 v[84:85], v[86:87], v[84:85], v[88:89] neg_lo:[0,0,1] neg_hi:[0,0,1]
	v_mov_b32_e32 v85, v91
	s_cbranch_execz .LBB39_299
	s_branch .LBB39_300
.LBB39_298:
                                        ; implicit-def: $vgpr84_vgpr85
.LBB39_299:
	ds_load_b64 v[84:85], v1
.LBB39_300:
	s_and_saveexec_b32 s11, s0
	s_cbranch_execz .LBB39_304
; %bb.301:
	v_add_nc_u32_e32 v86, -10, v0
	s_movk_i32 s12, 0x190
	s_mov_b32 s0, 0
.LBB39_302:                             ; =>This Inner Loop Header: Depth=1
	scratch_load_b64 v[88:89], off, s9
	v_dual_mov_b32 v87, s12 :: v_dual_add_nc_u32 v86, -1, v86
	s_add_co_i32 s12, s12, 8
	s_wait_xcnt 0x0
	s_add_co_i32 s9, s9, 8
	ds_load_b64 v[90:91], v87
	v_cmp_eq_u32_e32 vcc_lo, 0, v86
	s_or_b32 s0, vcc_lo, s0
	s_wait_loadcnt_dscnt 0x0
	v_pk_mul_f32 v[92:93], v[90:91], v[88:89] op_sel:[1,1] op_sel_hi:[0,1]
	s_delay_alu instid0(VALU_DEP_1) | instskip(SKIP_1) | instid1(VALU_DEP_2)
	v_pk_fma_f32 v[94:95], v[90:91], v[88:89], v[92:93] op_sel_hi:[1,0,1]
	v_pk_fma_f32 v[88:89], v[90:91], v[88:89], v[92:93] neg_lo:[0,0,1] neg_hi:[0,0,1]
	v_mov_b32_e32 v89, v95
	s_delay_alu instid0(VALU_DEP_1)
	v_pk_add_f32 v[84:85], v[84:85], v[88:89]
	s_and_not1_b32 exec_lo, exec_lo, s0
	s_cbranch_execnz .LBB39_302
; %bb.303:
	s_or_b32 exec_lo, exec_lo, s0
.LBB39_304:
	s_delay_alu instid0(SALU_CYCLE_1) | instskip(SKIP_4) | instid1(VALU_DEP_1)
	s_or_b32 exec_lo, exec_lo, s11
	v_mov_b32_e32 v86, 0
	ds_load_b64 v[86:87], v86 offset:72
	s_wait_dscnt 0x0
	v_pk_mul_f32 v[88:89], v[84:85], v[86:87] op_sel:[1,1] op_sel_hi:[0,1]
	v_pk_fma_f32 v[90:91], v[84:85], v[86:87], v[88:89] op_sel_hi:[1,0,1]
	v_pk_fma_f32 v[84:85], v[84:85], v[86:87], v[88:89] neg_lo:[0,0,1] neg_hi:[0,0,1]
	s_delay_alu instid0(VALU_DEP_2)
	v_mov_b32_e32 v85, v91
	scratch_store_b64 off, v[84:85], off offset:72
.LBB39_305:
	s_wait_xcnt 0x0
	s_or_b32 exec_lo, exec_lo, s10
	scratch_load_b64 v[84:85], off, off offset:64
	v_cmp_lt_u32_e64 s0, 8, v0
	s_wait_loadcnt 0x0
	ds_store_b64 v1, v[84:85]
	s_wait_storecnt_dscnt 0x0
	s_barrier_signal -1
	s_barrier_wait -1
	s_wait_xcnt 0x0
	s_and_saveexec_b32 s9, s0
	s_cbranch_execz .LBB39_315
; %bb.306:
	s_and_not1_b32 vcc_lo, exec_lo, s3
	s_cbranch_vccnz .LBB39_308
; %bb.307:
	scratch_load_b64 v[84:85], v37, off
	ds_load_b64 v[86:87], v1
	s_wait_loadcnt_dscnt 0x0
	v_pk_mul_f32 v[88:89], v[86:87], v[84:85] op_sel:[1,1] op_sel_hi:[0,1]
	s_delay_alu instid0(VALU_DEP_1) | instskip(SKIP_1) | instid1(VALU_DEP_2)
	v_pk_fma_f32 v[90:91], v[86:87], v[84:85], v[88:89] op_sel_hi:[1,0,1]
	v_pk_fma_f32 v[84:85], v[86:87], v[84:85], v[88:89] neg_lo:[0,0,1] neg_hi:[0,0,1]
	v_mov_b32_e32 v85, v91
	s_cbranch_execz .LBB39_309
	s_branch .LBB39_310
.LBB39_308:
                                        ; implicit-def: $vgpr84_vgpr85
.LBB39_309:
	ds_load_b64 v[84:85], v1
.LBB39_310:
	s_and_saveexec_b32 s10, s1
	s_cbranch_execz .LBB39_314
; %bb.311:
	v_add_nc_u32_e32 v86, -9, v0
	s_movk_i32 s1, 0x48
	s_movk_i32 s12, 0x188
	s_mov_b32 s11, 0
.LBB39_312:                             ; =>This Inner Loop Header: Depth=1
	scratch_load_b64 v[88:89], off, s1
	v_dual_mov_b32 v87, s12 :: v_dual_add_nc_u32 v86, -1, v86
	s_add_co_i32 s12, s12, 8
	s_wait_xcnt 0x0
	s_add_co_i32 s1, s1, 8
	ds_load_b64 v[90:91], v87
	v_cmp_eq_u32_e32 vcc_lo, 0, v86
	s_or_b32 s11, vcc_lo, s11
	s_wait_loadcnt_dscnt 0x0
	v_pk_mul_f32 v[92:93], v[90:91], v[88:89] op_sel:[1,1] op_sel_hi:[0,1]
	s_delay_alu instid0(VALU_DEP_1) | instskip(SKIP_1) | instid1(VALU_DEP_2)
	v_pk_fma_f32 v[94:95], v[90:91], v[88:89], v[92:93] op_sel_hi:[1,0,1]
	v_pk_fma_f32 v[88:89], v[90:91], v[88:89], v[92:93] neg_lo:[0,0,1] neg_hi:[0,0,1]
	v_mov_b32_e32 v89, v95
	s_delay_alu instid0(VALU_DEP_1)
	v_pk_add_f32 v[84:85], v[84:85], v[88:89]
	s_and_not1_b32 exec_lo, exec_lo, s11
	s_cbranch_execnz .LBB39_312
; %bb.313:
	s_or_b32 exec_lo, exec_lo, s11
.LBB39_314:
	s_delay_alu instid0(SALU_CYCLE_1) | instskip(SKIP_4) | instid1(VALU_DEP_1)
	s_or_b32 exec_lo, exec_lo, s10
	v_mov_b32_e32 v86, 0
	ds_load_b64 v[86:87], v86 offset:64
	s_wait_dscnt 0x0
	v_pk_mul_f32 v[88:89], v[84:85], v[86:87] op_sel:[1,1] op_sel_hi:[0,1]
	v_pk_fma_f32 v[90:91], v[84:85], v[86:87], v[88:89] op_sel_hi:[1,0,1]
	v_pk_fma_f32 v[84:85], v[84:85], v[86:87], v[88:89] neg_lo:[0,0,1] neg_hi:[0,0,1]
	s_delay_alu instid0(VALU_DEP_2)
	v_mov_b32_e32 v85, v91
	scratch_store_b64 off, v[84:85], off offset:64
.LBB39_315:
	s_wait_xcnt 0x0
	s_or_b32 exec_lo, exec_lo, s9
	scratch_load_b64 v[84:85], off, off offset:56
	v_cmp_lt_u32_e64 s1, 7, v0
	s_wait_loadcnt 0x0
	ds_store_b64 v1, v[84:85]
	s_wait_storecnt_dscnt 0x0
	s_barrier_signal -1
	s_barrier_wait -1
	s_wait_xcnt 0x0
	s_and_saveexec_b32 s9, s1
	s_cbranch_execz .LBB39_325
; %bb.316:
	s_and_not1_b32 vcc_lo, exec_lo, s3
	s_cbranch_vccnz .LBB39_318
; %bb.317:
	scratch_load_b64 v[84:85], v37, off
	ds_load_b64 v[86:87], v1
	s_wait_loadcnt_dscnt 0x0
	v_pk_mul_f32 v[88:89], v[86:87], v[84:85] op_sel:[1,1] op_sel_hi:[0,1]
	s_delay_alu instid0(VALU_DEP_1) | instskip(SKIP_1) | instid1(VALU_DEP_2)
	v_pk_fma_f32 v[90:91], v[86:87], v[84:85], v[88:89] op_sel_hi:[1,0,1]
	v_pk_fma_f32 v[84:85], v[86:87], v[84:85], v[88:89] neg_lo:[0,0,1] neg_hi:[0,0,1]
	v_mov_b32_e32 v85, v91
	s_cbranch_execz .LBB39_319
	s_branch .LBB39_320
.LBB39_318:
                                        ; implicit-def: $vgpr84_vgpr85
.LBB39_319:
	ds_load_b64 v[84:85], v1
.LBB39_320:
	s_and_saveexec_b32 s10, s0
	s_cbranch_execz .LBB39_324
; %bb.321:
	v_add_nc_u32_e32 v86, -8, v0
	s_movk_i32 s11, 0x180
	s_mov_b32 s0, 0
.LBB39_322:                             ; =>This Inner Loop Header: Depth=1
	scratch_load_b64 v[88:89], off, s8
	v_dual_mov_b32 v87, s11 :: v_dual_add_nc_u32 v86, -1, v86
	s_add_co_i32 s11, s11, 8
	s_wait_xcnt 0x0
	s_add_co_i32 s8, s8, 8
	ds_load_b64 v[90:91], v87
	v_cmp_eq_u32_e32 vcc_lo, 0, v86
	s_or_b32 s0, vcc_lo, s0
	s_wait_loadcnt_dscnt 0x0
	v_pk_mul_f32 v[92:93], v[90:91], v[88:89] op_sel:[1,1] op_sel_hi:[0,1]
	s_delay_alu instid0(VALU_DEP_1) | instskip(SKIP_1) | instid1(VALU_DEP_2)
	v_pk_fma_f32 v[94:95], v[90:91], v[88:89], v[92:93] op_sel_hi:[1,0,1]
	v_pk_fma_f32 v[88:89], v[90:91], v[88:89], v[92:93] neg_lo:[0,0,1] neg_hi:[0,0,1]
	v_mov_b32_e32 v89, v95
	s_delay_alu instid0(VALU_DEP_1)
	v_pk_add_f32 v[84:85], v[84:85], v[88:89]
	s_and_not1_b32 exec_lo, exec_lo, s0
	s_cbranch_execnz .LBB39_322
; %bb.323:
	s_or_b32 exec_lo, exec_lo, s0
.LBB39_324:
	s_delay_alu instid0(SALU_CYCLE_1) | instskip(SKIP_4) | instid1(VALU_DEP_1)
	s_or_b32 exec_lo, exec_lo, s10
	v_mov_b32_e32 v86, 0
	ds_load_b64 v[86:87], v86 offset:56
	s_wait_dscnt 0x0
	v_pk_mul_f32 v[88:89], v[84:85], v[86:87] op_sel:[1,1] op_sel_hi:[0,1]
	v_pk_fma_f32 v[90:91], v[84:85], v[86:87], v[88:89] op_sel_hi:[1,0,1]
	v_pk_fma_f32 v[84:85], v[84:85], v[86:87], v[88:89] neg_lo:[0,0,1] neg_hi:[0,0,1]
	s_delay_alu instid0(VALU_DEP_2)
	v_mov_b32_e32 v85, v91
	scratch_store_b64 off, v[84:85], off offset:56
.LBB39_325:
	s_wait_xcnt 0x0
	s_or_b32 exec_lo, exec_lo, s9
	scratch_load_b64 v[84:85], off, off offset:48
	v_cmp_lt_u32_e64 s0, 6, v0
	s_wait_loadcnt 0x0
	ds_store_b64 v1, v[84:85]
	s_wait_storecnt_dscnt 0x0
	s_barrier_signal -1
	s_barrier_wait -1
	s_wait_xcnt 0x0
	s_and_saveexec_b32 s8, s0
	s_cbranch_execz .LBB39_335
; %bb.326:
	s_and_not1_b32 vcc_lo, exec_lo, s3
	s_cbranch_vccnz .LBB39_328
; %bb.327:
	scratch_load_b64 v[84:85], v37, off
	ds_load_b64 v[86:87], v1
	s_wait_loadcnt_dscnt 0x0
	v_pk_mul_f32 v[88:89], v[86:87], v[84:85] op_sel:[1,1] op_sel_hi:[0,1]
	s_delay_alu instid0(VALU_DEP_1) | instskip(SKIP_1) | instid1(VALU_DEP_2)
	v_pk_fma_f32 v[90:91], v[86:87], v[84:85], v[88:89] op_sel_hi:[1,0,1]
	v_pk_fma_f32 v[84:85], v[86:87], v[84:85], v[88:89] neg_lo:[0,0,1] neg_hi:[0,0,1]
	v_mov_b32_e32 v85, v91
	s_cbranch_execz .LBB39_329
	s_branch .LBB39_330
.LBB39_328:
                                        ; implicit-def: $vgpr84_vgpr85
.LBB39_329:
	ds_load_b64 v[84:85], v1
.LBB39_330:
	s_and_saveexec_b32 s9, s1
	s_cbranch_execz .LBB39_334
; %bb.331:
	v_add_nc_u32_e32 v86, -7, v0
	s_mov_b32 s1, 56
	s_movk_i32 s11, 0x178
	s_mov_b32 s10, 0
.LBB39_332:                             ; =>This Inner Loop Header: Depth=1
	scratch_load_b64 v[88:89], off, s1
	v_dual_mov_b32 v87, s11 :: v_dual_add_nc_u32 v86, -1, v86
	s_add_co_i32 s11, s11, 8
	s_wait_xcnt 0x0
	s_add_co_i32 s1, s1, 8
	ds_load_b64 v[90:91], v87
	v_cmp_eq_u32_e32 vcc_lo, 0, v86
	s_or_b32 s10, vcc_lo, s10
	s_wait_loadcnt_dscnt 0x0
	v_pk_mul_f32 v[92:93], v[90:91], v[88:89] op_sel:[1,1] op_sel_hi:[0,1]
	s_delay_alu instid0(VALU_DEP_1) | instskip(SKIP_1) | instid1(VALU_DEP_2)
	v_pk_fma_f32 v[94:95], v[90:91], v[88:89], v[92:93] op_sel_hi:[1,0,1]
	v_pk_fma_f32 v[88:89], v[90:91], v[88:89], v[92:93] neg_lo:[0,0,1] neg_hi:[0,0,1]
	v_mov_b32_e32 v89, v95
	s_delay_alu instid0(VALU_DEP_1)
	v_pk_add_f32 v[84:85], v[84:85], v[88:89]
	s_and_not1_b32 exec_lo, exec_lo, s10
	s_cbranch_execnz .LBB39_332
; %bb.333:
	s_or_b32 exec_lo, exec_lo, s10
.LBB39_334:
	s_delay_alu instid0(SALU_CYCLE_1) | instskip(SKIP_4) | instid1(VALU_DEP_1)
	s_or_b32 exec_lo, exec_lo, s9
	v_mov_b32_e32 v86, 0
	ds_load_b64 v[86:87], v86 offset:48
	s_wait_dscnt 0x0
	v_pk_mul_f32 v[88:89], v[84:85], v[86:87] op_sel:[1,1] op_sel_hi:[0,1]
	v_pk_fma_f32 v[90:91], v[84:85], v[86:87], v[88:89] op_sel_hi:[1,0,1]
	v_pk_fma_f32 v[84:85], v[84:85], v[86:87], v[88:89] neg_lo:[0,0,1] neg_hi:[0,0,1]
	s_delay_alu instid0(VALU_DEP_2)
	v_mov_b32_e32 v85, v91
	scratch_store_b64 off, v[84:85], off offset:48
.LBB39_335:
	s_wait_xcnt 0x0
	s_or_b32 exec_lo, exec_lo, s8
	scratch_load_b64 v[84:85], off, off offset:40
	v_cmp_lt_u32_e64 s1, 5, v0
	s_wait_loadcnt 0x0
	ds_store_b64 v1, v[84:85]
	s_wait_storecnt_dscnt 0x0
	s_barrier_signal -1
	s_barrier_wait -1
	s_wait_xcnt 0x0
	s_and_saveexec_b32 s8, s1
	s_cbranch_execz .LBB39_345
; %bb.336:
	s_and_not1_b32 vcc_lo, exec_lo, s3
	s_cbranch_vccnz .LBB39_338
; %bb.337:
	scratch_load_b64 v[84:85], v37, off
	ds_load_b64 v[86:87], v1
	s_wait_loadcnt_dscnt 0x0
	v_pk_mul_f32 v[88:89], v[86:87], v[84:85] op_sel:[1,1] op_sel_hi:[0,1]
	s_delay_alu instid0(VALU_DEP_1) | instskip(SKIP_1) | instid1(VALU_DEP_2)
	v_pk_fma_f32 v[90:91], v[86:87], v[84:85], v[88:89] op_sel_hi:[1,0,1]
	v_pk_fma_f32 v[84:85], v[86:87], v[84:85], v[88:89] neg_lo:[0,0,1] neg_hi:[0,0,1]
	v_mov_b32_e32 v85, v91
	s_cbranch_execz .LBB39_339
	s_branch .LBB39_340
.LBB39_338:
                                        ; implicit-def: $vgpr84_vgpr85
.LBB39_339:
	ds_load_b64 v[84:85], v1
.LBB39_340:
	s_and_saveexec_b32 s9, s0
	s_cbranch_execz .LBB39_344
; %bb.341:
	v_add_nc_u32_e32 v86, -6, v0
	s_movk_i32 s10, 0x170
	s_mov_b32 s0, 0
.LBB39_342:                             ; =>This Inner Loop Header: Depth=1
	scratch_load_b64 v[88:89], off, s2
	v_dual_mov_b32 v87, s10 :: v_dual_add_nc_u32 v86, -1, v86
	s_add_co_i32 s10, s10, 8
	s_wait_xcnt 0x0
	s_add_co_i32 s2, s2, 8
	ds_load_b64 v[90:91], v87
	v_cmp_eq_u32_e32 vcc_lo, 0, v86
	s_or_b32 s0, vcc_lo, s0
	s_wait_loadcnt_dscnt 0x0
	v_pk_mul_f32 v[92:93], v[90:91], v[88:89] op_sel:[1,1] op_sel_hi:[0,1]
	s_delay_alu instid0(VALU_DEP_1) | instskip(SKIP_1) | instid1(VALU_DEP_2)
	v_pk_fma_f32 v[94:95], v[90:91], v[88:89], v[92:93] op_sel_hi:[1,0,1]
	v_pk_fma_f32 v[88:89], v[90:91], v[88:89], v[92:93] neg_lo:[0,0,1] neg_hi:[0,0,1]
	v_mov_b32_e32 v89, v95
	s_delay_alu instid0(VALU_DEP_1)
	v_pk_add_f32 v[84:85], v[84:85], v[88:89]
	s_and_not1_b32 exec_lo, exec_lo, s0
	s_cbranch_execnz .LBB39_342
; %bb.343:
	s_or_b32 exec_lo, exec_lo, s0
.LBB39_344:
	s_delay_alu instid0(SALU_CYCLE_1) | instskip(SKIP_4) | instid1(VALU_DEP_1)
	s_or_b32 exec_lo, exec_lo, s9
	v_mov_b32_e32 v86, 0
	ds_load_b64 v[86:87], v86 offset:40
	s_wait_dscnt 0x0
	v_pk_mul_f32 v[88:89], v[84:85], v[86:87] op_sel:[1,1] op_sel_hi:[0,1]
	v_pk_fma_f32 v[90:91], v[84:85], v[86:87], v[88:89] op_sel_hi:[1,0,1]
	v_pk_fma_f32 v[84:85], v[84:85], v[86:87], v[88:89] neg_lo:[0,0,1] neg_hi:[0,0,1]
	s_delay_alu instid0(VALU_DEP_2)
	v_mov_b32_e32 v85, v91
	scratch_store_b64 off, v[84:85], off offset:40
.LBB39_345:
	s_wait_xcnt 0x0
	s_or_b32 exec_lo, exec_lo, s8
	scratch_load_b64 v[84:85], off, off offset:32
	v_cmp_lt_u32_e64 s0, 4, v0
	s_wait_loadcnt 0x0
	ds_store_b64 v1, v[84:85]
	s_wait_storecnt_dscnt 0x0
	s_barrier_signal -1
	s_barrier_wait -1
	s_wait_xcnt 0x0
	s_and_saveexec_b32 s2, s0
	s_cbranch_execz .LBB39_355
; %bb.346:
	s_and_not1_b32 vcc_lo, exec_lo, s3
	s_cbranch_vccnz .LBB39_348
; %bb.347:
	scratch_load_b64 v[84:85], v37, off
	ds_load_b64 v[86:87], v1
	s_wait_loadcnt_dscnt 0x0
	v_pk_mul_f32 v[88:89], v[86:87], v[84:85] op_sel:[1,1] op_sel_hi:[0,1]
	s_delay_alu instid0(VALU_DEP_1) | instskip(SKIP_1) | instid1(VALU_DEP_2)
	v_pk_fma_f32 v[90:91], v[86:87], v[84:85], v[88:89] op_sel_hi:[1,0,1]
	v_pk_fma_f32 v[84:85], v[86:87], v[84:85], v[88:89] neg_lo:[0,0,1] neg_hi:[0,0,1]
	v_mov_b32_e32 v85, v91
	s_cbranch_execz .LBB39_349
	s_branch .LBB39_350
.LBB39_348:
                                        ; implicit-def: $vgpr84_vgpr85
.LBB39_349:
	ds_load_b64 v[84:85], v1
.LBB39_350:
	s_and_saveexec_b32 s8, s1
	s_cbranch_execz .LBB39_354
; %bb.351:
	v_add_nc_u32_e32 v86, -5, v0
	s_mov_b32 s1, 40
	s_movk_i32 s10, 0x168
	s_mov_b32 s9, 0
.LBB39_352:                             ; =>This Inner Loop Header: Depth=1
	scratch_load_b64 v[88:89], off, s1
	v_dual_mov_b32 v87, s10 :: v_dual_add_nc_u32 v86, -1, v86
	s_add_co_i32 s10, s10, 8
	s_wait_xcnt 0x0
	s_add_co_i32 s1, s1, 8
	ds_load_b64 v[90:91], v87
	v_cmp_eq_u32_e32 vcc_lo, 0, v86
	s_or_b32 s9, vcc_lo, s9
	s_wait_loadcnt_dscnt 0x0
	v_pk_mul_f32 v[92:93], v[90:91], v[88:89] op_sel:[1,1] op_sel_hi:[0,1]
	s_delay_alu instid0(VALU_DEP_1) | instskip(SKIP_1) | instid1(VALU_DEP_2)
	v_pk_fma_f32 v[94:95], v[90:91], v[88:89], v[92:93] op_sel_hi:[1,0,1]
	v_pk_fma_f32 v[88:89], v[90:91], v[88:89], v[92:93] neg_lo:[0,0,1] neg_hi:[0,0,1]
	v_mov_b32_e32 v89, v95
	s_delay_alu instid0(VALU_DEP_1)
	v_pk_add_f32 v[84:85], v[84:85], v[88:89]
	s_and_not1_b32 exec_lo, exec_lo, s9
	s_cbranch_execnz .LBB39_352
; %bb.353:
	s_or_b32 exec_lo, exec_lo, s9
.LBB39_354:
	s_delay_alu instid0(SALU_CYCLE_1) | instskip(SKIP_4) | instid1(VALU_DEP_1)
	s_or_b32 exec_lo, exec_lo, s8
	v_mov_b32_e32 v86, 0
	ds_load_b64 v[86:87], v86 offset:32
	s_wait_dscnt 0x0
	v_pk_mul_f32 v[88:89], v[84:85], v[86:87] op_sel:[1,1] op_sel_hi:[0,1]
	v_pk_fma_f32 v[90:91], v[84:85], v[86:87], v[88:89] op_sel_hi:[1,0,1]
	v_pk_fma_f32 v[84:85], v[84:85], v[86:87], v[88:89] neg_lo:[0,0,1] neg_hi:[0,0,1]
	s_delay_alu instid0(VALU_DEP_2)
	v_mov_b32_e32 v85, v91
	scratch_store_b64 off, v[84:85], off offset:32
.LBB39_355:
	s_wait_xcnt 0x0
	s_or_b32 exec_lo, exec_lo, s2
	scratch_load_b64 v[84:85], off, off offset:24
	v_cmp_lt_u32_e64 s2, 3, v0
	s_wait_loadcnt 0x0
	ds_store_b64 v1, v[84:85]
	s_wait_storecnt_dscnt 0x0
	s_barrier_signal -1
	s_barrier_wait -1
	s_wait_xcnt 0x0
	s_and_saveexec_b32 s1, s2
	s_cbranch_execz .LBB39_365
; %bb.356:
	s_and_not1_b32 vcc_lo, exec_lo, s3
	s_cbranch_vccnz .LBB39_358
; %bb.357:
	scratch_load_b64 v[84:85], v37, off
	ds_load_b64 v[86:87], v1
	s_wait_loadcnt_dscnt 0x0
	v_pk_mul_f32 v[88:89], v[86:87], v[84:85] op_sel:[1,1] op_sel_hi:[0,1]
	s_delay_alu instid0(VALU_DEP_1) | instskip(SKIP_1) | instid1(VALU_DEP_2)
	v_pk_fma_f32 v[90:91], v[86:87], v[84:85], v[88:89] op_sel_hi:[1,0,1]
	v_pk_fma_f32 v[84:85], v[86:87], v[84:85], v[88:89] neg_lo:[0,0,1] neg_hi:[0,0,1]
	v_mov_b32_e32 v85, v91
	s_cbranch_execz .LBB39_359
	s_branch .LBB39_360
.LBB39_358:
                                        ; implicit-def: $vgpr84_vgpr85
.LBB39_359:
	ds_load_b64 v[84:85], v1
.LBB39_360:
	s_and_saveexec_b32 s8, s0
	s_cbranch_execz .LBB39_364
; %bb.361:
	v_add_nc_u32_e32 v86, -4, v0
	s_movk_i32 s9, 0x160
	s_mov_b32 s0, 0
.LBB39_362:                             ; =>This Inner Loop Header: Depth=1
	scratch_load_b64 v[88:89], off, s5
	v_dual_mov_b32 v87, s9 :: v_dual_add_nc_u32 v86, -1, v86
	s_add_co_i32 s9, s9, 8
	s_wait_xcnt 0x0
	s_add_co_i32 s5, s5, 8
	ds_load_b64 v[90:91], v87
	v_cmp_eq_u32_e32 vcc_lo, 0, v86
	s_or_b32 s0, vcc_lo, s0
	s_wait_loadcnt_dscnt 0x0
	v_pk_mul_f32 v[92:93], v[90:91], v[88:89] op_sel:[1,1] op_sel_hi:[0,1]
	s_delay_alu instid0(VALU_DEP_1) | instskip(SKIP_1) | instid1(VALU_DEP_2)
	v_pk_fma_f32 v[94:95], v[90:91], v[88:89], v[92:93] op_sel_hi:[1,0,1]
	v_pk_fma_f32 v[88:89], v[90:91], v[88:89], v[92:93] neg_lo:[0,0,1] neg_hi:[0,0,1]
	v_mov_b32_e32 v89, v95
	s_delay_alu instid0(VALU_DEP_1)
	v_pk_add_f32 v[84:85], v[84:85], v[88:89]
	s_and_not1_b32 exec_lo, exec_lo, s0
	s_cbranch_execnz .LBB39_362
; %bb.363:
	s_or_b32 exec_lo, exec_lo, s0
.LBB39_364:
	s_delay_alu instid0(SALU_CYCLE_1) | instskip(SKIP_4) | instid1(VALU_DEP_1)
	s_or_b32 exec_lo, exec_lo, s8
	v_mov_b32_e32 v86, 0
	ds_load_b64 v[86:87], v86 offset:24
	s_wait_dscnt 0x0
	v_pk_mul_f32 v[88:89], v[84:85], v[86:87] op_sel:[1,1] op_sel_hi:[0,1]
	v_pk_fma_f32 v[90:91], v[84:85], v[86:87], v[88:89] op_sel_hi:[1,0,1]
	v_pk_fma_f32 v[84:85], v[84:85], v[86:87], v[88:89] neg_lo:[0,0,1] neg_hi:[0,0,1]
	s_delay_alu instid0(VALU_DEP_2)
	v_mov_b32_e32 v85, v91
	scratch_store_b64 off, v[84:85], off offset:24
.LBB39_365:
	s_wait_xcnt 0x0
	s_or_b32 exec_lo, exec_lo, s1
	scratch_load_b64 v[84:85], off, off offset:16
	v_cmp_lt_u32_e64 s1, 2, v0
	s_wait_loadcnt 0x0
	ds_store_b64 v1, v[84:85]
	s_wait_storecnt_dscnt 0x0
	s_barrier_signal -1
	s_barrier_wait -1
	s_wait_xcnt 0x0
	s_and_saveexec_b32 s0, s1
	s_cbranch_execz .LBB39_375
; %bb.366:
	s_and_not1_b32 vcc_lo, exec_lo, s3
	s_cbranch_vccnz .LBB39_368
; %bb.367:
	scratch_load_b64 v[84:85], v37, off
	ds_load_b64 v[86:87], v1
	s_wait_loadcnt_dscnt 0x0
	v_pk_mul_f32 v[88:89], v[86:87], v[84:85] op_sel:[1,1] op_sel_hi:[0,1]
	s_delay_alu instid0(VALU_DEP_1) | instskip(SKIP_1) | instid1(VALU_DEP_2)
	v_pk_fma_f32 v[90:91], v[86:87], v[84:85], v[88:89] op_sel_hi:[1,0,1]
	v_pk_fma_f32 v[84:85], v[86:87], v[84:85], v[88:89] neg_lo:[0,0,1] neg_hi:[0,0,1]
	v_mov_b32_e32 v85, v91
	s_cbranch_execz .LBB39_369
	s_branch .LBB39_370
.LBB39_368:
                                        ; implicit-def: $vgpr84_vgpr85
.LBB39_369:
	ds_load_b64 v[84:85], v1
.LBB39_370:
	s_and_saveexec_b32 s5, s2
	s_cbranch_execz .LBB39_374
; %bb.371:
	v_add_nc_u32_e32 v86, -3, v0
	s_mov_b32 s2, 24
	s_movk_i32 s9, 0x158
	s_mov_b32 s8, 0
.LBB39_372:                             ; =>This Inner Loop Header: Depth=1
	scratch_load_b64 v[88:89], off, s2
	v_dual_mov_b32 v87, s9 :: v_dual_add_nc_u32 v86, -1, v86
	s_add_co_i32 s9, s9, 8
	s_wait_xcnt 0x0
	s_add_co_i32 s2, s2, 8
	ds_load_b64 v[90:91], v87
	v_cmp_eq_u32_e32 vcc_lo, 0, v86
	s_or_b32 s8, vcc_lo, s8
	s_wait_loadcnt_dscnt 0x0
	v_pk_mul_f32 v[92:93], v[90:91], v[88:89] op_sel:[1,1] op_sel_hi:[0,1]
	s_delay_alu instid0(VALU_DEP_1) | instskip(SKIP_1) | instid1(VALU_DEP_2)
	v_pk_fma_f32 v[94:95], v[90:91], v[88:89], v[92:93] op_sel_hi:[1,0,1]
	v_pk_fma_f32 v[88:89], v[90:91], v[88:89], v[92:93] neg_lo:[0,0,1] neg_hi:[0,0,1]
	v_mov_b32_e32 v89, v95
	s_delay_alu instid0(VALU_DEP_1)
	v_pk_add_f32 v[84:85], v[84:85], v[88:89]
	s_and_not1_b32 exec_lo, exec_lo, s8
	s_cbranch_execnz .LBB39_372
; %bb.373:
	s_or_b32 exec_lo, exec_lo, s8
.LBB39_374:
	s_delay_alu instid0(SALU_CYCLE_1) | instskip(SKIP_4) | instid1(VALU_DEP_1)
	s_or_b32 exec_lo, exec_lo, s5
	v_mov_b32_e32 v86, 0
	ds_load_b64 v[86:87], v86 offset:16
	s_wait_dscnt 0x0
	v_pk_mul_f32 v[88:89], v[84:85], v[86:87] op_sel:[1,1] op_sel_hi:[0,1]
	v_pk_fma_f32 v[90:91], v[84:85], v[86:87], v[88:89] op_sel_hi:[1,0,1]
	v_pk_fma_f32 v[84:85], v[84:85], v[86:87], v[88:89] neg_lo:[0,0,1] neg_hi:[0,0,1]
	s_delay_alu instid0(VALU_DEP_2)
	v_mov_b32_e32 v85, v91
	scratch_store_b64 off, v[84:85], off offset:16
.LBB39_375:
	s_wait_xcnt 0x0
	s_or_b32 exec_lo, exec_lo, s0
	scratch_load_b64 v[84:85], off, off offset:8
	v_cmp_lt_u32_e64 s0, 1, v0
	s_wait_loadcnt 0x0
	ds_store_b64 v1, v[84:85]
	s_wait_storecnt_dscnt 0x0
	s_barrier_signal -1
	s_barrier_wait -1
	s_wait_xcnt 0x0
	s_and_saveexec_b32 s2, s0
	s_cbranch_execz .LBB39_385
; %bb.376:
	s_and_not1_b32 vcc_lo, exec_lo, s3
	s_cbranch_vccnz .LBB39_378
; %bb.377:
	scratch_load_b64 v[84:85], v37, off
	ds_load_b64 v[86:87], v1
	s_wait_loadcnt_dscnt 0x0
	v_pk_mul_f32 v[88:89], v[86:87], v[84:85] op_sel:[1,1] op_sel_hi:[0,1]
	s_delay_alu instid0(VALU_DEP_1) | instskip(SKIP_1) | instid1(VALU_DEP_2)
	v_pk_fma_f32 v[90:91], v[86:87], v[84:85], v[88:89] op_sel_hi:[1,0,1]
	v_pk_fma_f32 v[84:85], v[86:87], v[84:85], v[88:89] neg_lo:[0,0,1] neg_hi:[0,0,1]
	v_mov_b32_e32 v85, v91
	s_cbranch_execz .LBB39_379
	s_branch .LBB39_380
.LBB39_378:
                                        ; implicit-def: $vgpr84_vgpr85
.LBB39_379:
	ds_load_b64 v[84:85], v1
.LBB39_380:
	s_and_saveexec_b32 s5, s1
	s_cbranch_execz .LBB39_384
; %bb.381:
	v_add_nc_u32_e32 v86, -2, v0
	s_movk_i32 s8, 0x150
	s_mov_b32 s1, 0
.LBB39_382:                             ; =>This Inner Loop Header: Depth=1
	scratch_load_b64 v[88:89], off, s4
	v_dual_mov_b32 v87, s8 :: v_dual_add_nc_u32 v86, -1, v86
	s_add_co_i32 s8, s8, 8
	s_wait_xcnt 0x0
	s_add_co_i32 s4, s4, 8
	ds_load_b64 v[90:91], v87
	v_cmp_eq_u32_e32 vcc_lo, 0, v86
	s_or_b32 s1, vcc_lo, s1
	s_wait_loadcnt_dscnt 0x0
	v_pk_mul_f32 v[92:93], v[90:91], v[88:89] op_sel:[1,1] op_sel_hi:[0,1]
	s_delay_alu instid0(VALU_DEP_1) | instskip(SKIP_1) | instid1(VALU_DEP_2)
	v_pk_fma_f32 v[94:95], v[90:91], v[88:89], v[92:93] op_sel_hi:[1,0,1]
	v_pk_fma_f32 v[88:89], v[90:91], v[88:89], v[92:93] neg_lo:[0,0,1] neg_hi:[0,0,1]
	v_mov_b32_e32 v89, v95
	s_delay_alu instid0(VALU_DEP_1)
	v_pk_add_f32 v[84:85], v[84:85], v[88:89]
	s_and_not1_b32 exec_lo, exec_lo, s1
	s_cbranch_execnz .LBB39_382
; %bb.383:
	s_or_b32 exec_lo, exec_lo, s1
.LBB39_384:
	s_delay_alu instid0(SALU_CYCLE_1) | instskip(SKIP_4) | instid1(VALU_DEP_1)
	s_or_b32 exec_lo, exec_lo, s5
	v_mov_b32_e32 v86, 0
	ds_load_b64 v[86:87], v86 offset:8
	s_wait_dscnt 0x0
	v_pk_mul_f32 v[88:89], v[84:85], v[86:87] op_sel:[1,1] op_sel_hi:[0,1]
	v_pk_fma_f32 v[90:91], v[84:85], v[86:87], v[88:89] op_sel_hi:[1,0,1]
	v_pk_fma_f32 v[84:85], v[84:85], v[86:87], v[88:89] neg_lo:[0,0,1] neg_hi:[0,0,1]
	s_delay_alu instid0(VALU_DEP_2)
	v_mov_b32_e32 v85, v91
	scratch_store_b64 off, v[84:85], off offset:8
.LBB39_385:
	s_wait_xcnt 0x0
	s_or_b32 exec_lo, exec_lo, s2
	scratch_load_b64 v[84:85], off, off
	s_mov_b32 s2, 0
	s_mov_b32 s1, 0
	s_mov_b32 s5, exec_lo
                                        ; implicit-def: $vgpr108
                                        ; implicit-def: $sgpr4
	s_wait_loadcnt 0x0
	ds_store_b64 v1, v[84:85]
	s_wait_storecnt_dscnt 0x0
	s_barrier_signal -1
	s_barrier_wait -1
	s_wait_xcnt 0x0
	v_cmpx_ne_u32_e32 0, v0
	s_cbranch_execz .LBB39_395
; %bb.386:
	s_and_not1_b32 vcc_lo, exec_lo, s3
	s_cbranch_vccnz .LBB39_388
; %bb.387:
	scratch_load_b64 v[86:87], v37, off
	ds_load_b64 v[88:89], v1
	s_wait_loadcnt_dscnt 0x0
	v_dual_mul_f32 v84, v89, v87 :: v_dual_mul_f32 v85, v88, v87
	s_delay_alu instid0(VALU_DEP_1)
	v_dual_fma_f32 v84, v88, v86, -v84 :: v_dual_fmac_f32 v85, v89, v86
	s_and_not1_b32 vcc_lo, exec_lo, s1
	s_cbranch_vccz .LBB39_389
	s_branch .LBB39_390
.LBB39_388:
                                        ; implicit-def: $vgpr84
.LBB39_389:
	ds_load_b64 v[84:85], v1
.LBB39_390:
	s_and_saveexec_b32 s1, s0
	s_cbranch_execz .LBB39_394
; %bb.391:
	v_add_nc_u32_e32 v86, -1, v0
	s_or_b32 s0, 0, 8
	s_movk_i32 s8, 0x148
	s_mov_b32 s4, 0
.LBB39_392:                             ; =>This Inner Loop Header: Depth=1
	scratch_load_b64 v[88:89], off, s0
	v_mov_b32_e32 v87, s8
	s_add_co_i32 s8, s8, 8
	s_wait_xcnt 0x0
	s_add_co_i32 s0, s0, 8
	v_add_nc_u32_e32 v86, -1, v86
	ds_load_b64 v[90:91], v87
	v_cmp_eq_u32_e32 vcc_lo, 0, v86
	s_or_b32 s4, vcc_lo, s4
	s_wait_loadcnt_dscnt 0x0
	v_dual_mul_f32 v87, v91, v89 :: v_dual_mul_f32 v89, v90, v89
	s_delay_alu instid0(VALU_DEP_1) | instskip(NEXT) | instid1(VALU_DEP_1)
	v_dual_fma_f32 v87, v90, v88, -v87 :: v_dual_fmac_f32 v89, v91, v88
	v_dual_add_f32 v84, v84, v87 :: v_dual_add_f32 v85, v85, v89
	s_and_not1_b32 exec_lo, exec_lo, s4
	s_cbranch_execnz .LBB39_392
; %bb.393:
	s_or_b32 exec_lo, exec_lo, s4
.LBB39_394:
	s_delay_alu instid0(SALU_CYCLE_1)
	s_or_b32 exec_lo, exec_lo, s1
	v_mov_b32_e32 v86, 0
	s_mov_b32 s1, exec_lo
	s_or_b32 s4, 0, 4
	ds_load_b64 v[86:87], v86
	s_wait_dscnt 0x0
	v_dual_mul_f32 v88, v85, v87 :: v_dual_mul_f32 v108, v84, v87
	s_delay_alu instid0(VALU_DEP_1) | instskip(NEXT) | instid1(VALU_DEP_2)
	v_fma_f32 v84, v84, v86, -v88
	v_fmac_f32_e32 v108, v85, v86
	scratch_store_b32 off, v84, off
.LBB39_395:
	s_wait_xcnt 0x0
	s_or_b32 exec_lo, exec_lo, s5
	s_delay_alu instid0(SALU_CYCLE_1)
	s_and_b32 vcc_lo, exec_lo, s2
	s_cbranch_vccz .LBB39_781
.LBB39_396:
	scratch_load_b64 v[84:85], off, off offset:8
	v_cmp_eq_u32_e64 s0, 0, v0
	s_wait_loadcnt 0x0
	ds_store_b64 v1, v[84:85]
	s_wait_storecnt_dscnt 0x0
	s_barrier_signal -1
	s_barrier_wait -1
	s_wait_xcnt 0x0
	s_and_saveexec_b32 s2, s0
	s_cbranch_execz .LBB39_402
; %bb.397:
	s_and_b32 vcc_lo, exec_lo, s3
	s_cbranch_vccz .LBB39_399
; %bb.398:
	scratch_load_b64 v[84:85], v37, off
	ds_load_b64 v[86:87], v1
	s_wait_loadcnt_dscnt 0x0
	v_pk_mul_f32 v[88:89], v[86:87], v[84:85] op_sel:[1,1] op_sel_hi:[0,1]
	v_pk_mul_f32 v[90:91], v[86:87], v[84:85] op_sel_hi:[1,0]
	s_delay_alu instid0(VALU_DEP_2) | instskip(NEXT) | instid1(VALU_DEP_2)
	v_pk_fma_f32 v[84:85], v[86:87], v[84:85], v[88:89] op_sel_hi:[1,0,1]
	v_sub_f32_e32 v84, v90, v88
	s_cbranch_execz .LBB39_400
	s_branch .LBB39_401
.LBB39_399:
                                        ; implicit-def: $vgpr85
.LBB39_400:
	ds_load_b64 v[84:85], v1
.LBB39_401:
	s_wait_dscnt 0x0
	v_dual_mov_b32 v86, 0 :: v_dual_mov_b32 v88, v85
	v_mov_b32_e32 v89, v84
	ds_load_b64 v[86:87], v86 offset:8
	s_wait_dscnt 0x0
	v_pk_mul_f32 v[88:89], v[88:89], v[86:87] op_sel:[0,1]
	s_delay_alu instid0(VALU_DEP_1) | instskip(SKIP_1) | instid1(VALU_DEP_2)
	v_pk_fma_f32 v[90:91], v[84:85], v[86:87], v[88:89] op_sel_hi:[1,0,1]
	v_pk_fma_f32 v[84:85], v[84:85], v[86:87], v[88:89] neg_lo:[0,0,1] neg_hi:[0,0,1]
	v_mov_b32_e32 v85, v91
	scratch_store_b64 off, v[84:85], off offset:8
.LBB39_402:
	s_wait_xcnt 0x0
	s_or_b32 exec_lo, exec_lo, s2
	scratch_load_b64 v[84:85], off, off offset:16
	v_cndmask_b32_e64 v86, 0, 1, s3
	s_mov_b32 s2, exec_lo
	s_wait_loadcnt 0x0
	ds_store_b64 v1, v[84:85]
	s_wait_storecnt_dscnt 0x0
	s_barrier_signal -1
	s_barrier_wait -1
	s_wait_xcnt 0x0
	v_cmpx_gt_u32_e32 2, v0
	s_cbranch_execz .LBB39_410
; %bb.403:
	s_and_not1_b32 vcc_lo, exec_lo, s3
	s_cbranch_vccnz .LBB39_405
; %bb.404:
	scratch_load_b64 v[84:85], v37, off
	ds_load_b64 v[88:89], v1
	s_wait_loadcnt_dscnt 0x0
	v_pk_mul_f32 v[90:91], v[88:89], v[84:85] op_sel:[1,1] op_sel_hi:[0,1]
	s_delay_alu instid0(VALU_DEP_1) | instskip(SKIP_1) | instid1(VALU_DEP_2)
	v_pk_fma_f32 v[92:93], v[88:89], v[84:85], v[90:91] op_sel_hi:[1,0,1]
	v_pk_fma_f32 v[84:85], v[88:89], v[84:85], v[90:91] neg_lo:[0,0,1] neg_hi:[0,0,1]
	v_mov_b32_e32 v85, v93
	s_cbranch_execz .LBB39_406
	s_branch .LBB39_407
.LBB39_405:
                                        ; implicit-def: $vgpr84_vgpr85
.LBB39_406:
	ds_load_b64 v[84:85], v1
.LBB39_407:
	s_and_saveexec_b32 s3, s0
	s_cbranch_execz .LBB39_409
; %bb.408:
	scratch_load_b64 v[88:89], off, off offset:8
	v_mov_b32_e32 v87, 0
	ds_load_b64 v[90:91], v87 offset:328
	s_wait_loadcnt_dscnt 0x0
	v_pk_mul_f32 v[92:93], v[90:91], v[88:89] op_sel:[1,1] op_sel_hi:[0,1]
	s_delay_alu instid0(VALU_DEP_1) | instskip(SKIP_1) | instid1(VALU_DEP_2)
	v_pk_fma_f32 v[94:95], v[90:91], v[88:89], v[92:93] op_sel_hi:[1,0,1]
	v_pk_fma_f32 v[88:89], v[90:91], v[88:89], v[92:93] neg_lo:[0,0,1] neg_hi:[0,0,1]
	v_mov_b32_e32 v89, v95
	s_delay_alu instid0(VALU_DEP_1)
	v_pk_add_f32 v[84:85], v[84:85], v[88:89]
.LBB39_409:
	s_or_b32 exec_lo, exec_lo, s3
	v_mov_b32_e32 v87, 0
	ds_load_b64 v[88:89], v87 offset:16
	s_wait_dscnt 0x0
	v_pk_mul_f32 v[90:91], v[84:85], v[88:89] op_sel:[1,1] op_sel_hi:[0,1]
	s_delay_alu instid0(VALU_DEP_1) | instskip(SKIP_1) | instid1(VALU_DEP_2)
	v_pk_fma_f32 v[92:93], v[84:85], v[88:89], v[90:91] op_sel_hi:[1,0,1]
	v_pk_fma_f32 v[84:85], v[84:85], v[88:89], v[90:91] neg_lo:[0,0,1] neg_hi:[0,0,1]
	v_mov_b32_e32 v85, v93
	scratch_store_b64 off, v[84:85], off offset:16
.LBB39_410:
	s_wait_xcnt 0x0
	s_or_b32 exec_lo, exec_lo, s2
	scratch_load_b64 v[84:85], off, off offset:24
	s_mov_b32 s2, exec_lo
	s_wait_loadcnt 0x0
	ds_store_b64 v1, v[84:85]
	s_wait_storecnt_dscnt 0x0
	s_barrier_signal -1
	s_barrier_wait -1
	s_wait_xcnt 0x0
	v_cmpx_gt_u32_e32 3, v0
	s_cbranch_execz .LBB39_420
; %bb.411:
	v_cmp_ne_u32_e32 vcc_lo, 1, v86
	s_cbranch_vccnz .LBB39_413
; %bb.412:
	scratch_load_b64 v[84:85], v37, off
	ds_load_b64 v[88:89], v1
	s_wait_loadcnt_dscnt 0x0
	v_pk_mul_f32 v[90:91], v[88:89], v[84:85] op_sel:[1,1] op_sel_hi:[0,1]
	s_delay_alu instid0(VALU_DEP_1) | instskip(SKIP_1) | instid1(VALU_DEP_2)
	v_pk_fma_f32 v[92:93], v[88:89], v[84:85], v[90:91] op_sel_hi:[1,0,1]
	v_pk_fma_f32 v[84:85], v[88:89], v[84:85], v[90:91] neg_lo:[0,0,1] neg_hi:[0,0,1]
	v_mov_b32_e32 v85, v93
	s_cbranch_execz .LBB39_414
	s_branch .LBB39_415
.LBB39_413:
                                        ; implicit-def: $vgpr84_vgpr85
.LBB39_414:
	ds_load_b64 v[84:85], v1
.LBB39_415:
	s_mov_b32 s3, exec_lo
	v_cmpx_ne_u32_e32 2, v0
	s_cbranch_execz .LBB39_419
; %bb.416:
	scratch_load_b64 v[88:89], v37, off offset:8
	ds_load_b64 v[90:91], v1 offset:8
	s_wait_loadcnt_dscnt 0x0
	v_pk_mul_f32 v[92:93], v[90:91], v[88:89] op_sel:[1,1] op_sel_hi:[0,1]
	s_delay_alu instid0(VALU_DEP_1) | instskip(SKIP_1) | instid1(VALU_DEP_2)
	v_pk_fma_f32 v[94:95], v[90:91], v[88:89], v[92:93] op_sel_hi:[1,0,1]
	v_pk_fma_f32 v[88:89], v[90:91], v[88:89], v[92:93] neg_lo:[0,0,1] neg_hi:[0,0,1]
	v_mov_b32_e32 v89, v95
	s_delay_alu instid0(VALU_DEP_1)
	v_pk_add_f32 v[84:85], v[84:85], v[88:89]
	s_and_saveexec_b32 s4, s0
	s_cbranch_execz .LBB39_418
; %bb.417:
	scratch_load_b64 v[88:89], off, off offset:16
	v_mov_b32_e32 v87, 0
	ds_load_b64 v[90:91], v87 offset:336
	s_wait_loadcnt_dscnt 0x0
	v_pk_mul_f32 v[92:93], v[90:91], v[88:89] op_sel:[1,1] op_sel_hi:[0,1]
	s_delay_alu instid0(VALU_DEP_1) | instskip(SKIP_1) | instid1(VALU_DEP_2)
	v_pk_fma_f32 v[94:95], v[90:91], v[88:89], v[92:93] op_sel_hi:[1,0,1]
	v_pk_fma_f32 v[88:89], v[90:91], v[88:89], v[92:93] neg_lo:[0,0,1] neg_hi:[0,0,1]
	v_mov_b32_e32 v89, v95
	s_delay_alu instid0(VALU_DEP_1)
	v_pk_add_f32 v[84:85], v[84:85], v[88:89]
.LBB39_418:
	s_or_b32 exec_lo, exec_lo, s4
.LBB39_419:
	s_delay_alu instid0(SALU_CYCLE_1) | instskip(SKIP_4) | instid1(VALU_DEP_1)
	s_or_b32 exec_lo, exec_lo, s3
	v_mov_b32_e32 v87, 0
	ds_load_b64 v[88:89], v87 offset:24
	s_wait_dscnt 0x0
	v_pk_mul_f32 v[90:91], v[84:85], v[88:89] op_sel:[1,1] op_sel_hi:[0,1]
	v_pk_fma_f32 v[92:93], v[84:85], v[88:89], v[90:91] op_sel_hi:[1,0,1]
	v_pk_fma_f32 v[84:85], v[84:85], v[88:89], v[90:91] neg_lo:[0,0,1] neg_hi:[0,0,1]
	s_delay_alu instid0(VALU_DEP_2)
	v_mov_b32_e32 v85, v93
	scratch_store_b64 off, v[84:85], off offset:24
.LBB39_420:
	s_wait_xcnt 0x0
	s_or_b32 exec_lo, exec_lo, s2
	scratch_load_b64 v[84:85], off, off offset:32
	s_mov_b32 s0, exec_lo
	s_wait_loadcnt 0x0
	ds_store_b64 v1, v[84:85]
	s_wait_storecnt_dscnt 0x0
	s_barrier_signal -1
	s_barrier_wait -1
	s_wait_xcnt 0x0
	v_cmpx_gt_u32_e32 4, v0
	s_cbranch_execz .LBB39_430
; %bb.421:
	v_cmp_ne_u32_e32 vcc_lo, 1, v86
	s_cbranch_vccnz .LBB39_423
; %bb.422:
	scratch_load_b64 v[84:85], v37, off
	ds_load_b64 v[88:89], v1
	s_wait_loadcnt_dscnt 0x0
	v_pk_mul_f32 v[90:91], v[88:89], v[84:85] op_sel:[1,1] op_sel_hi:[0,1]
	s_delay_alu instid0(VALU_DEP_1) | instskip(SKIP_1) | instid1(VALU_DEP_2)
	v_pk_fma_f32 v[92:93], v[88:89], v[84:85], v[90:91] op_sel_hi:[1,0,1]
	v_pk_fma_f32 v[84:85], v[88:89], v[84:85], v[90:91] neg_lo:[0,0,1] neg_hi:[0,0,1]
	v_mov_b32_e32 v85, v93
	s_cbranch_execz .LBB39_424
	s_branch .LBB39_425
.LBB39_423:
                                        ; implicit-def: $vgpr84_vgpr85
.LBB39_424:
	ds_load_b64 v[84:85], v1
.LBB39_425:
	s_mov_b32 s2, exec_lo
	v_cmpx_ne_u32_e32 3, v0
	s_cbranch_execz .LBB39_429
; %bb.426:
	v_add_nc_u32_e32 v87, 0x148, v36
	v_add3_u32 v88, 0, v36, 8
	v_mov_b32_e32 v89, v0
	s_mov_b32 s3, 0
.LBB39_427:                             ; =>This Inner Loop Header: Depth=1
	scratch_load_b64 v[90:91], v88, off
	ds_load_b64 v[92:93], v87
	s_wait_xcnt 0x0
	v_dual_add_nc_u32 v87, 8, v87 :: v_dual_add_nc_u32 v88, 8, v88
	s_wait_loadcnt_dscnt 0x0
	v_pk_mul_f32 v[94:95], v[92:93], v[90:91] op_sel:[1,1] op_sel_hi:[0,1]
	s_delay_alu instid0(VALU_DEP_1) | instskip(SKIP_2) | instid1(VALU_DEP_3)
	v_pk_fma_f32 v[96:97], v[92:93], v[90:91], v[94:95] op_sel_hi:[1,0,1]
	v_add_nc_u32_e32 v89, 1, v89
	v_pk_fma_f32 v[90:91], v[92:93], v[90:91], v[94:95] neg_lo:[0,0,1] neg_hi:[0,0,1]
	v_mov_b32_e32 v91, v97
	s_delay_alu instid0(VALU_DEP_3) | instskip(NEXT) | instid1(VALU_DEP_2)
	v_cmp_lt_u32_e32 vcc_lo, 2, v89
	v_pk_add_f32 v[84:85], v[84:85], v[90:91]
	s_or_b32 s3, vcc_lo, s3
	s_delay_alu instid0(SALU_CYCLE_1)
	s_and_not1_b32 exec_lo, exec_lo, s3
	s_cbranch_execnz .LBB39_427
; %bb.428:
	s_or_b32 exec_lo, exec_lo, s3
.LBB39_429:
	s_delay_alu instid0(SALU_CYCLE_1) | instskip(SKIP_4) | instid1(VALU_DEP_1)
	s_or_b32 exec_lo, exec_lo, s2
	v_mov_b32_e32 v87, 0
	ds_load_b64 v[88:89], v87 offset:32
	s_wait_dscnt 0x0
	v_pk_mul_f32 v[90:91], v[84:85], v[88:89] op_sel:[1,1] op_sel_hi:[0,1]
	v_pk_fma_f32 v[92:93], v[84:85], v[88:89], v[90:91] op_sel_hi:[1,0,1]
	v_pk_fma_f32 v[84:85], v[84:85], v[88:89], v[90:91] neg_lo:[0,0,1] neg_hi:[0,0,1]
	s_delay_alu instid0(VALU_DEP_2)
	v_mov_b32_e32 v85, v93
	scratch_store_b64 off, v[84:85], off offset:32
.LBB39_430:
	s_wait_xcnt 0x0
	s_or_b32 exec_lo, exec_lo, s0
	scratch_load_b64 v[84:85], off, off offset:40
	s_mov_b32 s0, exec_lo
	s_wait_loadcnt 0x0
	ds_store_b64 v1, v[84:85]
	s_wait_storecnt_dscnt 0x0
	s_barrier_signal -1
	s_barrier_wait -1
	s_wait_xcnt 0x0
	v_cmpx_gt_u32_e32 5, v0
	s_cbranch_execz .LBB39_440
; %bb.431:
	v_cmp_ne_u32_e32 vcc_lo, 1, v86
	s_cbranch_vccnz .LBB39_433
; %bb.432:
	scratch_load_b64 v[84:85], v37, off
	ds_load_b64 v[88:89], v1
	s_wait_loadcnt_dscnt 0x0
	v_pk_mul_f32 v[90:91], v[88:89], v[84:85] op_sel:[1,1] op_sel_hi:[0,1]
	s_delay_alu instid0(VALU_DEP_1) | instskip(SKIP_1) | instid1(VALU_DEP_2)
	v_pk_fma_f32 v[92:93], v[88:89], v[84:85], v[90:91] op_sel_hi:[1,0,1]
	v_pk_fma_f32 v[84:85], v[88:89], v[84:85], v[90:91] neg_lo:[0,0,1] neg_hi:[0,0,1]
	v_mov_b32_e32 v85, v93
	s_cbranch_execz .LBB39_434
	s_branch .LBB39_435
.LBB39_433:
                                        ; implicit-def: $vgpr84_vgpr85
.LBB39_434:
	ds_load_b64 v[84:85], v1
.LBB39_435:
	s_mov_b32 s2, exec_lo
	v_cmpx_ne_u32_e32 4, v0
	s_cbranch_execz .LBB39_439
; %bb.436:
	v_add_nc_u32_e32 v87, 0x148, v36
	v_add3_u32 v88, 0, v36, 8
	v_mov_b32_e32 v89, v0
	s_mov_b32 s3, 0
.LBB39_437:                             ; =>This Inner Loop Header: Depth=1
	scratch_load_b64 v[90:91], v88, off
	ds_load_b64 v[92:93], v87
	s_wait_xcnt 0x0
	v_dual_add_nc_u32 v87, 8, v87 :: v_dual_add_nc_u32 v88, 8, v88
	s_wait_loadcnt_dscnt 0x0
	v_pk_mul_f32 v[94:95], v[92:93], v[90:91] op_sel:[1,1] op_sel_hi:[0,1]
	s_delay_alu instid0(VALU_DEP_1) | instskip(SKIP_2) | instid1(VALU_DEP_3)
	v_pk_fma_f32 v[96:97], v[92:93], v[90:91], v[94:95] op_sel_hi:[1,0,1]
	v_add_nc_u32_e32 v89, 1, v89
	v_pk_fma_f32 v[90:91], v[92:93], v[90:91], v[94:95] neg_lo:[0,0,1] neg_hi:[0,0,1]
	v_mov_b32_e32 v91, v97
	s_delay_alu instid0(VALU_DEP_3) | instskip(NEXT) | instid1(VALU_DEP_2)
	v_cmp_lt_u32_e32 vcc_lo, 3, v89
	v_pk_add_f32 v[84:85], v[84:85], v[90:91]
	s_or_b32 s3, vcc_lo, s3
	s_delay_alu instid0(SALU_CYCLE_1)
	s_and_not1_b32 exec_lo, exec_lo, s3
	s_cbranch_execnz .LBB39_437
; %bb.438:
	s_or_b32 exec_lo, exec_lo, s3
.LBB39_439:
	s_delay_alu instid0(SALU_CYCLE_1) | instskip(SKIP_4) | instid1(VALU_DEP_1)
	s_or_b32 exec_lo, exec_lo, s2
	v_mov_b32_e32 v87, 0
	ds_load_b64 v[88:89], v87 offset:40
	s_wait_dscnt 0x0
	v_pk_mul_f32 v[90:91], v[84:85], v[88:89] op_sel:[1,1] op_sel_hi:[0,1]
	v_pk_fma_f32 v[92:93], v[84:85], v[88:89], v[90:91] op_sel_hi:[1,0,1]
	v_pk_fma_f32 v[84:85], v[84:85], v[88:89], v[90:91] neg_lo:[0,0,1] neg_hi:[0,0,1]
	s_delay_alu instid0(VALU_DEP_2)
	v_mov_b32_e32 v85, v93
	scratch_store_b64 off, v[84:85], off offset:40
.LBB39_440:
	s_wait_xcnt 0x0
	s_or_b32 exec_lo, exec_lo, s0
	scratch_load_b64 v[84:85], off, off offset:48
	s_mov_b32 s0, exec_lo
	s_wait_loadcnt 0x0
	ds_store_b64 v1, v[84:85]
	s_wait_storecnt_dscnt 0x0
	s_barrier_signal -1
	s_barrier_wait -1
	s_wait_xcnt 0x0
	v_cmpx_gt_u32_e32 6, v0
	s_cbranch_execz .LBB39_450
; %bb.441:
	v_cmp_ne_u32_e32 vcc_lo, 1, v86
	s_cbranch_vccnz .LBB39_443
; %bb.442:
	scratch_load_b64 v[84:85], v37, off
	ds_load_b64 v[88:89], v1
	s_wait_loadcnt_dscnt 0x0
	v_pk_mul_f32 v[90:91], v[88:89], v[84:85] op_sel:[1,1] op_sel_hi:[0,1]
	s_delay_alu instid0(VALU_DEP_1) | instskip(SKIP_1) | instid1(VALU_DEP_2)
	v_pk_fma_f32 v[92:93], v[88:89], v[84:85], v[90:91] op_sel_hi:[1,0,1]
	v_pk_fma_f32 v[84:85], v[88:89], v[84:85], v[90:91] neg_lo:[0,0,1] neg_hi:[0,0,1]
	v_mov_b32_e32 v85, v93
	s_cbranch_execz .LBB39_444
	s_branch .LBB39_445
.LBB39_443:
                                        ; implicit-def: $vgpr84_vgpr85
.LBB39_444:
	ds_load_b64 v[84:85], v1
.LBB39_445:
	s_mov_b32 s2, exec_lo
	v_cmpx_ne_u32_e32 5, v0
	s_cbranch_execz .LBB39_449
; %bb.446:
	v_add_nc_u32_e32 v87, 0x148, v36
	v_add3_u32 v88, 0, v36, 8
	v_mov_b32_e32 v89, v0
	s_mov_b32 s3, 0
.LBB39_447:                             ; =>This Inner Loop Header: Depth=1
	scratch_load_b64 v[90:91], v88, off
	ds_load_b64 v[92:93], v87
	s_wait_xcnt 0x0
	v_dual_add_nc_u32 v87, 8, v87 :: v_dual_add_nc_u32 v88, 8, v88
	s_wait_loadcnt_dscnt 0x0
	v_pk_mul_f32 v[94:95], v[92:93], v[90:91] op_sel:[1,1] op_sel_hi:[0,1]
	s_delay_alu instid0(VALU_DEP_1) | instskip(SKIP_2) | instid1(VALU_DEP_3)
	v_pk_fma_f32 v[96:97], v[92:93], v[90:91], v[94:95] op_sel_hi:[1,0,1]
	v_add_nc_u32_e32 v89, 1, v89
	v_pk_fma_f32 v[90:91], v[92:93], v[90:91], v[94:95] neg_lo:[0,0,1] neg_hi:[0,0,1]
	v_mov_b32_e32 v91, v97
	s_delay_alu instid0(VALU_DEP_3) | instskip(NEXT) | instid1(VALU_DEP_2)
	v_cmp_lt_u32_e32 vcc_lo, 4, v89
	v_pk_add_f32 v[84:85], v[84:85], v[90:91]
	s_or_b32 s3, vcc_lo, s3
	s_delay_alu instid0(SALU_CYCLE_1)
	s_and_not1_b32 exec_lo, exec_lo, s3
	s_cbranch_execnz .LBB39_447
; %bb.448:
	s_or_b32 exec_lo, exec_lo, s3
.LBB39_449:
	s_delay_alu instid0(SALU_CYCLE_1) | instskip(SKIP_4) | instid1(VALU_DEP_1)
	s_or_b32 exec_lo, exec_lo, s2
	v_mov_b32_e32 v87, 0
	ds_load_b64 v[88:89], v87 offset:48
	s_wait_dscnt 0x0
	v_pk_mul_f32 v[90:91], v[84:85], v[88:89] op_sel:[1,1] op_sel_hi:[0,1]
	v_pk_fma_f32 v[92:93], v[84:85], v[88:89], v[90:91] op_sel_hi:[1,0,1]
	v_pk_fma_f32 v[84:85], v[84:85], v[88:89], v[90:91] neg_lo:[0,0,1] neg_hi:[0,0,1]
	s_delay_alu instid0(VALU_DEP_2)
	v_mov_b32_e32 v85, v93
	scratch_store_b64 off, v[84:85], off offset:48
.LBB39_450:
	s_wait_xcnt 0x0
	s_or_b32 exec_lo, exec_lo, s0
	scratch_load_b64 v[84:85], off, off offset:56
	s_mov_b32 s0, exec_lo
	s_wait_loadcnt 0x0
	ds_store_b64 v1, v[84:85]
	s_wait_storecnt_dscnt 0x0
	s_barrier_signal -1
	s_barrier_wait -1
	s_wait_xcnt 0x0
	v_cmpx_gt_u32_e32 7, v0
	s_cbranch_execz .LBB39_460
; %bb.451:
	v_cmp_ne_u32_e32 vcc_lo, 1, v86
	s_cbranch_vccnz .LBB39_453
; %bb.452:
	scratch_load_b64 v[84:85], v37, off
	ds_load_b64 v[88:89], v1
	s_wait_loadcnt_dscnt 0x0
	v_pk_mul_f32 v[90:91], v[88:89], v[84:85] op_sel:[1,1] op_sel_hi:[0,1]
	s_delay_alu instid0(VALU_DEP_1) | instskip(SKIP_1) | instid1(VALU_DEP_2)
	v_pk_fma_f32 v[92:93], v[88:89], v[84:85], v[90:91] op_sel_hi:[1,0,1]
	v_pk_fma_f32 v[84:85], v[88:89], v[84:85], v[90:91] neg_lo:[0,0,1] neg_hi:[0,0,1]
	v_mov_b32_e32 v85, v93
	s_cbranch_execz .LBB39_454
	s_branch .LBB39_455
.LBB39_453:
                                        ; implicit-def: $vgpr84_vgpr85
.LBB39_454:
	ds_load_b64 v[84:85], v1
.LBB39_455:
	s_mov_b32 s2, exec_lo
	v_cmpx_ne_u32_e32 6, v0
	s_cbranch_execz .LBB39_459
; %bb.456:
	v_add_nc_u32_e32 v87, 0x148, v36
	v_add3_u32 v88, 0, v36, 8
	v_mov_b32_e32 v89, v0
	s_mov_b32 s3, 0
.LBB39_457:                             ; =>This Inner Loop Header: Depth=1
	scratch_load_b64 v[90:91], v88, off
	ds_load_b64 v[92:93], v87
	s_wait_xcnt 0x0
	v_dual_add_nc_u32 v87, 8, v87 :: v_dual_add_nc_u32 v88, 8, v88
	s_wait_loadcnt_dscnt 0x0
	v_pk_mul_f32 v[94:95], v[92:93], v[90:91] op_sel:[1,1] op_sel_hi:[0,1]
	s_delay_alu instid0(VALU_DEP_1) | instskip(SKIP_2) | instid1(VALU_DEP_3)
	v_pk_fma_f32 v[96:97], v[92:93], v[90:91], v[94:95] op_sel_hi:[1,0,1]
	v_add_nc_u32_e32 v89, 1, v89
	v_pk_fma_f32 v[90:91], v[92:93], v[90:91], v[94:95] neg_lo:[0,0,1] neg_hi:[0,0,1]
	v_mov_b32_e32 v91, v97
	s_delay_alu instid0(VALU_DEP_3) | instskip(NEXT) | instid1(VALU_DEP_2)
	v_cmp_lt_u32_e32 vcc_lo, 5, v89
	v_pk_add_f32 v[84:85], v[84:85], v[90:91]
	s_or_b32 s3, vcc_lo, s3
	s_delay_alu instid0(SALU_CYCLE_1)
	s_and_not1_b32 exec_lo, exec_lo, s3
	s_cbranch_execnz .LBB39_457
; %bb.458:
	s_or_b32 exec_lo, exec_lo, s3
.LBB39_459:
	s_delay_alu instid0(SALU_CYCLE_1) | instskip(SKIP_4) | instid1(VALU_DEP_1)
	s_or_b32 exec_lo, exec_lo, s2
	v_mov_b32_e32 v87, 0
	ds_load_b64 v[88:89], v87 offset:56
	s_wait_dscnt 0x0
	v_pk_mul_f32 v[90:91], v[84:85], v[88:89] op_sel:[1,1] op_sel_hi:[0,1]
	v_pk_fma_f32 v[92:93], v[84:85], v[88:89], v[90:91] op_sel_hi:[1,0,1]
	v_pk_fma_f32 v[84:85], v[84:85], v[88:89], v[90:91] neg_lo:[0,0,1] neg_hi:[0,0,1]
	s_delay_alu instid0(VALU_DEP_2)
	v_mov_b32_e32 v85, v93
	scratch_store_b64 off, v[84:85], off offset:56
.LBB39_460:
	s_wait_xcnt 0x0
	s_or_b32 exec_lo, exec_lo, s0
	scratch_load_b64 v[84:85], off, off offset:64
	s_mov_b32 s0, exec_lo
	s_wait_loadcnt 0x0
	ds_store_b64 v1, v[84:85]
	s_wait_storecnt_dscnt 0x0
	s_barrier_signal -1
	s_barrier_wait -1
	s_wait_xcnt 0x0
	v_cmpx_gt_u32_e32 8, v0
	s_cbranch_execz .LBB39_470
; %bb.461:
	v_cmp_ne_u32_e32 vcc_lo, 1, v86
	s_cbranch_vccnz .LBB39_463
; %bb.462:
	scratch_load_b64 v[84:85], v37, off
	ds_load_b64 v[88:89], v1
	s_wait_loadcnt_dscnt 0x0
	v_pk_mul_f32 v[90:91], v[88:89], v[84:85] op_sel:[1,1] op_sel_hi:[0,1]
	s_delay_alu instid0(VALU_DEP_1) | instskip(SKIP_1) | instid1(VALU_DEP_2)
	v_pk_fma_f32 v[92:93], v[88:89], v[84:85], v[90:91] op_sel_hi:[1,0,1]
	v_pk_fma_f32 v[84:85], v[88:89], v[84:85], v[90:91] neg_lo:[0,0,1] neg_hi:[0,0,1]
	v_mov_b32_e32 v85, v93
	s_cbranch_execz .LBB39_464
	s_branch .LBB39_465
.LBB39_463:
                                        ; implicit-def: $vgpr84_vgpr85
.LBB39_464:
	ds_load_b64 v[84:85], v1
.LBB39_465:
	s_mov_b32 s2, exec_lo
	v_cmpx_ne_u32_e32 7, v0
	s_cbranch_execz .LBB39_469
; %bb.466:
	v_add_nc_u32_e32 v87, 0x148, v36
	v_add3_u32 v88, 0, v36, 8
	v_mov_b32_e32 v89, v0
	s_mov_b32 s3, 0
.LBB39_467:                             ; =>This Inner Loop Header: Depth=1
	scratch_load_b64 v[90:91], v88, off
	ds_load_b64 v[92:93], v87
	s_wait_xcnt 0x0
	v_dual_add_nc_u32 v87, 8, v87 :: v_dual_add_nc_u32 v88, 8, v88
	s_wait_loadcnt_dscnt 0x0
	v_pk_mul_f32 v[94:95], v[92:93], v[90:91] op_sel:[1,1] op_sel_hi:[0,1]
	s_delay_alu instid0(VALU_DEP_1) | instskip(SKIP_2) | instid1(VALU_DEP_3)
	v_pk_fma_f32 v[96:97], v[92:93], v[90:91], v[94:95] op_sel_hi:[1,0,1]
	v_add_nc_u32_e32 v89, 1, v89
	v_pk_fma_f32 v[90:91], v[92:93], v[90:91], v[94:95] neg_lo:[0,0,1] neg_hi:[0,0,1]
	v_mov_b32_e32 v91, v97
	s_delay_alu instid0(VALU_DEP_3) | instskip(NEXT) | instid1(VALU_DEP_2)
	v_cmp_lt_u32_e32 vcc_lo, 6, v89
	v_pk_add_f32 v[84:85], v[84:85], v[90:91]
	s_or_b32 s3, vcc_lo, s3
	s_delay_alu instid0(SALU_CYCLE_1)
	s_and_not1_b32 exec_lo, exec_lo, s3
	s_cbranch_execnz .LBB39_467
; %bb.468:
	s_or_b32 exec_lo, exec_lo, s3
.LBB39_469:
	s_delay_alu instid0(SALU_CYCLE_1) | instskip(SKIP_4) | instid1(VALU_DEP_1)
	s_or_b32 exec_lo, exec_lo, s2
	v_mov_b32_e32 v87, 0
	ds_load_b64 v[88:89], v87 offset:64
	s_wait_dscnt 0x0
	v_pk_mul_f32 v[90:91], v[84:85], v[88:89] op_sel:[1,1] op_sel_hi:[0,1]
	v_pk_fma_f32 v[92:93], v[84:85], v[88:89], v[90:91] op_sel_hi:[1,0,1]
	v_pk_fma_f32 v[84:85], v[84:85], v[88:89], v[90:91] neg_lo:[0,0,1] neg_hi:[0,0,1]
	s_delay_alu instid0(VALU_DEP_2)
	v_mov_b32_e32 v85, v93
	scratch_store_b64 off, v[84:85], off offset:64
.LBB39_470:
	s_wait_xcnt 0x0
	s_or_b32 exec_lo, exec_lo, s0
	scratch_load_b64 v[84:85], off, off offset:72
	s_mov_b32 s0, exec_lo
	s_wait_loadcnt 0x0
	ds_store_b64 v1, v[84:85]
	s_wait_storecnt_dscnt 0x0
	s_barrier_signal -1
	s_barrier_wait -1
	s_wait_xcnt 0x0
	v_cmpx_gt_u32_e32 9, v0
	s_cbranch_execz .LBB39_480
; %bb.471:
	v_cmp_ne_u32_e32 vcc_lo, 1, v86
	s_cbranch_vccnz .LBB39_473
; %bb.472:
	scratch_load_b64 v[84:85], v37, off
	ds_load_b64 v[88:89], v1
	s_wait_loadcnt_dscnt 0x0
	v_pk_mul_f32 v[90:91], v[88:89], v[84:85] op_sel:[1,1] op_sel_hi:[0,1]
	s_delay_alu instid0(VALU_DEP_1) | instskip(SKIP_1) | instid1(VALU_DEP_2)
	v_pk_fma_f32 v[92:93], v[88:89], v[84:85], v[90:91] op_sel_hi:[1,0,1]
	v_pk_fma_f32 v[84:85], v[88:89], v[84:85], v[90:91] neg_lo:[0,0,1] neg_hi:[0,0,1]
	v_mov_b32_e32 v85, v93
	s_cbranch_execz .LBB39_474
	s_branch .LBB39_475
.LBB39_473:
                                        ; implicit-def: $vgpr84_vgpr85
.LBB39_474:
	ds_load_b64 v[84:85], v1
.LBB39_475:
	s_mov_b32 s2, exec_lo
	v_cmpx_ne_u32_e32 8, v0
	s_cbranch_execz .LBB39_479
; %bb.476:
	v_add_nc_u32_e32 v87, 0x148, v36
	v_add3_u32 v88, 0, v36, 8
	v_mov_b32_e32 v89, v0
	s_mov_b32 s3, 0
.LBB39_477:                             ; =>This Inner Loop Header: Depth=1
	scratch_load_b64 v[90:91], v88, off
	ds_load_b64 v[92:93], v87
	s_wait_xcnt 0x0
	v_dual_add_nc_u32 v87, 8, v87 :: v_dual_add_nc_u32 v88, 8, v88
	s_wait_loadcnt_dscnt 0x0
	v_pk_mul_f32 v[94:95], v[92:93], v[90:91] op_sel:[1,1] op_sel_hi:[0,1]
	s_delay_alu instid0(VALU_DEP_1) | instskip(SKIP_2) | instid1(VALU_DEP_3)
	v_pk_fma_f32 v[96:97], v[92:93], v[90:91], v[94:95] op_sel_hi:[1,0,1]
	v_add_nc_u32_e32 v89, 1, v89
	v_pk_fma_f32 v[90:91], v[92:93], v[90:91], v[94:95] neg_lo:[0,0,1] neg_hi:[0,0,1]
	v_mov_b32_e32 v91, v97
	s_delay_alu instid0(VALU_DEP_3) | instskip(NEXT) | instid1(VALU_DEP_2)
	v_cmp_lt_u32_e32 vcc_lo, 7, v89
	v_pk_add_f32 v[84:85], v[84:85], v[90:91]
	s_or_b32 s3, vcc_lo, s3
	s_delay_alu instid0(SALU_CYCLE_1)
	s_and_not1_b32 exec_lo, exec_lo, s3
	s_cbranch_execnz .LBB39_477
; %bb.478:
	s_or_b32 exec_lo, exec_lo, s3
.LBB39_479:
	s_delay_alu instid0(SALU_CYCLE_1) | instskip(SKIP_4) | instid1(VALU_DEP_1)
	s_or_b32 exec_lo, exec_lo, s2
	v_mov_b32_e32 v87, 0
	ds_load_b64 v[88:89], v87 offset:72
	s_wait_dscnt 0x0
	v_pk_mul_f32 v[90:91], v[84:85], v[88:89] op_sel:[1,1] op_sel_hi:[0,1]
	v_pk_fma_f32 v[92:93], v[84:85], v[88:89], v[90:91] op_sel_hi:[1,0,1]
	v_pk_fma_f32 v[84:85], v[84:85], v[88:89], v[90:91] neg_lo:[0,0,1] neg_hi:[0,0,1]
	s_delay_alu instid0(VALU_DEP_2)
	v_mov_b32_e32 v85, v93
	scratch_store_b64 off, v[84:85], off offset:72
.LBB39_480:
	s_wait_xcnt 0x0
	s_or_b32 exec_lo, exec_lo, s0
	scratch_load_b64 v[84:85], off, off offset:80
	s_mov_b32 s0, exec_lo
	s_wait_loadcnt 0x0
	ds_store_b64 v1, v[84:85]
	s_wait_storecnt_dscnt 0x0
	s_barrier_signal -1
	s_barrier_wait -1
	s_wait_xcnt 0x0
	v_cmpx_gt_u32_e32 10, v0
	s_cbranch_execz .LBB39_490
; %bb.481:
	v_cmp_ne_u32_e32 vcc_lo, 1, v86
	s_cbranch_vccnz .LBB39_483
; %bb.482:
	scratch_load_b64 v[84:85], v37, off
	ds_load_b64 v[88:89], v1
	s_wait_loadcnt_dscnt 0x0
	v_pk_mul_f32 v[90:91], v[88:89], v[84:85] op_sel:[1,1] op_sel_hi:[0,1]
	s_delay_alu instid0(VALU_DEP_1) | instskip(SKIP_1) | instid1(VALU_DEP_2)
	v_pk_fma_f32 v[92:93], v[88:89], v[84:85], v[90:91] op_sel_hi:[1,0,1]
	v_pk_fma_f32 v[84:85], v[88:89], v[84:85], v[90:91] neg_lo:[0,0,1] neg_hi:[0,0,1]
	v_mov_b32_e32 v85, v93
	s_cbranch_execz .LBB39_484
	s_branch .LBB39_485
.LBB39_483:
                                        ; implicit-def: $vgpr84_vgpr85
.LBB39_484:
	ds_load_b64 v[84:85], v1
.LBB39_485:
	s_mov_b32 s2, exec_lo
	v_cmpx_ne_u32_e32 9, v0
	s_cbranch_execz .LBB39_489
; %bb.486:
	v_add_nc_u32_e32 v87, 0x148, v36
	v_add3_u32 v88, 0, v36, 8
	v_mov_b32_e32 v89, v0
	s_mov_b32 s3, 0
.LBB39_487:                             ; =>This Inner Loop Header: Depth=1
	scratch_load_b64 v[90:91], v88, off
	ds_load_b64 v[92:93], v87
	s_wait_xcnt 0x0
	v_dual_add_nc_u32 v87, 8, v87 :: v_dual_add_nc_u32 v88, 8, v88
	s_wait_loadcnt_dscnt 0x0
	v_pk_mul_f32 v[94:95], v[92:93], v[90:91] op_sel:[1,1] op_sel_hi:[0,1]
	s_delay_alu instid0(VALU_DEP_1) | instskip(SKIP_2) | instid1(VALU_DEP_3)
	v_pk_fma_f32 v[96:97], v[92:93], v[90:91], v[94:95] op_sel_hi:[1,0,1]
	v_add_nc_u32_e32 v89, 1, v89
	v_pk_fma_f32 v[90:91], v[92:93], v[90:91], v[94:95] neg_lo:[0,0,1] neg_hi:[0,0,1]
	v_mov_b32_e32 v91, v97
	s_delay_alu instid0(VALU_DEP_3) | instskip(NEXT) | instid1(VALU_DEP_2)
	v_cmp_lt_u32_e32 vcc_lo, 8, v89
	v_pk_add_f32 v[84:85], v[84:85], v[90:91]
	s_or_b32 s3, vcc_lo, s3
	s_delay_alu instid0(SALU_CYCLE_1)
	s_and_not1_b32 exec_lo, exec_lo, s3
	s_cbranch_execnz .LBB39_487
; %bb.488:
	s_or_b32 exec_lo, exec_lo, s3
.LBB39_489:
	s_delay_alu instid0(SALU_CYCLE_1) | instskip(SKIP_4) | instid1(VALU_DEP_1)
	s_or_b32 exec_lo, exec_lo, s2
	v_mov_b32_e32 v87, 0
	ds_load_b64 v[88:89], v87 offset:80
	s_wait_dscnt 0x0
	v_pk_mul_f32 v[90:91], v[84:85], v[88:89] op_sel:[1,1] op_sel_hi:[0,1]
	v_pk_fma_f32 v[92:93], v[84:85], v[88:89], v[90:91] op_sel_hi:[1,0,1]
	v_pk_fma_f32 v[84:85], v[84:85], v[88:89], v[90:91] neg_lo:[0,0,1] neg_hi:[0,0,1]
	s_delay_alu instid0(VALU_DEP_2)
	v_mov_b32_e32 v85, v93
	scratch_store_b64 off, v[84:85], off offset:80
.LBB39_490:
	s_wait_xcnt 0x0
	s_or_b32 exec_lo, exec_lo, s0
	scratch_load_b64 v[84:85], off, off offset:88
	s_mov_b32 s0, exec_lo
	s_wait_loadcnt 0x0
	ds_store_b64 v1, v[84:85]
	s_wait_storecnt_dscnt 0x0
	s_barrier_signal -1
	s_barrier_wait -1
	s_wait_xcnt 0x0
	v_cmpx_gt_u32_e32 11, v0
	s_cbranch_execz .LBB39_500
; %bb.491:
	v_cmp_ne_u32_e32 vcc_lo, 1, v86
	s_cbranch_vccnz .LBB39_493
; %bb.492:
	scratch_load_b64 v[84:85], v37, off
	ds_load_b64 v[88:89], v1
	s_wait_loadcnt_dscnt 0x0
	v_pk_mul_f32 v[90:91], v[88:89], v[84:85] op_sel:[1,1] op_sel_hi:[0,1]
	s_delay_alu instid0(VALU_DEP_1) | instskip(SKIP_1) | instid1(VALU_DEP_2)
	v_pk_fma_f32 v[92:93], v[88:89], v[84:85], v[90:91] op_sel_hi:[1,0,1]
	v_pk_fma_f32 v[84:85], v[88:89], v[84:85], v[90:91] neg_lo:[0,0,1] neg_hi:[0,0,1]
	v_mov_b32_e32 v85, v93
	s_cbranch_execz .LBB39_494
	s_branch .LBB39_495
.LBB39_493:
                                        ; implicit-def: $vgpr84_vgpr85
.LBB39_494:
	ds_load_b64 v[84:85], v1
.LBB39_495:
	s_mov_b32 s2, exec_lo
	v_cmpx_ne_u32_e32 10, v0
	s_cbranch_execz .LBB39_499
; %bb.496:
	v_add_nc_u32_e32 v87, 0x148, v36
	v_add3_u32 v88, 0, v36, 8
	v_mov_b32_e32 v89, v0
	s_mov_b32 s3, 0
.LBB39_497:                             ; =>This Inner Loop Header: Depth=1
	scratch_load_b64 v[90:91], v88, off
	ds_load_b64 v[92:93], v87
	s_wait_xcnt 0x0
	v_dual_add_nc_u32 v87, 8, v87 :: v_dual_add_nc_u32 v88, 8, v88
	s_wait_loadcnt_dscnt 0x0
	v_pk_mul_f32 v[94:95], v[92:93], v[90:91] op_sel:[1,1] op_sel_hi:[0,1]
	s_delay_alu instid0(VALU_DEP_1) | instskip(SKIP_2) | instid1(VALU_DEP_3)
	v_pk_fma_f32 v[96:97], v[92:93], v[90:91], v[94:95] op_sel_hi:[1,0,1]
	v_add_nc_u32_e32 v89, 1, v89
	v_pk_fma_f32 v[90:91], v[92:93], v[90:91], v[94:95] neg_lo:[0,0,1] neg_hi:[0,0,1]
	v_mov_b32_e32 v91, v97
	s_delay_alu instid0(VALU_DEP_3) | instskip(NEXT) | instid1(VALU_DEP_2)
	v_cmp_lt_u32_e32 vcc_lo, 9, v89
	v_pk_add_f32 v[84:85], v[84:85], v[90:91]
	s_or_b32 s3, vcc_lo, s3
	s_delay_alu instid0(SALU_CYCLE_1)
	s_and_not1_b32 exec_lo, exec_lo, s3
	s_cbranch_execnz .LBB39_497
; %bb.498:
	s_or_b32 exec_lo, exec_lo, s3
.LBB39_499:
	s_delay_alu instid0(SALU_CYCLE_1) | instskip(SKIP_4) | instid1(VALU_DEP_1)
	s_or_b32 exec_lo, exec_lo, s2
	v_mov_b32_e32 v87, 0
	ds_load_b64 v[88:89], v87 offset:88
	s_wait_dscnt 0x0
	v_pk_mul_f32 v[90:91], v[84:85], v[88:89] op_sel:[1,1] op_sel_hi:[0,1]
	v_pk_fma_f32 v[92:93], v[84:85], v[88:89], v[90:91] op_sel_hi:[1,0,1]
	v_pk_fma_f32 v[84:85], v[84:85], v[88:89], v[90:91] neg_lo:[0,0,1] neg_hi:[0,0,1]
	s_delay_alu instid0(VALU_DEP_2)
	v_mov_b32_e32 v85, v93
	scratch_store_b64 off, v[84:85], off offset:88
.LBB39_500:
	s_wait_xcnt 0x0
	s_or_b32 exec_lo, exec_lo, s0
	scratch_load_b64 v[84:85], off, off offset:96
	s_mov_b32 s0, exec_lo
	s_wait_loadcnt 0x0
	ds_store_b64 v1, v[84:85]
	s_wait_storecnt_dscnt 0x0
	s_barrier_signal -1
	s_barrier_wait -1
	s_wait_xcnt 0x0
	v_cmpx_gt_u32_e32 12, v0
	s_cbranch_execz .LBB39_510
; %bb.501:
	v_cmp_ne_u32_e32 vcc_lo, 1, v86
	s_cbranch_vccnz .LBB39_503
; %bb.502:
	scratch_load_b64 v[84:85], v37, off
	ds_load_b64 v[88:89], v1
	s_wait_loadcnt_dscnt 0x0
	v_pk_mul_f32 v[90:91], v[88:89], v[84:85] op_sel:[1,1] op_sel_hi:[0,1]
	s_delay_alu instid0(VALU_DEP_1) | instskip(SKIP_1) | instid1(VALU_DEP_2)
	v_pk_fma_f32 v[92:93], v[88:89], v[84:85], v[90:91] op_sel_hi:[1,0,1]
	v_pk_fma_f32 v[84:85], v[88:89], v[84:85], v[90:91] neg_lo:[0,0,1] neg_hi:[0,0,1]
	v_mov_b32_e32 v85, v93
	s_cbranch_execz .LBB39_504
	s_branch .LBB39_505
.LBB39_503:
                                        ; implicit-def: $vgpr84_vgpr85
.LBB39_504:
	ds_load_b64 v[84:85], v1
.LBB39_505:
	s_mov_b32 s2, exec_lo
	v_cmpx_ne_u32_e32 11, v0
	s_cbranch_execz .LBB39_509
; %bb.506:
	v_add_nc_u32_e32 v87, 0x148, v36
	v_add3_u32 v88, 0, v36, 8
	v_mov_b32_e32 v89, v0
	s_mov_b32 s3, 0
.LBB39_507:                             ; =>This Inner Loop Header: Depth=1
	scratch_load_b64 v[90:91], v88, off
	ds_load_b64 v[92:93], v87
	s_wait_xcnt 0x0
	v_dual_add_nc_u32 v87, 8, v87 :: v_dual_add_nc_u32 v88, 8, v88
	s_wait_loadcnt_dscnt 0x0
	v_pk_mul_f32 v[94:95], v[92:93], v[90:91] op_sel:[1,1] op_sel_hi:[0,1]
	s_delay_alu instid0(VALU_DEP_1) | instskip(SKIP_2) | instid1(VALU_DEP_3)
	v_pk_fma_f32 v[96:97], v[92:93], v[90:91], v[94:95] op_sel_hi:[1,0,1]
	v_add_nc_u32_e32 v89, 1, v89
	v_pk_fma_f32 v[90:91], v[92:93], v[90:91], v[94:95] neg_lo:[0,0,1] neg_hi:[0,0,1]
	v_mov_b32_e32 v91, v97
	s_delay_alu instid0(VALU_DEP_3) | instskip(NEXT) | instid1(VALU_DEP_2)
	v_cmp_lt_u32_e32 vcc_lo, 10, v89
	v_pk_add_f32 v[84:85], v[84:85], v[90:91]
	s_or_b32 s3, vcc_lo, s3
	s_delay_alu instid0(SALU_CYCLE_1)
	s_and_not1_b32 exec_lo, exec_lo, s3
	s_cbranch_execnz .LBB39_507
; %bb.508:
	s_or_b32 exec_lo, exec_lo, s3
.LBB39_509:
	s_delay_alu instid0(SALU_CYCLE_1) | instskip(SKIP_4) | instid1(VALU_DEP_1)
	s_or_b32 exec_lo, exec_lo, s2
	v_mov_b32_e32 v87, 0
	ds_load_b64 v[88:89], v87 offset:96
	s_wait_dscnt 0x0
	v_pk_mul_f32 v[90:91], v[84:85], v[88:89] op_sel:[1,1] op_sel_hi:[0,1]
	v_pk_fma_f32 v[92:93], v[84:85], v[88:89], v[90:91] op_sel_hi:[1,0,1]
	v_pk_fma_f32 v[84:85], v[84:85], v[88:89], v[90:91] neg_lo:[0,0,1] neg_hi:[0,0,1]
	s_delay_alu instid0(VALU_DEP_2)
	v_mov_b32_e32 v85, v93
	scratch_store_b64 off, v[84:85], off offset:96
.LBB39_510:
	s_wait_xcnt 0x0
	s_or_b32 exec_lo, exec_lo, s0
	scratch_load_b64 v[84:85], off, off offset:104
	s_mov_b32 s0, exec_lo
	s_wait_loadcnt 0x0
	ds_store_b64 v1, v[84:85]
	s_wait_storecnt_dscnt 0x0
	s_barrier_signal -1
	s_barrier_wait -1
	s_wait_xcnt 0x0
	v_cmpx_gt_u32_e32 13, v0
	s_cbranch_execz .LBB39_520
; %bb.511:
	v_cmp_ne_u32_e32 vcc_lo, 1, v86
	s_cbranch_vccnz .LBB39_513
; %bb.512:
	scratch_load_b64 v[84:85], v37, off
	ds_load_b64 v[88:89], v1
	s_wait_loadcnt_dscnt 0x0
	v_pk_mul_f32 v[90:91], v[88:89], v[84:85] op_sel:[1,1] op_sel_hi:[0,1]
	s_delay_alu instid0(VALU_DEP_1) | instskip(SKIP_1) | instid1(VALU_DEP_2)
	v_pk_fma_f32 v[92:93], v[88:89], v[84:85], v[90:91] op_sel_hi:[1,0,1]
	v_pk_fma_f32 v[84:85], v[88:89], v[84:85], v[90:91] neg_lo:[0,0,1] neg_hi:[0,0,1]
	v_mov_b32_e32 v85, v93
	s_cbranch_execz .LBB39_514
	s_branch .LBB39_515
.LBB39_513:
                                        ; implicit-def: $vgpr84_vgpr85
.LBB39_514:
	ds_load_b64 v[84:85], v1
.LBB39_515:
	s_mov_b32 s2, exec_lo
	v_cmpx_ne_u32_e32 12, v0
	s_cbranch_execz .LBB39_519
; %bb.516:
	v_add_nc_u32_e32 v87, 0x148, v36
	v_add3_u32 v88, 0, v36, 8
	v_mov_b32_e32 v89, v0
	s_mov_b32 s3, 0
.LBB39_517:                             ; =>This Inner Loop Header: Depth=1
	scratch_load_b64 v[90:91], v88, off
	ds_load_b64 v[92:93], v87
	s_wait_xcnt 0x0
	v_dual_add_nc_u32 v87, 8, v87 :: v_dual_add_nc_u32 v88, 8, v88
	s_wait_loadcnt_dscnt 0x0
	v_pk_mul_f32 v[94:95], v[92:93], v[90:91] op_sel:[1,1] op_sel_hi:[0,1]
	s_delay_alu instid0(VALU_DEP_1) | instskip(SKIP_2) | instid1(VALU_DEP_3)
	v_pk_fma_f32 v[96:97], v[92:93], v[90:91], v[94:95] op_sel_hi:[1,0,1]
	v_add_nc_u32_e32 v89, 1, v89
	v_pk_fma_f32 v[90:91], v[92:93], v[90:91], v[94:95] neg_lo:[0,0,1] neg_hi:[0,0,1]
	v_mov_b32_e32 v91, v97
	s_delay_alu instid0(VALU_DEP_3) | instskip(NEXT) | instid1(VALU_DEP_2)
	v_cmp_lt_u32_e32 vcc_lo, 11, v89
	v_pk_add_f32 v[84:85], v[84:85], v[90:91]
	s_or_b32 s3, vcc_lo, s3
	s_delay_alu instid0(SALU_CYCLE_1)
	s_and_not1_b32 exec_lo, exec_lo, s3
	s_cbranch_execnz .LBB39_517
; %bb.518:
	s_or_b32 exec_lo, exec_lo, s3
.LBB39_519:
	s_delay_alu instid0(SALU_CYCLE_1) | instskip(SKIP_4) | instid1(VALU_DEP_1)
	s_or_b32 exec_lo, exec_lo, s2
	v_mov_b32_e32 v87, 0
	ds_load_b64 v[88:89], v87 offset:104
	s_wait_dscnt 0x0
	v_pk_mul_f32 v[90:91], v[84:85], v[88:89] op_sel:[1,1] op_sel_hi:[0,1]
	v_pk_fma_f32 v[92:93], v[84:85], v[88:89], v[90:91] op_sel_hi:[1,0,1]
	v_pk_fma_f32 v[84:85], v[84:85], v[88:89], v[90:91] neg_lo:[0,0,1] neg_hi:[0,0,1]
	s_delay_alu instid0(VALU_DEP_2)
	v_mov_b32_e32 v85, v93
	scratch_store_b64 off, v[84:85], off offset:104
.LBB39_520:
	s_wait_xcnt 0x0
	s_or_b32 exec_lo, exec_lo, s0
	scratch_load_b64 v[84:85], off, off offset:112
	s_mov_b32 s0, exec_lo
	s_wait_loadcnt 0x0
	ds_store_b64 v1, v[84:85]
	s_wait_storecnt_dscnt 0x0
	s_barrier_signal -1
	s_barrier_wait -1
	s_wait_xcnt 0x0
	v_cmpx_gt_u32_e32 14, v0
	s_cbranch_execz .LBB39_530
; %bb.521:
	v_cmp_ne_u32_e32 vcc_lo, 1, v86
	s_cbranch_vccnz .LBB39_523
; %bb.522:
	scratch_load_b64 v[84:85], v37, off
	ds_load_b64 v[88:89], v1
	s_wait_loadcnt_dscnt 0x0
	v_pk_mul_f32 v[90:91], v[88:89], v[84:85] op_sel:[1,1] op_sel_hi:[0,1]
	s_delay_alu instid0(VALU_DEP_1) | instskip(SKIP_1) | instid1(VALU_DEP_2)
	v_pk_fma_f32 v[92:93], v[88:89], v[84:85], v[90:91] op_sel_hi:[1,0,1]
	v_pk_fma_f32 v[84:85], v[88:89], v[84:85], v[90:91] neg_lo:[0,0,1] neg_hi:[0,0,1]
	v_mov_b32_e32 v85, v93
	s_cbranch_execz .LBB39_524
	s_branch .LBB39_525
.LBB39_523:
                                        ; implicit-def: $vgpr84_vgpr85
.LBB39_524:
	ds_load_b64 v[84:85], v1
.LBB39_525:
	s_mov_b32 s2, exec_lo
	v_cmpx_ne_u32_e32 13, v0
	s_cbranch_execz .LBB39_529
; %bb.526:
	v_add_nc_u32_e32 v87, 0x148, v36
	v_add3_u32 v88, 0, v36, 8
	v_mov_b32_e32 v89, v0
	s_mov_b32 s3, 0
.LBB39_527:                             ; =>This Inner Loop Header: Depth=1
	scratch_load_b64 v[90:91], v88, off
	ds_load_b64 v[92:93], v87
	s_wait_xcnt 0x0
	v_dual_add_nc_u32 v87, 8, v87 :: v_dual_add_nc_u32 v88, 8, v88
	s_wait_loadcnt_dscnt 0x0
	v_pk_mul_f32 v[94:95], v[92:93], v[90:91] op_sel:[1,1] op_sel_hi:[0,1]
	s_delay_alu instid0(VALU_DEP_1) | instskip(SKIP_2) | instid1(VALU_DEP_3)
	v_pk_fma_f32 v[96:97], v[92:93], v[90:91], v[94:95] op_sel_hi:[1,0,1]
	v_add_nc_u32_e32 v89, 1, v89
	v_pk_fma_f32 v[90:91], v[92:93], v[90:91], v[94:95] neg_lo:[0,0,1] neg_hi:[0,0,1]
	v_mov_b32_e32 v91, v97
	s_delay_alu instid0(VALU_DEP_3) | instskip(NEXT) | instid1(VALU_DEP_2)
	v_cmp_lt_u32_e32 vcc_lo, 12, v89
	v_pk_add_f32 v[84:85], v[84:85], v[90:91]
	s_or_b32 s3, vcc_lo, s3
	s_delay_alu instid0(SALU_CYCLE_1)
	s_and_not1_b32 exec_lo, exec_lo, s3
	s_cbranch_execnz .LBB39_527
; %bb.528:
	s_or_b32 exec_lo, exec_lo, s3
.LBB39_529:
	s_delay_alu instid0(SALU_CYCLE_1) | instskip(SKIP_4) | instid1(VALU_DEP_1)
	s_or_b32 exec_lo, exec_lo, s2
	v_mov_b32_e32 v87, 0
	ds_load_b64 v[88:89], v87 offset:112
	s_wait_dscnt 0x0
	v_pk_mul_f32 v[90:91], v[84:85], v[88:89] op_sel:[1,1] op_sel_hi:[0,1]
	v_pk_fma_f32 v[92:93], v[84:85], v[88:89], v[90:91] op_sel_hi:[1,0,1]
	v_pk_fma_f32 v[84:85], v[84:85], v[88:89], v[90:91] neg_lo:[0,0,1] neg_hi:[0,0,1]
	s_delay_alu instid0(VALU_DEP_2)
	v_mov_b32_e32 v85, v93
	scratch_store_b64 off, v[84:85], off offset:112
.LBB39_530:
	s_wait_xcnt 0x0
	s_or_b32 exec_lo, exec_lo, s0
	scratch_load_b64 v[84:85], off, off offset:120
	s_mov_b32 s0, exec_lo
	s_wait_loadcnt 0x0
	ds_store_b64 v1, v[84:85]
	s_wait_storecnt_dscnt 0x0
	s_barrier_signal -1
	s_barrier_wait -1
	s_wait_xcnt 0x0
	v_cmpx_gt_u32_e32 15, v0
	s_cbranch_execz .LBB39_540
; %bb.531:
	v_cmp_ne_u32_e32 vcc_lo, 1, v86
	s_cbranch_vccnz .LBB39_533
; %bb.532:
	scratch_load_b64 v[84:85], v37, off
	ds_load_b64 v[88:89], v1
	s_wait_loadcnt_dscnt 0x0
	v_pk_mul_f32 v[90:91], v[88:89], v[84:85] op_sel:[1,1] op_sel_hi:[0,1]
	s_delay_alu instid0(VALU_DEP_1) | instskip(SKIP_1) | instid1(VALU_DEP_2)
	v_pk_fma_f32 v[92:93], v[88:89], v[84:85], v[90:91] op_sel_hi:[1,0,1]
	v_pk_fma_f32 v[84:85], v[88:89], v[84:85], v[90:91] neg_lo:[0,0,1] neg_hi:[0,0,1]
	v_mov_b32_e32 v85, v93
	s_cbranch_execz .LBB39_534
	s_branch .LBB39_535
.LBB39_533:
                                        ; implicit-def: $vgpr84_vgpr85
.LBB39_534:
	ds_load_b64 v[84:85], v1
.LBB39_535:
	s_mov_b32 s2, exec_lo
	v_cmpx_ne_u32_e32 14, v0
	s_cbranch_execz .LBB39_539
; %bb.536:
	v_add_nc_u32_e32 v87, 0x148, v36
	v_add3_u32 v88, 0, v36, 8
	v_mov_b32_e32 v89, v0
	s_mov_b32 s3, 0
.LBB39_537:                             ; =>This Inner Loop Header: Depth=1
	scratch_load_b64 v[90:91], v88, off
	ds_load_b64 v[92:93], v87
	s_wait_xcnt 0x0
	v_dual_add_nc_u32 v87, 8, v87 :: v_dual_add_nc_u32 v88, 8, v88
	s_wait_loadcnt_dscnt 0x0
	v_pk_mul_f32 v[94:95], v[92:93], v[90:91] op_sel:[1,1] op_sel_hi:[0,1]
	s_delay_alu instid0(VALU_DEP_1) | instskip(SKIP_2) | instid1(VALU_DEP_3)
	v_pk_fma_f32 v[96:97], v[92:93], v[90:91], v[94:95] op_sel_hi:[1,0,1]
	v_add_nc_u32_e32 v89, 1, v89
	v_pk_fma_f32 v[90:91], v[92:93], v[90:91], v[94:95] neg_lo:[0,0,1] neg_hi:[0,0,1]
	v_mov_b32_e32 v91, v97
	s_delay_alu instid0(VALU_DEP_3) | instskip(NEXT) | instid1(VALU_DEP_2)
	v_cmp_lt_u32_e32 vcc_lo, 13, v89
	v_pk_add_f32 v[84:85], v[84:85], v[90:91]
	s_or_b32 s3, vcc_lo, s3
	s_delay_alu instid0(SALU_CYCLE_1)
	s_and_not1_b32 exec_lo, exec_lo, s3
	s_cbranch_execnz .LBB39_537
; %bb.538:
	s_or_b32 exec_lo, exec_lo, s3
.LBB39_539:
	s_delay_alu instid0(SALU_CYCLE_1) | instskip(SKIP_4) | instid1(VALU_DEP_1)
	s_or_b32 exec_lo, exec_lo, s2
	v_mov_b32_e32 v87, 0
	ds_load_b64 v[88:89], v87 offset:120
	s_wait_dscnt 0x0
	v_pk_mul_f32 v[90:91], v[84:85], v[88:89] op_sel:[1,1] op_sel_hi:[0,1]
	v_pk_fma_f32 v[92:93], v[84:85], v[88:89], v[90:91] op_sel_hi:[1,0,1]
	v_pk_fma_f32 v[84:85], v[84:85], v[88:89], v[90:91] neg_lo:[0,0,1] neg_hi:[0,0,1]
	s_delay_alu instid0(VALU_DEP_2)
	v_mov_b32_e32 v85, v93
	scratch_store_b64 off, v[84:85], off offset:120
.LBB39_540:
	s_wait_xcnt 0x0
	s_or_b32 exec_lo, exec_lo, s0
	scratch_load_b64 v[84:85], off, off offset:128
	s_mov_b32 s0, exec_lo
	s_wait_loadcnt 0x0
	ds_store_b64 v1, v[84:85]
	s_wait_storecnt_dscnt 0x0
	s_barrier_signal -1
	s_barrier_wait -1
	s_wait_xcnt 0x0
	v_cmpx_gt_u32_e32 16, v0
	s_cbranch_execz .LBB39_550
; %bb.541:
	v_cmp_ne_u32_e32 vcc_lo, 1, v86
	s_cbranch_vccnz .LBB39_543
; %bb.542:
	scratch_load_b64 v[84:85], v37, off
	ds_load_b64 v[88:89], v1
	s_wait_loadcnt_dscnt 0x0
	v_pk_mul_f32 v[90:91], v[88:89], v[84:85] op_sel:[1,1] op_sel_hi:[0,1]
	s_delay_alu instid0(VALU_DEP_1) | instskip(SKIP_1) | instid1(VALU_DEP_2)
	v_pk_fma_f32 v[92:93], v[88:89], v[84:85], v[90:91] op_sel_hi:[1,0,1]
	v_pk_fma_f32 v[84:85], v[88:89], v[84:85], v[90:91] neg_lo:[0,0,1] neg_hi:[0,0,1]
	v_mov_b32_e32 v85, v93
	s_cbranch_execz .LBB39_544
	s_branch .LBB39_545
.LBB39_543:
                                        ; implicit-def: $vgpr84_vgpr85
.LBB39_544:
	ds_load_b64 v[84:85], v1
.LBB39_545:
	s_mov_b32 s2, exec_lo
	v_cmpx_ne_u32_e32 15, v0
	s_cbranch_execz .LBB39_549
; %bb.546:
	v_add_nc_u32_e32 v87, 0x148, v36
	v_add3_u32 v88, 0, v36, 8
	v_mov_b32_e32 v89, v0
	s_mov_b32 s3, 0
.LBB39_547:                             ; =>This Inner Loop Header: Depth=1
	scratch_load_b64 v[90:91], v88, off
	ds_load_b64 v[92:93], v87
	s_wait_xcnt 0x0
	v_dual_add_nc_u32 v87, 8, v87 :: v_dual_add_nc_u32 v88, 8, v88
	s_wait_loadcnt_dscnt 0x0
	v_pk_mul_f32 v[94:95], v[92:93], v[90:91] op_sel:[1,1] op_sel_hi:[0,1]
	s_delay_alu instid0(VALU_DEP_1) | instskip(SKIP_2) | instid1(VALU_DEP_3)
	v_pk_fma_f32 v[96:97], v[92:93], v[90:91], v[94:95] op_sel_hi:[1,0,1]
	v_add_nc_u32_e32 v89, 1, v89
	v_pk_fma_f32 v[90:91], v[92:93], v[90:91], v[94:95] neg_lo:[0,0,1] neg_hi:[0,0,1]
	v_mov_b32_e32 v91, v97
	s_delay_alu instid0(VALU_DEP_3) | instskip(NEXT) | instid1(VALU_DEP_2)
	v_cmp_lt_u32_e32 vcc_lo, 14, v89
	v_pk_add_f32 v[84:85], v[84:85], v[90:91]
	s_or_b32 s3, vcc_lo, s3
	s_delay_alu instid0(SALU_CYCLE_1)
	s_and_not1_b32 exec_lo, exec_lo, s3
	s_cbranch_execnz .LBB39_547
; %bb.548:
	s_or_b32 exec_lo, exec_lo, s3
.LBB39_549:
	s_delay_alu instid0(SALU_CYCLE_1) | instskip(SKIP_4) | instid1(VALU_DEP_1)
	s_or_b32 exec_lo, exec_lo, s2
	v_mov_b32_e32 v87, 0
	ds_load_b64 v[88:89], v87 offset:128
	s_wait_dscnt 0x0
	v_pk_mul_f32 v[90:91], v[84:85], v[88:89] op_sel:[1,1] op_sel_hi:[0,1]
	v_pk_fma_f32 v[92:93], v[84:85], v[88:89], v[90:91] op_sel_hi:[1,0,1]
	v_pk_fma_f32 v[84:85], v[84:85], v[88:89], v[90:91] neg_lo:[0,0,1] neg_hi:[0,0,1]
	s_delay_alu instid0(VALU_DEP_2)
	v_mov_b32_e32 v85, v93
	scratch_store_b64 off, v[84:85], off offset:128
.LBB39_550:
	s_wait_xcnt 0x0
	s_or_b32 exec_lo, exec_lo, s0
	scratch_load_b64 v[84:85], off, off offset:136
	s_mov_b32 s0, exec_lo
	s_wait_loadcnt 0x0
	ds_store_b64 v1, v[84:85]
	s_wait_storecnt_dscnt 0x0
	s_barrier_signal -1
	s_barrier_wait -1
	s_wait_xcnt 0x0
	v_cmpx_gt_u32_e32 17, v0
	s_cbranch_execz .LBB39_560
; %bb.551:
	v_cmp_ne_u32_e32 vcc_lo, 1, v86
	s_cbranch_vccnz .LBB39_553
; %bb.552:
	scratch_load_b64 v[84:85], v37, off
	ds_load_b64 v[88:89], v1
	s_wait_loadcnt_dscnt 0x0
	v_pk_mul_f32 v[90:91], v[88:89], v[84:85] op_sel:[1,1] op_sel_hi:[0,1]
	s_delay_alu instid0(VALU_DEP_1) | instskip(SKIP_1) | instid1(VALU_DEP_2)
	v_pk_fma_f32 v[92:93], v[88:89], v[84:85], v[90:91] op_sel_hi:[1,0,1]
	v_pk_fma_f32 v[84:85], v[88:89], v[84:85], v[90:91] neg_lo:[0,0,1] neg_hi:[0,0,1]
	v_mov_b32_e32 v85, v93
	s_cbranch_execz .LBB39_554
	s_branch .LBB39_555
.LBB39_553:
                                        ; implicit-def: $vgpr84_vgpr85
.LBB39_554:
	ds_load_b64 v[84:85], v1
.LBB39_555:
	s_mov_b32 s2, exec_lo
	v_cmpx_ne_u32_e32 16, v0
	s_cbranch_execz .LBB39_559
; %bb.556:
	v_add_nc_u32_e32 v87, 0x148, v36
	v_add3_u32 v88, 0, v36, 8
	v_mov_b32_e32 v89, v0
	s_mov_b32 s3, 0
.LBB39_557:                             ; =>This Inner Loop Header: Depth=1
	scratch_load_b64 v[90:91], v88, off
	ds_load_b64 v[92:93], v87
	s_wait_xcnt 0x0
	v_dual_add_nc_u32 v87, 8, v87 :: v_dual_add_nc_u32 v88, 8, v88
	s_wait_loadcnt_dscnt 0x0
	v_pk_mul_f32 v[94:95], v[92:93], v[90:91] op_sel:[1,1] op_sel_hi:[0,1]
	s_delay_alu instid0(VALU_DEP_1) | instskip(SKIP_2) | instid1(VALU_DEP_3)
	v_pk_fma_f32 v[96:97], v[92:93], v[90:91], v[94:95] op_sel_hi:[1,0,1]
	v_add_nc_u32_e32 v89, 1, v89
	v_pk_fma_f32 v[90:91], v[92:93], v[90:91], v[94:95] neg_lo:[0,0,1] neg_hi:[0,0,1]
	v_mov_b32_e32 v91, v97
	s_delay_alu instid0(VALU_DEP_3) | instskip(NEXT) | instid1(VALU_DEP_2)
	v_cmp_lt_u32_e32 vcc_lo, 15, v89
	v_pk_add_f32 v[84:85], v[84:85], v[90:91]
	s_or_b32 s3, vcc_lo, s3
	s_delay_alu instid0(SALU_CYCLE_1)
	s_and_not1_b32 exec_lo, exec_lo, s3
	s_cbranch_execnz .LBB39_557
; %bb.558:
	s_or_b32 exec_lo, exec_lo, s3
.LBB39_559:
	s_delay_alu instid0(SALU_CYCLE_1) | instskip(SKIP_4) | instid1(VALU_DEP_1)
	s_or_b32 exec_lo, exec_lo, s2
	v_mov_b32_e32 v87, 0
	ds_load_b64 v[88:89], v87 offset:136
	s_wait_dscnt 0x0
	v_pk_mul_f32 v[90:91], v[84:85], v[88:89] op_sel:[1,1] op_sel_hi:[0,1]
	v_pk_fma_f32 v[92:93], v[84:85], v[88:89], v[90:91] op_sel_hi:[1,0,1]
	v_pk_fma_f32 v[84:85], v[84:85], v[88:89], v[90:91] neg_lo:[0,0,1] neg_hi:[0,0,1]
	s_delay_alu instid0(VALU_DEP_2)
	v_mov_b32_e32 v85, v93
	scratch_store_b64 off, v[84:85], off offset:136
.LBB39_560:
	s_wait_xcnt 0x0
	s_or_b32 exec_lo, exec_lo, s0
	scratch_load_b64 v[84:85], off, off offset:144
	s_mov_b32 s0, exec_lo
	s_wait_loadcnt 0x0
	ds_store_b64 v1, v[84:85]
	s_wait_storecnt_dscnt 0x0
	s_barrier_signal -1
	s_barrier_wait -1
	s_wait_xcnt 0x0
	v_cmpx_gt_u32_e32 18, v0
	s_cbranch_execz .LBB39_570
; %bb.561:
	v_cmp_ne_u32_e32 vcc_lo, 1, v86
	s_cbranch_vccnz .LBB39_563
; %bb.562:
	scratch_load_b64 v[84:85], v37, off
	ds_load_b64 v[88:89], v1
	s_wait_loadcnt_dscnt 0x0
	v_pk_mul_f32 v[90:91], v[88:89], v[84:85] op_sel:[1,1] op_sel_hi:[0,1]
	s_delay_alu instid0(VALU_DEP_1) | instskip(SKIP_1) | instid1(VALU_DEP_2)
	v_pk_fma_f32 v[92:93], v[88:89], v[84:85], v[90:91] op_sel_hi:[1,0,1]
	v_pk_fma_f32 v[84:85], v[88:89], v[84:85], v[90:91] neg_lo:[0,0,1] neg_hi:[0,0,1]
	v_mov_b32_e32 v85, v93
	s_cbranch_execz .LBB39_564
	s_branch .LBB39_565
.LBB39_563:
                                        ; implicit-def: $vgpr84_vgpr85
.LBB39_564:
	ds_load_b64 v[84:85], v1
.LBB39_565:
	s_mov_b32 s2, exec_lo
	v_cmpx_ne_u32_e32 17, v0
	s_cbranch_execz .LBB39_569
; %bb.566:
	v_add_nc_u32_e32 v87, 0x148, v36
	v_add3_u32 v88, 0, v36, 8
	v_mov_b32_e32 v89, v0
	s_mov_b32 s3, 0
.LBB39_567:                             ; =>This Inner Loop Header: Depth=1
	scratch_load_b64 v[90:91], v88, off
	ds_load_b64 v[92:93], v87
	s_wait_xcnt 0x0
	v_dual_add_nc_u32 v87, 8, v87 :: v_dual_add_nc_u32 v88, 8, v88
	s_wait_loadcnt_dscnt 0x0
	v_pk_mul_f32 v[94:95], v[92:93], v[90:91] op_sel:[1,1] op_sel_hi:[0,1]
	s_delay_alu instid0(VALU_DEP_1) | instskip(SKIP_2) | instid1(VALU_DEP_3)
	v_pk_fma_f32 v[96:97], v[92:93], v[90:91], v[94:95] op_sel_hi:[1,0,1]
	v_add_nc_u32_e32 v89, 1, v89
	v_pk_fma_f32 v[90:91], v[92:93], v[90:91], v[94:95] neg_lo:[0,0,1] neg_hi:[0,0,1]
	v_mov_b32_e32 v91, v97
	s_delay_alu instid0(VALU_DEP_3) | instskip(NEXT) | instid1(VALU_DEP_2)
	v_cmp_lt_u32_e32 vcc_lo, 16, v89
	v_pk_add_f32 v[84:85], v[84:85], v[90:91]
	s_or_b32 s3, vcc_lo, s3
	s_delay_alu instid0(SALU_CYCLE_1)
	s_and_not1_b32 exec_lo, exec_lo, s3
	s_cbranch_execnz .LBB39_567
; %bb.568:
	s_or_b32 exec_lo, exec_lo, s3
.LBB39_569:
	s_delay_alu instid0(SALU_CYCLE_1) | instskip(SKIP_4) | instid1(VALU_DEP_1)
	s_or_b32 exec_lo, exec_lo, s2
	v_mov_b32_e32 v87, 0
	ds_load_b64 v[88:89], v87 offset:144
	s_wait_dscnt 0x0
	v_pk_mul_f32 v[90:91], v[84:85], v[88:89] op_sel:[1,1] op_sel_hi:[0,1]
	v_pk_fma_f32 v[92:93], v[84:85], v[88:89], v[90:91] op_sel_hi:[1,0,1]
	v_pk_fma_f32 v[84:85], v[84:85], v[88:89], v[90:91] neg_lo:[0,0,1] neg_hi:[0,0,1]
	s_delay_alu instid0(VALU_DEP_2)
	v_mov_b32_e32 v85, v93
	scratch_store_b64 off, v[84:85], off offset:144
.LBB39_570:
	s_wait_xcnt 0x0
	s_or_b32 exec_lo, exec_lo, s0
	scratch_load_b64 v[84:85], off, off offset:152
	s_mov_b32 s0, exec_lo
	s_wait_loadcnt 0x0
	ds_store_b64 v1, v[84:85]
	s_wait_storecnt_dscnt 0x0
	s_barrier_signal -1
	s_barrier_wait -1
	s_wait_xcnt 0x0
	v_cmpx_gt_u32_e32 19, v0
	s_cbranch_execz .LBB39_580
; %bb.571:
	v_cmp_ne_u32_e32 vcc_lo, 1, v86
	s_cbranch_vccnz .LBB39_573
; %bb.572:
	scratch_load_b64 v[84:85], v37, off
	ds_load_b64 v[88:89], v1
	s_wait_loadcnt_dscnt 0x0
	v_pk_mul_f32 v[90:91], v[88:89], v[84:85] op_sel:[1,1] op_sel_hi:[0,1]
	s_delay_alu instid0(VALU_DEP_1) | instskip(SKIP_1) | instid1(VALU_DEP_2)
	v_pk_fma_f32 v[92:93], v[88:89], v[84:85], v[90:91] op_sel_hi:[1,0,1]
	v_pk_fma_f32 v[84:85], v[88:89], v[84:85], v[90:91] neg_lo:[0,0,1] neg_hi:[0,0,1]
	v_mov_b32_e32 v85, v93
	s_cbranch_execz .LBB39_574
	s_branch .LBB39_575
.LBB39_573:
                                        ; implicit-def: $vgpr84_vgpr85
.LBB39_574:
	ds_load_b64 v[84:85], v1
.LBB39_575:
	s_mov_b32 s2, exec_lo
	v_cmpx_ne_u32_e32 18, v0
	s_cbranch_execz .LBB39_579
; %bb.576:
	v_add_nc_u32_e32 v87, 0x148, v36
	v_add3_u32 v88, 0, v36, 8
	v_mov_b32_e32 v89, v0
	s_mov_b32 s3, 0
.LBB39_577:                             ; =>This Inner Loop Header: Depth=1
	scratch_load_b64 v[90:91], v88, off
	ds_load_b64 v[92:93], v87
	s_wait_xcnt 0x0
	v_dual_add_nc_u32 v87, 8, v87 :: v_dual_add_nc_u32 v88, 8, v88
	s_wait_loadcnt_dscnt 0x0
	v_pk_mul_f32 v[94:95], v[92:93], v[90:91] op_sel:[1,1] op_sel_hi:[0,1]
	s_delay_alu instid0(VALU_DEP_1) | instskip(SKIP_2) | instid1(VALU_DEP_3)
	v_pk_fma_f32 v[96:97], v[92:93], v[90:91], v[94:95] op_sel_hi:[1,0,1]
	v_add_nc_u32_e32 v89, 1, v89
	v_pk_fma_f32 v[90:91], v[92:93], v[90:91], v[94:95] neg_lo:[0,0,1] neg_hi:[0,0,1]
	v_mov_b32_e32 v91, v97
	s_delay_alu instid0(VALU_DEP_3) | instskip(NEXT) | instid1(VALU_DEP_2)
	v_cmp_lt_u32_e32 vcc_lo, 17, v89
	v_pk_add_f32 v[84:85], v[84:85], v[90:91]
	s_or_b32 s3, vcc_lo, s3
	s_delay_alu instid0(SALU_CYCLE_1)
	s_and_not1_b32 exec_lo, exec_lo, s3
	s_cbranch_execnz .LBB39_577
; %bb.578:
	s_or_b32 exec_lo, exec_lo, s3
.LBB39_579:
	s_delay_alu instid0(SALU_CYCLE_1) | instskip(SKIP_4) | instid1(VALU_DEP_1)
	s_or_b32 exec_lo, exec_lo, s2
	v_mov_b32_e32 v87, 0
	ds_load_b64 v[88:89], v87 offset:152
	s_wait_dscnt 0x0
	v_pk_mul_f32 v[90:91], v[84:85], v[88:89] op_sel:[1,1] op_sel_hi:[0,1]
	v_pk_fma_f32 v[92:93], v[84:85], v[88:89], v[90:91] op_sel_hi:[1,0,1]
	v_pk_fma_f32 v[84:85], v[84:85], v[88:89], v[90:91] neg_lo:[0,0,1] neg_hi:[0,0,1]
	s_delay_alu instid0(VALU_DEP_2)
	v_mov_b32_e32 v85, v93
	scratch_store_b64 off, v[84:85], off offset:152
.LBB39_580:
	s_wait_xcnt 0x0
	s_or_b32 exec_lo, exec_lo, s0
	scratch_load_b64 v[84:85], off, off offset:160
	s_mov_b32 s0, exec_lo
	s_wait_loadcnt 0x0
	ds_store_b64 v1, v[84:85]
	s_wait_storecnt_dscnt 0x0
	s_barrier_signal -1
	s_barrier_wait -1
	s_wait_xcnt 0x0
	v_cmpx_gt_u32_e32 20, v0
	s_cbranch_execz .LBB39_590
; %bb.581:
	v_cmp_ne_u32_e32 vcc_lo, 1, v86
	s_cbranch_vccnz .LBB39_583
; %bb.582:
	scratch_load_b64 v[84:85], v37, off
	ds_load_b64 v[88:89], v1
	s_wait_loadcnt_dscnt 0x0
	v_pk_mul_f32 v[90:91], v[88:89], v[84:85] op_sel:[1,1] op_sel_hi:[0,1]
	s_delay_alu instid0(VALU_DEP_1) | instskip(SKIP_1) | instid1(VALU_DEP_2)
	v_pk_fma_f32 v[92:93], v[88:89], v[84:85], v[90:91] op_sel_hi:[1,0,1]
	v_pk_fma_f32 v[84:85], v[88:89], v[84:85], v[90:91] neg_lo:[0,0,1] neg_hi:[0,0,1]
	v_mov_b32_e32 v85, v93
	s_cbranch_execz .LBB39_584
	s_branch .LBB39_585
.LBB39_583:
                                        ; implicit-def: $vgpr84_vgpr85
.LBB39_584:
	ds_load_b64 v[84:85], v1
.LBB39_585:
	s_mov_b32 s2, exec_lo
	v_cmpx_ne_u32_e32 19, v0
	s_cbranch_execz .LBB39_589
; %bb.586:
	v_add_nc_u32_e32 v87, 0x148, v36
	v_add3_u32 v88, 0, v36, 8
	v_mov_b32_e32 v89, v0
	s_mov_b32 s3, 0
.LBB39_587:                             ; =>This Inner Loop Header: Depth=1
	scratch_load_b64 v[90:91], v88, off
	ds_load_b64 v[92:93], v87
	s_wait_xcnt 0x0
	v_dual_add_nc_u32 v87, 8, v87 :: v_dual_add_nc_u32 v88, 8, v88
	s_wait_loadcnt_dscnt 0x0
	v_pk_mul_f32 v[94:95], v[92:93], v[90:91] op_sel:[1,1] op_sel_hi:[0,1]
	s_delay_alu instid0(VALU_DEP_1) | instskip(SKIP_2) | instid1(VALU_DEP_3)
	v_pk_fma_f32 v[96:97], v[92:93], v[90:91], v[94:95] op_sel_hi:[1,0,1]
	v_add_nc_u32_e32 v89, 1, v89
	v_pk_fma_f32 v[90:91], v[92:93], v[90:91], v[94:95] neg_lo:[0,0,1] neg_hi:[0,0,1]
	v_mov_b32_e32 v91, v97
	s_delay_alu instid0(VALU_DEP_3) | instskip(NEXT) | instid1(VALU_DEP_2)
	v_cmp_lt_u32_e32 vcc_lo, 18, v89
	v_pk_add_f32 v[84:85], v[84:85], v[90:91]
	s_or_b32 s3, vcc_lo, s3
	s_delay_alu instid0(SALU_CYCLE_1)
	s_and_not1_b32 exec_lo, exec_lo, s3
	s_cbranch_execnz .LBB39_587
; %bb.588:
	s_or_b32 exec_lo, exec_lo, s3
.LBB39_589:
	s_delay_alu instid0(SALU_CYCLE_1) | instskip(SKIP_4) | instid1(VALU_DEP_1)
	s_or_b32 exec_lo, exec_lo, s2
	v_mov_b32_e32 v87, 0
	ds_load_b64 v[88:89], v87 offset:160
	s_wait_dscnt 0x0
	v_pk_mul_f32 v[90:91], v[84:85], v[88:89] op_sel:[1,1] op_sel_hi:[0,1]
	v_pk_fma_f32 v[92:93], v[84:85], v[88:89], v[90:91] op_sel_hi:[1,0,1]
	v_pk_fma_f32 v[84:85], v[84:85], v[88:89], v[90:91] neg_lo:[0,0,1] neg_hi:[0,0,1]
	s_delay_alu instid0(VALU_DEP_2)
	v_mov_b32_e32 v85, v93
	scratch_store_b64 off, v[84:85], off offset:160
.LBB39_590:
	s_wait_xcnt 0x0
	s_or_b32 exec_lo, exec_lo, s0
	scratch_load_b64 v[84:85], off, off offset:168
	s_mov_b32 s0, exec_lo
	s_wait_loadcnt 0x0
	ds_store_b64 v1, v[84:85]
	s_wait_storecnt_dscnt 0x0
	s_barrier_signal -1
	s_barrier_wait -1
	s_wait_xcnt 0x0
	v_cmpx_gt_u32_e32 21, v0
	s_cbranch_execz .LBB39_600
; %bb.591:
	v_cmp_ne_u32_e32 vcc_lo, 1, v86
	s_cbranch_vccnz .LBB39_593
; %bb.592:
	scratch_load_b64 v[84:85], v37, off
	ds_load_b64 v[88:89], v1
	s_wait_loadcnt_dscnt 0x0
	v_pk_mul_f32 v[90:91], v[88:89], v[84:85] op_sel:[1,1] op_sel_hi:[0,1]
	s_delay_alu instid0(VALU_DEP_1) | instskip(SKIP_1) | instid1(VALU_DEP_2)
	v_pk_fma_f32 v[92:93], v[88:89], v[84:85], v[90:91] op_sel_hi:[1,0,1]
	v_pk_fma_f32 v[84:85], v[88:89], v[84:85], v[90:91] neg_lo:[0,0,1] neg_hi:[0,0,1]
	v_mov_b32_e32 v85, v93
	s_cbranch_execz .LBB39_594
	s_branch .LBB39_595
.LBB39_593:
                                        ; implicit-def: $vgpr84_vgpr85
.LBB39_594:
	ds_load_b64 v[84:85], v1
.LBB39_595:
	s_mov_b32 s2, exec_lo
	v_cmpx_ne_u32_e32 20, v0
	s_cbranch_execz .LBB39_599
; %bb.596:
	v_add_nc_u32_e32 v87, 0x148, v36
	v_add3_u32 v88, 0, v36, 8
	v_mov_b32_e32 v89, v0
	s_mov_b32 s3, 0
.LBB39_597:                             ; =>This Inner Loop Header: Depth=1
	scratch_load_b64 v[90:91], v88, off
	ds_load_b64 v[92:93], v87
	s_wait_xcnt 0x0
	v_dual_add_nc_u32 v87, 8, v87 :: v_dual_add_nc_u32 v88, 8, v88
	s_wait_loadcnt_dscnt 0x0
	v_pk_mul_f32 v[94:95], v[92:93], v[90:91] op_sel:[1,1] op_sel_hi:[0,1]
	s_delay_alu instid0(VALU_DEP_1) | instskip(SKIP_2) | instid1(VALU_DEP_3)
	v_pk_fma_f32 v[96:97], v[92:93], v[90:91], v[94:95] op_sel_hi:[1,0,1]
	v_add_nc_u32_e32 v89, 1, v89
	v_pk_fma_f32 v[90:91], v[92:93], v[90:91], v[94:95] neg_lo:[0,0,1] neg_hi:[0,0,1]
	v_mov_b32_e32 v91, v97
	s_delay_alu instid0(VALU_DEP_3) | instskip(NEXT) | instid1(VALU_DEP_2)
	v_cmp_lt_u32_e32 vcc_lo, 19, v89
	v_pk_add_f32 v[84:85], v[84:85], v[90:91]
	s_or_b32 s3, vcc_lo, s3
	s_delay_alu instid0(SALU_CYCLE_1)
	s_and_not1_b32 exec_lo, exec_lo, s3
	s_cbranch_execnz .LBB39_597
; %bb.598:
	s_or_b32 exec_lo, exec_lo, s3
.LBB39_599:
	s_delay_alu instid0(SALU_CYCLE_1) | instskip(SKIP_4) | instid1(VALU_DEP_1)
	s_or_b32 exec_lo, exec_lo, s2
	v_mov_b32_e32 v87, 0
	ds_load_b64 v[88:89], v87 offset:168
	s_wait_dscnt 0x0
	v_pk_mul_f32 v[90:91], v[84:85], v[88:89] op_sel:[1,1] op_sel_hi:[0,1]
	v_pk_fma_f32 v[92:93], v[84:85], v[88:89], v[90:91] op_sel_hi:[1,0,1]
	v_pk_fma_f32 v[84:85], v[84:85], v[88:89], v[90:91] neg_lo:[0,0,1] neg_hi:[0,0,1]
	s_delay_alu instid0(VALU_DEP_2)
	v_mov_b32_e32 v85, v93
	scratch_store_b64 off, v[84:85], off offset:168
.LBB39_600:
	s_wait_xcnt 0x0
	s_or_b32 exec_lo, exec_lo, s0
	scratch_load_b64 v[84:85], off, off offset:176
	s_mov_b32 s0, exec_lo
	s_wait_loadcnt 0x0
	ds_store_b64 v1, v[84:85]
	s_wait_storecnt_dscnt 0x0
	s_barrier_signal -1
	s_barrier_wait -1
	s_wait_xcnt 0x0
	v_cmpx_gt_u32_e32 22, v0
	s_cbranch_execz .LBB39_610
; %bb.601:
	v_cmp_ne_u32_e32 vcc_lo, 1, v86
	s_cbranch_vccnz .LBB39_603
; %bb.602:
	scratch_load_b64 v[84:85], v37, off
	ds_load_b64 v[88:89], v1
	s_wait_loadcnt_dscnt 0x0
	v_pk_mul_f32 v[90:91], v[88:89], v[84:85] op_sel:[1,1] op_sel_hi:[0,1]
	s_delay_alu instid0(VALU_DEP_1) | instskip(SKIP_1) | instid1(VALU_DEP_2)
	v_pk_fma_f32 v[92:93], v[88:89], v[84:85], v[90:91] op_sel_hi:[1,0,1]
	v_pk_fma_f32 v[84:85], v[88:89], v[84:85], v[90:91] neg_lo:[0,0,1] neg_hi:[0,0,1]
	v_mov_b32_e32 v85, v93
	s_cbranch_execz .LBB39_604
	s_branch .LBB39_605
.LBB39_603:
                                        ; implicit-def: $vgpr84_vgpr85
.LBB39_604:
	ds_load_b64 v[84:85], v1
.LBB39_605:
	s_mov_b32 s2, exec_lo
	v_cmpx_ne_u32_e32 21, v0
	s_cbranch_execz .LBB39_609
; %bb.606:
	v_add_nc_u32_e32 v87, 0x148, v36
	v_add3_u32 v88, 0, v36, 8
	v_mov_b32_e32 v89, v0
	s_mov_b32 s3, 0
.LBB39_607:                             ; =>This Inner Loop Header: Depth=1
	scratch_load_b64 v[90:91], v88, off
	ds_load_b64 v[92:93], v87
	s_wait_xcnt 0x0
	v_dual_add_nc_u32 v87, 8, v87 :: v_dual_add_nc_u32 v88, 8, v88
	s_wait_loadcnt_dscnt 0x0
	v_pk_mul_f32 v[94:95], v[92:93], v[90:91] op_sel:[1,1] op_sel_hi:[0,1]
	s_delay_alu instid0(VALU_DEP_1) | instskip(SKIP_2) | instid1(VALU_DEP_3)
	v_pk_fma_f32 v[96:97], v[92:93], v[90:91], v[94:95] op_sel_hi:[1,0,1]
	v_add_nc_u32_e32 v89, 1, v89
	v_pk_fma_f32 v[90:91], v[92:93], v[90:91], v[94:95] neg_lo:[0,0,1] neg_hi:[0,0,1]
	v_mov_b32_e32 v91, v97
	s_delay_alu instid0(VALU_DEP_3) | instskip(NEXT) | instid1(VALU_DEP_2)
	v_cmp_lt_u32_e32 vcc_lo, 20, v89
	v_pk_add_f32 v[84:85], v[84:85], v[90:91]
	s_or_b32 s3, vcc_lo, s3
	s_delay_alu instid0(SALU_CYCLE_1)
	s_and_not1_b32 exec_lo, exec_lo, s3
	s_cbranch_execnz .LBB39_607
; %bb.608:
	s_or_b32 exec_lo, exec_lo, s3
.LBB39_609:
	s_delay_alu instid0(SALU_CYCLE_1) | instskip(SKIP_4) | instid1(VALU_DEP_1)
	s_or_b32 exec_lo, exec_lo, s2
	v_mov_b32_e32 v87, 0
	ds_load_b64 v[88:89], v87 offset:176
	s_wait_dscnt 0x0
	v_pk_mul_f32 v[90:91], v[84:85], v[88:89] op_sel:[1,1] op_sel_hi:[0,1]
	v_pk_fma_f32 v[92:93], v[84:85], v[88:89], v[90:91] op_sel_hi:[1,0,1]
	v_pk_fma_f32 v[84:85], v[84:85], v[88:89], v[90:91] neg_lo:[0,0,1] neg_hi:[0,0,1]
	s_delay_alu instid0(VALU_DEP_2)
	v_mov_b32_e32 v85, v93
	scratch_store_b64 off, v[84:85], off offset:176
.LBB39_610:
	s_wait_xcnt 0x0
	s_or_b32 exec_lo, exec_lo, s0
	scratch_load_b64 v[84:85], off, off offset:184
	s_mov_b32 s0, exec_lo
	s_wait_loadcnt 0x0
	ds_store_b64 v1, v[84:85]
	s_wait_storecnt_dscnt 0x0
	s_barrier_signal -1
	s_barrier_wait -1
	s_wait_xcnt 0x0
	v_cmpx_gt_u32_e32 23, v0
	s_cbranch_execz .LBB39_620
; %bb.611:
	v_cmp_ne_u32_e32 vcc_lo, 1, v86
	s_cbranch_vccnz .LBB39_613
; %bb.612:
	scratch_load_b64 v[84:85], v37, off
	ds_load_b64 v[88:89], v1
	s_wait_loadcnt_dscnt 0x0
	v_pk_mul_f32 v[90:91], v[88:89], v[84:85] op_sel:[1,1] op_sel_hi:[0,1]
	s_delay_alu instid0(VALU_DEP_1) | instskip(SKIP_1) | instid1(VALU_DEP_2)
	v_pk_fma_f32 v[92:93], v[88:89], v[84:85], v[90:91] op_sel_hi:[1,0,1]
	v_pk_fma_f32 v[84:85], v[88:89], v[84:85], v[90:91] neg_lo:[0,0,1] neg_hi:[0,0,1]
	v_mov_b32_e32 v85, v93
	s_cbranch_execz .LBB39_614
	s_branch .LBB39_615
.LBB39_613:
                                        ; implicit-def: $vgpr84_vgpr85
.LBB39_614:
	ds_load_b64 v[84:85], v1
.LBB39_615:
	s_mov_b32 s2, exec_lo
	v_cmpx_ne_u32_e32 22, v0
	s_cbranch_execz .LBB39_619
; %bb.616:
	v_add_nc_u32_e32 v87, 0x148, v36
	v_add3_u32 v88, 0, v36, 8
	v_mov_b32_e32 v89, v0
	s_mov_b32 s3, 0
.LBB39_617:                             ; =>This Inner Loop Header: Depth=1
	scratch_load_b64 v[90:91], v88, off
	ds_load_b64 v[92:93], v87
	s_wait_xcnt 0x0
	v_dual_add_nc_u32 v87, 8, v87 :: v_dual_add_nc_u32 v88, 8, v88
	s_wait_loadcnt_dscnt 0x0
	v_pk_mul_f32 v[94:95], v[92:93], v[90:91] op_sel:[1,1] op_sel_hi:[0,1]
	s_delay_alu instid0(VALU_DEP_1) | instskip(SKIP_2) | instid1(VALU_DEP_3)
	v_pk_fma_f32 v[96:97], v[92:93], v[90:91], v[94:95] op_sel_hi:[1,0,1]
	v_add_nc_u32_e32 v89, 1, v89
	v_pk_fma_f32 v[90:91], v[92:93], v[90:91], v[94:95] neg_lo:[0,0,1] neg_hi:[0,0,1]
	v_mov_b32_e32 v91, v97
	s_delay_alu instid0(VALU_DEP_3) | instskip(NEXT) | instid1(VALU_DEP_2)
	v_cmp_lt_u32_e32 vcc_lo, 21, v89
	v_pk_add_f32 v[84:85], v[84:85], v[90:91]
	s_or_b32 s3, vcc_lo, s3
	s_delay_alu instid0(SALU_CYCLE_1)
	s_and_not1_b32 exec_lo, exec_lo, s3
	s_cbranch_execnz .LBB39_617
; %bb.618:
	s_or_b32 exec_lo, exec_lo, s3
.LBB39_619:
	s_delay_alu instid0(SALU_CYCLE_1) | instskip(SKIP_4) | instid1(VALU_DEP_1)
	s_or_b32 exec_lo, exec_lo, s2
	v_mov_b32_e32 v87, 0
	ds_load_b64 v[88:89], v87 offset:184
	s_wait_dscnt 0x0
	v_pk_mul_f32 v[90:91], v[84:85], v[88:89] op_sel:[1,1] op_sel_hi:[0,1]
	v_pk_fma_f32 v[92:93], v[84:85], v[88:89], v[90:91] op_sel_hi:[1,0,1]
	v_pk_fma_f32 v[84:85], v[84:85], v[88:89], v[90:91] neg_lo:[0,0,1] neg_hi:[0,0,1]
	s_delay_alu instid0(VALU_DEP_2)
	v_mov_b32_e32 v85, v93
	scratch_store_b64 off, v[84:85], off offset:184
.LBB39_620:
	s_wait_xcnt 0x0
	s_or_b32 exec_lo, exec_lo, s0
	scratch_load_b64 v[84:85], off, off offset:192
	s_mov_b32 s0, exec_lo
	s_wait_loadcnt 0x0
	ds_store_b64 v1, v[84:85]
	s_wait_storecnt_dscnt 0x0
	s_barrier_signal -1
	s_barrier_wait -1
	s_wait_xcnt 0x0
	v_cmpx_gt_u32_e32 24, v0
	s_cbranch_execz .LBB39_630
; %bb.621:
	v_cmp_ne_u32_e32 vcc_lo, 1, v86
	s_cbranch_vccnz .LBB39_623
; %bb.622:
	scratch_load_b64 v[84:85], v37, off
	ds_load_b64 v[88:89], v1
	s_wait_loadcnt_dscnt 0x0
	v_pk_mul_f32 v[90:91], v[88:89], v[84:85] op_sel:[1,1] op_sel_hi:[0,1]
	s_delay_alu instid0(VALU_DEP_1) | instskip(SKIP_1) | instid1(VALU_DEP_2)
	v_pk_fma_f32 v[92:93], v[88:89], v[84:85], v[90:91] op_sel_hi:[1,0,1]
	v_pk_fma_f32 v[84:85], v[88:89], v[84:85], v[90:91] neg_lo:[0,0,1] neg_hi:[0,0,1]
	v_mov_b32_e32 v85, v93
	s_cbranch_execz .LBB39_624
	s_branch .LBB39_625
.LBB39_623:
                                        ; implicit-def: $vgpr84_vgpr85
.LBB39_624:
	ds_load_b64 v[84:85], v1
.LBB39_625:
	s_mov_b32 s2, exec_lo
	v_cmpx_ne_u32_e32 23, v0
	s_cbranch_execz .LBB39_629
; %bb.626:
	v_add_nc_u32_e32 v87, 0x148, v36
	v_add3_u32 v88, 0, v36, 8
	v_mov_b32_e32 v89, v0
	s_mov_b32 s3, 0
.LBB39_627:                             ; =>This Inner Loop Header: Depth=1
	scratch_load_b64 v[90:91], v88, off
	ds_load_b64 v[92:93], v87
	s_wait_xcnt 0x0
	v_dual_add_nc_u32 v87, 8, v87 :: v_dual_add_nc_u32 v88, 8, v88
	s_wait_loadcnt_dscnt 0x0
	v_pk_mul_f32 v[94:95], v[92:93], v[90:91] op_sel:[1,1] op_sel_hi:[0,1]
	s_delay_alu instid0(VALU_DEP_1) | instskip(SKIP_2) | instid1(VALU_DEP_3)
	v_pk_fma_f32 v[96:97], v[92:93], v[90:91], v[94:95] op_sel_hi:[1,0,1]
	v_add_nc_u32_e32 v89, 1, v89
	v_pk_fma_f32 v[90:91], v[92:93], v[90:91], v[94:95] neg_lo:[0,0,1] neg_hi:[0,0,1]
	v_mov_b32_e32 v91, v97
	s_delay_alu instid0(VALU_DEP_3) | instskip(NEXT) | instid1(VALU_DEP_2)
	v_cmp_lt_u32_e32 vcc_lo, 22, v89
	v_pk_add_f32 v[84:85], v[84:85], v[90:91]
	s_or_b32 s3, vcc_lo, s3
	s_delay_alu instid0(SALU_CYCLE_1)
	s_and_not1_b32 exec_lo, exec_lo, s3
	s_cbranch_execnz .LBB39_627
; %bb.628:
	s_or_b32 exec_lo, exec_lo, s3
.LBB39_629:
	s_delay_alu instid0(SALU_CYCLE_1) | instskip(SKIP_4) | instid1(VALU_DEP_1)
	s_or_b32 exec_lo, exec_lo, s2
	v_mov_b32_e32 v87, 0
	ds_load_b64 v[88:89], v87 offset:192
	s_wait_dscnt 0x0
	v_pk_mul_f32 v[90:91], v[84:85], v[88:89] op_sel:[1,1] op_sel_hi:[0,1]
	v_pk_fma_f32 v[92:93], v[84:85], v[88:89], v[90:91] op_sel_hi:[1,0,1]
	v_pk_fma_f32 v[84:85], v[84:85], v[88:89], v[90:91] neg_lo:[0,0,1] neg_hi:[0,0,1]
	s_delay_alu instid0(VALU_DEP_2)
	v_mov_b32_e32 v85, v93
	scratch_store_b64 off, v[84:85], off offset:192
.LBB39_630:
	s_wait_xcnt 0x0
	s_or_b32 exec_lo, exec_lo, s0
	scratch_load_b64 v[84:85], off, off offset:200
	s_mov_b32 s0, exec_lo
	s_wait_loadcnt 0x0
	ds_store_b64 v1, v[84:85]
	s_wait_storecnt_dscnt 0x0
	s_barrier_signal -1
	s_barrier_wait -1
	s_wait_xcnt 0x0
	v_cmpx_gt_u32_e32 25, v0
	s_cbranch_execz .LBB39_640
; %bb.631:
	v_cmp_ne_u32_e32 vcc_lo, 1, v86
	s_cbranch_vccnz .LBB39_633
; %bb.632:
	scratch_load_b64 v[84:85], v37, off
	ds_load_b64 v[88:89], v1
	s_wait_loadcnt_dscnt 0x0
	v_pk_mul_f32 v[90:91], v[88:89], v[84:85] op_sel:[1,1] op_sel_hi:[0,1]
	s_delay_alu instid0(VALU_DEP_1) | instskip(SKIP_1) | instid1(VALU_DEP_2)
	v_pk_fma_f32 v[92:93], v[88:89], v[84:85], v[90:91] op_sel_hi:[1,0,1]
	v_pk_fma_f32 v[84:85], v[88:89], v[84:85], v[90:91] neg_lo:[0,0,1] neg_hi:[0,0,1]
	v_mov_b32_e32 v85, v93
	s_cbranch_execz .LBB39_634
	s_branch .LBB39_635
.LBB39_633:
                                        ; implicit-def: $vgpr84_vgpr85
.LBB39_634:
	ds_load_b64 v[84:85], v1
.LBB39_635:
	s_mov_b32 s2, exec_lo
	v_cmpx_ne_u32_e32 24, v0
	s_cbranch_execz .LBB39_639
; %bb.636:
	v_add_nc_u32_e32 v87, 0x148, v36
	v_add3_u32 v88, 0, v36, 8
	v_mov_b32_e32 v89, v0
	s_mov_b32 s3, 0
.LBB39_637:                             ; =>This Inner Loop Header: Depth=1
	scratch_load_b64 v[90:91], v88, off
	ds_load_b64 v[92:93], v87
	s_wait_xcnt 0x0
	v_dual_add_nc_u32 v87, 8, v87 :: v_dual_add_nc_u32 v88, 8, v88
	s_wait_loadcnt_dscnt 0x0
	v_pk_mul_f32 v[94:95], v[92:93], v[90:91] op_sel:[1,1] op_sel_hi:[0,1]
	s_delay_alu instid0(VALU_DEP_1) | instskip(SKIP_2) | instid1(VALU_DEP_3)
	v_pk_fma_f32 v[96:97], v[92:93], v[90:91], v[94:95] op_sel_hi:[1,0,1]
	v_add_nc_u32_e32 v89, 1, v89
	v_pk_fma_f32 v[90:91], v[92:93], v[90:91], v[94:95] neg_lo:[0,0,1] neg_hi:[0,0,1]
	v_mov_b32_e32 v91, v97
	s_delay_alu instid0(VALU_DEP_3) | instskip(NEXT) | instid1(VALU_DEP_2)
	v_cmp_lt_u32_e32 vcc_lo, 23, v89
	v_pk_add_f32 v[84:85], v[84:85], v[90:91]
	s_or_b32 s3, vcc_lo, s3
	s_delay_alu instid0(SALU_CYCLE_1)
	s_and_not1_b32 exec_lo, exec_lo, s3
	s_cbranch_execnz .LBB39_637
; %bb.638:
	s_or_b32 exec_lo, exec_lo, s3
.LBB39_639:
	s_delay_alu instid0(SALU_CYCLE_1) | instskip(SKIP_4) | instid1(VALU_DEP_1)
	s_or_b32 exec_lo, exec_lo, s2
	v_mov_b32_e32 v87, 0
	ds_load_b64 v[88:89], v87 offset:200
	s_wait_dscnt 0x0
	v_pk_mul_f32 v[90:91], v[84:85], v[88:89] op_sel:[1,1] op_sel_hi:[0,1]
	v_pk_fma_f32 v[92:93], v[84:85], v[88:89], v[90:91] op_sel_hi:[1,0,1]
	v_pk_fma_f32 v[84:85], v[84:85], v[88:89], v[90:91] neg_lo:[0,0,1] neg_hi:[0,0,1]
	s_delay_alu instid0(VALU_DEP_2)
	v_mov_b32_e32 v85, v93
	scratch_store_b64 off, v[84:85], off offset:200
.LBB39_640:
	s_wait_xcnt 0x0
	s_or_b32 exec_lo, exec_lo, s0
	scratch_load_b64 v[84:85], off, off offset:208
	s_mov_b32 s0, exec_lo
	s_wait_loadcnt 0x0
	ds_store_b64 v1, v[84:85]
	s_wait_storecnt_dscnt 0x0
	s_barrier_signal -1
	s_barrier_wait -1
	s_wait_xcnt 0x0
	v_cmpx_gt_u32_e32 26, v0
	s_cbranch_execz .LBB39_650
; %bb.641:
	v_cmp_ne_u32_e32 vcc_lo, 1, v86
	s_cbranch_vccnz .LBB39_643
; %bb.642:
	scratch_load_b64 v[84:85], v37, off
	ds_load_b64 v[88:89], v1
	s_wait_loadcnt_dscnt 0x0
	v_pk_mul_f32 v[90:91], v[88:89], v[84:85] op_sel:[1,1] op_sel_hi:[0,1]
	s_delay_alu instid0(VALU_DEP_1) | instskip(SKIP_1) | instid1(VALU_DEP_2)
	v_pk_fma_f32 v[92:93], v[88:89], v[84:85], v[90:91] op_sel_hi:[1,0,1]
	v_pk_fma_f32 v[84:85], v[88:89], v[84:85], v[90:91] neg_lo:[0,0,1] neg_hi:[0,0,1]
	v_mov_b32_e32 v85, v93
	s_cbranch_execz .LBB39_644
	s_branch .LBB39_645
.LBB39_643:
                                        ; implicit-def: $vgpr84_vgpr85
.LBB39_644:
	ds_load_b64 v[84:85], v1
.LBB39_645:
	s_mov_b32 s2, exec_lo
	v_cmpx_ne_u32_e32 25, v0
	s_cbranch_execz .LBB39_649
; %bb.646:
	v_add_nc_u32_e32 v87, 0x148, v36
	v_add3_u32 v88, 0, v36, 8
	v_mov_b32_e32 v89, v0
	s_mov_b32 s3, 0
.LBB39_647:                             ; =>This Inner Loop Header: Depth=1
	scratch_load_b64 v[90:91], v88, off
	ds_load_b64 v[92:93], v87
	s_wait_xcnt 0x0
	v_dual_add_nc_u32 v87, 8, v87 :: v_dual_add_nc_u32 v88, 8, v88
	s_wait_loadcnt_dscnt 0x0
	v_pk_mul_f32 v[94:95], v[92:93], v[90:91] op_sel:[1,1] op_sel_hi:[0,1]
	s_delay_alu instid0(VALU_DEP_1) | instskip(SKIP_2) | instid1(VALU_DEP_3)
	v_pk_fma_f32 v[96:97], v[92:93], v[90:91], v[94:95] op_sel_hi:[1,0,1]
	v_add_nc_u32_e32 v89, 1, v89
	v_pk_fma_f32 v[90:91], v[92:93], v[90:91], v[94:95] neg_lo:[0,0,1] neg_hi:[0,0,1]
	v_mov_b32_e32 v91, v97
	s_delay_alu instid0(VALU_DEP_3) | instskip(NEXT) | instid1(VALU_DEP_2)
	v_cmp_lt_u32_e32 vcc_lo, 24, v89
	v_pk_add_f32 v[84:85], v[84:85], v[90:91]
	s_or_b32 s3, vcc_lo, s3
	s_delay_alu instid0(SALU_CYCLE_1)
	s_and_not1_b32 exec_lo, exec_lo, s3
	s_cbranch_execnz .LBB39_647
; %bb.648:
	s_or_b32 exec_lo, exec_lo, s3
.LBB39_649:
	s_delay_alu instid0(SALU_CYCLE_1) | instskip(SKIP_4) | instid1(VALU_DEP_1)
	s_or_b32 exec_lo, exec_lo, s2
	v_mov_b32_e32 v87, 0
	ds_load_b64 v[88:89], v87 offset:208
	s_wait_dscnt 0x0
	v_pk_mul_f32 v[90:91], v[84:85], v[88:89] op_sel:[1,1] op_sel_hi:[0,1]
	v_pk_fma_f32 v[92:93], v[84:85], v[88:89], v[90:91] op_sel_hi:[1,0,1]
	v_pk_fma_f32 v[84:85], v[84:85], v[88:89], v[90:91] neg_lo:[0,0,1] neg_hi:[0,0,1]
	s_delay_alu instid0(VALU_DEP_2)
	v_mov_b32_e32 v85, v93
	scratch_store_b64 off, v[84:85], off offset:208
.LBB39_650:
	s_wait_xcnt 0x0
	s_or_b32 exec_lo, exec_lo, s0
	scratch_load_b64 v[84:85], off, off offset:216
	s_mov_b32 s0, exec_lo
	s_wait_loadcnt 0x0
	ds_store_b64 v1, v[84:85]
	s_wait_storecnt_dscnt 0x0
	s_barrier_signal -1
	s_barrier_wait -1
	s_wait_xcnt 0x0
	v_cmpx_gt_u32_e32 27, v0
	s_cbranch_execz .LBB39_660
; %bb.651:
	v_cmp_ne_u32_e32 vcc_lo, 1, v86
	s_cbranch_vccnz .LBB39_653
; %bb.652:
	scratch_load_b64 v[84:85], v37, off
	ds_load_b64 v[88:89], v1
	s_wait_loadcnt_dscnt 0x0
	v_pk_mul_f32 v[90:91], v[88:89], v[84:85] op_sel:[1,1] op_sel_hi:[0,1]
	s_delay_alu instid0(VALU_DEP_1) | instskip(SKIP_1) | instid1(VALU_DEP_2)
	v_pk_fma_f32 v[92:93], v[88:89], v[84:85], v[90:91] op_sel_hi:[1,0,1]
	v_pk_fma_f32 v[84:85], v[88:89], v[84:85], v[90:91] neg_lo:[0,0,1] neg_hi:[0,0,1]
	v_mov_b32_e32 v85, v93
	s_cbranch_execz .LBB39_654
	s_branch .LBB39_655
.LBB39_653:
                                        ; implicit-def: $vgpr84_vgpr85
.LBB39_654:
	ds_load_b64 v[84:85], v1
.LBB39_655:
	s_mov_b32 s2, exec_lo
	v_cmpx_ne_u32_e32 26, v0
	s_cbranch_execz .LBB39_659
; %bb.656:
	v_add_nc_u32_e32 v87, 0x148, v36
	v_add3_u32 v88, 0, v36, 8
	v_mov_b32_e32 v89, v0
	s_mov_b32 s3, 0
.LBB39_657:                             ; =>This Inner Loop Header: Depth=1
	scratch_load_b64 v[90:91], v88, off
	ds_load_b64 v[92:93], v87
	s_wait_xcnt 0x0
	v_dual_add_nc_u32 v87, 8, v87 :: v_dual_add_nc_u32 v88, 8, v88
	s_wait_loadcnt_dscnt 0x0
	v_pk_mul_f32 v[94:95], v[92:93], v[90:91] op_sel:[1,1] op_sel_hi:[0,1]
	s_delay_alu instid0(VALU_DEP_1) | instskip(SKIP_2) | instid1(VALU_DEP_3)
	v_pk_fma_f32 v[96:97], v[92:93], v[90:91], v[94:95] op_sel_hi:[1,0,1]
	v_add_nc_u32_e32 v89, 1, v89
	v_pk_fma_f32 v[90:91], v[92:93], v[90:91], v[94:95] neg_lo:[0,0,1] neg_hi:[0,0,1]
	v_mov_b32_e32 v91, v97
	s_delay_alu instid0(VALU_DEP_3) | instskip(NEXT) | instid1(VALU_DEP_2)
	v_cmp_lt_u32_e32 vcc_lo, 25, v89
	v_pk_add_f32 v[84:85], v[84:85], v[90:91]
	s_or_b32 s3, vcc_lo, s3
	s_delay_alu instid0(SALU_CYCLE_1)
	s_and_not1_b32 exec_lo, exec_lo, s3
	s_cbranch_execnz .LBB39_657
; %bb.658:
	s_or_b32 exec_lo, exec_lo, s3
.LBB39_659:
	s_delay_alu instid0(SALU_CYCLE_1) | instskip(SKIP_4) | instid1(VALU_DEP_1)
	s_or_b32 exec_lo, exec_lo, s2
	v_mov_b32_e32 v87, 0
	ds_load_b64 v[88:89], v87 offset:216
	s_wait_dscnt 0x0
	v_pk_mul_f32 v[90:91], v[84:85], v[88:89] op_sel:[1,1] op_sel_hi:[0,1]
	v_pk_fma_f32 v[92:93], v[84:85], v[88:89], v[90:91] op_sel_hi:[1,0,1]
	v_pk_fma_f32 v[84:85], v[84:85], v[88:89], v[90:91] neg_lo:[0,0,1] neg_hi:[0,0,1]
	s_delay_alu instid0(VALU_DEP_2)
	v_mov_b32_e32 v85, v93
	scratch_store_b64 off, v[84:85], off offset:216
.LBB39_660:
	s_wait_xcnt 0x0
	s_or_b32 exec_lo, exec_lo, s0
	scratch_load_b64 v[84:85], off, off offset:224
	s_mov_b32 s0, exec_lo
	s_wait_loadcnt 0x0
	ds_store_b64 v1, v[84:85]
	s_wait_storecnt_dscnt 0x0
	s_barrier_signal -1
	s_barrier_wait -1
	s_wait_xcnt 0x0
	v_cmpx_gt_u32_e32 28, v0
	s_cbranch_execz .LBB39_670
; %bb.661:
	v_cmp_ne_u32_e32 vcc_lo, 1, v86
	s_cbranch_vccnz .LBB39_663
; %bb.662:
	scratch_load_b64 v[84:85], v37, off
	ds_load_b64 v[88:89], v1
	s_wait_loadcnt_dscnt 0x0
	v_pk_mul_f32 v[90:91], v[88:89], v[84:85] op_sel:[1,1] op_sel_hi:[0,1]
	s_delay_alu instid0(VALU_DEP_1) | instskip(SKIP_1) | instid1(VALU_DEP_2)
	v_pk_fma_f32 v[92:93], v[88:89], v[84:85], v[90:91] op_sel_hi:[1,0,1]
	v_pk_fma_f32 v[84:85], v[88:89], v[84:85], v[90:91] neg_lo:[0,0,1] neg_hi:[0,0,1]
	v_mov_b32_e32 v85, v93
	s_cbranch_execz .LBB39_664
	s_branch .LBB39_665
.LBB39_663:
                                        ; implicit-def: $vgpr84_vgpr85
.LBB39_664:
	ds_load_b64 v[84:85], v1
.LBB39_665:
	s_mov_b32 s2, exec_lo
	v_cmpx_ne_u32_e32 27, v0
	s_cbranch_execz .LBB39_669
; %bb.666:
	v_add_nc_u32_e32 v87, 0x148, v36
	v_add3_u32 v88, 0, v36, 8
	v_mov_b32_e32 v89, v0
	s_mov_b32 s3, 0
.LBB39_667:                             ; =>This Inner Loop Header: Depth=1
	scratch_load_b64 v[90:91], v88, off
	ds_load_b64 v[92:93], v87
	s_wait_xcnt 0x0
	v_dual_add_nc_u32 v87, 8, v87 :: v_dual_add_nc_u32 v88, 8, v88
	s_wait_loadcnt_dscnt 0x0
	v_pk_mul_f32 v[94:95], v[92:93], v[90:91] op_sel:[1,1] op_sel_hi:[0,1]
	s_delay_alu instid0(VALU_DEP_1) | instskip(SKIP_2) | instid1(VALU_DEP_3)
	v_pk_fma_f32 v[96:97], v[92:93], v[90:91], v[94:95] op_sel_hi:[1,0,1]
	v_add_nc_u32_e32 v89, 1, v89
	v_pk_fma_f32 v[90:91], v[92:93], v[90:91], v[94:95] neg_lo:[0,0,1] neg_hi:[0,0,1]
	v_mov_b32_e32 v91, v97
	s_delay_alu instid0(VALU_DEP_3) | instskip(NEXT) | instid1(VALU_DEP_2)
	v_cmp_lt_u32_e32 vcc_lo, 26, v89
	v_pk_add_f32 v[84:85], v[84:85], v[90:91]
	s_or_b32 s3, vcc_lo, s3
	s_delay_alu instid0(SALU_CYCLE_1)
	s_and_not1_b32 exec_lo, exec_lo, s3
	s_cbranch_execnz .LBB39_667
; %bb.668:
	s_or_b32 exec_lo, exec_lo, s3
.LBB39_669:
	s_delay_alu instid0(SALU_CYCLE_1) | instskip(SKIP_4) | instid1(VALU_DEP_1)
	s_or_b32 exec_lo, exec_lo, s2
	v_mov_b32_e32 v87, 0
	ds_load_b64 v[88:89], v87 offset:224
	s_wait_dscnt 0x0
	v_pk_mul_f32 v[90:91], v[84:85], v[88:89] op_sel:[1,1] op_sel_hi:[0,1]
	v_pk_fma_f32 v[92:93], v[84:85], v[88:89], v[90:91] op_sel_hi:[1,0,1]
	v_pk_fma_f32 v[84:85], v[84:85], v[88:89], v[90:91] neg_lo:[0,0,1] neg_hi:[0,0,1]
	s_delay_alu instid0(VALU_DEP_2)
	v_mov_b32_e32 v85, v93
	scratch_store_b64 off, v[84:85], off offset:224
.LBB39_670:
	s_wait_xcnt 0x0
	s_or_b32 exec_lo, exec_lo, s0
	scratch_load_b64 v[84:85], off, off offset:232
	s_mov_b32 s0, exec_lo
	s_wait_loadcnt 0x0
	ds_store_b64 v1, v[84:85]
	s_wait_storecnt_dscnt 0x0
	s_barrier_signal -1
	s_barrier_wait -1
	s_wait_xcnt 0x0
	v_cmpx_gt_u32_e32 29, v0
	s_cbranch_execz .LBB39_680
; %bb.671:
	v_cmp_ne_u32_e32 vcc_lo, 1, v86
	s_cbranch_vccnz .LBB39_673
; %bb.672:
	scratch_load_b64 v[84:85], v37, off
	ds_load_b64 v[88:89], v1
	s_wait_loadcnt_dscnt 0x0
	v_pk_mul_f32 v[90:91], v[88:89], v[84:85] op_sel:[1,1] op_sel_hi:[0,1]
	s_delay_alu instid0(VALU_DEP_1) | instskip(SKIP_1) | instid1(VALU_DEP_2)
	v_pk_fma_f32 v[92:93], v[88:89], v[84:85], v[90:91] op_sel_hi:[1,0,1]
	v_pk_fma_f32 v[84:85], v[88:89], v[84:85], v[90:91] neg_lo:[0,0,1] neg_hi:[0,0,1]
	v_mov_b32_e32 v85, v93
	s_cbranch_execz .LBB39_674
	s_branch .LBB39_675
.LBB39_673:
                                        ; implicit-def: $vgpr84_vgpr85
.LBB39_674:
	ds_load_b64 v[84:85], v1
.LBB39_675:
	s_mov_b32 s2, exec_lo
	v_cmpx_ne_u32_e32 28, v0
	s_cbranch_execz .LBB39_679
; %bb.676:
	v_add_nc_u32_e32 v87, 0x148, v36
	v_add3_u32 v88, 0, v36, 8
	v_mov_b32_e32 v89, v0
	s_mov_b32 s3, 0
.LBB39_677:                             ; =>This Inner Loop Header: Depth=1
	scratch_load_b64 v[90:91], v88, off
	ds_load_b64 v[92:93], v87
	s_wait_xcnt 0x0
	v_dual_add_nc_u32 v87, 8, v87 :: v_dual_add_nc_u32 v88, 8, v88
	s_wait_loadcnt_dscnt 0x0
	v_pk_mul_f32 v[94:95], v[92:93], v[90:91] op_sel:[1,1] op_sel_hi:[0,1]
	s_delay_alu instid0(VALU_DEP_1) | instskip(SKIP_2) | instid1(VALU_DEP_3)
	v_pk_fma_f32 v[96:97], v[92:93], v[90:91], v[94:95] op_sel_hi:[1,0,1]
	v_add_nc_u32_e32 v89, 1, v89
	v_pk_fma_f32 v[90:91], v[92:93], v[90:91], v[94:95] neg_lo:[0,0,1] neg_hi:[0,0,1]
	v_mov_b32_e32 v91, v97
	s_delay_alu instid0(VALU_DEP_3) | instskip(NEXT) | instid1(VALU_DEP_2)
	v_cmp_lt_u32_e32 vcc_lo, 27, v89
	v_pk_add_f32 v[84:85], v[84:85], v[90:91]
	s_or_b32 s3, vcc_lo, s3
	s_delay_alu instid0(SALU_CYCLE_1)
	s_and_not1_b32 exec_lo, exec_lo, s3
	s_cbranch_execnz .LBB39_677
; %bb.678:
	s_or_b32 exec_lo, exec_lo, s3
.LBB39_679:
	s_delay_alu instid0(SALU_CYCLE_1) | instskip(SKIP_4) | instid1(VALU_DEP_1)
	s_or_b32 exec_lo, exec_lo, s2
	v_mov_b32_e32 v87, 0
	ds_load_b64 v[88:89], v87 offset:232
	s_wait_dscnt 0x0
	v_pk_mul_f32 v[90:91], v[84:85], v[88:89] op_sel:[1,1] op_sel_hi:[0,1]
	v_pk_fma_f32 v[92:93], v[84:85], v[88:89], v[90:91] op_sel_hi:[1,0,1]
	v_pk_fma_f32 v[84:85], v[84:85], v[88:89], v[90:91] neg_lo:[0,0,1] neg_hi:[0,0,1]
	s_delay_alu instid0(VALU_DEP_2)
	v_mov_b32_e32 v85, v93
	scratch_store_b64 off, v[84:85], off offset:232
.LBB39_680:
	s_wait_xcnt 0x0
	s_or_b32 exec_lo, exec_lo, s0
	scratch_load_b64 v[84:85], off, off offset:240
	s_mov_b32 s0, exec_lo
	s_wait_loadcnt 0x0
	ds_store_b64 v1, v[84:85]
	s_wait_storecnt_dscnt 0x0
	s_barrier_signal -1
	s_barrier_wait -1
	s_wait_xcnt 0x0
	v_cmpx_gt_u32_e32 30, v0
	s_cbranch_execz .LBB39_690
; %bb.681:
	v_cmp_ne_u32_e32 vcc_lo, 1, v86
	s_cbranch_vccnz .LBB39_683
; %bb.682:
	scratch_load_b64 v[84:85], v37, off
	ds_load_b64 v[88:89], v1
	s_wait_loadcnt_dscnt 0x0
	v_pk_mul_f32 v[90:91], v[88:89], v[84:85] op_sel:[1,1] op_sel_hi:[0,1]
	s_delay_alu instid0(VALU_DEP_1) | instskip(SKIP_1) | instid1(VALU_DEP_2)
	v_pk_fma_f32 v[92:93], v[88:89], v[84:85], v[90:91] op_sel_hi:[1,0,1]
	v_pk_fma_f32 v[84:85], v[88:89], v[84:85], v[90:91] neg_lo:[0,0,1] neg_hi:[0,0,1]
	v_mov_b32_e32 v85, v93
	s_cbranch_execz .LBB39_684
	s_branch .LBB39_685
.LBB39_683:
                                        ; implicit-def: $vgpr84_vgpr85
.LBB39_684:
	ds_load_b64 v[84:85], v1
.LBB39_685:
	s_mov_b32 s2, exec_lo
	v_cmpx_ne_u32_e32 29, v0
	s_cbranch_execz .LBB39_689
; %bb.686:
	v_add_nc_u32_e32 v87, 0x148, v36
	v_add3_u32 v88, 0, v36, 8
	v_mov_b32_e32 v89, v0
	s_mov_b32 s3, 0
.LBB39_687:                             ; =>This Inner Loop Header: Depth=1
	scratch_load_b64 v[90:91], v88, off
	ds_load_b64 v[92:93], v87
	s_wait_xcnt 0x0
	v_dual_add_nc_u32 v87, 8, v87 :: v_dual_add_nc_u32 v88, 8, v88
	s_wait_loadcnt_dscnt 0x0
	v_pk_mul_f32 v[94:95], v[92:93], v[90:91] op_sel:[1,1] op_sel_hi:[0,1]
	s_delay_alu instid0(VALU_DEP_1) | instskip(SKIP_2) | instid1(VALU_DEP_3)
	v_pk_fma_f32 v[96:97], v[92:93], v[90:91], v[94:95] op_sel_hi:[1,0,1]
	v_add_nc_u32_e32 v89, 1, v89
	v_pk_fma_f32 v[90:91], v[92:93], v[90:91], v[94:95] neg_lo:[0,0,1] neg_hi:[0,0,1]
	v_mov_b32_e32 v91, v97
	s_delay_alu instid0(VALU_DEP_3) | instskip(NEXT) | instid1(VALU_DEP_2)
	v_cmp_lt_u32_e32 vcc_lo, 28, v89
	v_pk_add_f32 v[84:85], v[84:85], v[90:91]
	s_or_b32 s3, vcc_lo, s3
	s_delay_alu instid0(SALU_CYCLE_1)
	s_and_not1_b32 exec_lo, exec_lo, s3
	s_cbranch_execnz .LBB39_687
; %bb.688:
	s_or_b32 exec_lo, exec_lo, s3
.LBB39_689:
	s_delay_alu instid0(SALU_CYCLE_1) | instskip(SKIP_4) | instid1(VALU_DEP_1)
	s_or_b32 exec_lo, exec_lo, s2
	v_mov_b32_e32 v87, 0
	ds_load_b64 v[88:89], v87 offset:240
	s_wait_dscnt 0x0
	v_pk_mul_f32 v[90:91], v[84:85], v[88:89] op_sel:[1,1] op_sel_hi:[0,1]
	v_pk_fma_f32 v[92:93], v[84:85], v[88:89], v[90:91] op_sel_hi:[1,0,1]
	v_pk_fma_f32 v[84:85], v[84:85], v[88:89], v[90:91] neg_lo:[0,0,1] neg_hi:[0,0,1]
	s_delay_alu instid0(VALU_DEP_2)
	v_mov_b32_e32 v85, v93
	scratch_store_b64 off, v[84:85], off offset:240
.LBB39_690:
	s_wait_xcnt 0x0
	s_or_b32 exec_lo, exec_lo, s0
	scratch_load_b64 v[84:85], off, off offset:248
	s_mov_b32 s0, exec_lo
	s_wait_loadcnt 0x0
	ds_store_b64 v1, v[84:85]
	s_wait_storecnt_dscnt 0x0
	s_barrier_signal -1
	s_barrier_wait -1
	s_wait_xcnt 0x0
	v_cmpx_gt_u32_e32 31, v0
	s_cbranch_execz .LBB39_700
; %bb.691:
	v_cmp_ne_u32_e32 vcc_lo, 1, v86
	s_cbranch_vccnz .LBB39_693
; %bb.692:
	scratch_load_b64 v[84:85], v37, off
	ds_load_b64 v[88:89], v1
	s_wait_loadcnt_dscnt 0x0
	v_pk_mul_f32 v[90:91], v[88:89], v[84:85] op_sel:[1,1] op_sel_hi:[0,1]
	s_delay_alu instid0(VALU_DEP_1) | instskip(SKIP_1) | instid1(VALU_DEP_2)
	v_pk_fma_f32 v[92:93], v[88:89], v[84:85], v[90:91] op_sel_hi:[1,0,1]
	v_pk_fma_f32 v[84:85], v[88:89], v[84:85], v[90:91] neg_lo:[0,0,1] neg_hi:[0,0,1]
	v_mov_b32_e32 v85, v93
	s_cbranch_execz .LBB39_694
	s_branch .LBB39_695
.LBB39_693:
                                        ; implicit-def: $vgpr84_vgpr85
.LBB39_694:
	ds_load_b64 v[84:85], v1
.LBB39_695:
	s_mov_b32 s2, exec_lo
	v_cmpx_ne_u32_e32 30, v0
	s_cbranch_execz .LBB39_699
; %bb.696:
	v_add_nc_u32_e32 v87, 0x148, v36
	v_add3_u32 v88, 0, v36, 8
	v_mov_b32_e32 v89, v0
	s_mov_b32 s3, 0
.LBB39_697:                             ; =>This Inner Loop Header: Depth=1
	scratch_load_b64 v[90:91], v88, off
	ds_load_b64 v[92:93], v87
	s_wait_xcnt 0x0
	v_dual_add_nc_u32 v87, 8, v87 :: v_dual_add_nc_u32 v88, 8, v88
	s_wait_loadcnt_dscnt 0x0
	v_pk_mul_f32 v[94:95], v[92:93], v[90:91] op_sel:[1,1] op_sel_hi:[0,1]
	s_delay_alu instid0(VALU_DEP_1) | instskip(SKIP_2) | instid1(VALU_DEP_3)
	v_pk_fma_f32 v[96:97], v[92:93], v[90:91], v[94:95] op_sel_hi:[1,0,1]
	v_add_nc_u32_e32 v89, 1, v89
	v_pk_fma_f32 v[90:91], v[92:93], v[90:91], v[94:95] neg_lo:[0,0,1] neg_hi:[0,0,1]
	v_mov_b32_e32 v91, v97
	s_delay_alu instid0(VALU_DEP_3) | instskip(NEXT) | instid1(VALU_DEP_2)
	v_cmp_lt_u32_e32 vcc_lo, 29, v89
	v_pk_add_f32 v[84:85], v[84:85], v[90:91]
	s_or_b32 s3, vcc_lo, s3
	s_delay_alu instid0(SALU_CYCLE_1)
	s_and_not1_b32 exec_lo, exec_lo, s3
	s_cbranch_execnz .LBB39_697
; %bb.698:
	s_or_b32 exec_lo, exec_lo, s3
.LBB39_699:
	s_delay_alu instid0(SALU_CYCLE_1) | instskip(SKIP_4) | instid1(VALU_DEP_1)
	s_or_b32 exec_lo, exec_lo, s2
	v_mov_b32_e32 v87, 0
	ds_load_b64 v[88:89], v87 offset:248
	s_wait_dscnt 0x0
	v_pk_mul_f32 v[90:91], v[84:85], v[88:89] op_sel:[1,1] op_sel_hi:[0,1]
	v_pk_fma_f32 v[92:93], v[84:85], v[88:89], v[90:91] op_sel_hi:[1,0,1]
	v_pk_fma_f32 v[84:85], v[84:85], v[88:89], v[90:91] neg_lo:[0,0,1] neg_hi:[0,0,1]
	s_delay_alu instid0(VALU_DEP_2)
	v_mov_b32_e32 v85, v93
	scratch_store_b64 off, v[84:85], off offset:248
.LBB39_700:
	s_wait_xcnt 0x0
	s_or_b32 exec_lo, exec_lo, s0
	scratch_load_b64 v[84:85], off, off offset:256
	s_mov_b32 s0, exec_lo
	s_wait_loadcnt 0x0
	ds_store_b64 v1, v[84:85]
	s_wait_storecnt_dscnt 0x0
	s_barrier_signal -1
	s_barrier_wait -1
	s_wait_xcnt 0x0
	v_cmpx_gt_u32_e32 32, v0
	s_cbranch_execz .LBB39_710
; %bb.701:
	v_cmp_ne_u32_e32 vcc_lo, 1, v86
	s_cbranch_vccnz .LBB39_703
; %bb.702:
	scratch_load_b64 v[84:85], v37, off
	ds_load_b64 v[88:89], v1
	s_wait_loadcnt_dscnt 0x0
	v_pk_mul_f32 v[90:91], v[88:89], v[84:85] op_sel:[1,1] op_sel_hi:[0,1]
	s_delay_alu instid0(VALU_DEP_1) | instskip(SKIP_1) | instid1(VALU_DEP_2)
	v_pk_fma_f32 v[92:93], v[88:89], v[84:85], v[90:91] op_sel_hi:[1,0,1]
	v_pk_fma_f32 v[84:85], v[88:89], v[84:85], v[90:91] neg_lo:[0,0,1] neg_hi:[0,0,1]
	v_mov_b32_e32 v85, v93
	s_cbranch_execz .LBB39_704
	s_branch .LBB39_705
.LBB39_703:
                                        ; implicit-def: $vgpr84_vgpr85
.LBB39_704:
	ds_load_b64 v[84:85], v1
.LBB39_705:
	s_mov_b32 s2, exec_lo
	v_cmpx_ne_u32_e32 31, v0
	s_cbranch_execz .LBB39_709
; %bb.706:
	v_add_nc_u32_e32 v87, 0x148, v36
	v_add3_u32 v88, 0, v36, 8
	v_mov_b32_e32 v89, v0
	s_mov_b32 s3, 0
.LBB39_707:                             ; =>This Inner Loop Header: Depth=1
	scratch_load_b64 v[90:91], v88, off
	ds_load_b64 v[92:93], v87
	s_wait_xcnt 0x0
	v_dual_add_nc_u32 v87, 8, v87 :: v_dual_add_nc_u32 v88, 8, v88
	s_wait_loadcnt_dscnt 0x0
	v_pk_mul_f32 v[94:95], v[92:93], v[90:91] op_sel:[1,1] op_sel_hi:[0,1]
	s_delay_alu instid0(VALU_DEP_1) | instskip(SKIP_2) | instid1(VALU_DEP_3)
	v_pk_fma_f32 v[96:97], v[92:93], v[90:91], v[94:95] op_sel_hi:[1,0,1]
	v_add_nc_u32_e32 v89, 1, v89
	v_pk_fma_f32 v[90:91], v[92:93], v[90:91], v[94:95] neg_lo:[0,0,1] neg_hi:[0,0,1]
	v_mov_b32_e32 v91, v97
	s_delay_alu instid0(VALU_DEP_3) | instskip(NEXT) | instid1(VALU_DEP_2)
	v_cmp_lt_u32_e32 vcc_lo, 30, v89
	v_pk_add_f32 v[84:85], v[84:85], v[90:91]
	s_or_b32 s3, vcc_lo, s3
	s_delay_alu instid0(SALU_CYCLE_1)
	s_and_not1_b32 exec_lo, exec_lo, s3
	s_cbranch_execnz .LBB39_707
; %bb.708:
	s_or_b32 exec_lo, exec_lo, s3
.LBB39_709:
	s_delay_alu instid0(SALU_CYCLE_1) | instskip(SKIP_4) | instid1(VALU_DEP_1)
	s_or_b32 exec_lo, exec_lo, s2
	v_mov_b32_e32 v87, 0
	ds_load_b64 v[88:89], v87 offset:256
	s_wait_dscnt 0x0
	v_pk_mul_f32 v[90:91], v[84:85], v[88:89] op_sel:[1,1] op_sel_hi:[0,1]
	v_pk_fma_f32 v[92:93], v[84:85], v[88:89], v[90:91] op_sel_hi:[1,0,1]
	v_pk_fma_f32 v[84:85], v[84:85], v[88:89], v[90:91] neg_lo:[0,0,1] neg_hi:[0,0,1]
	s_delay_alu instid0(VALU_DEP_2)
	v_mov_b32_e32 v85, v93
	scratch_store_b64 off, v[84:85], off offset:256
.LBB39_710:
	s_wait_xcnt 0x0
	s_or_b32 exec_lo, exec_lo, s0
	scratch_load_b64 v[84:85], off, off offset:264
	s_mov_b32 s0, exec_lo
	s_wait_loadcnt 0x0
	ds_store_b64 v1, v[84:85]
	s_wait_storecnt_dscnt 0x0
	s_barrier_signal -1
	s_barrier_wait -1
	s_wait_xcnt 0x0
	v_cmpx_gt_u32_e32 33, v0
	s_cbranch_execz .LBB39_720
; %bb.711:
	v_cmp_ne_u32_e32 vcc_lo, 1, v86
	s_cbranch_vccnz .LBB39_713
; %bb.712:
	scratch_load_b64 v[84:85], v37, off
	ds_load_b64 v[88:89], v1
	s_wait_loadcnt_dscnt 0x0
	v_pk_mul_f32 v[90:91], v[88:89], v[84:85] op_sel:[1,1] op_sel_hi:[0,1]
	s_delay_alu instid0(VALU_DEP_1) | instskip(SKIP_1) | instid1(VALU_DEP_2)
	v_pk_fma_f32 v[92:93], v[88:89], v[84:85], v[90:91] op_sel_hi:[1,0,1]
	v_pk_fma_f32 v[84:85], v[88:89], v[84:85], v[90:91] neg_lo:[0,0,1] neg_hi:[0,0,1]
	v_mov_b32_e32 v85, v93
	s_cbranch_execz .LBB39_714
	s_branch .LBB39_715
.LBB39_713:
                                        ; implicit-def: $vgpr84_vgpr85
.LBB39_714:
	ds_load_b64 v[84:85], v1
.LBB39_715:
	s_mov_b32 s2, exec_lo
	v_cmpx_ne_u32_e32 32, v0
	s_cbranch_execz .LBB39_719
; %bb.716:
	v_add_nc_u32_e32 v87, 0x148, v36
	v_add3_u32 v88, 0, v36, 8
	v_mov_b32_e32 v89, v0
	s_mov_b32 s3, 0
.LBB39_717:                             ; =>This Inner Loop Header: Depth=1
	scratch_load_b64 v[90:91], v88, off
	ds_load_b64 v[92:93], v87
	s_wait_xcnt 0x0
	v_dual_add_nc_u32 v87, 8, v87 :: v_dual_add_nc_u32 v88, 8, v88
	s_wait_loadcnt_dscnt 0x0
	v_pk_mul_f32 v[94:95], v[92:93], v[90:91] op_sel:[1,1] op_sel_hi:[0,1]
	s_delay_alu instid0(VALU_DEP_1) | instskip(SKIP_2) | instid1(VALU_DEP_3)
	v_pk_fma_f32 v[96:97], v[92:93], v[90:91], v[94:95] op_sel_hi:[1,0,1]
	v_add_nc_u32_e32 v89, 1, v89
	v_pk_fma_f32 v[90:91], v[92:93], v[90:91], v[94:95] neg_lo:[0,0,1] neg_hi:[0,0,1]
	v_mov_b32_e32 v91, v97
	s_delay_alu instid0(VALU_DEP_3) | instskip(NEXT) | instid1(VALU_DEP_2)
	v_cmp_lt_u32_e32 vcc_lo, 31, v89
	v_pk_add_f32 v[84:85], v[84:85], v[90:91]
	s_or_b32 s3, vcc_lo, s3
	s_delay_alu instid0(SALU_CYCLE_1)
	s_and_not1_b32 exec_lo, exec_lo, s3
	s_cbranch_execnz .LBB39_717
; %bb.718:
	s_or_b32 exec_lo, exec_lo, s3
.LBB39_719:
	s_delay_alu instid0(SALU_CYCLE_1) | instskip(SKIP_4) | instid1(VALU_DEP_1)
	s_or_b32 exec_lo, exec_lo, s2
	v_mov_b32_e32 v87, 0
	ds_load_b64 v[88:89], v87 offset:264
	s_wait_dscnt 0x0
	v_pk_mul_f32 v[90:91], v[84:85], v[88:89] op_sel:[1,1] op_sel_hi:[0,1]
	v_pk_fma_f32 v[92:93], v[84:85], v[88:89], v[90:91] op_sel_hi:[1,0,1]
	v_pk_fma_f32 v[84:85], v[84:85], v[88:89], v[90:91] neg_lo:[0,0,1] neg_hi:[0,0,1]
	s_delay_alu instid0(VALU_DEP_2)
	v_mov_b32_e32 v85, v93
	scratch_store_b64 off, v[84:85], off offset:264
.LBB39_720:
	s_wait_xcnt 0x0
	s_or_b32 exec_lo, exec_lo, s0
	scratch_load_b64 v[84:85], off, off offset:272
	s_mov_b32 s0, exec_lo
	s_wait_loadcnt 0x0
	ds_store_b64 v1, v[84:85]
	s_wait_storecnt_dscnt 0x0
	s_barrier_signal -1
	s_barrier_wait -1
	s_wait_xcnt 0x0
	v_cmpx_gt_u32_e32 34, v0
	s_cbranch_execz .LBB39_730
; %bb.721:
	v_cmp_ne_u32_e32 vcc_lo, 1, v86
	s_cbranch_vccnz .LBB39_723
; %bb.722:
	scratch_load_b64 v[84:85], v37, off
	ds_load_b64 v[88:89], v1
	s_wait_loadcnt_dscnt 0x0
	v_pk_mul_f32 v[90:91], v[88:89], v[84:85] op_sel:[1,1] op_sel_hi:[0,1]
	s_delay_alu instid0(VALU_DEP_1) | instskip(SKIP_1) | instid1(VALU_DEP_2)
	v_pk_fma_f32 v[92:93], v[88:89], v[84:85], v[90:91] op_sel_hi:[1,0,1]
	v_pk_fma_f32 v[84:85], v[88:89], v[84:85], v[90:91] neg_lo:[0,0,1] neg_hi:[0,0,1]
	v_mov_b32_e32 v85, v93
	s_cbranch_execz .LBB39_724
	s_branch .LBB39_725
.LBB39_723:
                                        ; implicit-def: $vgpr84_vgpr85
.LBB39_724:
	ds_load_b64 v[84:85], v1
.LBB39_725:
	s_mov_b32 s2, exec_lo
	v_cmpx_ne_u32_e32 33, v0
	s_cbranch_execz .LBB39_729
; %bb.726:
	v_add_nc_u32_e32 v87, 0x148, v36
	v_add3_u32 v88, 0, v36, 8
	v_mov_b32_e32 v89, v0
	s_mov_b32 s3, 0
.LBB39_727:                             ; =>This Inner Loop Header: Depth=1
	scratch_load_b64 v[90:91], v88, off
	ds_load_b64 v[92:93], v87
	s_wait_xcnt 0x0
	v_dual_add_nc_u32 v87, 8, v87 :: v_dual_add_nc_u32 v88, 8, v88
	s_wait_loadcnt_dscnt 0x0
	v_pk_mul_f32 v[94:95], v[92:93], v[90:91] op_sel:[1,1] op_sel_hi:[0,1]
	s_delay_alu instid0(VALU_DEP_1) | instskip(SKIP_2) | instid1(VALU_DEP_3)
	v_pk_fma_f32 v[96:97], v[92:93], v[90:91], v[94:95] op_sel_hi:[1,0,1]
	v_add_nc_u32_e32 v89, 1, v89
	v_pk_fma_f32 v[90:91], v[92:93], v[90:91], v[94:95] neg_lo:[0,0,1] neg_hi:[0,0,1]
	v_mov_b32_e32 v91, v97
	s_delay_alu instid0(VALU_DEP_3) | instskip(NEXT) | instid1(VALU_DEP_2)
	v_cmp_lt_u32_e32 vcc_lo, 32, v89
	v_pk_add_f32 v[84:85], v[84:85], v[90:91]
	s_or_b32 s3, vcc_lo, s3
	s_delay_alu instid0(SALU_CYCLE_1)
	s_and_not1_b32 exec_lo, exec_lo, s3
	s_cbranch_execnz .LBB39_727
; %bb.728:
	s_or_b32 exec_lo, exec_lo, s3
.LBB39_729:
	s_delay_alu instid0(SALU_CYCLE_1) | instskip(SKIP_4) | instid1(VALU_DEP_1)
	s_or_b32 exec_lo, exec_lo, s2
	v_mov_b32_e32 v87, 0
	ds_load_b64 v[88:89], v87 offset:272
	s_wait_dscnt 0x0
	v_pk_mul_f32 v[90:91], v[84:85], v[88:89] op_sel:[1,1] op_sel_hi:[0,1]
	v_pk_fma_f32 v[92:93], v[84:85], v[88:89], v[90:91] op_sel_hi:[1,0,1]
	v_pk_fma_f32 v[84:85], v[84:85], v[88:89], v[90:91] neg_lo:[0,0,1] neg_hi:[0,0,1]
	s_delay_alu instid0(VALU_DEP_2)
	v_mov_b32_e32 v85, v93
	scratch_store_b64 off, v[84:85], off offset:272
.LBB39_730:
	s_wait_xcnt 0x0
	s_or_b32 exec_lo, exec_lo, s0
	scratch_load_b64 v[84:85], off, off offset:280
	s_mov_b32 s0, exec_lo
	s_wait_loadcnt 0x0
	ds_store_b64 v1, v[84:85]
	s_wait_storecnt_dscnt 0x0
	s_barrier_signal -1
	s_barrier_wait -1
	s_wait_xcnt 0x0
	v_cmpx_gt_u32_e32 35, v0
	s_cbranch_execz .LBB39_740
; %bb.731:
	v_cmp_ne_u32_e32 vcc_lo, 1, v86
	s_cbranch_vccnz .LBB39_733
; %bb.732:
	scratch_load_b64 v[84:85], v37, off
	ds_load_b64 v[88:89], v1
	s_wait_loadcnt_dscnt 0x0
	v_pk_mul_f32 v[90:91], v[88:89], v[84:85] op_sel:[1,1] op_sel_hi:[0,1]
	s_delay_alu instid0(VALU_DEP_1) | instskip(SKIP_1) | instid1(VALU_DEP_2)
	v_pk_fma_f32 v[92:93], v[88:89], v[84:85], v[90:91] op_sel_hi:[1,0,1]
	v_pk_fma_f32 v[84:85], v[88:89], v[84:85], v[90:91] neg_lo:[0,0,1] neg_hi:[0,0,1]
	v_mov_b32_e32 v85, v93
	s_cbranch_execz .LBB39_734
	s_branch .LBB39_735
.LBB39_733:
                                        ; implicit-def: $vgpr84_vgpr85
.LBB39_734:
	ds_load_b64 v[84:85], v1
.LBB39_735:
	s_mov_b32 s2, exec_lo
	v_cmpx_ne_u32_e32 34, v0
	s_cbranch_execz .LBB39_739
; %bb.736:
	v_add_nc_u32_e32 v87, 0x148, v36
	v_add3_u32 v88, 0, v36, 8
	v_mov_b32_e32 v89, v0
	s_mov_b32 s3, 0
.LBB39_737:                             ; =>This Inner Loop Header: Depth=1
	scratch_load_b64 v[90:91], v88, off
	ds_load_b64 v[92:93], v87
	s_wait_xcnt 0x0
	v_dual_add_nc_u32 v87, 8, v87 :: v_dual_add_nc_u32 v88, 8, v88
	s_wait_loadcnt_dscnt 0x0
	v_pk_mul_f32 v[94:95], v[92:93], v[90:91] op_sel:[1,1] op_sel_hi:[0,1]
	s_delay_alu instid0(VALU_DEP_1) | instskip(SKIP_2) | instid1(VALU_DEP_3)
	v_pk_fma_f32 v[96:97], v[92:93], v[90:91], v[94:95] op_sel_hi:[1,0,1]
	v_add_nc_u32_e32 v89, 1, v89
	v_pk_fma_f32 v[90:91], v[92:93], v[90:91], v[94:95] neg_lo:[0,0,1] neg_hi:[0,0,1]
	v_mov_b32_e32 v91, v97
	s_delay_alu instid0(VALU_DEP_3) | instskip(NEXT) | instid1(VALU_DEP_2)
	v_cmp_lt_u32_e32 vcc_lo, 33, v89
	v_pk_add_f32 v[84:85], v[84:85], v[90:91]
	s_or_b32 s3, vcc_lo, s3
	s_delay_alu instid0(SALU_CYCLE_1)
	s_and_not1_b32 exec_lo, exec_lo, s3
	s_cbranch_execnz .LBB39_737
; %bb.738:
	s_or_b32 exec_lo, exec_lo, s3
.LBB39_739:
	s_delay_alu instid0(SALU_CYCLE_1) | instskip(SKIP_4) | instid1(VALU_DEP_1)
	s_or_b32 exec_lo, exec_lo, s2
	v_mov_b32_e32 v87, 0
	ds_load_b64 v[88:89], v87 offset:280
	s_wait_dscnt 0x0
	v_pk_mul_f32 v[90:91], v[84:85], v[88:89] op_sel:[1,1] op_sel_hi:[0,1]
	v_pk_fma_f32 v[92:93], v[84:85], v[88:89], v[90:91] op_sel_hi:[1,0,1]
	v_pk_fma_f32 v[84:85], v[84:85], v[88:89], v[90:91] neg_lo:[0,0,1] neg_hi:[0,0,1]
	s_delay_alu instid0(VALU_DEP_2)
	v_mov_b32_e32 v85, v93
	scratch_store_b64 off, v[84:85], off offset:280
.LBB39_740:
	s_wait_xcnt 0x0
	s_or_b32 exec_lo, exec_lo, s0
	scratch_load_b64 v[84:85], off, off offset:288
	s_mov_b32 s0, exec_lo
	s_wait_loadcnt 0x0
	ds_store_b64 v1, v[84:85]
	s_wait_storecnt_dscnt 0x0
	s_barrier_signal -1
	s_barrier_wait -1
	s_wait_xcnt 0x0
	v_cmpx_gt_u32_e32 36, v0
	s_cbranch_execz .LBB39_750
; %bb.741:
	v_cmp_ne_u32_e32 vcc_lo, 1, v86
	s_cbranch_vccnz .LBB39_743
; %bb.742:
	scratch_load_b64 v[84:85], v37, off
	ds_load_b64 v[88:89], v1
	s_wait_loadcnt_dscnt 0x0
	v_pk_mul_f32 v[90:91], v[88:89], v[84:85] op_sel:[1,1] op_sel_hi:[0,1]
	s_delay_alu instid0(VALU_DEP_1) | instskip(SKIP_1) | instid1(VALU_DEP_2)
	v_pk_fma_f32 v[92:93], v[88:89], v[84:85], v[90:91] op_sel_hi:[1,0,1]
	v_pk_fma_f32 v[84:85], v[88:89], v[84:85], v[90:91] neg_lo:[0,0,1] neg_hi:[0,0,1]
	v_mov_b32_e32 v85, v93
	s_cbranch_execz .LBB39_744
	s_branch .LBB39_745
.LBB39_743:
                                        ; implicit-def: $vgpr84_vgpr85
.LBB39_744:
	ds_load_b64 v[84:85], v1
.LBB39_745:
	s_mov_b32 s2, exec_lo
	v_cmpx_ne_u32_e32 35, v0
	s_cbranch_execz .LBB39_749
; %bb.746:
	v_add_nc_u32_e32 v87, 0x148, v36
	v_add3_u32 v88, 0, v36, 8
	v_mov_b32_e32 v89, v0
	s_mov_b32 s3, 0
.LBB39_747:                             ; =>This Inner Loop Header: Depth=1
	scratch_load_b64 v[90:91], v88, off
	ds_load_b64 v[92:93], v87
	s_wait_xcnt 0x0
	v_dual_add_nc_u32 v87, 8, v87 :: v_dual_add_nc_u32 v88, 8, v88
	s_wait_loadcnt_dscnt 0x0
	v_pk_mul_f32 v[94:95], v[92:93], v[90:91] op_sel:[1,1] op_sel_hi:[0,1]
	s_delay_alu instid0(VALU_DEP_1) | instskip(SKIP_2) | instid1(VALU_DEP_3)
	v_pk_fma_f32 v[96:97], v[92:93], v[90:91], v[94:95] op_sel_hi:[1,0,1]
	v_add_nc_u32_e32 v89, 1, v89
	v_pk_fma_f32 v[90:91], v[92:93], v[90:91], v[94:95] neg_lo:[0,0,1] neg_hi:[0,0,1]
	v_mov_b32_e32 v91, v97
	s_delay_alu instid0(VALU_DEP_3) | instskip(NEXT) | instid1(VALU_DEP_2)
	v_cmp_lt_u32_e32 vcc_lo, 34, v89
	v_pk_add_f32 v[84:85], v[84:85], v[90:91]
	s_or_b32 s3, vcc_lo, s3
	s_delay_alu instid0(SALU_CYCLE_1)
	s_and_not1_b32 exec_lo, exec_lo, s3
	s_cbranch_execnz .LBB39_747
; %bb.748:
	s_or_b32 exec_lo, exec_lo, s3
.LBB39_749:
	s_delay_alu instid0(SALU_CYCLE_1) | instskip(SKIP_4) | instid1(VALU_DEP_1)
	s_or_b32 exec_lo, exec_lo, s2
	v_mov_b32_e32 v87, 0
	ds_load_b64 v[88:89], v87 offset:288
	s_wait_dscnt 0x0
	v_pk_mul_f32 v[90:91], v[84:85], v[88:89] op_sel:[1,1] op_sel_hi:[0,1]
	v_pk_fma_f32 v[92:93], v[84:85], v[88:89], v[90:91] op_sel_hi:[1,0,1]
	v_pk_fma_f32 v[84:85], v[84:85], v[88:89], v[90:91] neg_lo:[0,0,1] neg_hi:[0,0,1]
	s_delay_alu instid0(VALU_DEP_2)
	v_mov_b32_e32 v85, v93
	scratch_store_b64 off, v[84:85], off offset:288
.LBB39_750:
	s_wait_xcnt 0x0
	s_or_b32 exec_lo, exec_lo, s0
	scratch_load_b64 v[84:85], off, off offset:296
	s_mov_b32 s0, exec_lo
	s_wait_loadcnt 0x0
	ds_store_b64 v1, v[84:85]
	s_wait_storecnt_dscnt 0x0
	s_barrier_signal -1
	s_barrier_wait -1
	s_wait_xcnt 0x0
	v_cmpx_gt_u32_e32 37, v0
	s_cbranch_execz .LBB39_760
; %bb.751:
	v_cmp_ne_u32_e32 vcc_lo, 1, v86
	s_cbranch_vccnz .LBB39_753
; %bb.752:
	scratch_load_b64 v[84:85], v37, off
	ds_load_b64 v[88:89], v1
	s_wait_loadcnt_dscnt 0x0
	v_pk_mul_f32 v[90:91], v[88:89], v[84:85] op_sel:[1,1] op_sel_hi:[0,1]
	s_delay_alu instid0(VALU_DEP_1) | instskip(SKIP_1) | instid1(VALU_DEP_2)
	v_pk_fma_f32 v[92:93], v[88:89], v[84:85], v[90:91] op_sel_hi:[1,0,1]
	v_pk_fma_f32 v[84:85], v[88:89], v[84:85], v[90:91] neg_lo:[0,0,1] neg_hi:[0,0,1]
	v_mov_b32_e32 v85, v93
	s_cbranch_execz .LBB39_754
	s_branch .LBB39_755
.LBB39_753:
                                        ; implicit-def: $vgpr84_vgpr85
.LBB39_754:
	ds_load_b64 v[84:85], v1
.LBB39_755:
	s_mov_b32 s2, exec_lo
	v_cmpx_ne_u32_e32 36, v0
	s_cbranch_execz .LBB39_759
; %bb.756:
	v_add_nc_u32_e32 v87, 0x148, v36
	v_add3_u32 v88, 0, v36, 8
	v_mov_b32_e32 v89, v0
	s_mov_b32 s3, 0
.LBB39_757:                             ; =>This Inner Loop Header: Depth=1
	scratch_load_b64 v[90:91], v88, off
	ds_load_b64 v[92:93], v87
	s_wait_xcnt 0x0
	v_dual_add_nc_u32 v87, 8, v87 :: v_dual_add_nc_u32 v88, 8, v88
	s_wait_loadcnt_dscnt 0x0
	v_pk_mul_f32 v[94:95], v[92:93], v[90:91] op_sel:[1,1] op_sel_hi:[0,1]
	s_delay_alu instid0(VALU_DEP_1) | instskip(SKIP_2) | instid1(VALU_DEP_3)
	v_pk_fma_f32 v[96:97], v[92:93], v[90:91], v[94:95] op_sel_hi:[1,0,1]
	v_add_nc_u32_e32 v89, 1, v89
	v_pk_fma_f32 v[90:91], v[92:93], v[90:91], v[94:95] neg_lo:[0,0,1] neg_hi:[0,0,1]
	v_mov_b32_e32 v91, v97
	s_delay_alu instid0(VALU_DEP_3) | instskip(NEXT) | instid1(VALU_DEP_2)
	v_cmp_lt_u32_e32 vcc_lo, 35, v89
	v_pk_add_f32 v[84:85], v[84:85], v[90:91]
	s_or_b32 s3, vcc_lo, s3
	s_delay_alu instid0(SALU_CYCLE_1)
	s_and_not1_b32 exec_lo, exec_lo, s3
	s_cbranch_execnz .LBB39_757
; %bb.758:
	s_or_b32 exec_lo, exec_lo, s3
.LBB39_759:
	s_delay_alu instid0(SALU_CYCLE_1) | instskip(SKIP_4) | instid1(VALU_DEP_1)
	s_or_b32 exec_lo, exec_lo, s2
	v_mov_b32_e32 v87, 0
	ds_load_b64 v[88:89], v87 offset:296
	s_wait_dscnt 0x0
	v_pk_mul_f32 v[90:91], v[84:85], v[88:89] op_sel:[1,1] op_sel_hi:[0,1]
	v_pk_fma_f32 v[92:93], v[84:85], v[88:89], v[90:91] op_sel_hi:[1,0,1]
	v_pk_fma_f32 v[84:85], v[84:85], v[88:89], v[90:91] neg_lo:[0,0,1] neg_hi:[0,0,1]
	s_delay_alu instid0(VALU_DEP_2)
	v_mov_b32_e32 v85, v93
	scratch_store_b64 off, v[84:85], off offset:296
.LBB39_760:
	s_wait_xcnt 0x0
	s_or_b32 exec_lo, exec_lo, s0
	scratch_load_b64 v[84:85], off, off offset:304
	v_cmp_gt_u32_e64 s0, 38, v0
	s_wait_loadcnt 0x0
	ds_store_b64 v1, v[84:85]
	s_wait_storecnt_dscnt 0x0
	s_barrier_signal -1
	s_barrier_wait -1
	s_wait_xcnt 0x0
	s_and_saveexec_b32 s2, s0
	s_cbranch_execz .LBB39_770
; %bb.761:
	v_cmp_ne_u32_e32 vcc_lo, 1, v86
	s_cbranch_vccnz .LBB39_763
; %bb.762:
	scratch_load_b64 v[84:85], v37, off
	ds_load_b64 v[88:89], v1
	s_wait_loadcnt_dscnt 0x0
	v_pk_mul_f32 v[90:91], v[88:89], v[84:85] op_sel:[1,1] op_sel_hi:[0,1]
	s_delay_alu instid0(VALU_DEP_1) | instskip(SKIP_1) | instid1(VALU_DEP_2)
	v_pk_fma_f32 v[92:93], v[88:89], v[84:85], v[90:91] op_sel_hi:[1,0,1]
	v_pk_fma_f32 v[84:85], v[88:89], v[84:85], v[90:91] neg_lo:[0,0,1] neg_hi:[0,0,1]
	v_mov_b32_e32 v85, v93
	s_cbranch_execz .LBB39_764
	s_branch .LBB39_765
.LBB39_763:
                                        ; implicit-def: $vgpr84_vgpr85
.LBB39_764:
	ds_load_b64 v[84:85], v1
.LBB39_765:
	s_mov_b32 s3, exec_lo
	v_cmpx_ne_u32_e32 37, v0
	s_cbranch_execz .LBB39_769
; %bb.766:
	v_add_nc_u32_e32 v87, 0x148, v36
	v_add3_u32 v88, 0, v36, 8
	v_mov_b32_e32 v89, v0
	s_mov_b32 s4, 0
.LBB39_767:                             ; =>This Inner Loop Header: Depth=1
	scratch_load_b64 v[90:91], v88, off
	ds_load_b64 v[92:93], v87
	s_wait_xcnt 0x0
	v_dual_add_nc_u32 v87, 8, v87 :: v_dual_add_nc_u32 v88, 8, v88
	s_wait_loadcnt_dscnt 0x0
	v_pk_mul_f32 v[94:95], v[92:93], v[90:91] op_sel:[1,1] op_sel_hi:[0,1]
	s_delay_alu instid0(VALU_DEP_1) | instskip(SKIP_2) | instid1(VALU_DEP_3)
	v_pk_fma_f32 v[96:97], v[92:93], v[90:91], v[94:95] op_sel_hi:[1,0,1]
	v_add_nc_u32_e32 v89, 1, v89
	v_pk_fma_f32 v[90:91], v[92:93], v[90:91], v[94:95] neg_lo:[0,0,1] neg_hi:[0,0,1]
	v_mov_b32_e32 v91, v97
	s_delay_alu instid0(VALU_DEP_3) | instskip(NEXT) | instid1(VALU_DEP_2)
	v_cmp_lt_u32_e32 vcc_lo, 36, v89
	v_pk_add_f32 v[84:85], v[84:85], v[90:91]
	s_or_b32 s4, vcc_lo, s4
	s_delay_alu instid0(SALU_CYCLE_1)
	s_and_not1_b32 exec_lo, exec_lo, s4
	s_cbranch_execnz .LBB39_767
; %bb.768:
	s_or_b32 exec_lo, exec_lo, s4
.LBB39_769:
	s_delay_alu instid0(SALU_CYCLE_1) | instskip(SKIP_4) | instid1(VALU_DEP_1)
	s_or_b32 exec_lo, exec_lo, s3
	v_mov_b32_e32 v87, 0
	ds_load_b64 v[88:89], v87 offset:304
	s_wait_dscnt 0x0
	v_pk_mul_f32 v[90:91], v[84:85], v[88:89] op_sel:[1,1] op_sel_hi:[0,1]
	v_pk_fma_f32 v[92:93], v[84:85], v[88:89], v[90:91] op_sel_hi:[1,0,1]
	v_pk_fma_f32 v[84:85], v[84:85], v[88:89], v[90:91] neg_lo:[0,0,1] neg_hi:[0,0,1]
	s_delay_alu instid0(VALU_DEP_2)
	v_mov_b32_e32 v85, v93
	scratch_store_b64 off, v[84:85], off offset:304
.LBB39_770:
	s_wait_xcnt 0x0
	s_or_b32 exec_lo, exec_lo, s2
	scratch_load_b64 v[84:85], off, off offset:312
	s_mov_b32 s2, exec_lo
                                        ; implicit-def: $vgpr108
                                        ; implicit-def: $sgpr4
	s_wait_loadcnt 0x0
	ds_store_b64 v1, v[84:85]
	s_wait_storecnt_dscnt 0x0
	s_barrier_signal -1
	s_barrier_wait -1
	s_wait_xcnt 0x0
	v_cmpx_ne_u32_e32 39, v0
	s_cbranch_execz .LBB39_780
; %bb.771:
	v_cmp_ne_u32_e32 vcc_lo, 1, v86
	s_cbranch_vccnz .LBB39_773
; %bb.772:
	scratch_load_b64 v[86:87], v37, off
	ds_load_b64 v[88:89], v1
	s_wait_loadcnt_dscnt 0x0
	v_dual_mul_f32 v37, v89, v87 :: v_dual_mul_f32 v85, v88, v87
	s_delay_alu instid0(VALU_DEP_1) | instskip(NEXT) | instid1(VALU_DEP_2)
	v_fma_f32 v84, v88, v86, -v37
	v_fmac_f32_e32 v85, v89, v86
	s_cbranch_execz .LBB39_774
	s_branch .LBB39_775
.LBB39_773:
                                        ; implicit-def: $vgpr85
.LBB39_774:
	ds_load_b64 v[84:85], v1
.LBB39_775:
	s_and_saveexec_b32 s3, s0
	s_cbranch_execz .LBB39_779
; %bb.776:
	v_add_nc_u32_e32 v1, 0x148, v36
	v_add3_u32 v36, 0, v36, 8
	s_mov_b32 s0, 0
.LBB39_777:                             ; =>This Inner Loop Header: Depth=1
	scratch_load_b64 v[86:87], v36, off
	ds_load_b64 v[88:89], v1
	s_wait_loadcnt_dscnt 0x0
	v_dual_add_nc_u32 v1, 8, v1 :: v_dual_mul_f32 v37, v89, v87
	v_dual_mul_f32 v87, v88, v87 :: v_dual_add_nc_u32 v0, 1, v0
	s_delay_alu instid0(VALU_DEP_1) | instskip(NEXT) | instid1(VALU_DEP_2)
	v_dual_fma_f32 v37, v88, v86, -v37 :: v_dual_fmac_f32 v87, v89, v86
	v_cmp_lt_u32_e32 vcc_lo, 37, v0
	s_delay_alu instid0(VALU_DEP_2) | instskip(NEXT) | instid1(VALU_DEP_3)
	v_dual_add_nc_u32 v36, 8, v36 :: v_dual_add_f32 v84, v84, v37
	v_add_f32_e32 v85, v85, v87
	s_or_b32 s0, vcc_lo, s0
	s_delay_alu instid0(SALU_CYCLE_1)
	s_and_not1_b32 exec_lo, exec_lo, s0
	s_cbranch_execnz .LBB39_777
; %bb.778:
	s_or_b32 exec_lo, exec_lo, s0
.LBB39_779:
	s_delay_alu instid0(SALU_CYCLE_1)
	s_or_b32 exec_lo, exec_lo, s3
	v_mov_b32_e32 v0, 0
	s_movk_i32 s4, 0x13c
	s_or_b32 s1, s1, exec_lo
	ds_load_b64 v[0:1], v0 offset:312
	s_wait_dscnt 0x0
	v_dual_mul_f32 v36, v85, v1 :: v_dual_mul_f32 v108, v84, v1
	s_delay_alu instid0(VALU_DEP_1) | instskip(NEXT) | instid1(VALU_DEP_2)
	v_fma_f32 v1, v84, v0, -v36
	v_fmac_f32_e32 v108, v85, v0
	scratch_store_b32 off, v1, off offset:312
.LBB39_780:
	s_wait_xcnt 0x0
	s_or_b32 exec_lo, exec_lo, s2
.LBB39_781:
	v_lshl_add_u64 v[104:105], v[6:7], 3, s[6:7]
	v_lshl_add_u64 v[106:107], v[8:9], 3, s[6:7]
	;; [unrolled: 1-line block ×38, first 2 shown]
	s_and_saveexec_b32 s0, s1
	s_cbranch_execz .LBB39_783
; %bb.782:
	scratch_store_b32 off, v108, s4
.LBB39_783:
	s_wait_xcnt 0x0
	s_or_b32 exec_lo, exec_lo, s0
	s_clause 0x6
	scratch_load_b128 v[56:59], off, off
	scratch_load_b128 v[60:63], off, off offset:16
	scratch_load_b128 v[64:67], off, off offset:32
	;; [unrolled: 1-line block ×6, first 2 shown]
	s_wait_loadcnt 0x6
	s_clause 0x1
	global_store_b64 v[2:3], v[56:57], off
	global_store_b64 v[4:5], v[58:59], off
	s_clause 0x1
	scratch_load_b128 v[2:5], off, off offset:112
	scratch_load_b128 v[56:59], off, off offset:128
	s_wait_loadcnt 0x7
	s_clause 0x1
	global_store_b64 v[104:105], v[60:61], off
	global_store_b64 v[106:107], v[62:63], off
	s_clause 0x1
	scratch_load_b128 v[60:63], off, off offset:144
	scratch_load_b128 v[104:107], off, off offset:160
	;; [unrolled: 7-line block ×6, first 2 shown]
	s_wait_loadcnt 0xc
	s_clause 0x1
	global_store_b64 v[84:85], v[80:81], off
	global_store_b64 v[86:87], v[82:83], off
	scratch_load_b128 v[80:83], off, off offset:304
	s_wait_loadcnt 0xc
	s_clause 0x1
	global_store_b64 v[8:9], v[2:3], off
	global_store_b64 v[10:11], v[4:5], off
	s_wait_loadcnt 0xb
	s_clause 0x1
	global_store_b64 v[12:13], v[56:57], off
	global_store_b64 v[14:15], v[58:59], off
	;; [unrolled: 4-line block ×13, first 2 shown]
.LBB39_784:
	s_sendmsg sendmsg(MSG_DEALLOC_VGPRS)
	s_endpgm
	.section	.rodata,"a",@progbits
	.p2align	6, 0x0
	.amdhsa_kernel _ZN9rocsolver6v33100L18trti2_kernel_smallILi40E19rocblas_complex_numIfEPS3_EEv13rocblas_fill_17rocblas_diagonal_T1_iil
		.amdhsa_group_segment_fixed_size 640
		.amdhsa_private_segment_fixed_size 336
		.amdhsa_kernarg_size 32
		.amdhsa_user_sgpr_count 2
		.amdhsa_user_sgpr_dispatch_ptr 0
		.amdhsa_user_sgpr_queue_ptr 0
		.amdhsa_user_sgpr_kernarg_segment_ptr 1
		.amdhsa_user_sgpr_dispatch_id 0
		.amdhsa_user_sgpr_kernarg_preload_length 0
		.amdhsa_user_sgpr_kernarg_preload_offset 0
		.amdhsa_user_sgpr_private_segment_size 0
		.amdhsa_wavefront_size32 1
		.amdhsa_uses_dynamic_stack 0
		.amdhsa_enable_private_segment 1
		.amdhsa_system_sgpr_workgroup_id_x 1
		.amdhsa_system_sgpr_workgroup_id_y 0
		.amdhsa_system_sgpr_workgroup_id_z 0
		.amdhsa_system_sgpr_workgroup_info 0
		.amdhsa_system_vgpr_workitem_id 0
		.amdhsa_next_free_vgpr 116
		.amdhsa_next_free_sgpr 27
		.amdhsa_named_barrier_count 0
		.amdhsa_reserve_vcc 1
		.amdhsa_float_round_mode_32 0
		.amdhsa_float_round_mode_16_64 0
		.amdhsa_float_denorm_mode_32 3
		.amdhsa_float_denorm_mode_16_64 3
		.amdhsa_fp16_overflow 0
		.amdhsa_memory_ordered 1
		.amdhsa_forward_progress 1
		.amdhsa_inst_pref_size 237
		.amdhsa_round_robin_scheduling 0
		.amdhsa_exception_fp_ieee_invalid_op 0
		.amdhsa_exception_fp_denorm_src 0
		.amdhsa_exception_fp_ieee_div_zero 0
		.amdhsa_exception_fp_ieee_overflow 0
		.amdhsa_exception_fp_ieee_underflow 0
		.amdhsa_exception_fp_ieee_inexact 0
		.amdhsa_exception_int_div_zero 0
	.end_amdhsa_kernel
	.section	.text._ZN9rocsolver6v33100L18trti2_kernel_smallILi40E19rocblas_complex_numIfEPS3_EEv13rocblas_fill_17rocblas_diagonal_T1_iil,"axG",@progbits,_ZN9rocsolver6v33100L18trti2_kernel_smallILi40E19rocblas_complex_numIfEPS3_EEv13rocblas_fill_17rocblas_diagonal_T1_iil,comdat
.Lfunc_end39:
	.size	_ZN9rocsolver6v33100L18trti2_kernel_smallILi40E19rocblas_complex_numIfEPS3_EEv13rocblas_fill_17rocblas_diagonal_T1_iil, .Lfunc_end39-_ZN9rocsolver6v33100L18trti2_kernel_smallILi40E19rocblas_complex_numIfEPS3_EEv13rocblas_fill_17rocblas_diagonal_T1_iil
                                        ; -- End function
	.set _ZN9rocsolver6v33100L18trti2_kernel_smallILi40E19rocblas_complex_numIfEPS3_EEv13rocblas_fill_17rocblas_diagonal_T1_iil.num_vgpr, 116
	.set _ZN9rocsolver6v33100L18trti2_kernel_smallILi40E19rocblas_complex_numIfEPS3_EEv13rocblas_fill_17rocblas_diagonal_T1_iil.num_agpr, 0
	.set _ZN9rocsolver6v33100L18trti2_kernel_smallILi40E19rocblas_complex_numIfEPS3_EEv13rocblas_fill_17rocblas_diagonal_T1_iil.numbered_sgpr, 27
	.set _ZN9rocsolver6v33100L18trti2_kernel_smallILi40E19rocblas_complex_numIfEPS3_EEv13rocblas_fill_17rocblas_diagonal_T1_iil.num_named_barrier, 0
	.set _ZN9rocsolver6v33100L18trti2_kernel_smallILi40E19rocblas_complex_numIfEPS3_EEv13rocblas_fill_17rocblas_diagonal_T1_iil.private_seg_size, 336
	.set _ZN9rocsolver6v33100L18trti2_kernel_smallILi40E19rocblas_complex_numIfEPS3_EEv13rocblas_fill_17rocblas_diagonal_T1_iil.uses_vcc, 1
	.set _ZN9rocsolver6v33100L18trti2_kernel_smallILi40E19rocblas_complex_numIfEPS3_EEv13rocblas_fill_17rocblas_diagonal_T1_iil.uses_flat_scratch, 1
	.set _ZN9rocsolver6v33100L18trti2_kernel_smallILi40E19rocblas_complex_numIfEPS3_EEv13rocblas_fill_17rocblas_diagonal_T1_iil.has_dyn_sized_stack, 0
	.set _ZN9rocsolver6v33100L18trti2_kernel_smallILi40E19rocblas_complex_numIfEPS3_EEv13rocblas_fill_17rocblas_diagonal_T1_iil.has_recursion, 0
	.set _ZN9rocsolver6v33100L18trti2_kernel_smallILi40E19rocblas_complex_numIfEPS3_EEv13rocblas_fill_17rocblas_diagonal_T1_iil.has_indirect_call, 0
	.section	.AMDGPU.csdata,"",@progbits
; Kernel info:
; codeLenInByte = 30244
; TotalNumSgprs: 29
; NumVgprs: 116
; ScratchSize: 336
; MemoryBound: 0
; FloatMode: 240
; IeeeMode: 1
; LDSByteSize: 640 bytes/workgroup (compile time only)
; SGPRBlocks: 0
; VGPRBlocks: 7
; NumSGPRsForWavesPerEU: 29
; NumVGPRsForWavesPerEU: 116
; NamedBarCnt: 0
; Occupancy: 8
; WaveLimiterHint : 0
; COMPUTE_PGM_RSRC2:SCRATCH_EN: 1
; COMPUTE_PGM_RSRC2:USER_SGPR: 2
; COMPUTE_PGM_RSRC2:TRAP_HANDLER: 0
; COMPUTE_PGM_RSRC2:TGID_X_EN: 1
; COMPUTE_PGM_RSRC2:TGID_Y_EN: 0
; COMPUTE_PGM_RSRC2:TGID_Z_EN: 0
; COMPUTE_PGM_RSRC2:TIDIG_COMP_CNT: 0
	.section	.text._ZN9rocsolver6v33100L18trti2_kernel_smallILi41E19rocblas_complex_numIfEPS3_EEv13rocblas_fill_17rocblas_diagonal_T1_iil,"axG",@progbits,_ZN9rocsolver6v33100L18trti2_kernel_smallILi41E19rocblas_complex_numIfEPS3_EEv13rocblas_fill_17rocblas_diagonal_T1_iil,comdat
	.globl	_ZN9rocsolver6v33100L18trti2_kernel_smallILi41E19rocblas_complex_numIfEPS3_EEv13rocblas_fill_17rocblas_diagonal_T1_iil ; -- Begin function _ZN9rocsolver6v33100L18trti2_kernel_smallILi41E19rocblas_complex_numIfEPS3_EEv13rocblas_fill_17rocblas_diagonal_T1_iil
	.p2align	8
	.type	_ZN9rocsolver6v33100L18trti2_kernel_smallILi41E19rocblas_complex_numIfEPS3_EEv13rocblas_fill_17rocblas_diagonal_T1_iil,@function
_ZN9rocsolver6v33100L18trti2_kernel_smallILi41E19rocblas_complex_numIfEPS3_EEv13rocblas_fill_17rocblas_diagonal_T1_iil: ; @_ZN9rocsolver6v33100L18trti2_kernel_smallILi41E19rocblas_complex_numIfEPS3_EEv13rocblas_fill_17rocblas_diagonal_T1_iil
; %bb.0:
	s_mov_b32 s2, exec_lo
	v_cmpx_gt_u32_e32 41, v0
	s_cbranch_execz .LBB40_804
; %bb.1:
	s_load_b256 s[4:11], s[0:1], 0x0
	s_wait_xcnt 0x0
	s_bfe_u32 s0, ttmp6, 0x4000c
	s_and_b32 s1, ttmp6, 15
	s_add_co_i32 s0, s0, 1
	s_getreg_b32 s2, hwreg(HW_REG_IB_STS2, 6, 4)
	s_mul_i32 s0, ttmp9, s0
	s_delay_alu instid0(SALU_CYCLE_1)
	s_add_co_i32 s0, s1, s0
	s_wait_kmcnt 0x0
	v_add3_u32 v6, s9, s9, v0
	v_lshlrev_b32_e32 v38, 3, v0
	s_ashr_i32 s1, s8, 31
	s_cmp_eq_u32 s2, 0
	s_cselect_b32 s2, ttmp9, s0
	v_dual_mov_b32 v39, 0 :: v_dual_add_nc_u32 v8, s9, v6
	s_ashr_i32 s3, s2, 31
	s_mov_b32 s0, s8
	s_mul_u64 s[2:3], s[10:11], s[2:3]
	s_delay_alu instid0(VALU_DEP_1) | instskip(SKIP_3) | instid1(VALU_DEP_1)
	v_add_nc_u32_e32 v10, s9, v8
	s_lshl_b64 s[2:3], s[2:3], 3
	s_lshl_b64 s[0:1], s[0:1], 3
	s_add_nc_u64 s[2:3], s[6:7], s[2:3]
	v_add_nc_u32_e32 v12, s9, v10
	s_add_nc_u64 s[6:7], s[2:3], s[0:1]
	s_mov_b32 s0, s9
	v_add_nc_u64_e32 v[2:3], s[6:7], v[38:39]
	s_ashr_i32 s1, s9, 31
	v_add_nc_u32_e32 v14, s9, v12
	s_cmp_lg_u32 s5, 0x84
	s_cselect_b32 s3, -1, 0
	s_delay_alu instid0(VALU_DEP_1) | instskip(NEXT) | instid1(VALU_DEP_3)
	v_add_nc_u32_e32 v16, s9, v14
	v_lshl_add_u64 v[4:5], s[0:1], 3, v[2:3]
	s_mov_b32 s0, -1
	s_and_b32 vcc_lo, exec_lo, s3
	s_delay_alu instid0(VALU_DEP_2) | instskip(SKIP_4) | instid1(VALU_DEP_1)
	v_add_nc_u32_e32 v18, s9, v16
	s_clause 0x1
	global_load_b64 v[62:63], v10, s[6:7] scale_offset
	global_load_b64 v[64:65], v12, s[6:7] scale_offset
	v_add_nc_u32_e32 v20, s9, v18
	v_add_nc_u32_e32 v22, s9, v20
	s_clause 0x7
	global_load_b64 v[66:67], v0, s[6:7] scale_offset
	global_load_b64 v[68:69], v[4:5], off
	global_load_b64 v[70:71], v6, s[6:7] scale_offset
	global_load_b64 v[72:73], v8, s[6:7] scale_offset
	;; [unrolled: 1-line block ×6, first 2 shown]
	v_add_nc_u32_e32 v24, s9, v22
	s_delay_alu instid0(VALU_DEP_1) | instskip(NEXT) | instid1(VALU_DEP_1)
	v_add_nc_u32_e32 v26, s9, v24
	v_add_nc_u32_e32 v28, s9, v26
	s_delay_alu instid0(VALU_DEP_1) | instskip(SKIP_4) | instid1(VALU_DEP_1)
	v_add_nc_u32_e32 v30, s9, v28
	s_clause 0x1
	global_load_b64 v[82:83], v22, s[6:7] scale_offset
	global_load_b64 v[84:85], v24, s[6:7] scale_offset
	v_add_nc_u32_e32 v32, s9, v30
	v_add_nc_u32_e32 v34, s9, v32
	s_clause 0x3
	global_load_b64 v[86:87], v26, s[6:7] scale_offset
	global_load_b64 v[88:89], v28, s[6:7] scale_offset
	;; [unrolled: 1-line block ×4, first 2 shown]
	v_add_nc_u32_e32 v36, s9, v34
	s_delay_alu instid0(VALU_DEP_1) | instskip(NEXT) | instid1(VALU_DEP_1)
	v_add_nc_u32_e32 v40, s9, v36
	v_add_nc_u32_e32 v42, s9, v40
	s_delay_alu instid0(VALU_DEP_1)
	v_add_nc_u32_e32 v44, s9, v42
	s_clause 0x3
	global_load_b64 v[94:95], v34, s[6:7] scale_offset
	global_load_b64 v[96:97], v36, s[6:7] scale_offset
	;; [unrolled: 1-line block ×4, first 2 shown]
	v_add_nc_u32_e32 v46, s9, v44
	s_delay_alu instid0(VALU_DEP_1) | instskip(NEXT) | instid1(VALU_DEP_1)
	v_add_nc_u32_e32 v48, s9, v46
	v_add_nc_u32_e32 v50, s9, v48
	s_delay_alu instid0(VALU_DEP_1) | instskip(NEXT) | instid1(VALU_DEP_1)
	v_add_nc_u32_e32 v52, s9, v50
	v_add_nc_u32_e32 v54, s9, v52
	s_delay_alu instid0(VALU_DEP_1) | instskip(NEXT) | instid1(VALU_DEP_1)
	v_add_nc_u32_e32 v56, s9, v54
	v_add_nc_u32_e32 v58, s9, v56
	s_delay_alu instid0(VALU_DEP_1)
	v_add_nc_u32_e32 v60, s9, v58
	s_wait_loadcnt 0x12
	scratch_store_b128 off, v[62:65], off offset:32
	s_wait_xcnt 0x0
	v_add_nc_u32_e32 v62, s9, v60
	s_clause 0x3
	global_load_b64 v[102:103], v44, s[6:7] scale_offset
	global_load_b64 v[104:105], v46, s[6:7] scale_offset
	;; [unrolled: 1-line block ×4, first 2 shown]
	s_wait_loadcnt 0x14
	scratch_store_b128 off, v[66:69], off
	s_wait_loadcnt 0x12
	scratch_store_b128 off, v[70:73], off offset:16
	v_add_nc_u32_e32 v64, s9, v62
	s_clause 0x3
	global_load_b64 v[110:111], v52, s[6:7] scale_offset
	global_load_b64 v[112:113], v54, s[6:7] scale_offset
	;; [unrolled: 1-line block ×4, first 2 shown]
	s_wait_loadcnt 0x14
	scratch_store_b128 off, v[74:77], off offset:48
	s_wait_xcnt 0x6
	v_add_nc_u32_e32 v66, s9, v64
	s_delay_alu instid0(VALU_DEP_1)
	v_add_nc_u32_e32 v68, s9, v66
	s_clause 0x1
	global_load_b64 v[118:119], v60, s[6:7] scale_offset
	global_load_b64 v[120:121], v62, s[6:7] scale_offset
	s_wait_loadcnt 0x14
	scratch_store_b128 off, v[78:81], off offset:64
	s_wait_xcnt 0x8
	v_add_nc_u32_e32 v70, s9, v68
	s_delay_alu instid0(VALU_DEP_1) | instskip(SKIP_4) | instid1(VALU_DEP_1)
	v_add_nc_u32_e32 v72, s9, v70
	s_wait_loadcnt 0x12
	scratch_store_b128 off, v[82:85], off offset:80
	s_wait_xcnt 0x4
	v_add_nc_u32_e32 v74, s9, v72
	v_add_nc_u32_e32 v76, s9, v74
	s_wait_loadcnt 0x10
	scratch_store_b128 off, v[86:89], off offset:96
	s_wait_loadcnt 0xe
	scratch_store_b128 off, v[90:93], off offset:112
	s_wait_xcnt 0x3
	v_add_nc_u32_e32 v78, s9, v76
	s_delay_alu instid0(VALU_DEP_1) | instskip(SKIP_1) | instid1(VALU_DEP_1)
	v_add_nc_u32_e32 v80, s9, v78
	s_wait_xcnt 0x2
	v_add_nc_u32_e32 v82, s9, v80
	s_wait_loadcnt 0xc
	scratch_store_b128 off, v[94:97], off offset:128
	v_add_nc_u32_e32 v84, s9, v82
	s_wait_loadcnt 0xa
	scratch_store_b128 off, v[98:101], off offset:144
	s_clause 0x1
	global_load_b64 v[86:87], v64, s[6:7] scale_offset
	global_load_b64 v[88:89], v66, s[6:7] scale_offset
	s_wait_loadcnt 0xa
	scratch_store_b128 off, v[102:105], off offset:160
	s_wait_loadcnt 0x8
	scratch_store_b128 off, v[106:109], off offset:176
	s_clause 0x3
	global_load_b64 v[90:91], v68, s[6:7] scale_offset
	global_load_b64 v[92:93], v70, s[6:7] scale_offset
	;; [unrolled: 1-line block ×4, first 2 shown]
	s_wait_loadcnt 0xa
	scratch_store_b128 off, v[110:113], off offset:192
	s_wait_loadcnt 0x8
	scratch_store_b128 off, v[114:117], off offset:208
	;; [unrolled: 2-line block ×3, first 2 shown]
	s_clause 0x4
	global_load_b64 v[98:99], v76, s[6:7] scale_offset
	global_load_b64 v[100:101], v78, s[6:7] scale_offset
	;; [unrolled: 1-line block ×5, first 2 shown]
	s_wait_loadcnt 0x9
	scratch_store_b128 off, v[86:89], off offset:240
	s_wait_loadcnt 0x7
	scratch_store_b128 off, v[90:93], off offset:256
	;; [unrolled: 2-line block ×5, first 2 shown]
	s_wait_loadcnt 0x0
	scratch_store_b64 off, v[106:107], off offset:320
	s_cbranch_vccz .LBB40_7
; %bb.2:
	scratch_load_b64 v[86:87], v0, off scale_offset
                                        ; implicit-def: $vgpr91
                                        ; implicit-def: $vgpr88
	s_wait_loadcnt 0x0
	v_cmp_ngt_f32_e64 s0, |v86|, |v87|
	s_wait_xcnt 0x0
	s_and_saveexec_b32 s1, s0
	s_delay_alu instid0(SALU_CYCLE_1)
	s_xor_b32 s0, exec_lo, s1
	s_cbranch_execz .LBB40_4
; %bb.3:
	v_div_scale_f32 v1, null, v87, v87, v86
	v_div_scale_f32 v11, vcc_lo, v86, v87, v86
	s_delay_alu instid0(VALU_DEP_2) | instskip(SKIP_1) | instid1(TRANS32_DEP_1)
	v_rcp_f32_e32 v7, v1
	v_nop
	v_fma_f32 v9, -v1, v7, 1.0
	s_delay_alu instid0(VALU_DEP_1) | instskip(NEXT) | instid1(VALU_DEP_1)
	v_fmac_f32_e32 v7, v9, v7
	v_mul_f32_e32 v9, v11, v7
	s_delay_alu instid0(VALU_DEP_1) | instskip(NEXT) | instid1(VALU_DEP_1)
	v_fma_f32 v13, -v1, v9, v11
	v_fmac_f32_e32 v9, v13, v7
	s_delay_alu instid0(VALU_DEP_1) | instskip(NEXT) | instid1(VALU_DEP_1)
	v_fma_f32 v1, -v1, v9, v11
	v_div_fmas_f32 v1, v1, v7, v9
	s_delay_alu instid0(VALU_DEP_1) | instskip(NEXT) | instid1(VALU_DEP_1)
	v_div_fixup_f32 v1, v1, v87, v86
	v_fmac_f32_e32 v87, v86, v1
	s_delay_alu instid0(VALU_DEP_1) | instskip(NEXT) | instid1(VALU_DEP_1)
	v_div_scale_f32 v7, null, v87, v87, -1.0
	v_rcp_f32_e32 v9, v7
	v_nop
	s_delay_alu instid0(TRANS32_DEP_1) | instskip(NEXT) | instid1(VALU_DEP_1)
	v_fma_f32 v11, -v7, v9, 1.0
	v_fmac_f32_e32 v9, v11, v9
	v_div_scale_f32 v11, vcc_lo, -1.0, v87, -1.0
	s_delay_alu instid0(VALU_DEP_1) | instskip(NEXT) | instid1(VALU_DEP_1)
	v_mul_f32_e32 v13, v11, v9
	v_fma_f32 v15, -v7, v13, v11
	s_delay_alu instid0(VALU_DEP_1) | instskip(NEXT) | instid1(VALU_DEP_1)
	v_fmac_f32_e32 v13, v15, v9
	v_fma_f32 v7, -v7, v13, v11
	s_delay_alu instid0(VALU_DEP_1) | instskip(NEXT) | instid1(VALU_DEP_1)
	v_div_fmas_f32 v7, v7, v9, v13
	v_div_fixup_f32 v91, v7, v87, -1.0
                                        ; implicit-def: $vgpr86_vgpr87
	s_delay_alu instid0(VALU_DEP_1) | instskip(NEXT) | instid1(VALU_DEP_1)
	v_mul_f32_e32 v88, v1, v91
	v_xor_b32_e32 v90, 0x80000000, v88
.LBB40_4:
	s_or_saveexec_b32 s0, s0
	v_lshl_add_u32 v1, v0, 3, 0
	s_xor_b32 exec_lo, exec_lo, s0
	s_cbranch_execz .LBB40_6
; %bb.5:
	v_div_scale_f32 v7, null, v86, v86, v87
	v_div_scale_f32 v13, vcc_lo, v87, v86, v87
	s_delay_alu instid0(VALU_DEP_2) | instskip(SKIP_1) | instid1(TRANS32_DEP_1)
	v_rcp_f32_e32 v9, v7
	v_nop
	v_fma_f32 v11, -v7, v9, 1.0
	s_delay_alu instid0(VALU_DEP_1) | instskip(NEXT) | instid1(VALU_DEP_1)
	v_fmac_f32_e32 v9, v11, v9
	v_mul_f32_e32 v11, v13, v9
	s_delay_alu instid0(VALU_DEP_1) | instskip(NEXT) | instid1(VALU_DEP_1)
	v_fma_f32 v15, -v7, v11, v13
	v_fmac_f32_e32 v11, v15, v9
	s_delay_alu instid0(VALU_DEP_1) | instskip(NEXT) | instid1(VALU_DEP_1)
	v_fma_f32 v7, -v7, v11, v13
	v_div_fmas_f32 v7, v7, v9, v11
	s_delay_alu instid0(VALU_DEP_1) | instskip(NEXT) | instid1(VALU_DEP_1)
	v_div_fixup_f32 v7, v7, v86, v87
	v_fmac_f32_e32 v86, v87, v7
	s_delay_alu instid0(VALU_DEP_1) | instskip(SKIP_1) | instid1(VALU_DEP_2)
	v_div_scale_f32 v9, null, v86, v86, 1.0
	v_div_scale_f32 v15, vcc_lo, 1.0, v86, 1.0
	v_rcp_f32_e32 v11, v9
	v_nop
	s_delay_alu instid0(TRANS32_DEP_1) | instskip(NEXT) | instid1(VALU_DEP_1)
	v_fma_f32 v13, -v9, v11, 1.0
	v_fmac_f32_e32 v11, v13, v11
	s_delay_alu instid0(VALU_DEP_1) | instskip(NEXT) | instid1(VALU_DEP_1)
	v_mul_f32_e32 v13, v15, v11
	v_fma_f32 v17, -v9, v13, v15
	s_delay_alu instid0(VALU_DEP_1) | instskip(NEXT) | instid1(VALU_DEP_1)
	v_fmac_f32_e32 v13, v17, v11
	v_fma_f32 v9, -v9, v13, v15
	s_delay_alu instid0(VALU_DEP_1) | instskip(NEXT) | instid1(VALU_DEP_1)
	v_div_fmas_f32 v9, v9, v11, v13
	v_div_fixup_f32 v90, v9, v86, 1.0
	s_delay_alu instid0(VALU_DEP_1)
	v_xor_b32_e32 v88, 0x80000000, v90
	v_mul_f32_e64 v91, v7, -v90
.LBB40_6:
	s_or_b32 exec_lo, exec_lo, s0
	s_delay_alu instid0(VALU_DEP_1)
	v_xor_b32_e32 v89, 0x80000000, v91
	s_mov_b32 s0, 0
	scratch_store_b64 v1, v[90:91], off
	ds_store_b64 v38, v[88:89]
.LBB40_7:
	s_and_b32 vcc_lo, exec_lo, s0
	s_cbranch_vccz .LBB40_9
; %bb.8:
	s_mov_b64 s[0:1], 0xbf800000
	s_wait_xcnt 0x5
	v_mov_b64_e32 v[86:87], s[0:1]
	ds_store_b64 v38, v[86:87]
.LBB40_9:
	v_dual_ashrrev_i32 v7, 31, v6 :: v_dual_ashrrev_i32 v9, 31, v8
	v_dual_ashrrev_i32 v11, 31, v10 :: v_dual_ashrrev_i32 v13, 31, v12
	;; [unrolled: 1-line block ×19, first 2 shown]
	v_dual_ashrrev_i32 v85, 31, v84 :: v_dual_mov_b32 v39, v38
	s_wait_xcnt 0x0
	v_add_nc_u32_e32 v1, 0x150, v38
	s_cmp_eq_u32 s4, 0x79
	s_cbranch_scc1 .LBB40_13
; %bb.10:
	scratch_load_b64 v[86:87], off, off offset:312
	v_cmp_eq_u32_e64 s0, 40, v0
	s_movk_i32 s1, 0x50
	s_movk_i32 s2, 0x60
	;; [unrolled: 1-line block ×15, first 2 shown]
	s_wait_loadcnt 0x0
	ds_store_b64 v1, v[86:87]
	s_wait_storecnt_dscnt 0x0
	s_barrier_signal -1
	s_barrier_wait -1
	s_wait_xcnt 0x0
	s_and_saveexec_b32 s4, s0
	s_cbranch_execz .LBB40_17
; %bb.11:
	s_and_b32 vcc_lo, exec_lo, s3
	s_cbranch_vccz .LBB40_14
; %bb.12:
	scratch_load_b64 v[86:87], v39, off
	ds_load_b64 v[88:89], v1
	s_wait_loadcnt_dscnt 0x0
	v_pk_mul_f32 v[90:91], v[88:89], v[86:87] op_sel:[1,1] op_sel_hi:[0,1]
	v_pk_mul_f32 v[92:93], v[88:89], v[86:87] op_sel_hi:[1,0]
	s_delay_alu instid0(VALU_DEP_2) | instskip(NEXT) | instid1(VALU_DEP_2)
	v_pk_fma_f32 v[86:87], v[88:89], v[86:87], v[90:91] op_sel_hi:[1,0,1]
	v_sub_f32_e32 v86, v92, v90
	s_cbranch_execz .LBB40_15
	s_branch .LBB40_16
.LBB40_13:
	s_mov_b32 s1, 0
                                        ; implicit-def: $vgpr110
                                        ; implicit-def: $sgpr4
	s_cbranch_execnz .LBB40_406
	s_branch .LBB40_801
.LBB40_14:
                                        ; implicit-def: $vgpr87
.LBB40_15:
	ds_load_b64 v[86:87], v1
.LBB40_16:
	s_wait_dscnt 0x0
	v_dual_mov_b32 v88, 0 :: v_dual_mov_b32 v90, v87
	v_mov_b32_e32 v91, v86
	ds_load_b64 v[88:89], v88 offset:312
	s_wait_dscnt 0x0
	v_pk_mul_f32 v[90:91], v[90:91], v[88:89] op_sel:[0,1]
	s_delay_alu instid0(VALU_DEP_1) | instskip(SKIP_1) | instid1(VALU_DEP_2)
	v_pk_fma_f32 v[92:93], v[86:87], v[88:89], v[90:91] op_sel_hi:[1,0,1]
	v_pk_fma_f32 v[86:87], v[86:87], v[88:89], v[90:91] neg_lo:[0,0,1] neg_hi:[0,0,1]
	v_mov_b32_e32 v87, v93
	scratch_store_b64 off, v[86:87], off offset:312
.LBB40_17:
	s_wait_xcnt 0x0
	s_or_b32 exec_lo, exec_lo, s4
	scratch_load_b64 v[86:87], off, off offset:304
	s_mov_b32 s11, s2
	v_cmp_lt_u32_e64 s2, 38, v0
	s_mov_b32 s4, 16
	s_mov_b32 s5, 32
	;; [unrolled: 1-line block ×5, first 2 shown]
	s_wait_loadcnt 0x0
	ds_store_b64 v1, v[86:87]
	s_wait_storecnt_dscnt 0x0
	s_barrier_signal -1
	s_barrier_wait -1
	s_wait_xcnt 0x0
	s_and_saveexec_b32 s1, s2
	s_cbranch_execz .LBB40_25
; %bb.18:
	s_and_not1_b32 vcc_lo, exec_lo, s3
	s_cbranch_vccnz .LBB40_20
; %bb.19:
	scratch_load_b64 v[86:87], v39, off
	ds_load_b64 v[88:89], v1
	s_wait_loadcnt_dscnt 0x0
	v_pk_mul_f32 v[90:91], v[88:89], v[86:87] op_sel:[1,1] op_sel_hi:[0,1]
	s_delay_alu instid0(VALU_DEP_1) | instskip(SKIP_1) | instid1(VALU_DEP_2)
	v_pk_fma_f32 v[92:93], v[88:89], v[86:87], v[90:91] op_sel_hi:[1,0,1]
	v_pk_fma_f32 v[86:87], v[88:89], v[86:87], v[90:91] neg_lo:[0,0,1] neg_hi:[0,0,1]
	v_mov_b32_e32 v87, v93
	s_cbranch_execz .LBB40_21
	s_branch .LBB40_22
.LBB40_20:
                                        ; implicit-def: $vgpr86_vgpr87
.LBB40_21:
	ds_load_b64 v[86:87], v1
.LBB40_22:
	s_and_saveexec_b32 s25, s0
	s_cbranch_execz .LBB40_24
; %bb.23:
	scratch_load_b64 v[88:89], off, off offset:312
	v_mov_b32_e32 v90, 0
	ds_load_b64 v[90:91], v90 offset:648
	s_wait_loadcnt_dscnt 0x0
	v_pk_mul_f32 v[92:93], v[90:91], v[88:89] op_sel:[1,1] op_sel_hi:[0,1]
	s_delay_alu instid0(VALU_DEP_1) | instskip(SKIP_1) | instid1(VALU_DEP_2)
	v_pk_fma_f32 v[94:95], v[90:91], v[88:89], v[92:93] op_sel_hi:[1,0,1]
	v_pk_fma_f32 v[88:89], v[90:91], v[88:89], v[92:93] neg_lo:[0,0,1] neg_hi:[0,0,1]
	v_mov_b32_e32 v89, v95
	s_delay_alu instid0(VALU_DEP_1)
	v_pk_add_f32 v[86:87], v[86:87], v[88:89]
.LBB40_24:
	s_or_b32 exec_lo, exec_lo, s25
	v_mov_b32_e32 v88, 0
	ds_load_b64 v[88:89], v88 offset:304
	s_wait_dscnt 0x0
	v_pk_mul_f32 v[90:91], v[86:87], v[88:89] op_sel:[1,1] op_sel_hi:[0,1]
	s_delay_alu instid0(VALU_DEP_1) | instskip(SKIP_1) | instid1(VALU_DEP_2)
	v_pk_fma_f32 v[92:93], v[86:87], v[88:89], v[90:91] op_sel_hi:[1,0,1]
	v_pk_fma_f32 v[86:87], v[86:87], v[88:89], v[90:91] neg_lo:[0,0,1] neg_hi:[0,0,1]
	v_mov_b32_e32 v87, v93
	scratch_store_b64 off, v[86:87], off offset:304
.LBB40_25:
	s_wait_xcnt 0x0
	s_or_b32 exec_lo, exec_lo, s1
	scratch_load_b64 v[86:87], off, off offset:296
	v_cmp_lt_u32_e64 s1, 37, v0
	s_wait_loadcnt 0x0
	ds_store_b64 v1, v[86:87]
	s_wait_storecnt_dscnt 0x0
	s_barrier_signal -1
	s_barrier_wait -1
	s_wait_xcnt 0x0
	s_and_saveexec_b32 s0, s1
	s_cbranch_execz .LBB40_35
; %bb.26:
	s_and_not1_b32 vcc_lo, exec_lo, s3
	s_cbranch_vccnz .LBB40_28
; %bb.27:
	scratch_load_b64 v[86:87], v39, off
	ds_load_b64 v[88:89], v1
	s_wait_loadcnt_dscnt 0x0
	v_pk_mul_f32 v[90:91], v[88:89], v[86:87] op_sel:[1,1] op_sel_hi:[0,1]
	s_delay_alu instid0(VALU_DEP_1) | instskip(SKIP_1) | instid1(VALU_DEP_2)
	v_pk_fma_f32 v[92:93], v[88:89], v[86:87], v[90:91] op_sel_hi:[1,0,1]
	v_pk_fma_f32 v[86:87], v[88:89], v[86:87], v[90:91] neg_lo:[0,0,1] neg_hi:[0,0,1]
	v_mov_b32_e32 v87, v93
	s_cbranch_execz .LBB40_29
	s_branch .LBB40_30
.LBB40_28:
                                        ; implicit-def: $vgpr86_vgpr87
.LBB40_29:
	ds_load_b64 v[86:87], v1
.LBB40_30:
	s_and_saveexec_b32 s25, s2
	s_cbranch_execz .LBB40_34
; %bb.31:
	v_subrev_nc_u32_e32 v88, 38, v0
	s_movk_i32 s26, 0x280
	s_mov_b32 s2, 0
.LBB40_32:                              ; =>This Inner Loop Header: Depth=1
	scratch_load_b64 v[90:91], off, s24
	v_dual_mov_b32 v89, s26 :: v_dual_add_nc_u32 v88, -1, v88
	s_add_co_i32 s26, s26, 8
	s_wait_xcnt 0x0
	s_add_co_i32 s24, s24, 8
	ds_load_b64 v[92:93], v89
	v_cmp_eq_u32_e32 vcc_lo, 0, v88
	s_or_b32 s2, vcc_lo, s2
	s_wait_loadcnt_dscnt 0x0
	v_pk_mul_f32 v[94:95], v[92:93], v[90:91] op_sel:[1,1] op_sel_hi:[0,1]
	s_delay_alu instid0(VALU_DEP_1) | instskip(SKIP_1) | instid1(VALU_DEP_2)
	v_pk_fma_f32 v[96:97], v[92:93], v[90:91], v[94:95] op_sel_hi:[1,0,1]
	v_pk_fma_f32 v[90:91], v[92:93], v[90:91], v[94:95] neg_lo:[0,0,1] neg_hi:[0,0,1]
	v_mov_b32_e32 v91, v97
	s_delay_alu instid0(VALU_DEP_1)
	v_pk_add_f32 v[86:87], v[86:87], v[90:91]
	s_and_not1_b32 exec_lo, exec_lo, s2
	s_cbranch_execnz .LBB40_32
; %bb.33:
	s_or_b32 exec_lo, exec_lo, s2
.LBB40_34:
	s_delay_alu instid0(SALU_CYCLE_1) | instskip(SKIP_4) | instid1(VALU_DEP_1)
	s_or_b32 exec_lo, exec_lo, s25
	v_mov_b32_e32 v88, 0
	ds_load_b64 v[88:89], v88 offset:296
	s_wait_dscnt 0x0
	v_pk_mul_f32 v[90:91], v[86:87], v[88:89] op_sel:[1,1] op_sel_hi:[0,1]
	v_pk_fma_f32 v[92:93], v[86:87], v[88:89], v[90:91] op_sel_hi:[1,0,1]
	v_pk_fma_f32 v[86:87], v[86:87], v[88:89], v[90:91] neg_lo:[0,0,1] neg_hi:[0,0,1]
	s_delay_alu instid0(VALU_DEP_2)
	v_mov_b32_e32 v87, v93
	scratch_store_b64 off, v[86:87], off offset:296
.LBB40_35:
	s_wait_xcnt 0x0
	s_or_b32 exec_lo, exec_lo, s0
	scratch_load_b64 v[86:87], off, off offset:288
	v_cmp_lt_u32_e64 s0, 36, v0
	s_wait_loadcnt 0x0
	ds_store_b64 v1, v[86:87]
	s_wait_storecnt_dscnt 0x0
	s_barrier_signal -1
	s_barrier_wait -1
	s_wait_xcnt 0x0
	s_and_saveexec_b32 s2, s0
	s_cbranch_execz .LBB40_45
; %bb.36:
	s_and_not1_b32 vcc_lo, exec_lo, s3
	s_cbranch_vccnz .LBB40_38
; %bb.37:
	scratch_load_b64 v[86:87], v39, off
	ds_load_b64 v[88:89], v1
	s_wait_loadcnt_dscnt 0x0
	v_pk_mul_f32 v[90:91], v[88:89], v[86:87] op_sel:[1,1] op_sel_hi:[0,1]
	s_delay_alu instid0(VALU_DEP_1) | instskip(SKIP_1) | instid1(VALU_DEP_2)
	v_pk_fma_f32 v[92:93], v[88:89], v[86:87], v[90:91] op_sel_hi:[1,0,1]
	v_pk_fma_f32 v[86:87], v[88:89], v[86:87], v[90:91] neg_lo:[0,0,1] neg_hi:[0,0,1]
	v_mov_b32_e32 v87, v93
	s_cbranch_execz .LBB40_39
	s_branch .LBB40_40
.LBB40_38:
                                        ; implicit-def: $vgpr86_vgpr87
.LBB40_39:
	ds_load_b64 v[86:87], v1
.LBB40_40:
	s_and_saveexec_b32 s24, s1
	s_cbranch_execz .LBB40_44
; %bb.41:
	v_subrev_nc_u32_e32 v88, 37, v0
	s_movk_i32 s1, 0x128
	s_movk_i32 s26, 0x278
	s_mov_b32 s25, 0
.LBB40_42:                              ; =>This Inner Loop Header: Depth=1
	scratch_load_b64 v[90:91], off, s1
	v_dual_mov_b32 v89, s26 :: v_dual_add_nc_u32 v88, -1, v88
	s_add_co_i32 s26, s26, 8
	s_wait_xcnt 0x0
	s_add_co_i32 s1, s1, 8
	ds_load_b64 v[92:93], v89
	v_cmp_eq_u32_e32 vcc_lo, 0, v88
	s_or_b32 s25, vcc_lo, s25
	s_wait_loadcnt_dscnt 0x0
	v_pk_mul_f32 v[94:95], v[92:93], v[90:91] op_sel:[1,1] op_sel_hi:[0,1]
	s_delay_alu instid0(VALU_DEP_1) | instskip(SKIP_1) | instid1(VALU_DEP_2)
	v_pk_fma_f32 v[96:97], v[92:93], v[90:91], v[94:95] op_sel_hi:[1,0,1]
	v_pk_fma_f32 v[90:91], v[92:93], v[90:91], v[94:95] neg_lo:[0,0,1] neg_hi:[0,0,1]
	v_mov_b32_e32 v91, v97
	s_delay_alu instid0(VALU_DEP_1)
	v_pk_add_f32 v[86:87], v[86:87], v[90:91]
	s_and_not1_b32 exec_lo, exec_lo, s25
	s_cbranch_execnz .LBB40_42
; %bb.43:
	s_or_b32 exec_lo, exec_lo, s25
.LBB40_44:
	s_delay_alu instid0(SALU_CYCLE_1) | instskip(SKIP_4) | instid1(VALU_DEP_1)
	s_or_b32 exec_lo, exec_lo, s24
	v_mov_b32_e32 v88, 0
	ds_load_b64 v[88:89], v88 offset:288
	s_wait_dscnt 0x0
	v_pk_mul_f32 v[90:91], v[86:87], v[88:89] op_sel:[1,1] op_sel_hi:[0,1]
	v_pk_fma_f32 v[92:93], v[86:87], v[88:89], v[90:91] op_sel_hi:[1,0,1]
	v_pk_fma_f32 v[86:87], v[86:87], v[88:89], v[90:91] neg_lo:[0,0,1] neg_hi:[0,0,1]
	s_delay_alu instid0(VALU_DEP_2)
	v_mov_b32_e32 v87, v93
	scratch_store_b64 off, v[86:87], off offset:288
.LBB40_45:
	s_wait_xcnt 0x0
	s_or_b32 exec_lo, exec_lo, s2
	scratch_load_b64 v[86:87], off, off offset:280
	v_cmp_lt_u32_e64 s1, 35, v0
	s_wait_loadcnt 0x0
	ds_store_b64 v1, v[86:87]
	s_wait_storecnt_dscnt 0x0
	s_barrier_signal -1
	s_barrier_wait -1
	s_wait_xcnt 0x0
	s_and_saveexec_b32 s2, s1
	s_cbranch_execz .LBB40_55
; %bb.46:
	s_and_not1_b32 vcc_lo, exec_lo, s3
	s_cbranch_vccnz .LBB40_48
; %bb.47:
	scratch_load_b64 v[86:87], v39, off
	ds_load_b64 v[88:89], v1
	s_wait_loadcnt_dscnt 0x0
	v_pk_mul_f32 v[90:91], v[88:89], v[86:87] op_sel:[1,1] op_sel_hi:[0,1]
	s_delay_alu instid0(VALU_DEP_1) | instskip(SKIP_1) | instid1(VALU_DEP_2)
	v_pk_fma_f32 v[92:93], v[88:89], v[86:87], v[90:91] op_sel_hi:[1,0,1]
	v_pk_fma_f32 v[86:87], v[88:89], v[86:87], v[90:91] neg_lo:[0,0,1] neg_hi:[0,0,1]
	v_mov_b32_e32 v87, v93
	s_cbranch_execz .LBB40_49
	s_branch .LBB40_50
.LBB40_48:
                                        ; implicit-def: $vgpr86_vgpr87
.LBB40_49:
	ds_load_b64 v[86:87], v1
.LBB40_50:
	s_and_saveexec_b32 s24, s0
	s_cbranch_execz .LBB40_54
; %bb.51:
	v_subrev_nc_u32_e32 v88, 36, v0
	s_movk_i32 s25, 0x270
	s_mov_b32 s0, 0
.LBB40_52:                              ; =>This Inner Loop Header: Depth=1
	scratch_load_b64 v[90:91], off, s23
	v_dual_mov_b32 v89, s25 :: v_dual_add_nc_u32 v88, -1, v88
	s_add_co_i32 s25, s25, 8
	s_wait_xcnt 0x0
	s_add_co_i32 s23, s23, 8
	ds_load_b64 v[92:93], v89
	v_cmp_eq_u32_e32 vcc_lo, 0, v88
	s_or_b32 s0, vcc_lo, s0
	s_wait_loadcnt_dscnt 0x0
	v_pk_mul_f32 v[94:95], v[92:93], v[90:91] op_sel:[1,1] op_sel_hi:[0,1]
	s_delay_alu instid0(VALU_DEP_1) | instskip(SKIP_1) | instid1(VALU_DEP_2)
	v_pk_fma_f32 v[96:97], v[92:93], v[90:91], v[94:95] op_sel_hi:[1,0,1]
	v_pk_fma_f32 v[90:91], v[92:93], v[90:91], v[94:95] neg_lo:[0,0,1] neg_hi:[0,0,1]
	v_mov_b32_e32 v91, v97
	s_delay_alu instid0(VALU_DEP_1)
	v_pk_add_f32 v[86:87], v[86:87], v[90:91]
	s_and_not1_b32 exec_lo, exec_lo, s0
	s_cbranch_execnz .LBB40_52
; %bb.53:
	s_or_b32 exec_lo, exec_lo, s0
.LBB40_54:
	s_delay_alu instid0(SALU_CYCLE_1) | instskip(SKIP_4) | instid1(VALU_DEP_1)
	s_or_b32 exec_lo, exec_lo, s24
	v_mov_b32_e32 v88, 0
	ds_load_b64 v[88:89], v88 offset:280
	s_wait_dscnt 0x0
	v_pk_mul_f32 v[90:91], v[86:87], v[88:89] op_sel:[1,1] op_sel_hi:[0,1]
	v_pk_fma_f32 v[92:93], v[86:87], v[88:89], v[90:91] op_sel_hi:[1,0,1]
	v_pk_fma_f32 v[86:87], v[86:87], v[88:89], v[90:91] neg_lo:[0,0,1] neg_hi:[0,0,1]
	s_delay_alu instid0(VALU_DEP_2)
	v_mov_b32_e32 v87, v93
	scratch_store_b64 off, v[86:87], off offset:280
.LBB40_55:
	s_wait_xcnt 0x0
	s_or_b32 exec_lo, exec_lo, s2
	scratch_load_b64 v[86:87], off, off offset:272
	v_cmp_lt_u32_e64 s0, 34, v0
	s_wait_loadcnt 0x0
	ds_store_b64 v1, v[86:87]
	s_wait_storecnt_dscnt 0x0
	s_barrier_signal -1
	s_barrier_wait -1
	s_wait_xcnt 0x0
	s_and_saveexec_b32 s2, s0
	s_cbranch_execz .LBB40_65
; %bb.56:
	s_and_not1_b32 vcc_lo, exec_lo, s3
	s_cbranch_vccnz .LBB40_58
; %bb.57:
	scratch_load_b64 v[86:87], v39, off
	ds_load_b64 v[88:89], v1
	s_wait_loadcnt_dscnt 0x0
	v_pk_mul_f32 v[90:91], v[88:89], v[86:87] op_sel:[1,1] op_sel_hi:[0,1]
	s_delay_alu instid0(VALU_DEP_1) | instskip(SKIP_1) | instid1(VALU_DEP_2)
	v_pk_fma_f32 v[92:93], v[88:89], v[86:87], v[90:91] op_sel_hi:[1,0,1]
	v_pk_fma_f32 v[86:87], v[88:89], v[86:87], v[90:91] neg_lo:[0,0,1] neg_hi:[0,0,1]
	v_mov_b32_e32 v87, v93
	s_cbranch_execz .LBB40_59
	s_branch .LBB40_60
.LBB40_58:
                                        ; implicit-def: $vgpr86_vgpr87
.LBB40_59:
	ds_load_b64 v[86:87], v1
.LBB40_60:
	s_and_saveexec_b32 s23, s1
	s_cbranch_execz .LBB40_64
; %bb.61:
	v_subrev_nc_u32_e32 v88, 35, v0
	s_movk_i32 s1, 0x118
	s_movk_i32 s25, 0x268
	s_mov_b32 s24, 0
.LBB40_62:                              ; =>This Inner Loop Header: Depth=1
	scratch_load_b64 v[90:91], off, s1
	v_dual_mov_b32 v89, s25 :: v_dual_add_nc_u32 v88, -1, v88
	s_add_co_i32 s25, s25, 8
	s_wait_xcnt 0x0
	s_add_co_i32 s1, s1, 8
	ds_load_b64 v[92:93], v89
	v_cmp_eq_u32_e32 vcc_lo, 0, v88
	s_or_b32 s24, vcc_lo, s24
	s_wait_loadcnt_dscnt 0x0
	v_pk_mul_f32 v[94:95], v[92:93], v[90:91] op_sel:[1,1] op_sel_hi:[0,1]
	s_delay_alu instid0(VALU_DEP_1) | instskip(SKIP_1) | instid1(VALU_DEP_2)
	v_pk_fma_f32 v[96:97], v[92:93], v[90:91], v[94:95] op_sel_hi:[1,0,1]
	v_pk_fma_f32 v[90:91], v[92:93], v[90:91], v[94:95] neg_lo:[0,0,1] neg_hi:[0,0,1]
	v_mov_b32_e32 v91, v97
	s_delay_alu instid0(VALU_DEP_1)
	v_pk_add_f32 v[86:87], v[86:87], v[90:91]
	s_and_not1_b32 exec_lo, exec_lo, s24
	s_cbranch_execnz .LBB40_62
; %bb.63:
	s_or_b32 exec_lo, exec_lo, s24
.LBB40_64:
	s_delay_alu instid0(SALU_CYCLE_1) | instskip(SKIP_4) | instid1(VALU_DEP_1)
	s_or_b32 exec_lo, exec_lo, s23
	v_mov_b32_e32 v88, 0
	ds_load_b64 v[88:89], v88 offset:272
	s_wait_dscnt 0x0
	v_pk_mul_f32 v[90:91], v[86:87], v[88:89] op_sel:[1,1] op_sel_hi:[0,1]
	v_pk_fma_f32 v[92:93], v[86:87], v[88:89], v[90:91] op_sel_hi:[1,0,1]
	v_pk_fma_f32 v[86:87], v[86:87], v[88:89], v[90:91] neg_lo:[0,0,1] neg_hi:[0,0,1]
	s_delay_alu instid0(VALU_DEP_2)
	v_mov_b32_e32 v87, v93
	scratch_store_b64 off, v[86:87], off offset:272
.LBB40_65:
	s_wait_xcnt 0x0
	s_or_b32 exec_lo, exec_lo, s2
	scratch_load_b64 v[86:87], off, off offset:264
	v_cmp_lt_u32_e64 s1, 33, v0
	s_wait_loadcnt 0x0
	ds_store_b64 v1, v[86:87]
	s_wait_storecnt_dscnt 0x0
	s_barrier_signal -1
	s_barrier_wait -1
	s_wait_xcnt 0x0
	s_and_saveexec_b32 s2, s1
	s_cbranch_execz .LBB40_75
; %bb.66:
	s_and_not1_b32 vcc_lo, exec_lo, s3
	s_cbranch_vccnz .LBB40_68
; %bb.67:
	scratch_load_b64 v[86:87], v39, off
	ds_load_b64 v[88:89], v1
	s_wait_loadcnt_dscnt 0x0
	v_pk_mul_f32 v[90:91], v[88:89], v[86:87] op_sel:[1,1] op_sel_hi:[0,1]
	s_delay_alu instid0(VALU_DEP_1) | instskip(SKIP_1) | instid1(VALU_DEP_2)
	v_pk_fma_f32 v[92:93], v[88:89], v[86:87], v[90:91] op_sel_hi:[1,0,1]
	v_pk_fma_f32 v[86:87], v[88:89], v[86:87], v[90:91] neg_lo:[0,0,1] neg_hi:[0,0,1]
	v_mov_b32_e32 v87, v93
	s_cbranch_execz .LBB40_69
	s_branch .LBB40_70
.LBB40_68:
                                        ; implicit-def: $vgpr86_vgpr87
.LBB40_69:
	ds_load_b64 v[86:87], v1
.LBB40_70:
	s_and_saveexec_b32 s23, s0
	s_cbranch_execz .LBB40_74
; %bb.71:
	v_subrev_nc_u32_e32 v88, 34, v0
	s_movk_i32 s24, 0x260
	s_mov_b32 s0, 0
.LBB40_72:                              ; =>This Inner Loop Header: Depth=1
	scratch_load_b64 v[90:91], off, s22
	v_dual_mov_b32 v89, s24 :: v_dual_add_nc_u32 v88, -1, v88
	s_add_co_i32 s24, s24, 8
	s_wait_xcnt 0x0
	s_add_co_i32 s22, s22, 8
	ds_load_b64 v[92:93], v89
	v_cmp_eq_u32_e32 vcc_lo, 0, v88
	s_or_b32 s0, vcc_lo, s0
	s_wait_loadcnt_dscnt 0x0
	v_pk_mul_f32 v[94:95], v[92:93], v[90:91] op_sel:[1,1] op_sel_hi:[0,1]
	s_delay_alu instid0(VALU_DEP_1) | instskip(SKIP_1) | instid1(VALU_DEP_2)
	v_pk_fma_f32 v[96:97], v[92:93], v[90:91], v[94:95] op_sel_hi:[1,0,1]
	v_pk_fma_f32 v[90:91], v[92:93], v[90:91], v[94:95] neg_lo:[0,0,1] neg_hi:[0,0,1]
	v_mov_b32_e32 v91, v97
	s_delay_alu instid0(VALU_DEP_1)
	v_pk_add_f32 v[86:87], v[86:87], v[90:91]
	s_and_not1_b32 exec_lo, exec_lo, s0
	s_cbranch_execnz .LBB40_72
; %bb.73:
	s_or_b32 exec_lo, exec_lo, s0
.LBB40_74:
	s_delay_alu instid0(SALU_CYCLE_1) | instskip(SKIP_4) | instid1(VALU_DEP_1)
	s_or_b32 exec_lo, exec_lo, s23
	v_mov_b32_e32 v88, 0
	ds_load_b64 v[88:89], v88 offset:264
	s_wait_dscnt 0x0
	v_pk_mul_f32 v[90:91], v[86:87], v[88:89] op_sel:[1,1] op_sel_hi:[0,1]
	v_pk_fma_f32 v[92:93], v[86:87], v[88:89], v[90:91] op_sel_hi:[1,0,1]
	v_pk_fma_f32 v[86:87], v[86:87], v[88:89], v[90:91] neg_lo:[0,0,1] neg_hi:[0,0,1]
	s_delay_alu instid0(VALU_DEP_2)
	v_mov_b32_e32 v87, v93
	scratch_store_b64 off, v[86:87], off offset:264
.LBB40_75:
	s_wait_xcnt 0x0
	s_or_b32 exec_lo, exec_lo, s2
	scratch_load_b64 v[86:87], off, off offset:256
	v_cmp_lt_u32_e64 s0, 32, v0
	s_wait_loadcnt 0x0
	ds_store_b64 v1, v[86:87]
	s_wait_storecnt_dscnt 0x0
	s_barrier_signal -1
	s_barrier_wait -1
	s_wait_xcnt 0x0
	s_and_saveexec_b32 s2, s0
	s_cbranch_execz .LBB40_85
; %bb.76:
	s_and_not1_b32 vcc_lo, exec_lo, s3
	s_cbranch_vccnz .LBB40_78
; %bb.77:
	scratch_load_b64 v[86:87], v39, off
	ds_load_b64 v[88:89], v1
	s_wait_loadcnt_dscnt 0x0
	v_pk_mul_f32 v[90:91], v[88:89], v[86:87] op_sel:[1,1] op_sel_hi:[0,1]
	s_delay_alu instid0(VALU_DEP_1) | instskip(SKIP_1) | instid1(VALU_DEP_2)
	v_pk_fma_f32 v[92:93], v[88:89], v[86:87], v[90:91] op_sel_hi:[1,0,1]
	v_pk_fma_f32 v[86:87], v[88:89], v[86:87], v[90:91] neg_lo:[0,0,1] neg_hi:[0,0,1]
	v_mov_b32_e32 v87, v93
	s_cbranch_execz .LBB40_79
	s_branch .LBB40_80
.LBB40_78:
                                        ; implicit-def: $vgpr86_vgpr87
.LBB40_79:
	ds_load_b64 v[86:87], v1
.LBB40_80:
	s_and_saveexec_b32 s22, s1
	s_cbranch_execz .LBB40_84
; %bb.81:
	v_subrev_nc_u32_e32 v88, 33, v0
	s_movk_i32 s1, 0x108
	s_movk_i32 s24, 0x258
	s_mov_b32 s23, 0
.LBB40_82:                              ; =>This Inner Loop Header: Depth=1
	scratch_load_b64 v[90:91], off, s1
	v_dual_mov_b32 v89, s24 :: v_dual_add_nc_u32 v88, -1, v88
	s_add_co_i32 s24, s24, 8
	s_wait_xcnt 0x0
	s_add_co_i32 s1, s1, 8
	ds_load_b64 v[92:93], v89
	v_cmp_eq_u32_e32 vcc_lo, 0, v88
	s_or_b32 s23, vcc_lo, s23
	s_wait_loadcnt_dscnt 0x0
	v_pk_mul_f32 v[94:95], v[92:93], v[90:91] op_sel:[1,1] op_sel_hi:[0,1]
	s_delay_alu instid0(VALU_DEP_1) | instskip(SKIP_1) | instid1(VALU_DEP_2)
	v_pk_fma_f32 v[96:97], v[92:93], v[90:91], v[94:95] op_sel_hi:[1,0,1]
	v_pk_fma_f32 v[90:91], v[92:93], v[90:91], v[94:95] neg_lo:[0,0,1] neg_hi:[0,0,1]
	v_mov_b32_e32 v91, v97
	s_delay_alu instid0(VALU_DEP_1)
	v_pk_add_f32 v[86:87], v[86:87], v[90:91]
	s_and_not1_b32 exec_lo, exec_lo, s23
	s_cbranch_execnz .LBB40_82
; %bb.83:
	s_or_b32 exec_lo, exec_lo, s23
.LBB40_84:
	s_delay_alu instid0(SALU_CYCLE_1) | instskip(SKIP_4) | instid1(VALU_DEP_1)
	s_or_b32 exec_lo, exec_lo, s22
	v_mov_b32_e32 v88, 0
	ds_load_b64 v[88:89], v88 offset:256
	s_wait_dscnt 0x0
	v_pk_mul_f32 v[90:91], v[86:87], v[88:89] op_sel:[1,1] op_sel_hi:[0,1]
	v_pk_fma_f32 v[92:93], v[86:87], v[88:89], v[90:91] op_sel_hi:[1,0,1]
	v_pk_fma_f32 v[86:87], v[86:87], v[88:89], v[90:91] neg_lo:[0,0,1] neg_hi:[0,0,1]
	s_delay_alu instid0(VALU_DEP_2)
	v_mov_b32_e32 v87, v93
	scratch_store_b64 off, v[86:87], off offset:256
.LBB40_85:
	s_wait_xcnt 0x0
	s_or_b32 exec_lo, exec_lo, s2
	scratch_load_b64 v[86:87], off, off offset:248
	v_cmp_lt_u32_e64 s1, 31, v0
	s_wait_loadcnt 0x0
	ds_store_b64 v1, v[86:87]
	s_wait_storecnt_dscnt 0x0
	s_barrier_signal -1
	s_barrier_wait -1
	s_wait_xcnt 0x0
	s_and_saveexec_b32 s2, s1
	s_cbranch_execz .LBB40_95
; %bb.86:
	s_and_not1_b32 vcc_lo, exec_lo, s3
	s_cbranch_vccnz .LBB40_88
; %bb.87:
	scratch_load_b64 v[86:87], v39, off
	ds_load_b64 v[88:89], v1
	s_wait_loadcnt_dscnt 0x0
	v_pk_mul_f32 v[90:91], v[88:89], v[86:87] op_sel:[1,1] op_sel_hi:[0,1]
	s_delay_alu instid0(VALU_DEP_1) | instskip(SKIP_1) | instid1(VALU_DEP_2)
	v_pk_fma_f32 v[92:93], v[88:89], v[86:87], v[90:91] op_sel_hi:[1,0,1]
	v_pk_fma_f32 v[86:87], v[88:89], v[86:87], v[90:91] neg_lo:[0,0,1] neg_hi:[0,0,1]
	v_mov_b32_e32 v87, v93
	s_cbranch_execz .LBB40_89
	s_branch .LBB40_90
.LBB40_88:
                                        ; implicit-def: $vgpr86_vgpr87
.LBB40_89:
	ds_load_b64 v[86:87], v1
.LBB40_90:
	s_and_saveexec_b32 s22, s0
	s_cbranch_execz .LBB40_94
; %bb.91:
	v_subrev_nc_u32_e32 v88, 32, v0
	s_movk_i32 s23, 0x250
	s_mov_b32 s0, 0
.LBB40_92:                              ; =>This Inner Loop Header: Depth=1
	scratch_load_b64 v[90:91], off, s21
	v_dual_mov_b32 v89, s23 :: v_dual_add_nc_u32 v88, -1, v88
	s_add_co_i32 s23, s23, 8
	s_wait_xcnt 0x0
	s_add_co_i32 s21, s21, 8
	ds_load_b64 v[92:93], v89
	v_cmp_eq_u32_e32 vcc_lo, 0, v88
	s_or_b32 s0, vcc_lo, s0
	s_wait_loadcnt_dscnt 0x0
	v_pk_mul_f32 v[94:95], v[92:93], v[90:91] op_sel:[1,1] op_sel_hi:[0,1]
	s_delay_alu instid0(VALU_DEP_1) | instskip(SKIP_1) | instid1(VALU_DEP_2)
	v_pk_fma_f32 v[96:97], v[92:93], v[90:91], v[94:95] op_sel_hi:[1,0,1]
	v_pk_fma_f32 v[90:91], v[92:93], v[90:91], v[94:95] neg_lo:[0,0,1] neg_hi:[0,0,1]
	v_mov_b32_e32 v91, v97
	s_delay_alu instid0(VALU_DEP_1)
	v_pk_add_f32 v[86:87], v[86:87], v[90:91]
	s_and_not1_b32 exec_lo, exec_lo, s0
	s_cbranch_execnz .LBB40_92
; %bb.93:
	s_or_b32 exec_lo, exec_lo, s0
.LBB40_94:
	s_delay_alu instid0(SALU_CYCLE_1) | instskip(SKIP_4) | instid1(VALU_DEP_1)
	s_or_b32 exec_lo, exec_lo, s22
	v_mov_b32_e32 v88, 0
	ds_load_b64 v[88:89], v88 offset:248
	s_wait_dscnt 0x0
	v_pk_mul_f32 v[90:91], v[86:87], v[88:89] op_sel:[1,1] op_sel_hi:[0,1]
	v_pk_fma_f32 v[92:93], v[86:87], v[88:89], v[90:91] op_sel_hi:[1,0,1]
	v_pk_fma_f32 v[86:87], v[86:87], v[88:89], v[90:91] neg_lo:[0,0,1] neg_hi:[0,0,1]
	s_delay_alu instid0(VALU_DEP_2)
	v_mov_b32_e32 v87, v93
	scratch_store_b64 off, v[86:87], off offset:248
.LBB40_95:
	s_wait_xcnt 0x0
	s_or_b32 exec_lo, exec_lo, s2
	scratch_load_b64 v[86:87], off, off offset:240
	v_cmp_lt_u32_e64 s0, 30, v0
	s_wait_loadcnt 0x0
	ds_store_b64 v1, v[86:87]
	s_wait_storecnt_dscnt 0x0
	s_barrier_signal -1
	s_barrier_wait -1
	s_wait_xcnt 0x0
	s_and_saveexec_b32 s2, s0
	s_cbranch_execz .LBB40_105
; %bb.96:
	s_and_not1_b32 vcc_lo, exec_lo, s3
	s_cbranch_vccnz .LBB40_98
; %bb.97:
	scratch_load_b64 v[86:87], v39, off
	ds_load_b64 v[88:89], v1
	s_wait_loadcnt_dscnt 0x0
	v_pk_mul_f32 v[90:91], v[88:89], v[86:87] op_sel:[1,1] op_sel_hi:[0,1]
	s_delay_alu instid0(VALU_DEP_1) | instskip(SKIP_1) | instid1(VALU_DEP_2)
	v_pk_fma_f32 v[92:93], v[88:89], v[86:87], v[90:91] op_sel_hi:[1,0,1]
	v_pk_fma_f32 v[86:87], v[88:89], v[86:87], v[90:91] neg_lo:[0,0,1] neg_hi:[0,0,1]
	v_mov_b32_e32 v87, v93
	s_cbranch_execz .LBB40_99
	s_branch .LBB40_100
.LBB40_98:
                                        ; implicit-def: $vgpr86_vgpr87
.LBB40_99:
	ds_load_b64 v[86:87], v1
.LBB40_100:
	s_and_saveexec_b32 s21, s1
	s_cbranch_execz .LBB40_104
; %bb.101:
	v_subrev_nc_u32_e32 v88, 31, v0
	s_movk_i32 s1, 0xf8
	s_movk_i32 s23, 0x248
	s_mov_b32 s22, 0
.LBB40_102:                             ; =>This Inner Loop Header: Depth=1
	scratch_load_b64 v[90:91], off, s1
	v_dual_mov_b32 v89, s23 :: v_dual_add_nc_u32 v88, -1, v88
	s_add_co_i32 s23, s23, 8
	s_wait_xcnt 0x0
	s_add_co_i32 s1, s1, 8
	ds_load_b64 v[92:93], v89
	v_cmp_eq_u32_e32 vcc_lo, 0, v88
	s_or_b32 s22, vcc_lo, s22
	s_wait_loadcnt_dscnt 0x0
	v_pk_mul_f32 v[94:95], v[92:93], v[90:91] op_sel:[1,1] op_sel_hi:[0,1]
	s_delay_alu instid0(VALU_DEP_1) | instskip(SKIP_1) | instid1(VALU_DEP_2)
	v_pk_fma_f32 v[96:97], v[92:93], v[90:91], v[94:95] op_sel_hi:[1,0,1]
	v_pk_fma_f32 v[90:91], v[92:93], v[90:91], v[94:95] neg_lo:[0,0,1] neg_hi:[0,0,1]
	v_mov_b32_e32 v91, v97
	s_delay_alu instid0(VALU_DEP_1)
	v_pk_add_f32 v[86:87], v[86:87], v[90:91]
	s_and_not1_b32 exec_lo, exec_lo, s22
	s_cbranch_execnz .LBB40_102
; %bb.103:
	s_or_b32 exec_lo, exec_lo, s22
.LBB40_104:
	s_delay_alu instid0(SALU_CYCLE_1) | instskip(SKIP_4) | instid1(VALU_DEP_1)
	s_or_b32 exec_lo, exec_lo, s21
	v_mov_b32_e32 v88, 0
	ds_load_b64 v[88:89], v88 offset:240
	s_wait_dscnt 0x0
	v_pk_mul_f32 v[90:91], v[86:87], v[88:89] op_sel:[1,1] op_sel_hi:[0,1]
	v_pk_fma_f32 v[92:93], v[86:87], v[88:89], v[90:91] op_sel_hi:[1,0,1]
	v_pk_fma_f32 v[86:87], v[86:87], v[88:89], v[90:91] neg_lo:[0,0,1] neg_hi:[0,0,1]
	s_delay_alu instid0(VALU_DEP_2)
	v_mov_b32_e32 v87, v93
	scratch_store_b64 off, v[86:87], off offset:240
.LBB40_105:
	s_wait_xcnt 0x0
	s_or_b32 exec_lo, exec_lo, s2
	scratch_load_b64 v[86:87], off, off offset:232
	v_cmp_lt_u32_e64 s1, 29, v0
	s_wait_loadcnt 0x0
	ds_store_b64 v1, v[86:87]
	s_wait_storecnt_dscnt 0x0
	s_barrier_signal -1
	s_barrier_wait -1
	s_wait_xcnt 0x0
	s_and_saveexec_b32 s2, s1
	s_cbranch_execz .LBB40_115
; %bb.106:
	s_and_not1_b32 vcc_lo, exec_lo, s3
	s_cbranch_vccnz .LBB40_108
; %bb.107:
	scratch_load_b64 v[86:87], v39, off
	ds_load_b64 v[88:89], v1
	s_wait_loadcnt_dscnt 0x0
	v_pk_mul_f32 v[90:91], v[88:89], v[86:87] op_sel:[1,1] op_sel_hi:[0,1]
	s_delay_alu instid0(VALU_DEP_1) | instskip(SKIP_1) | instid1(VALU_DEP_2)
	v_pk_fma_f32 v[92:93], v[88:89], v[86:87], v[90:91] op_sel_hi:[1,0,1]
	v_pk_fma_f32 v[86:87], v[88:89], v[86:87], v[90:91] neg_lo:[0,0,1] neg_hi:[0,0,1]
	v_mov_b32_e32 v87, v93
	s_cbranch_execz .LBB40_109
	s_branch .LBB40_110
.LBB40_108:
                                        ; implicit-def: $vgpr86_vgpr87
.LBB40_109:
	ds_load_b64 v[86:87], v1
.LBB40_110:
	s_and_saveexec_b32 s21, s0
	s_cbranch_execz .LBB40_114
; %bb.111:
	v_subrev_nc_u32_e32 v88, 30, v0
	s_movk_i32 s22, 0x240
	s_mov_b32 s0, 0
.LBB40_112:                             ; =>This Inner Loop Header: Depth=1
	scratch_load_b64 v[90:91], off, s20
	v_dual_mov_b32 v89, s22 :: v_dual_add_nc_u32 v88, -1, v88
	s_add_co_i32 s22, s22, 8
	s_wait_xcnt 0x0
	s_add_co_i32 s20, s20, 8
	ds_load_b64 v[92:93], v89
	v_cmp_eq_u32_e32 vcc_lo, 0, v88
	s_or_b32 s0, vcc_lo, s0
	s_wait_loadcnt_dscnt 0x0
	v_pk_mul_f32 v[94:95], v[92:93], v[90:91] op_sel:[1,1] op_sel_hi:[0,1]
	s_delay_alu instid0(VALU_DEP_1) | instskip(SKIP_1) | instid1(VALU_DEP_2)
	v_pk_fma_f32 v[96:97], v[92:93], v[90:91], v[94:95] op_sel_hi:[1,0,1]
	v_pk_fma_f32 v[90:91], v[92:93], v[90:91], v[94:95] neg_lo:[0,0,1] neg_hi:[0,0,1]
	v_mov_b32_e32 v91, v97
	s_delay_alu instid0(VALU_DEP_1)
	v_pk_add_f32 v[86:87], v[86:87], v[90:91]
	s_and_not1_b32 exec_lo, exec_lo, s0
	s_cbranch_execnz .LBB40_112
; %bb.113:
	s_or_b32 exec_lo, exec_lo, s0
.LBB40_114:
	s_delay_alu instid0(SALU_CYCLE_1) | instskip(SKIP_4) | instid1(VALU_DEP_1)
	s_or_b32 exec_lo, exec_lo, s21
	v_mov_b32_e32 v88, 0
	ds_load_b64 v[88:89], v88 offset:232
	s_wait_dscnt 0x0
	v_pk_mul_f32 v[90:91], v[86:87], v[88:89] op_sel:[1,1] op_sel_hi:[0,1]
	v_pk_fma_f32 v[92:93], v[86:87], v[88:89], v[90:91] op_sel_hi:[1,0,1]
	v_pk_fma_f32 v[86:87], v[86:87], v[88:89], v[90:91] neg_lo:[0,0,1] neg_hi:[0,0,1]
	s_delay_alu instid0(VALU_DEP_2)
	v_mov_b32_e32 v87, v93
	scratch_store_b64 off, v[86:87], off offset:232
.LBB40_115:
	s_wait_xcnt 0x0
	s_or_b32 exec_lo, exec_lo, s2
	scratch_load_b64 v[86:87], off, off offset:224
	v_cmp_lt_u32_e64 s0, 28, v0
	s_wait_loadcnt 0x0
	ds_store_b64 v1, v[86:87]
	s_wait_storecnt_dscnt 0x0
	s_barrier_signal -1
	s_barrier_wait -1
	s_wait_xcnt 0x0
	s_and_saveexec_b32 s2, s0
	s_cbranch_execz .LBB40_125
; %bb.116:
	s_and_not1_b32 vcc_lo, exec_lo, s3
	s_cbranch_vccnz .LBB40_118
; %bb.117:
	scratch_load_b64 v[86:87], v39, off
	ds_load_b64 v[88:89], v1
	s_wait_loadcnt_dscnt 0x0
	v_pk_mul_f32 v[90:91], v[88:89], v[86:87] op_sel:[1,1] op_sel_hi:[0,1]
	s_delay_alu instid0(VALU_DEP_1) | instskip(SKIP_1) | instid1(VALU_DEP_2)
	v_pk_fma_f32 v[92:93], v[88:89], v[86:87], v[90:91] op_sel_hi:[1,0,1]
	v_pk_fma_f32 v[86:87], v[88:89], v[86:87], v[90:91] neg_lo:[0,0,1] neg_hi:[0,0,1]
	v_mov_b32_e32 v87, v93
	s_cbranch_execz .LBB40_119
	s_branch .LBB40_120
.LBB40_118:
                                        ; implicit-def: $vgpr86_vgpr87
.LBB40_119:
	ds_load_b64 v[86:87], v1
.LBB40_120:
	s_and_saveexec_b32 s20, s1
	s_cbranch_execz .LBB40_124
; %bb.121:
	v_subrev_nc_u32_e32 v88, 29, v0
	s_movk_i32 s1, 0xe8
	s_movk_i32 s22, 0x238
	s_mov_b32 s21, 0
.LBB40_122:                             ; =>This Inner Loop Header: Depth=1
	scratch_load_b64 v[90:91], off, s1
	v_dual_mov_b32 v89, s22 :: v_dual_add_nc_u32 v88, -1, v88
	s_add_co_i32 s22, s22, 8
	s_wait_xcnt 0x0
	s_add_co_i32 s1, s1, 8
	ds_load_b64 v[92:93], v89
	v_cmp_eq_u32_e32 vcc_lo, 0, v88
	s_or_b32 s21, vcc_lo, s21
	s_wait_loadcnt_dscnt 0x0
	v_pk_mul_f32 v[94:95], v[92:93], v[90:91] op_sel:[1,1] op_sel_hi:[0,1]
	s_delay_alu instid0(VALU_DEP_1) | instskip(SKIP_1) | instid1(VALU_DEP_2)
	v_pk_fma_f32 v[96:97], v[92:93], v[90:91], v[94:95] op_sel_hi:[1,0,1]
	v_pk_fma_f32 v[90:91], v[92:93], v[90:91], v[94:95] neg_lo:[0,0,1] neg_hi:[0,0,1]
	v_mov_b32_e32 v91, v97
	s_delay_alu instid0(VALU_DEP_1)
	v_pk_add_f32 v[86:87], v[86:87], v[90:91]
	s_and_not1_b32 exec_lo, exec_lo, s21
	s_cbranch_execnz .LBB40_122
; %bb.123:
	s_or_b32 exec_lo, exec_lo, s21
.LBB40_124:
	s_delay_alu instid0(SALU_CYCLE_1) | instskip(SKIP_4) | instid1(VALU_DEP_1)
	s_or_b32 exec_lo, exec_lo, s20
	v_mov_b32_e32 v88, 0
	ds_load_b64 v[88:89], v88 offset:224
	s_wait_dscnt 0x0
	v_pk_mul_f32 v[90:91], v[86:87], v[88:89] op_sel:[1,1] op_sel_hi:[0,1]
	v_pk_fma_f32 v[92:93], v[86:87], v[88:89], v[90:91] op_sel_hi:[1,0,1]
	v_pk_fma_f32 v[86:87], v[86:87], v[88:89], v[90:91] neg_lo:[0,0,1] neg_hi:[0,0,1]
	s_delay_alu instid0(VALU_DEP_2)
	v_mov_b32_e32 v87, v93
	scratch_store_b64 off, v[86:87], off offset:224
.LBB40_125:
	s_wait_xcnt 0x0
	s_or_b32 exec_lo, exec_lo, s2
	scratch_load_b64 v[86:87], off, off offset:216
	v_cmp_lt_u32_e64 s1, 27, v0
	s_wait_loadcnt 0x0
	ds_store_b64 v1, v[86:87]
	s_wait_storecnt_dscnt 0x0
	s_barrier_signal -1
	s_barrier_wait -1
	s_wait_xcnt 0x0
	s_and_saveexec_b32 s2, s1
	s_cbranch_execz .LBB40_135
; %bb.126:
	s_and_not1_b32 vcc_lo, exec_lo, s3
	s_cbranch_vccnz .LBB40_128
; %bb.127:
	scratch_load_b64 v[86:87], v39, off
	ds_load_b64 v[88:89], v1
	s_wait_loadcnt_dscnt 0x0
	v_pk_mul_f32 v[90:91], v[88:89], v[86:87] op_sel:[1,1] op_sel_hi:[0,1]
	s_delay_alu instid0(VALU_DEP_1) | instskip(SKIP_1) | instid1(VALU_DEP_2)
	v_pk_fma_f32 v[92:93], v[88:89], v[86:87], v[90:91] op_sel_hi:[1,0,1]
	v_pk_fma_f32 v[86:87], v[88:89], v[86:87], v[90:91] neg_lo:[0,0,1] neg_hi:[0,0,1]
	v_mov_b32_e32 v87, v93
	s_cbranch_execz .LBB40_129
	s_branch .LBB40_130
.LBB40_128:
                                        ; implicit-def: $vgpr86_vgpr87
.LBB40_129:
	ds_load_b64 v[86:87], v1
.LBB40_130:
	s_and_saveexec_b32 s20, s0
	s_cbranch_execz .LBB40_134
; %bb.131:
	v_subrev_nc_u32_e32 v88, 28, v0
	s_movk_i32 s21, 0x230
	s_mov_b32 s0, 0
.LBB40_132:                             ; =>This Inner Loop Header: Depth=1
	scratch_load_b64 v[90:91], off, s19
	v_dual_mov_b32 v89, s21 :: v_dual_add_nc_u32 v88, -1, v88
	s_add_co_i32 s21, s21, 8
	s_wait_xcnt 0x0
	s_add_co_i32 s19, s19, 8
	ds_load_b64 v[92:93], v89
	v_cmp_eq_u32_e32 vcc_lo, 0, v88
	s_or_b32 s0, vcc_lo, s0
	s_wait_loadcnt_dscnt 0x0
	v_pk_mul_f32 v[94:95], v[92:93], v[90:91] op_sel:[1,1] op_sel_hi:[0,1]
	s_delay_alu instid0(VALU_DEP_1) | instskip(SKIP_1) | instid1(VALU_DEP_2)
	v_pk_fma_f32 v[96:97], v[92:93], v[90:91], v[94:95] op_sel_hi:[1,0,1]
	v_pk_fma_f32 v[90:91], v[92:93], v[90:91], v[94:95] neg_lo:[0,0,1] neg_hi:[0,0,1]
	v_mov_b32_e32 v91, v97
	s_delay_alu instid0(VALU_DEP_1)
	v_pk_add_f32 v[86:87], v[86:87], v[90:91]
	s_and_not1_b32 exec_lo, exec_lo, s0
	s_cbranch_execnz .LBB40_132
; %bb.133:
	s_or_b32 exec_lo, exec_lo, s0
.LBB40_134:
	s_delay_alu instid0(SALU_CYCLE_1) | instskip(SKIP_4) | instid1(VALU_DEP_1)
	s_or_b32 exec_lo, exec_lo, s20
	v_mov_b32_e32 v88, 0
	ds_load_b64 v[88:89], v88 offset:216
	s_wait_dscnt 0x0
	v_pk_mul_f32 v[90:91], v[86:87], v[88:89] op_sel:[1,1] op_sel_hi:[0,1]
	v_pk_fma_f32 v[92:93], v[86:87], v[88:89], v[90:91] op_sel_hi:[1,0,1]
	v_pk_fma_f32 v[86:87], v[86:87], v[88:89], v[90:91] neg_lo:[0,0,1] neg_hi:[0,0,1]
	s_delay_alu instid0(VALU_DEP_2)
	v_mov_b32_e32 v87, v93
	scratch_store_b64 off, v[86:87], off offset:216
.LBB40_135:
	s_wait_xcnt 0x0
	s_or_b32 exec_lo, exec_lo, s2
	scratch_load_b64 v[86:87], off, off offset:208
	v_cmp_lt_u32_e64 s0, 26, v0
	s_wait_loadcnt 0x0
	ds_store_b64 v1, v[86:87]
	s_wait_storecnt_dscnt 0x0
	s_barrier_signal -1
	s_barrier_wait -1
	s_wait_xcnt 0x0
	s_and_saveexec_b32 s2, s0
	s_cbranch_execz .LBB40_145
; %bb.136:
	s_and_not1_b32 vcc_lo, exec_lo, s3
	s_cbranch_vccnz .LBB40_138
; %bb.137:
	scratch_load_b64 v[86:87], v39, off
	ds_load_b64 v[88:89], v1
	s_wait_loadcnt_dscnt 0x0
	v_pk_mul_f32 v[90:91], v[88:89], v[86:87] op_sel:[1,1] op_sel_hi:[0,1]
	s_delay_alu instid0(VALU_DEP_1) | instskip(SKIP_1) | instid1(VALU_DEP_2)
	v_pk_fma_f32 v[92:93], v[88:89], v[86:87], v[90:91] op_sel_hi:[1,0,1]
	v_pk_fma_f32 v[86:87], v[88:89], v[86:87], v[90:91] neg_lo:[0,0,1] neg_hi:[0,0,1]
	v_mov_b32_e32 v87, v93
	s_cbranch_execz .LBB40_139
	s_branch .LBB40_140
.LBB40_138:
                                        ; implicit-def: $vgpr86_vgpr87
.LBB40_139:
	ds_load_b64 v[86:87], v1
.LBB40_140:
	s_and_saveexec_b32 s19, s1
	s_cbranch_execz .LBB40_144
; %bb.141:
	v_subrev_nc_u32_e32 v88, 27, v0
	s_movk_i32 s1, 0xd8
	s_movk_i32 s21, 0x228
	s_mov_b32 s20, 0
.LBB40_142:                             ; =>This Inner Loop Header: Depth=1
	scratch_load_b64 v[90:91], off, s1
	v_dual_mov_b32 v89, s21 :: v_dual_add_nc_u32 v88, -1, v88
	s_add_co_i32 s21, s21, 8
	s_wait_xcnt 0x0
	s_add_co_i32 s1, s1, 8
	ds_load_b64 v[92:93], v89
	v_cmp_eq_u32_e32 vcc_lo, 0, v88
	s_or_b32 s20, vcc_lo, s20
	s_wait_loadcnt_dscnt 0x0
	v_pk_mul_f32 v[94:95], v[92:93], v[90:91] op_sel:[1,1] op_sel_hi:[0,1]
	s_delay_alu instid0(VALU_DEP_1) | instskip(SKIP_1) | instid1(VALU_DEP_2)
	v_pk_fma_f32 v[96:97], v[92:93], v[90:91], v[94:95] op_sel_hi:[1,0,1]
	v_pk_fma_f32 v[90:91], v[92:93], v[90:91], v[94:95] neg_lo:[0,0,1] neg_hi:[0,0,1]
	v_mov_b32_e32 v91, v97
	s_delay_alu instid0(VALU_DEP_1)
	v_pk_add_f32 v[86:87], v[86:87], v[90:91]
	s_and_not1_b32 exec_lo, exec_lo, s20
	s_cbranch_execnz .LBB40_142
; %bb.143:
	s_or_b32 exec_lo, exec_lo, s20
.LBB40_144:
	s_delay_alu instid0(SALU_CYCLE_1) | instskip(SKIP_4) | instid1(VALU_DEP_1)
	s_or_b32 exec_lo, exec_lo, s19
	v_mov_b32_e32 v88, 0
	ds_load_b64 v[88:89], v88 offset:208
	s_wait_dscnt 0x0
	v_pk_mul_f32 v[90:91], v[86:87], v[88:89] op_sel:[1,1] op_sel_hi:[0,1]
	v_pk_fma_f32 v[92:93], v[86:87], v[88:89], v[90:91] op_sel_hi:[1,0,1]
	v_pk_fma_f32 v[86:87], v[86:87], v[88:89], v[90:91] neg_lo:[0,0,1] neg_hi:[0,0,1]
	s_delay_alu instid0(VALU_DEP_2)
	v_mov_b32_e32 v87, v93
	scratch_store_b64 off, v[86:87], off offset:208
.LBB40_145:
	s_wait_xcnt 0x0
	s_or_b32 exec_lo, exec_lo, s2
	scratch_load_b64 v[86:87], off, off offset:200
	v_cmp_lt_u32_e64 s1, 25, v0
	s_wait_loadcnt 0x0
	ds_store_b64 v1, v[86:87]
	s_wait_storecnt_dscnt 0x0
	s_barrier_signal -1
	s_barrier_wait -1
	s_wait_xcnt 0x0
	s_and_saveexec_b32 s2, s1
	s_cbranch_execz .LBB40_155
; %bb.146:
	s_and_not1_b32 vcc_lo, exec_lo, s3
	s_cbranch_vccnz .LBB40_148
; %bb.147:
	scratch_load_b64 v[86:87], v39, off
	ds_load_b64 v[88:89], v1
	s_wait_loadcnt_dscnt 0x0
	v_pk_mul_f32 v[90:91], v[88:89], v[86:87] op_sel:[1,1] op_sel_hi:[0,1]
	s_delay_alu instid0(VALU_DEP_1) | instskip(SKIP_1) | instid1(VALU_DEP_2)
	v_pk_fma_f32 v[92:93], v[88:89], v[86:87], v[90:91] op_sel_hi:[1,0,1]
	v_pk_fma_f32 v[86:87], v[88:89], v[86:87], v[90:91] neg_lo:[0,0,1] neg_hi:[0,0,1]
	v_mov_b32_e32 v87, v93
	s_cbranch_execz .LBB40_149
	s_branch .LBB40_150
.LBB40_148:
                                        ; implicit-def: $vgpr86_vgpr87
.LBB40_149:
	ds_load_b64 v[86:87], v1
.LBB40_150:
	s_and_saveexec_b32 s19, s0
	s_cbranch_execz .LBB40_154
; %bb.151:
	v_subrev_nc_u32_e32 v88, 26, v0
	s_movk_i32 s20, 0x220
	s_mov_b32 s0, 0
.LBB40_152:                             ; =>This Inner Loop Header: Depth=1
	scratch_load_b64 v[90:91], off, s18
	v_dual_mov_b32 v89, s20 :: v_dual_add_nc_u32 v88, -1, v88
	s_add_co_i32 s20, s20, 8
	s_wait_xcnt 0x0
	s_add_co_i32 s18, s18, 8
	ds_load_b64 v[92:93], v89
	v_cmp_eq_u32_e32 vcc_lo, 0, v88
	s_or_b32 s0, vcc_lo, s0
	s_wait_loadcnt_dscnt 0x0
	v_pk_mul_f32 v[94:95], v[92:93], v[90:91] op_sel:[1,1] op_sel_hi:[0,1]
	s_delay_alu instid0(VALU_DEP_1) | instskip(SKIP_1) | instid1(VALU_DEP_2)
	v_pk_fma_f32 v[96:97], v[92:93], v[90:91], v[94:95] op_sel_hi:[1,0,1]
	v_pk_fma_f32 v[90:91], v[92:93], v[90:91], v[94:95] neg_lo:[0,0,1] neg_hi:[0,0,1]
	v_mov_b32_e32 v91, v97
	s_delay_alu instid0(VALU_DEP_1)
	v_pk_add_f32 v[86:87], v[86:87], v[90:91]
	s_and_not1_b32 exec_lo, exec_lo, s0
	s_cbranch_execnz .LBB40_152
; %bb.153:
	s_or_b32 exec_lo, exec_lo, s0
.LBB40_154:
	s_delay_alu instid0(SALU_CYCLE_1) | instskip(SKIP_4) | instid1(VALU_DEP_1)
	s_or_b32 exec_lo, exec_lo, s19
	v_mov_b32_e32 v88, 0
	ds_load_b64 v[88:89], v88 offset:200
	s_wait_dscnt 0x0
	v_pk_mul_f32 v[90:91], v[86:87], v[88:89] op_sel:[1,1] op_sel_hi:[0,1]
	v_pk_fma_f32 v[92:93], v[86:87], v[88:89], v[90:91] op_sel_hi:[1,0,1]
	v_pk_fma_f32 v[86:87], v[86:87], v[88:89], v[90:91] neg_lo:[0,0,1] neg_hi:[0,0,1]
	s_delay_alu instid0(VALU_DEP_2)
	v_mov_b32_e32 v87, v93
	scratch_store_b64 off, v[86:87], off offset:200
.LBB40_155:
	s_wait_xcnt 0x0
	s_or_b32 exec_lo, exec_lo, s2
	scratch_load_b64 v[86:87], off, off offset:192
	v_cmp_lt_u32_e64 s0, 24, v0
	s_wait_loadcnt 0x0
	ds_store_b64 v1, v[86:87]
	s_wait_storecnt_dscnt 0x0
	s_barrier_signal -1
	s_barrier_wait -1
	s_wait_xcnt 0x0
	s_and_saveexec_b32 s2, s0
	s_cbranch_execz .LBB40_165
; %bb.156:
	s_and_not1_b32 vcc_lo, exec_lo, s3
	s_cbranch_vccnz .LBB40_158
; %bb.157:
	scratch_load_b64 v[86:87], v39, off
	ds_load_b64 v[88:89], v1
	s_wait_loadcnt_dscnt 0x0
	v_pk_mul_f32 v[90:91], v[88:89], v[86:87] op_sel:[1,1] op_sel_hi:[0,1]
	s_delay_alu instid0(VALU_DEP_1) | instskip(SKIP_1) | instid1(VALU_DEP_2)
	v_pk_fma_f32 v[92:93], v[88:89], v[86:87], v[90:91] op_sel_hi:[1,0,1]
	v_pk_fma_f32 v[86:87], v[88:89], v[86:87], v[90:91] neg_lo:[0,0,1] neg_hi:[0,0,1]
	v_mov_b32_e32 v87, v93
	s_cbranch_execz .LBB40_159
	s_branch .LBB40_160
.LBB40_158:
                                        ; implicit-def: $vgpr86_vgpr87
.LBB40_159:
	ds_load_b64 v[86:87], v1
.LBB40_160:
	s_and_saveexec_b32 s18, s1
	s_cbranch_execz .LBB40_164
; %bb.161:
	v_subrev_nc_u32_e32 v88, 25, v0
	s_movk_i32 s1, 0xc8
	s_movk_i32 s20, 0x218
	s_mov_b32 s19, 0
.LBB40_162:                             ; =>This Inner Loop Header: Depth=1
	scratch_load_b64 v[90:91], off, s1
	v_dual_mov_b32 v89, s20 :: v_dual_add_nc_u32 v88, -1, v88
	s_add_co_i32 s20, s20, 8
	s_wait_xcnt 0x0
	s_add_co_i32 s1, s1, 8
	ds_load_b64 v[92:93], v89
	v_cmp_eq_u32_e32 vcc_lo, 0, v88
	s_or_b32 s19, vcc_lo, s19
	s_wait_loadcnt_dscnt 0x0
	v_pk_mul_f32 v[94:95], v[92:93], v[90:91] op_sel:[1,1] op_sel_hi:[0,1]
	s_delay_alu instid0(VALU_DEP_1) | instskip(SKIP_1) | instid1(VALU_DEP_2)
	v_pk_fma_f32 v[96:97], v[92:93], v[90:91], v[94:95] op_sel_hi:[1,0,1]
	v_pk_fma_f32 v[90:91], v[92:93], v[90:91], v[94:95] neg_lo:[0,0,1] neg_hi:[0,0,1]
	v_mov_b32_e32 v91, v97
	s_delay_alu instid0(VALU_DEP_1)
	v_pk_add_f32 v[86:87], v[86:87], v[90:91]
	s_and_not1_b32 exec_lo, exec_lo, s19
	s_cbranch_execnz .LBB40_162
; %bb.163:
	s_or_b32 exec_lo, exec_lo, s19
.LBB40_164:
	s_delay_alu instid0(SALU_CYCLE_1) | instskip(SKIP_4) | instid1(VALU_DEP_1)
	s_or_b32 exec_lo, exec_lo, s18
	v_mov_b32_e32 v88, 0
	ds_load_b64 v[88:89], v88 offset:192
	s_wait_dscnt 0x0
	v_pk_mul_f32 v[90:91], v[86:87], v[88:89] op_sel:[1,1] op_sel_hi:[0,1]
	v_pk_fma_f32 v[92:93], v[86:87], v[88:89], v[90:91] op_sel_hi:[1,0,1]
	v_pk_fma_f32 v[86:87], v[86:87], v[88:89], v[90:91] neg_lo:[0,0,1] neg_hi:[0,0,1]
	s_delay_alu instid0(VALU_DEP_2)
	v_mov_b32_e32 v87, v93
	scratch_store_b64 off, v[86:87], off offset:192
.LBB40_165:
	s_wait_xcnt 0x0
	s_or_b32 exec_lo, exec_lo, s2
	scratch_load_b64 v[86:87], off, off offset:184
	v_cmp_lt_u32_e64 s1, 23, v0
	s_wait_loadcnt 0x0
	ds_store_b64 v1, v[86:87]
	s_wait_storecnt_dscnt 0x0
	s_barrier_signal -1
	s_barrier_wait -1
	s_wait_xcnt 0x0
	s_and_saveexec_b32 s2, s1
	s_cbranch_execz .LBB40_175
; %bb.166:
	s_and_not1_b32 vcc_lo, exec_lo, s3
	s_cbranch_vccnz .LBB40_168
; %bb.167:
	scratch_load_b64 v[86:87], v39, off
	ds_load_b64 v[88:89], v1
	s_wait_loadcnt_dscnt 0x0
	v_pk_mul_f32 v[90:91], v[88:89], v[86:87] op_sel:[1,1] op_sel_hi:[0,1]
	s_delay_alu instid0(VALU_DEP_1) | instskip(SKIP_1) | instid1(VALU_DEP_2)
	v_pk_fma_f32 v[92:93], v[88:89], v[86:87], v[90:91] op_sel_hi:[1,0,1]
	v_pk_fma_f32 v[86:87], v[88:89], v[86:87], v[90:91] neg_lo:[0,0,1] neg_hi:[0,0,1]
	v_mov_b32_e32 v87, v93
	s_cbranch_execz .LBB40_169
	s_branch .LBB40_170
.LBB40_168:
                                        ; implicit-def: $vgpr86_vgpr87
.LBB40_169:
	ds_load_b64 v[86:87], v1
.LBB40_170:
	s_and_saveexec_b32 s18, s0
	s_cbranch_execz .LBB40_174
; %bb.171:
	v_subrev_nc_u32_e32 v88, 24, v0
	s_movk_i32 s19, 0x210
	s_mov_b32 s0, 0
.LBB40_172:                             ; =>This Inner Loop Header: Depth=1
	scratch_load_b64 v[90:91], off, s17
	v_dual_mov_b32 v89, s19 :: v_dual_add_nc_u32 v88, -1, v88
	s_add_co_i32 s19, s19, 8
	s_wait_xcnt 0x0
	s_add_co_i32 s17, s17, 8
	ds_load_b64 v[92:93], v89
	v_cmp_eq_u32_e32 vcc_lo, 0, v88
	s_or_b32 s0, vcc_lo, s0
	s_wait_loadcnt_dscnt 0x0
	v_pk_mul_f32 v[94:95], v[92:93], v[90:91] op_sel:[1,1] op_sel_hi:[0,1]
	s_delay_alu instid0(VALU_DEP_1) | instskip(SKIP_1) | instid1(VALU_DEP_2)
	v_pk_fma_f32 v[96:97], v[92:93], v[90:91], v[94:95] op_sel_hi:[1,0,1]
	v_pk_fma_f32 v[90:91], v[92:93], v[90:91], v[94:95] neg_lo:[0,0,1] neg_hi:[0,0,1]
	v_mov_b32_e32 v91, v97
	s_delay_alu instid0(VALU_DEP_1)
	v_pk_add_f32 v[86:87], v[86:87], v[90:91]
	s_and_not1_b32 exec_lo, exec_lo, s0
	s_cbranch_execnz .LBB40_172
; %bb.173:
	s_or_b32 exec_lo, exec_lo, s0
.LBB40_174:
	s_delay_alu instid0(SALU_CYCLE_1) | instskip(SKIP_4) | instid1(VALU_DEP_1)
	s_or_b32 exec_lo, exec_lo, s18
	v_mov_b32_e32 v88, 0
	ds_load_b64 v[88:89], v88 offset:184
	s_wait_dscnt 0x0
	v_pk_mul_f32 v[90:91], v[86:87], v[88:89] op_sel:[1,1] op_sel_hi:[0,1]
	v_pk_fma_f32 v[92:93], v[86:87], v[88:89], v[90:91] op_sel_hi:[1,0,1]
	v_pk_fma_f32 v[86:87], v[86:87], v[88:89], v[90:91] neg_lo:[0,0,1] neg_hi:[0,0,1]
	s_delay_alu instid0(VALU_DEP_2)
	v_mov_b32_e32 v87, v93
	scratch_store_b64 off, v[86:87], off offset:184
.LBB40_175:
	s_wait_xcnt 0x0
	s_or_b32 exec_lo, exec_lo, s2
	scratch_load_b64 v[86:87], off, off offset:176
	v_cmp_lt_u32_e64 s0, 22, v0
	s_wait_loadcnt 0x0
	ds_store_b64 v1, v[86:87]
	s_wait_storecnt_dscnt 0x0
	s_barrier_signal -1
	s_barrier_wait -1
	s_wait_xcnt 0x0
	s_and_saveexec_b32 s2, s0
	s_cbranch_execz .LBB40_185
; %bb.176:
	s_and_not1_b32 vcc_lo, exec_lo, s3
	s_cbranch_vccnz .LBB40_178
; %bb.177:
	scratch_load_b64 v[86:87], v39, off
	ds_load_b64 v[88:89], v1
	s_wait_loadcnt_dscnt 0x0
	v_pk_mul_f32 v[90:91], v[88:89], v[86:87] op_sel:[1,1] op_sel_hi:[0,1]
	s_delay_alu instid0(VALU_DEP_1) | instskip(SKIP_1) | instid1(VALU_DEP_2)
	v_pk_fma_f32 v[92:93], v[88:89], v[86:87], v[90:91] op_sel_hi:[1,0,1]
	v_pk_fma_f32 v[86:87], v[88:89], v[86:87], v[90:91] neg_lo:[0,0,1] neg_hi:[0,0,1]
	v_mov_b32_e32 v87, v93
	s_cbranch_execz .LBB40_179
	s_branch .LBB40_180
.LBB40_178:
                                        ; implicit-def: $vgpr86_vgpr87
.LBB40_179:
	ds_load_b64 v[86:87], v1
.LBB40_180:
	s_and_saveexec_b32 s17, s1
	s_cbranch_execz .LBB40_184
; %bb.181:
	v_subrev_nc_u32_e32 v88, 23, v0
	s_movk_i32 s1, 0xb8
	s_movk_i32 s19, 0x208
	s_mov_b32 s18, 0
.LBB40_182:                             ; =>This Inner Loop Header: Depth=1
	scratch_load_b64 v[90:91], off, s1
	v_dual_mov_b32 v89, s19 :: v_dual_add_nc_u32 v88, -1, v88
	s_add_co_i32 s19, s19, 8
	s_wait_xcnt 0x0
	s_add_co_i32 s1, s1, 8
	ds_load_b64 v[92:93], v89
	v_cmp_eq_u32_e32 vcc_lo, 0, v88
	s_or_b32 s18, vcc_lo, s18
	s_wait_loadcnt_dscnt 0x0
	v_pk_mul_f32 v[94:95], v[92:93], v[90:91] op_sel:[1,1] op_sel_hi:[0,1]
	s_delay_alu instid0(VALU_DEP_1) | instskip(SKIP_1) | instid1(VALU_DEP_2)
	v_pk_fma_f32 v[96:97], v[92:93], v[90:91], v[94:95] op_sel_hi:[1,0,1]
	v_pk_fma_f32 v[90:91], v[92:93], v[90:91], v[94:95] neg_lo:[0,0,1] neg_hi:[0,0,1]
	v_mov_b32_e32 v91, v97
	s_delay_alu instid0(VALU_DEP_1)
	v_pk_add_f32 v[86:87], v[86:87], v[90:91]
	s_and_not1_b32 exec_lo, exec_lo, s18
	s_cbranch_execnz .LBB40_182
; %bb.183:
	s_or_b32 exec_lo, exec_lo, s18
.LBB40_184:
	s_delay_alu instid0(SALU_CYCLE_1) | instskip(SKIP_4) | instid1(VALU_DEP_1)
	s_or_b32 exec_lo, exec_lo, s17
	v_mov_b32_e32 v88, 0
	ds_load_b64 v[88:89], v88 offset:176
	s_wait_dscnt 0x0
	v_pk_mul_f32 v[90:91], v[86:87], v[88:89] op_sel:[1,1] op_sel_hi:[0,1]
	v_pk_fma_f32 v[92:93], v[86:87], v[88:89], v[90:91] op_sel_hi:[1,0,1]
	v_pk_fma_f32 v[86:87], v[86:87], v[88:89], v[90:91] neg_lo:[0,0,1] neg_hi:[0,0,1]
	s_delay_alu instid0(VALU_DEP_2)
	v_mov_b32_e32 v87, v93
	scratch_store_b64 off, v[86:87], off offset:176
.LBB40_185:
	s_wait_xcnt 0x0
	s_or_b32 exec_lo, exec_lo, s2
	scratch_load_b64 v[86:87], off, off offset:168
	v_cmp_lt_u32_e64 s1, 21, v0
	s_wait_loadcnt 0x0
	ds_store_b64 v1, v[86:87]
	s_wait_storecnt_dscnt 0x0
	s_barrier_signal -1
	s_barrier_wait -1
	s_wait_xcnt 0x0
	s_and_saveexec_b32 s2, s1
	s_cbranch_execz .LBB40_195
; %bb.186:
	s_and_not1_b32 vcc_lo, exec_lo, s3
	s_cbranch_vccnz .LBB40_188
; %bb.187:
	scratch_load_b64 v[86:87], v39, off
	ds_load_b64 v[88:89], v1
	s_wait_loadcnt_dscnt 0x0
	v_pk_mul_f32 v[90:91], v[88:89], v[86:87] op_sel:[1,1] op_sel_hi:[0,1]
	s_delay_alu instid0(VALU_DEP_1) | instskip(SKIP_1) | instid1(VALU_DEP_2)
	v_pk_fma_f32 v[92:93], v[88:89], v[86:87], v[90:91] op_sel_hi:[1,0,1]
	v_pk_fma_f32 v[86:87], v[88:89], v[86:87], v[90:91] neg_lo:[0,0,1] neg_hi:[0,0,1]
	v_mov_b32_e32 v87, v93
	s_cbranch_execz .LBB40_189
	s_branch .LBB40_190
.LBB40_188:
                                        ; implicit-def: $vgpr86_vgpr87
.LBB40_189:
	ds_load_b64 v[86:87], v1
.LBB40_190:
	s_and_saveexec_b32 s17, s0
	s_cbranch_execz .LBB40_194
; %bb.191:
	v_subrev_nc_u32_e32 v88, 22, v0
	s_movk_i32 s18, 0x200
	s_mov_b32 s0, 0
.LBB40_192:                             ; =>This Inner Loop Header: Depth=1
	scratch_load_b64 v[90:91], off, s16
	v_dual_mov_b32 v89, s18 :: v_dual_add_nc_u32 v88, -1, v88
	s_add_co_i32 s18, s18, 8
	s_wait_xcnt 0x0
	s_add_co_i32 s16, s16, 8
	ds_load_b64 v[92:93], v89
	v_cmp_eq_u32_e32 vcc_lo, 0, v88
	s_or_b32 s0, vcc_lo, s0
	s_wait_loadcnt_dscnt 0x0
	v_pk_mul_f32 v[94:95], v[92:93], v[90:91] op_sel:[1,1] op_sel_hi:[0,1]
	s_delay_alu instid0(VALU_DEP_1) | instskip(SKIP_1) | instid1(VALU_DEP_2)
	v_pk_fma_f32 v[96:97], v[92:93], v[90:91], v[94:95] op_sel_hi:[1,0,1]
	v_pk_fma_f32 v[90:91], v[92:93], v[90:91], v[94:95] neg_lo:[0,0,1] neg_hi:[0,0,1]
	v_mov_b32_e32 v91, v97
	s_delay_alu instid0(VALU_DEP_1)
	v_pk_add_f32 v[86:87], v[86:87], v[90:91]
	s_and_not1_b32 exec_lo, exec_lo, s0
	s_cbranch_execnz .LBB40_192
; %bb.193:
	s_or_b32 exec_lo, exec_lo, s0
.LBB40_194:
	s_delay_alu instid0(SALU_CYCLE_1) | instskip(SKIP_4) | instid1(VALU_DEP_1)
	s_or_b32 exec_lo, exec_lo, s17
	v_mov_b32_e32 v88, 0
	ds_load_b64 v[88:89], v88 offset:168
	s_wait_dscnt 0x0
	v_pk_mul_f32 v[90:91], v[86:87], v[88:89] op_sel:[1,1] op_sel_hi:[0,1]
	v_pk_fma_f32 v[92:93], v[86:87], v[88:89], v[90:91] op_sel_hi:[1,0,1]
	v_pk_fma_f32 v[86:87], v[86:87], v[88:89], v[90:91] neg_lo:[0,0,1] neg_hi:[0,0,1]
	s_delay_alu instid0(VALU_DEP_2)
	v_mov_b32_e32 v87, v93
	scratch_store_b64 off, v[86:87], off offset:168
.LBB40_195:
	s_wait_xcnt 0x0
	s_or_b32 exec_lo, exec_lo, s2
	scratch_load_b64 v[86:87], off, off offset:160
	v_cmp_lt_u32_e64 s0, 20, v0
	s_wait_loadcnt 0x0
	ds_store_b64 v1, v[86:87]
	s_wait_storecnt_dscnt 0x0
	s_barrier_signal -1
	s_barrier_wait -1
	s_wait_xcnt 0x0
	s_and_saveexec_b32 s2, s0
	s_cbranch_execz .LBB40_205
; %bb.196:
	s_and_not1_b32 vcc_lo, exec_lo, s3
	s_cbranch_vccnz .LBB40_198
; %bb.197:
	scratch_load_b64 v[86:87], v39, off
	ds_load_b64 v[88:89], v1
	s_wait_loadcnt_dscnt 0x0
	v_pk_mul_f32 v[90:91], v[88:89], v[86:87] op_sel:[1,1] op_sel_hi:[0,1]
	s_delay_alu instid0(VALU_DEP_1) | instskip(SKIP_1) | instid1(VALU_DEP_2)
	v_pk_fma_f32 v[92:93], v[88:89], v[86:87], v[90:91] op_sel_hi:[1,0,1]
	v_pk_fma_f32 v[86:87], v[88:89], v[86:87], v[90:91] neg_lo:[0,0,1] neg_hi:[0,0,1]
	v_mov_b32_e32 v87, v93
	s_cbranch_execz .LBB40_199
	s_branch .LBB40_200
.LBB40_198:
                                        ; implicit-def: $vgpr86_vgpr87
.LBB40_199:
	ds_load_b64 v[86:87], v1
.LBB40_200:
	s_and_saveexec_b32 s16, s1
	s_cbranch_execz .LBB40_204
; %bb.201:
	v_subrev_nc_u32_e32 v88, 21, v0
	s_movk_i32 s1, 0xa8
	s_movk_i32 s18, 0x1f8
	s_mov_b32 s17, 0
.LBB40_202:                             ; =>This Inner Loop Header: Depth=1
	scratch_load_b64 v[90:91], off, s1
	v_dual_mov_b32 v89, s18 :: v_dual_add_nc_u32 v88, -1, v88
	s_add_co_i32 s18, s18, 8
	s_wait_xcnt 0x0
	s_add_co_i32 s1, s1, 8
	ds_load_b64 v[92:93], v89
	v_cmp_eq_u32_e32 vcc_lo, 0, v88
	s_or_b32 s17, vcc_lo, s17
	s_wait_loadcnt_dscnt 0x0
	v_pk_mul_f32 v[94:95], v[92:93], v[90:91] op_sel:[1,1] op_sel_hi:[0,1]
	s_delay_alu instid0(VALU_DEP_1) | instskip(SKIP_1) | instid1(VALU_DEP_2)
	v_pk_fma_f32 v[96:97], v[92:93], v[90:91], v[94:95] op_sel_hi:[1,0,1]
	v_pk_fma_f32 v[90:91], v[92:93], v[90:91], v[94:95] neg_lo:[0,0,1] neg_hi:[0,0,1]
	v_mov_b32_e32 v91, v97
	s_delay_alu instid0(VALU_DEP_1)
	v_pk_add_f32 v[86:87], v[86:87], v[90:91]
	s_and_not1_b32 exec_lo, exec_lo, s17
	s_cbranch_execnz .LBB40_202
; %bb.203:
	s_or_b32 exec_lo, exec_lo, s17
.LBB40_204:
	s_delay_alu instid0(SALU_CYCLE_1) | instskip(SKIP_4) | instid1(VALU_DEP_1)
	s_or_b32 exec_lo, exec_lo, s16
	v_mov_b32_e32 v88, 0
	ds_load_b64 v[88:89], v88 offset:160
	s_wait_dscnt 0x0
	v_pk_mul_f32 v[90:91], v[86:87], v[88:89] op_sel:[1,1] op_sel_hi:[0,1]
	v_pk_fma_f32 v[92:93], v[86:87], v[88:89], v[90:91] op_sel_hi:[1,0,1]
	v_pk_fma_f32 v[86:87], v[86:87], v[88:89], v[90:91] neg_lo:[0,0,1] neg_hi:[0,0,1]
	s_delay_alu instid0(VALU_DEP_2)
	v_mov_b32_e32 v87, v93
	scratch_store_b64 off, v[86:87], off offset:160
.LBB40_205:
	s_wait_xcnt 0x0
	s_or_b32 exec_lo, exec_lo, s2
	scratch_load_b64 v[86:87], off, off offset:152
	v_cmp_lt_u32_e64 s1, 19, v0
	s_wait_loadcnt 0x0
	ds_store_b64 v1, v[86:87]
	s_wait_storecnt_dscnt 0x0
	s_barrier_signal -1
	s_barrier_wait -1
	s_wait_xcnt 0x0
	s_and_saveexec_b32 s2, s1
	s_cbranch_execz .LBB40_215
; %bb.206:
	s_and_not1_b32 vcc_lo, exec_lo, s3
	s_cbranch_vccnz .LBB40_208
; %bb.207:
	scratch_load_b64 v[86:87], v39, off
	ds_load_b64 v[88:89], v1
	s_wait_loadcnt_dscnt 0x0
	v_pk_mul_f32 v[90:91], v[88:89], v[86:87] op_sel:[1,1] op_sel_hi:[0,1]
	s_delay_alu instid0(VALU_DEP_1) | instskip(SKIP_1) | instid1(VALU_DEP_2)
	v_pk_fma_f32 v[92:93], v[88:89], v[86:87], v[90:91] op_sel_hi:[1,0,1]
	v_pk_fma_f32 v[86:87], v[88:89], v[86:87], v[90:91] neg_lo:[0,0,1] neg_hi:[0,0,1]
	v_mov_b32_e32 v87, v93
	s_cbranch_execz .LBB40_209
	s_branch .LBB40_210
.LBB40_208:
                                        ; implicit-def: $vgpr86_vgpr87
.LBB40_209:
	ds_load_b64 v[86:87], v1
.LBB40_210:
	s_and_saveexec_b32 s16, s0
	s_cbranch_execz .LBB40_214
; %bb.211:
	v_subrev_nc_u32_e32 v88, 20, v0
	s_movk_i32 s17, 0x1f0
	s_mov_b32 s0, 0
.LBB40_212:                             ; =>This Inner Loop Header: Depth=1
	scratch_load_b64 v[90:91], off, s15
	v_dual_mov_b32 v89, s17 :: v_dual_add_nc_u32 v88, -1, v88
	s_add_co_i32 s17, s17, 8
	s_wait_xcnt 0x0
	s_add_co_i32 s15, s15, 8
	ds_load_b64 v[92:93], v89
	v_cmp_eq_u32_e32 vcc_lo, 0, v88
	s_or_b32 s0, vcc_lo, s0
	s_wait_loadcnt_dscnt 0x0
	v_pk_mul_f32 v[94:95], v[92:93], v[90:91] op_sel:[1,1] op_sel_hi:[0,1]
	s_delay_alu instid0(VALU_DEP_1) | instskip(SKIP_1) | instid1(VALU_DEP_2)
	v_pk_fma_f32 v[96:97], v[92:93], v[90:91], v[94:95] op_sel_hi:[1,0,1]
	v_pk_fma_f32 v[90:91], v[92:93], v[90:91], v[94:95] neg_lo:[0,0,1] neg_hi:[0,0,1]
	v_mov_b32_e32 v91, v97
	s_delay_alu instid0(VALU_DEP_1)
	v_pk_add_f32 v[86:87], v[86:87], v[90:91]
	s_and_not1_b32 exec_lo, exec_lo, s0
	s_cbranch_execnz .LBB40_212
; %bb.213:
	s_or_b32 exec_lo, exec_lo, s0
.LBB40_214:
	s_delay_alu instid0(SALU_CYCLE_1) | instskip(SKIP_4) | instid1(VALU_DEP_1)
	s_or_b32 exec_lo, exec_lo, s16
	v_mov_b32_e32 v88, 0
	ds_load_b64 v[88:89], v88 offset:152
	s_wait_dscnt 0x0
	v_pk_mul_f32 v[90:91], v[86:87], v[88:89] op_sel:[1,1] op_sel_hi:[0,1]
	v_pk_fma_f32 v[92:93], v[86:87], v[88:89], v[90:91] op_sel_hi:[1,0,1]
	v_pk_fma_f32 v[86:87], v[86:87], v[88:89], v[90:91] neg_lo:[0,0,1] neg_hi:[0,0,1]
	s_delay_alu instid0(VALU_DEP_2)
	v_mov_b32_e32 v87, v93
	scratch_store_b64 off, v[86:87], off offset:152
.LBB40_215:
	s_wait_xcnt 0x0
	s_or_b32 exec_lo, exec_lo, s2
	scratch_load_b64 v[86:87], off, off offset:144
	v_cmp_lt_u32_e64 s0, 18, v0
	s_wait_loadcnt 0x0
	ds_store_b64 v1, v[86:87]
	s_wait_storecnt_dscnt 0x0
	s_barrier_signal -1
	s_barrier_wait -1
	s_wait_xcnt 0x0
	s_and_saveexec_b32 s2, s0
	s_cbranch_execz .LBB40_225
; %bb.216:
	s_and_not1_b32 vcc_lo, exec_lo, s3
	s_cbranch_vccnz .LBB40_218
; %bb.217:
	scratch_load_b64 v[86:87], v39, off
	ds_load_b64 v[88:89], v1
	s_wait_loadcnt_dscnt 0x0
	v_pk_mul_f32 v[90:91], v[88:89], v[86:87] op_sel:[1,1] op_sel_hi:[0,1]
	s_delay_alu instid0(VALU_DEP_1) | instskip(SKIP_1) | instid1(VALU_DEP_2)
	v_pk_fma_f32 v[92:93], v[88:89], v[86:87], v[90:91] op_sel_hi:[1,0,1]
	v_pk_fma_f32 v[86:87], v[88:89], v[86:87], v[90:91] neg_lo:[0,0,1] neg_hi:[0,0,1]
	v_mov_b32_e32 v87, v93
	s_cbranch_execz .LBB40_219
	s_branch .LBB40_220
.LBB40_218:
                                        ; implicit-def: $vgpr86_vgpr87
.LBB40_219:
	ds_load_b64 v[86:87], v1
.LBB40_220:
	s_and_saveexec_b32 s15, s1
	s_cbranch_execz .LBB40_224
; %bb.221:
	v_subrev_nc_u32_e32 v88, 19, v0
	s_movk_i32 s1, 0x98
	s_movk_i32 s17, 0x1e8
	s_mov_b32 s16, 0
.LBB40_222:                             ; =>This Inner Loop Header: Depth=1
	scratch_load_b64 v[90:91], off, s1
	v_dual_mov_b32 v89, s17 :: v_dual_add_nc_u32 v88, -1, v88
	s_add_co_i32 s17, s17, 8
	s_wait_xcnt 0x0
	s_add_co_i32 s1, s1, 8
	ds_load_b64 v[92:93], v89
	v_cmp_eq_u32_e32 vcc_lo, 0, v88
	s_or_b32 s16, vcc_lo, s16
	s_wait_loadcnt_dscnt 0x0
	v_pk_mul_f32 v[94:95], v[92:93], v[90:91] op_sel:[1,1] op_sel_hi:[0,1]
	s_delay_alu instid0(VALU_DEP_1) | instskip(SKIP_1) | instid1(VALU_DEP_2)
	v_pk_fma_f32 v[96:97], v[92:93], v[90:91], v[94:95] op_sel_hi:[1,0,1]
	v_pk_fma_f32 v[90:91], v[92:93], v[90:91], v[94:95] neg_lo:[0,0,1] neg_hi:[0,0,1]
	v_mov_b32_e32 v91, v97
	s_delay_alu instid0(VALU_DEP_1)
	v_pk_add_f32 v[86:87], v[86:87], v[90:91]
	s_and_not1_b32 exec_lo, exec_lo, s16
	s_cbranch_execnz .LBB40_222
; %bb.223:
	s_or_b32 exec_lo, exec_lo, s16
.LBB40_224:
	s_delay_alu instid0(SALU_CYCLE_1) | instskip(SKIP_4) | instid1(VALU_DEP_1)
	s_or_b32 exec_lo, exec_lo, s15
	v_mov_b32_e32 v88, 0
	ds_load_b64 v[88:89], v88 offset:144
	s_wait_dscnt 0x0
	v_pk_mul_f32 v[90:91], v[86:87], v[88:89] op_sel:[1,1] op_sel_hi:[0,1]
	v_pk_fma_f32 v[92:93], v[86:87], v[88:89], v[90:91] op_sel_hi:[1,0,1]
	v_pk_fma_f32 v[86:87], v[86:87], v[88:89], v[90:91] neg_lo:[0,0,1] neg_hi:[0,0,1]
	s_delay_alu instid0(VALU_DEP_2)
	v_mov_b32_e32 v87, v93
	scratch_store_b64 off, v[86:87], off offset:144
.LBB40_225:
	s_wait_xcnt 0x0
	s_or_b32 exec_lo, exec_lo, s2
	scratch_load_b64 v[86:87], off, off offset:136
	v_cmp_lt_u32_e64 s1, 17, v0
	s_wait_loadcnt 0x0
	ds_store_b64 v1, v[86:87]
	s_wait_storecnt_dscnt 0x0
	s_barrier_signal -1
	s_barrier_wait -1
	s_wait_xcnt 0x0
	s_and_saveexec_b32 s2, s1
	s_cbranch_execz .LBB40_235
; %bb.226:
	s_and_not1_b32 vcc_lo, exec_lo, s3
	s_cbranch_vccnz .LBB40_228
; %bb.227:
	scratch_load_b64 v[86:87], v39, off
	ds_load_b64 v[88:89], v1
	s_wait_loadcnt_dscnt 0x0
	v_pk_mul_f32 v[90:91], v[88:89], v[86:87] op_sel:[1,1] op_sel_hi:[0,1]
	s_delay_alu instid0(VALU_DEP_1) | instskip(SKIP_1) | instid1(VALU_DEP_2)
	v_pk_fma_f32 v[92:93], v[88:89], v[86:87], v[90:91] op_sel_hi:[1,0,1]
	v_pk_fma_f32 v[86:87], v[88:89], v[86:87], v[90:91] neg_lo:[0,0,1] neg_hi:[0,0,1]
	v_mov_b32_e32 v87, v93
	s_cbranch_execz .LBB40_229
	s_branch .LBB40_230
.LBB40_228:
                                        ; implicit-def: $vgpr86_vgpr87
.LBB40_229:
	ds_load_b64 v[86:87], v1
.LBB40_230:
	s_and_saveexec_b32 s15, s0
	s_cbranch_execz .LBB40_234
; %bb.231:
	v_subrev_nc_u32_e32 v88, 18, v0
	s_movk_i32 s16, 0x1e0
	s_mov_b32 s0, 0
.LBB40_232:                             ; =>This Inner Loop Header: Depth=1
	scratch_load_b64 v[90:91], off, s14
	v_dual_mov_b32 v89, s16 :: v_dual_add_nc_u32 v88, -1, v88
	s_add_co_i32 s16, s16, 8
	s_wait_xcnt 0x0
	s_add_co_i32 s14, s14, 8
	ds_load_b64 v[92:93], v89
	v_cmp_eq_u32_e32 vcc_lo, 0, v88
	s_or_b32 s0, vcc_lo, s0
	s_wait_loadcnt_dscnt 0x0
	v_pk_mul_f32 v[94:95], v[92:93], v[90:91] op_sel:[1,1] op_sel_hi:[0,1]
	s_delay_alu instid0(VALU_DEP_1) | instskip(SKIP_1) | instid1(VALU_DEP_2)
	v_pk_fma_f32 v[96:97], v[92:93], v[90:91], v[94:95] op_sel_hi:[1,0,1]
	v_pk_fma_f32 v[90:91], v[92:93], v[90:91], v[94:95] neg_lo:[0,0,1] neg_hi:[0,0,1]
	v_mov_b32_e32 v91, v97
	s_delay_alu instid0(VALU_DEP_1)
	v_pk_add_f32 v[86:87], v[86:87], v[90:91]
	s_and_not1_b32 exec_lo, exec_lo, s0
	s_cbranch_execnz .LBB40_232
; %bb.233:
	s_or_b32 exec_lo, exec_lo, s0
.LBB40_234:
	s_delay_alu instid0(SALU_CYCLE_1) | instskip(SKIP_4) | instid1(VALU_DEP_1)
	s_or_b32 exec_lo, exec_lo, s15
	v_mov_b32_e32 v88, 0
	ds_load_b64 v[88:89], v88 offset:136
	s_wait_dscnt 0x0
	v_pk_mul_f32 v[90:91], v[86:87], v[88:89] op_sel:[1,1] op_sel_hi:[0,1]
	v_pk_fma_f32 v[92:93], v[86:87], v[88:89], v[90:91] op_sel_hi:[1,0,1]
	v_pk_fma_f32 v[86:87], v[86:87], v[88:89], v[90:91] neg_lo:[0,0,1] neg_hi:[0,0,1]
	s_delay_alu instid0(VALU_DEP_2)
	v_mov_b32_e32 v87, v93
	scratch_store_b64 off, v[86:87], off offset:136
.LBB40_235:
	s_wait_xcnt 0x0
	s_or_b32 exec_lo, exec_lo, s2
	scratch_load_b64 v[86:87], off, off offset:128
	v_cmp_lt_u32_e64 s0, 16, v0
	s_wait_loadcnt 0x0
	ds_store_b64 v1, v[86:87]
	s_wait_storecnt_dscnt 0x0
	s_barrier_signal -1
	s_barrier_wait -1
	s_wait_xcnt 0x0
	s_and_saveexec_b32 s2, s0
	s_cbranch_execz .LBB40_245
; %bb.236:
	s_and_not1_b32 vcc_lo, exec_lo, s3
	s_cbranch_vccnz .LBB40_238
; %bb.237:
	scratch_load_b64 v[86:87], v39, off
	ds_load_b64 v[88:89], v1
	s_wait_loadcnt_dscnt 0x0
	v_pk_mul_f32 v[90:91], v[88:89], v[86:87] op_sel:[1,1] op_sel_hi:[0,1]
	s_delay_alu instid0(VALU_DEP_1) | instskip(SKIP_1) | instid1(VALU_DEP_2)
	v_pk_fma_f32 v[92:93], v[88:89], v[86:87], v[90:91] op_sel_hi:[1,0,1]
	v_pk_fma_f32 v[86:87], v[88:89], v[86:87], v[90:91] neg_lo:[0,0,1] neg_hi:[0,0,1]
	v_mov_b32_e32 v87, v93
	s_cbranch_execz .LBB40_239
	s_branch .LBB40_240
.LBB40_238:
                                        ; implicit-def: $vgpr86_vgpr87
.LBB40_239:
	ds_load_b64 v[86:87], v1
.LBB40_240:
	s_and_saveexec_b32 s14, s1
	s_cbranch_execz .LBB40_244
; %bb.241:
	v_subrev_nc_u32_e32 v88, 17, v0
	s_movk_i32 s1, 0x88
	s_movk_i32 s16, 0x1d8
	s_mov_b32 s15, 0
.LBB40_242:                             ; =>This Inner Loop Header: Depth=1
	scratch_load_b64 v[90:91], off, s1
	v_dual_mov_b32 v89, s16 :: v_dual_add_nc_u32 v88, -1, v88
	s_add_co_i32 s16, s16, 8
	s_wait_xcnt 0x0
	s_add_co_i32 s1, s1, 8
	ds_load_b64 v[92:93], v89
	v_cmp_eq_u32_e32 vcc_lo, 0, v88
	s_or_b32 s15, vcc_lo, s15
	s_wait_loadcnt_dscnt 0x0
	v_pk_mul_f32 v[94:95], v[92:93], v[90:91] op_sel:[1,1] op_sel_hi:[0,1]
	s_delay_alu instid0(VALU_DEP_1) | instskip(SKIP_1) | instid1(VALU_DEP_2)
	v_pk_fma_f32 v[96:97], v[92:93], v[90:91], v[94:95] op_sel_hi:[1,0,1]
	v_pk_fma_f32 v[90:91], v[92:93], v[90:91], v[94:95] neg_lo:[0,0,1] neg_hi:[0,0,1]
	v_mov_b32_e32 v91, v97
	s_delay_alu instid0(VALU_DEP_1)
	v_pk_add_f32 v[86:87], v[86:87], v[90:91]
	s_and_not1_b32 exec_lo, exec_lo, s15
	s_cbranch_execnz .LBB40_242
; %bb.243:
	s_or_b32 exec_lo, exec_lo, s15
.LBB40_244:
	s_delay_alu instid0(SALU_CYCLE_1) | instskip(SKIP_4) | instid1(VALU_DEP_1)
	s_or_b32 exec_lo, exec_lo, s14
	v_mov_b32_e32 v88, 0
	ds_load_b64 v[88:89], v88 offset:128
	s_wait_dscnt 0x0
	v_pk_mul_f32 v[90:91], v[86:87], v[88:89] op_sel:[1,1] op_sel_hi:[0,1]
	v_pk_fma_f32 v[92:93], v[86:87], v[88:89], v[90:91] op_sel_hi:[1,0,1]
	v_pk_fma_f32 v[86:87], v[86:87], v[88:89], v[90:91] neg_lo:[0,0,1] neg_hi:[0,0,1]
	s_delay_alu instid0(VALU_DEP_2)
	v_mov_b32_e32 v87, v93
	scratch_store_b64 off, v[86:87], off offset:128
.LBB40_245:
	s_wait_xcnt 0x0
	s_or_b32 exec_lo, exec_lo, s2
	scratch_load_b64 v[86:87], off, off offset:120
	v_cmp_lt_u32_e64 s1, 15, v0
	s_wait_loadcnt 0x0
	ds_store_b64 v1, v[86:87]
	s_wait_storecnt_dscnt 0x0
	s_barrier_signal -1
	s_barrier_wait -1
	s_wait_xcnt 0x0
	s_and_saveexec_b32 s2, s1
	s_cbranch_execz .LBB40_255
; %bb.246:
	s_and_not1_b32 vcc_lo, exec_lo, s3
	s_cbranch_vccnz .LBB40_248
; %bb.247:
	scratch_load_b64 v[86:87], v39, off
	ds_load_b64 v[88:89], v1
	s_wait_loadcnt_dscnt 0x0
	v_pk_mul_f32 v[90:91], v[88:89], v[86:87] op_sel:[1,1] op_sel_hi:[0,1]
	s_delay_alu instid0(VALU_DEP_1) | instskip(SKIP_1) | instid1(VALU_DEP_2)
	v_pk_fma_f32 v[92:93], v[88:89], v[86:87], v[90:91] op_sel_hi:[1,0,1]
	v_pk_fma_f32 v[86:87], v[88:89], v[86:87], v[90:91] neg_lo:[0,0,1] neg_hi:[0,0,1]
	v_mov_b32_e32 v87, v93
	s_cbranch_execz .LBB40_249
	s_branch .LBB40_250
.LBB40_248:
                                        ; implicit-def: $vgpr86_vgpr87
.LBB40_249:
	ds_load_b64 v[86:87], v1
.LBB40_250:
	s_and_saveexec_b32 s14, s0
	s_cbranch_execz .LBB40_254
; %bb.251:
	v_add_nc_u32_e32 v88, -16, v0
	s_movk_i32 s15, 0x1d0
	s_mov_b32 s0, 0
.LBB40_252:                             ; =>This Inner Loop Header: Depth=1
	scratch_load_b64 v[90:91], off, s13
	v_dual_mov_b32 v89, s15 :: v_dual_add_nc_u32 v88, -1, v88
	s_add_co_i32 s15, s15, 8
	s_wait_xcnt 0x0
	s_add_co_i32 s13, s13, 8
	ds_load_b64 v[92:93], v89
	v_cmp_eq_u32_e32 vcc_lo, 0, v88
	s_or_b32 s0, vcc_lo, s0
	s_wait_loadcnt_dscnt 0x0
	v_pk_mul_f32 v[94:95], v[92:93], v[90:91] op_sel:[1,1] op_sel_hi:[0,1]
	s_delay_alu instid0(VALU_DEP_1) | instskip(SKIP_1) | instid1(VALU_DEP_2)
	v_pk_fma_f32 v[96:97], v[92:93], v[90:91], v[94:95] op_sel_hi:[1,0,1]
	v_pk_fma_f32 v[90:91], v[92:93], v[90:91], v[94:95] neg_lo:[0,0,1] neg_hi:[0,0,1]
	v_mov_b32_e32 v91, v97
	s_delay_alu instid0(VALU_DEP_1)
	v_pk_add_f32 v[86:87], v[86:87], v[90:91]
	s_and_not1_b32 exec_lo, exec_lo, s0
	s_cbranch_execnz .LBB40_252
; %bb.253:
	s_or_b32 exec_lo, exec_lo, s0
.LBB40_254:
	s_delay_alu instid0(SALU_CYCLE_1) | instskip(SKIP_4) | instid1(VALU_DEP_1)
	s_or_b32 exec_lo, exec_lo, s14
	v_mov_b32_e32 v88, 0
	ds_load_b64 v[88:89], v88 offset:120
	s_wait_dscnt 0x0
	v_pk_mul_f32 v[90:91], v[86:87], v[88:89] op_sel:[1,1] op_sel_hi:[0,1]
	v_pk_fma_f32 v[92:93], v[86:87], v[88:89], v[90:91] op_sel_hi:[1,0,1]
	v_pk_fma_f32 v[86:87], v[86:87], v[88:89], v[90:91] neg_lo:[0,0,1] neg_hi:[0,0,1]
	s_delay_alu instid0(VALU_DEP_2)
	v_mov_b32_e32 v87, v93
	scratch_store_b64 off, v[86:87], off offset:120
.LBB40_255:
	s_wait_xcnt 0x0
	s_or_b32 exec_lo, exec_lo, s2
	scratch_load_b64 v[86:87], off, off offset:112
	v_cmp_lt_u32_e64 s0, 14, v0
	s_wait_loadcnt 0x0
	ds_store_b64 v1, v[86:87]
	s_wait_storecnt_dscnt 0x0
	s_barrier_signal -1
	s_barrier_wait -1
	s_wait_xcnt 0x0
	s_and_saveexec_b32 s2, s0
	s_cbranch_execz .LBB40_265
; %bb.256:
	s_and_not1_b32 vcc_lo, exec_lo, s3
	s_cbranch_vccnz .LBB40_258
; %bb.257:
	scratch_load_b64 v[86:87], v39, off
	ds_load_b64 v[88:89], v1
	s_wait_loadcnt_dscnt 0x0
	v_pk_mul_f32 v[90:91], v[88:89], v[86:87] op_sel:[1,1] op_sel_hi:[0,1]
	s_delay_alu instid0(VALU_DEP_1) | instskip(SKIP_1) | instid1(VALU_DEP_2)
	v_pk_fma_f32 v[92:93], v[88:89], v[86:87], v[90:91] op_sel_hi:[1,0,1]
	v_pk_fma_f32 v[86:87], v[88:89], v[86:87], v[90:91] neg_lo:[0,0,1] neg_hi:[0,0,1]
	v_mov_b32_e32 v87, v93
	s_cbranch_execz .LBB40_259
	s_branch .LBB40_260
.LBB40_258:
                                        ; implicit-def: $vgpr86_vgpr87
.LBB40_259:
	ds_load_b64 v[86:87], v1
.LBB40_260:
	s_and_saveexec_b32 s13, s1
	s_cbranch_execz .LBB40_264
; %bb.261:
	v_add_nc_u32_e32 v88, -15, v0
	s_movk_i32 s1, 0x78
	s_movk_i32 s15, 0x1c8
	s_mov_b32 s14, 0
.LBB40_262:                             ; =>This Inner Loop Header: Depth=1
	scratch_load_b64 v[90:91], off, s1
	v_dual_mov_b32 v89, s15 :: v_dual_add_nc_u32 v88, -1, v88
	s_add_co_i32 s15, s15, 8
	s_wait_xcnt 0x0
	s_add_co_i32 s1, s1, 8
	ds_load_b64 v[92:93], v89
	v_cmp_eq_u32_e32 vcc_lo, 0, v88
	s_or_b32 s14, vcc_lo, s14
	s_wait_loadcnt_dscnt 0x0
	v_pk_mul_f32 v[94:95], v[92:93], v[90:91] op_sel:[1,1] op_sel_hi:[0,1]
	s_delay_alu instid0(VALU_DEP_1) | instskip(SKIP_1) | instid1(VALU_DEP_2)
	v_pk_fma_f32 v[96:97], v[92:93], v[90:91], v[94:95] op_sel_hi:[1,0,1]
	v_pk_fma_f32 v[90:91], v[92:93], v[90:91], v[94:95] neg_lo:[0,0,1] neg_hi:[0,0,1]
	v_mov_b32_e32 v91, v97
	s_delay_alu instid0(VALU_DEP_1)
	v_pk_add_f32 v[86:87], v[86:87], v[90:91]
	s_and_not1_b32 exec_lo, exec_lo, s14
	s_cbranch_execnz .LBB40_262
; %bb.263:
	s_or_b32 exec_lo, exec_lo, s14
.LBB40_264:
	s_delay_alu instid0(SALU_CYCLE_1) | instskip(SKIP_4) | instid1(VALU_DEP_1)
	s_or_b32 exec_lo, exec_lo, s13
	v_mov_b32_e32 v88, 0
	ds_load_b64 v[88:89], v88 offset:112
	s_wait_dscnt 0x0
	v_pk_mul_f32 v[90:91], v[86:87], v[88:89] op_sel:[1,1] op_sel_hi:[0,1]
	v_pk_fma_f32 v[92:93], v[86:87], v[88:89], v[90:91] op_sel_hi:[1,0,1]
	v_pk_fma_f32 v[86:87], v[86:87], v[88:89], v[90:91] neg_lo:[0,0,1] neg_hi:[0,0,1]
	s_delay_alu instid0(VALU_DEP_2)
	v_mov_b32_e32 v87, v93
	scratch_store_b64 off, v[86:87], off offset:112
.LBB40_265:
	s_wait_xcnt 0x0
	s_or_b32 exec_lo, exec_lo, s2
	scratch_load_b64 v[86:87], off, off offset:104
	v_cmp_lt_u32_e64 s1, 13, v0
	s_wait_loadcnt 0x0
	ds_store_b64 v1, v[86:87]
	s_wait_storecnt_dscnt 0x0
	s_barrier_signal -1
	s_barrier_wait -1
	s_wait_xcnt 0x0
	s_and_saveexec_b32 s2, s1
	s_cbranch_execz .LBB40_275
; %bb.266:
	s_and_not1_b32 vcc_lo, exec_lo, s3
	s_cbranch_vccnz .LBB40_268
; %bb.267:
	scratch_load_b64 v[86:87], v39, off
	ds_load_b64 v[88:89], v1
	s_wait_loadcnt_dscnt 0x0
	v_pk_mul_f32 v[90:91], v[88:89], v[86:87] op_sel:[1,1] op_sel_hi:[0,1]
	s_delay_alu instid0(VALU_DEP_1) | instskip(SKIP_1) | instid1(VALU_DEP_2)
	v_pk_fma_f32 v[92:93], v[88:89], v[86:87], v[90:91] op_sel_hi:[1,0,1]
	v_pk_fma_f32 v[86:87], v[88:89], v[86:87], v[90:91] neg_lo:[0,0,1] neg_hi:[0,0,1]
	v_mov_b32_e32 v87, v93
	s_cbranch_execz .LBB40_269
	s_branch .LBB40_270
.LBB40_268:
                                        ; implicit-def: $vgpr86_vgpr87
.LBB40_269:
	ds_load_b64 v[86:87], v1
.LBB40_270:
	s_and_saveexec_b32 s13, s0
	s_cbranch_execz .LBB40_274
; %bb.271:
	v_add_nc_u32_e32 v88, -14, v0
	s_movk_i32 s14, 0x1c0
	s_mov_b32 s0, 0
.LBB40_272:                             ; =>This Inner Loop Header: Depth=1
	scratch_load_b64 v[90:91], off, s12
	v_dual_mov_b32 v89, s14 :: v_dual_add_nc_u32 v88, -1, v88
	s_add_co_i32 s14, s14, 8
	s_wait_xcnt 0x0
	s_add_co_i32 s12, s12, 8
	ds_load_b64 v[92:93], v89
	v_cmp_eq_u32_e32 vcc_lo, 0, v88
	s_or_b32 s0, vcc_lo, s0
	s_wait_loadcnt_dscnt 0x0
	v_pk_mul_f32 v[94:95], v[92:93], v[90:91] op_sel:[1,1] op_sel_hi:[0,1]
	s_delay_alu instid0(VALU_DEP_1) | instskip(SKIP_1) | instid1(VALU_DEP_2)
	v_pk_fma_f32 v[96:97], v[92:93], v[90:91], v[94:95] op_sel_hi:[1,0,1]
	v_pk_fma_f32 v[90:91], v[92:93], v[90:91], v[94:95] neg_lo:[0,0,1] neg_hi:[0,0,1]
	v_mov_b32_e32 v91, v97
	s_delay_alu instid0(VALU_DEP_1)
	v_pk_add_f32 v[86:87], v[86:87], v[90:91]
	s_and_not1_b32 exec_lo, exec_lo, s0
	s_cbranch_execnz .LBB40_272
; %bb.273:
	s_or_b32 exec_lo, exec_lo, s0
.LBB40_274:
	s_delay_alu instid0(SALU_CYCLE_1) | instskip(SKIP_4) | instid1(VALU_DEP_1)
	s_or_b32 exec_lo, exec_lo, s13
	v_mov_b32_e32 v88, 0
	ds_load_b64 v[88:89], v88 offset:104
	s_wait_dscnt 0x0
	v_pk_mul_f32 v[90:91], v[86:87], v[88:89] op_sel:[1,1] op_sel_hi:[0,1]
	v_pk_fma_f32 v[92:93], v[86:87], v[88:89], v[90:91] op_sel_hi:[1,0,1]
	v_pk_fma_f32 v[86:87], v[86:87], v[88:89], v[90:91] neg_lo:[0,0,1] neg_hi:[0,0,1]
	s_delay_alu instid0(VALU_DEP_2)
	v_mov_b32_e32 v87, v93
	scratch_store_b64 off, v[86:87], off offset:104
.LBB40_275:
	s_wait_xcnt 0x0
	s_or_b32 exec_lo, exec_lo, s2
	scratch_load_b64 v[86:87], off, off offset:96
	v_cmp_lt_u32_e64 s0, 12, v0
	s_wait_loadcnt 0x0
	ds_store_b64 v1, v[86:87]
	s_wait_storecnt_dscnt 0x0
	s_barrier_signal -1
	s_barrier_wait -1
	s_wait_xcnt 0x0
	s_and_saveexec_b32 s2, s0
	s_cbranch_execz .LBB40_285
; %bb.276:
	s_and_not1_b32 vcc_lo, exec_lo, s3
	s_cbranch_vccnz .LBB40_278
; %bb.277:
	scratch_load_b64 v[86:87], v39, off
	ds_load_b64 v[88:89], v1
	s_wait_loadcnt_dscnt 0x0
	v_pk_mul_f32 v[90:91], v[88:89], v[86:87] op_sel:[1,1] op_sel_hi:[0,1]
	s_delay_alu instid0(VALU_DEP_1) | instskip(SKIP_1) | instid1(VALU_DEP_2)
	v_pk_fma_f32 v[92:93], v[88:89], v[86:87], v[90:91] op_sel_hi:[1,0,1]
	v_pk_fma_f32 v[86:87], v[88:89], v[86:87], v[90:91] neg_lo:[0,0,1] neg_hi:[0,0,1]
	v_mov_b32_e32 v87, v93
	s_cbranch_execz .LBB40_279
	s_branch .LBB40_280
.LBB40_278:
                                        ; implicit-def: $vgpr86_vgpr87
.LBB40_279:
	ds_load_b64 v[86:87], v1
.LBB40_280:
	s_and_saveexec_b32 s12, s1
	s_cbranch_execz .LBB40_284
; %bb.281:
	v_add_nc_u32_e32 v88, -13, v0
	s_movk_i32 s1, 0x68
	s_movk_i32 s14, 0x1b8
	s_mov_b32 s13, 0
.LBB40_282:                             ; =>This Inner Loop Header: Depth=1
	scratch_load_b64 v[90:91], off, s1
	v_dual_mov_b32 v89, s14 :: v_dual_add_nc_u32 v88, -1, v88
	s_add_co_i32 s14, s14, 8
	s_wait_xcnt 0x0
	s_add_co_i32 s1, s1, 8
	ds_load_b64 v[92:93], v89
	v_cmp_eq_u32_e32 vcc_lo, 0, v88
	s_or_b32 s13, vcc_lo, s13
	s_wait_loadcnt_dscnt 0x0
	v_pk_mul_f32 v[94:95], v[92:93], v[90:91] op_sel:[1,1] op_sel_hi:[0,1]
	s_delay_alu instid0(VALU_DEP_1) | instskip(SKIP_1) | instid1(VALU_DEP_2)
	v_pk_fma_f32 v[96:97], v[92:93], v[90:91], v[94:95] op_sel_hi:[1,0,1]
	v_pk_fma_f32 v[90:91], v[92:93], v[90:91], v[94:95] neg_lo:[0,0,1] neg_hi:[0,0,1]
	v_mov_b32_e32 v91, v97
	s_delay_alu instid0(VALU_DEP_1)
	v_pk_add_f32 v[86:87], v[86:87], v[90:91]
	s_and_not1_b32 exec_lo, exec_lo, s13
	s_cbranch_execnz .LBB40_282
; %bb.283:
	s_or_b32 exec_lo, exec_lo, s13
.LBB40_284:
	s_delay_alu instid0(SALU_CYCLE_1) | instskip(SKIP_4) | instid1(VALU_DEP_1)
	s_or_b32 exec_lo, exec_lo, s12
	v_mov_b32_e32 v88, 0
	ds_load_b64 v[88:89], v88 offset:96
	s_wait_dscnt 0x0
	v_pk_mul_f32 v[90:91], v[86:87], v[88:89] op_sel:[1,1] op_sel_hi:[0,1]
	v_pk_fma_f32 v[92:93], v[86:87], v[88:89], v[90:91] op_sel_hi:[1,0,1]
	v_pk_fma_f32 v[86:87], v[86:87], v[88:89], v[90:91] neg_lo:[0,0,1] neg_hi:[0,0,1]
	s_delay_alu instid0(VALU_DEP_2)
	v_mov_b32_e32 v87, v93
	scratch_store_b64 off, v[86:87], off offset:96
.LBB40_285:
	s_wait_xcnt 0x0
	s_or_b32 exec_lo, exec_lo, s2
	scratch_load_b64 v[86:87], off, off offset:88
	v_cmp_lt_u32_e64 s1, 11, v0
	s_wait_loadcnt 0x0
	ds_store_b64 v1, v[86:87]
	s_wait_storecnt_dscnt 0x0
	s_barrier_signal -1
	s_barrier_wait -1
	s_wait_xcnt 0x0
	s_and_saveexec_b32 s2, s1
	s_cbranch_execz .LBB40_295
; %bb.286:
	s_and_not1_b32 vcc_lo, exec_lo, s3
	s_cbranch_vccnz .LBB40_288
; %bb.287:
	scratch_load_b64 v[86:87], v39, off
	ds_load_b64 v[88:89], v1
	s_wait_loadcnt_dscnt 0x0
	v_pk_mul_f32 v[90:91], v[88:89], v[86:87] op_sel:[1,1] op_sel_hi:[0,1]
	s_delay_alu instid0(VALU_DEP_1) | instskip(SKIP_1) | instid1(VALU_DEP_2)
	v_pk_fma_f32 v[92:93], v[88:89], v[86:87], v[90:91] op_sel_hi:[1,0,1]
	v_pk_fma_f32 v[86:87], v[88:89], v[86:87], v[90:91] neg_lo:[0,0,1] neg_hi:[0,0,1]
	v_mov_b32_e32 v87, v93
	s_cbranch_execz .LBB40_289
	s_branch .LBB40_290
.LBB40_288:
                                        ; implicit-def: $vgpr86_vgpr87
.LBB40_289:
	ds_load_b64 v[86:87], v1
.LBB40_290:
	s_and_saveexec_b32 s12, s0
	s_cbranch_execz .LBB40_294
; %bb.291:
	v_add_nc_u32_e32 v88, -12, v0
	s_movk_i32 s13, 0x1b0
	s_mov_b32 s0, 0
.LBB40_292:                             ; =>This Inner Loop Header: Depth=1
	scratch_load_b64 v[90:91], off, s11
	v_dual_mov_b32 v89, s13 :: v_dual_add_nc_u32 v88, -1, v88
	s_add_co_i32 s13, s13, 8
	s_wait_xcnt 0x0
	s_add_co_i32 s11, s11, 8
	ds_load_b64 v[92:93], v89
	v_cmp_eq_u32_e32 vcc_lo, 0, v88
	s_or_b32 s0, vcc_lo, s0
	s_wait_loadcnt_dscnt 0x0
	v_pk_mul_f32 v[94:95], v[92:93], v[90:91] op_sel:[1,1] op_sel_hi:[0,1]
	s_delay_alu instid0(VALU_DEP_1) | instskip(SKIP_1) | instid1(VALU_DEP_2)
	v_pk_fma_f32 v[96:97], v[92:93], v[90:91], v[94:95] op_sel_hi:[1,0,1]
	v_pk_fma_f32 v[90:91], v[92:93], v[90:91], v[94:95] neg_lo:[0,0,1] neg_hi:[0,0,1]
	v_mov_b32_e32 v91, v97
	s_delay_alu instid0(VALU_DEP_1)
	v_pk_add_f32 v[86:87], v[86:87], v[90:91]
	s_and_not1_b32 exec_lo, exec_lo, s0
	s_cbranch_execnz .LBB40_292
; %bb.293:
	s_or_b32 exec_lo, exec_lo, s0
.LBB40_294:
	s_delay_alu instid0(SALU_CYCLE_1) | instskip(SKIP_4) | instid1(VALU_DEP_1)
	s_or_b32 exec_lo, exec_lo, s12
	v_mov_b32_e32 v88, 0
	ds_load_b64 v[88:89], v88 offset:88
	s_wait_dscnt 0x0
	v_pk_mul_f32 v[90:91], v[86:87], v[88:89] op_sel:[1,1] op_sel_hi:[0,1]
	v_pk_fma_f32 v[92:93], v[86:87], v[88:89], v[90:91] op_sel_hi:[1,0,1]
	v_pk_fma_f32 v[86:87], v[86:87], v[88:89], v[90:91] neg_lo:[0,0,1] neg_hi:[0,0,1]
	s_delay_alu instid0(VALU_DEP_2)
	v_mov_b32_e32 v87, v93
	scratch_store_b64 off, v[86:87], off offset:88
.LBB40_295:
	s_wait_xcnt 0x0
	s_or_b32 exec_lo, exec_lo, s2
	scratch_load_b64 v[86:87], off, off offset:80
	v_cmp_lt_u32_e64 s0, 10, v0
	s_wait_loadcnt 0x0
	ds_store_b64 v1, v[86:87]
	s_wait_storecnt_dscnt 0x0
	s_barrier_signal -1
	s_barrier_wait -1
	s_wait_xcnt 0x0
	s_and_saveexec_b32 s2, s0
	s_cbranch_execz .LBB40_305
; %bb.296:
	s_and_not1_b32 vcc_lo, exec_lo, s3
	s_cbranch_vccnz .LBB40_298
; %bb.297:
	scratch_load_b64 v[86:87], v39, off
	ds_load_b64 v[88:89], v1
	s_wait_loadcnt_dscnt 0x0
	v_pk_mul_f32 v[90:91], v[88:89], v[86:87] op_sel:[1,1] op_sel_hi:[0,1]
	s_delay_alu instid0(VALU_DEP_1) | instskip(SKIP_1) | instid1(VALU_DEP_2)
	v_pk_fma_f32 v[92:93], v[88:89], v[86:87], v[90:91] op_sel_hi:[1,0,1]
	v_pk_fma_f32 v[86:87], v[88:89], v[86:87], v[90:91] neg_lo:[0,0,1] neg_hi:[0,0,1]
	v_mov_b32_e32 v87, v93
	s_cbranch_execz .LBB40_299
	s_branch .LBB40_300
.LBB40_298:
                                        ; implicit-def: $vgpr86_vgpr87
.LBB40_299:
	ds_load_b64 v[86:87], v1
.LBB40_300:
	s_and_saveexec_b32 s11, s1
	s_cbranch_execz .LBB40_304
; %bb.301:
	v_add_nc_u32_e32 v88, -11, v0
	s_movk_i32 s1, 0x58
	s_movk_i32 s13, 0x1a8
	s_mov_b32 s12, 0
.LBB40_302:                             ; =>This Inner Loop Header: Depth=1
	scratch_load_b64 v[90:91], off, s1
	v_dual_mov_b32 v89, s13 :: v_dual_add_nc_u32 v88, -1, v88
	s_add_co_i32 s13, s13, 8
	s_wait_xcnt 0x0
	s_add_co_i32 s1, s1, 8
	ds_load_b64 v[92:93], v89
	v_cmp_eq_u32_e32 vcc_lo, 0, v88
	s_or_b32 s12, vcc_lo, s12
	s_wait_loadcnt_dscnt 0x0
	v_pk_mul_f32 v[94:95], v[92:93], v[90:91] op_sel:[1,1] op_sel_hi:[0,1]
	s_delay_alu instid0(VALU_DEP_1) | instskip(SKIP_1) | instid1(VALU_DEP_2)
	v_pk_fma_f32 v[96:97], v[92:93], v[90:91], v[94:95] op_sel_hi:[1,0,1]
	v_pk_fma_f32 v[90:91], v[92:93], v[90:91], v[94:95] neg_lo:[0,0,1] neg_hi:[0,0,1]
	v_mov_b32_e32 v91, v97
	s_delay_alu instid0(VALU_DEP_1)
	v_pk_add_f32 v[86:87], v[86:87], v[90:91]
	s_and_not1_b32 exec_lo, exec_lo, s12
	s_cbranch_execnz .LBB40_302
; %bb.303:
	s_or_b32 exec_lo, exec_lo, s12
.LBB40_304:
	s_delay_alu instid0(SALU_CYCLE_1) | instskip(SKIP_4) | instid1(VALU_DEP_1)
	s_or_b32 exec_lo, exec_lo, s11
	v_mov_b32_e32 v88, 0
	ds_load_b64 v[88:89], v88 offset:80
	s_wait_dscnt 0x0
	v_pk_mul_f32 v[90:91], v[86:87], v[88:89] op_sel:[1,1] op_sel_hi:[0,1]
	v_pk_fma_f32 v[92:93], v[86:87], v[88:89], v[90:91] op_sel_hi:[1,0,1]
	v_pk_fma_f32 v[86:87], v[86:87], v[88:89], v[90:91] neg_lo:[0,0,1] neg_hi:[0,0,1]
	s_delay_alu instid0(VALU_DEP_2)
	v_mov_b32_e32 v87, v93
	scratch_store_b64 off, v[86:87], off offset:80
.LBB40_305:
	s_wait_xcnt 0x0
	s_or_b32 exec_lo, exec_lo, s2
	scratch_load_b64 v[86:87], off, off offset:72
	v_cmp_lt_u32_e64 s1, 9, v0
	s_wait_loadcnt 0x0
	ds_store_b64 v1, v[86:87]
	s_wait_storecnt_dscnt 0x0
	s_barrier_signal -1
	s_barrier_wait -1
	s_wait_xcnt 0x0
	s_and_saveexec_b32 s2, s1
	s_cbranch_execz .LBB40_315
; %bb.306:
	s_and_not1_b32 vcc_lo, exec_lo, s3
	s_cbranch_vccnz .LBB40_308
; %bb.307:
	scratch_load_b64 v[86:87], v39, off
	ds_load_b64 v[88:89], v1
	s_wait_loadcnt_dscnt 0x0
	v_pk_mul_f32 v[90:91], v[88:89], v[86:87] op_sel:[1,1] op_sel_hi:[0,1]
	s_delay_alu instid0(VALU_DEP_1) | instskip(SKIP_1) | instid1(VALU_DEP_2)
	v_pk_fma_f32 v[92:93], v[88:89], v[86:87], v[90:91] op_sel_hi:[1,0,1]
	v_pk_fma_f32 v[86:87], v[88:89], v[86:87], v[90:91] neg_lo:[0,0,1] neg_hi:[0,0,1]
	v_mov_b32_e32 v87, v93
	s_cbranch_execz .LBB40_309
	s_branch .LBB40_310
.LBB40_308:
                                        ; implicit-def: $vgpr86_vgpr87
.LBB40_309:
	ds_load_b64 v[86:87], v1
.LBB40_310:
	s_and_saveexec_b32 s11, s0
	s_cbranch_execz .LBB40_314
; %bb.311:
	v_add_nc_u32_e32 v88, -10, v0
	s_movk_i32 s12, 0x1a0
	s_mov_b32 s0, 0
.LBB40_312:                             ; =>This Inner Loop Header: Depth=1
	scratch_load_b64 v[90:91], off, s10
	v_dual_mov_b32 v89, s12 :: v_dual_add_nc_u32 v88, -1, v88
	s_add_co_i32 s12, s12, 8
	s_wait_xcnt 0x0
	s_add_co_i32 s10, s10, 8
	ds_load_b64 v[92:93], v89
	v_cmp_eq_u32_e32 vcc_lo, 0, v88
	s_or_b32 s0, vcc_lo, s0
	s_wait_loadcnt_dscnt 0x0
	v_pk_mul_f32 v[94:95], v[92:93], v[90:91] op_sel:[1,1] op_sel_hi:[0,1]
	s_delay_alu instid0(VALU_DEP_1) | instskip(SKIP_1) | instid1(VALU_DEP_2)
	v_pk_fma_f32 v[96:97], v[92:93], v[90:91], v[94:95] op_sel_hi:[1,0,1]
	v_pk_fma_f32 v[90:91], v[92:93], v[90:91], v[94:95] neg_lo:[0,0,1] neg_hi:[0,0,1]
	v_mov_b32_e32 v91, v97
	s_delay_alu instid0(VALU_DEP_1)
	v_pk_add_f32 v[86:87], v[86:87], v[90:91]
	s_and_not1_b32 exec_lo, exec_lo, s0
	s_cbranch_execnz .LBB40_312
; %bb.313:
	s_or_b32 exec_lo, exec_lo, s0
.LBB40_314:
	s_delay_alu instid0(SALU_CYCLE_1) | instskip(SKIP_4) | instid1(VALU_DEP_1)
	s_or_b32 exec_lo, exec_lo, s11
	v_mov_b32_e32 v88, 0
	ds_load_b64 v[88:89], v88 offset:72
	s_wait_dscnt 0x0
	v_pk_mul_f32 v[90:91], v[86:87], v[88:89] op_sel:[1,1] op_sel_hi:[0,1]
	v_pk_fma_f32 v[92:93], v[86:87], v[88:89], v[90:91] op_sel_hi:[1,0,1]
	v_pk_fma_f32 v[86:87], v[86:87], v[88:89], v[90:91] neg_lo:[0,0,1] neg_hi:[0,0,1]
	s_delay_alu instid0(VALU_DEP_2)
	v_mov_b32_e32 v87, v93
	scratch_store_b64 off, v[86:87], off offset:72
.LBB40_315:
	s_wait_xcnt 0x0
	s_or_b32 exec_lo, exec_lo, s2
	scratch_load_b64 v[86:87], off, off offset:64
	v_cmp_lt_u32_e64 s0, 8, v0
	s_wait_loadcnt 0x0
	ds_store_b64 v1, v[86:87]
	s_wait_storecnt_dscnt 0x0
	s_barrier_signal -1
	s_barrier_wait -1
	s_wait_xcnt 0x0
	s_and_saveexec_b32 s2, s0
	s_cbranch_execz .LBB40_325
; %bb.316:
	s_and_not1_b32 vcc_lo, exec_lo, s3
	s_cbranch_vccnz .LBB40_318
; %bb.317:
	scratch_load_b64 v[86:87], v39, off
	ds_load_b64 v[88:89], v1
	s_wait_loadcnt_dscnt 0x0
	v_pk_mul_f32 v[90:91], v[88:89], v[86:87] op_sel:[1,1] op_sel_hi:[0,1]
	s_delay_alu instid0(VALU_DEP_1) | instskip(SKIP_1) | instid1(VALU_DEP_2)
	v_pk_fma_f32 v[92:93], v[88:89], v[86:87], v[90:91] op_sel_hi:[1,0,1]
	v_pk_fma_f32 v[86:87], v[88:89], v[86:87], v[90:91] neg_lo:[0,0,1] neg_hi:[0,0,1]
	v_mov_b32_e32 v87, v93
	s_cbranch_execz .LBB40_319
	s_branch .LBB40_320
.LBB40_318:
                                        ; implicit-def: $vgpr86_vgpr87
.LBB40_319:
	ds_load_b64 v[86:87], v1
.LBB40_320:
	s_and_saveexec_b32 s10, s1
	s_cbranch_execz .LBB40_324
; %bb.321:
	v_add_nc_u32_e32 v88, -9, v0
	s_movk_i32 s1, 0x48
	s_movk_i32 s12, 0x198
	s_mov_b32 s11, 0
.LBB40_322:                             ; =>This Inner Loop Header: Depth=1
	scratch_load_b64 v[90:91], off, s1
	v_dual_mov_b32 v89, s12 :: v_dual_add_nc_u32 v88, -1, v88
	s_add_co_i32 s12, s12, 8
	s_wait_xcnt 0x0
	s_add_co_i32 s1, s1, 8
	ds_load_b64 v[92:93], v89
	v_cmp_eq_u32_e32 vcc_lo, 0, v88
	s_or_b32 s11, vcc_lo, s11
	s_wait_loadcnt_dscnt 0x0
	v_pk_mul_f32 v[94:95], v[92:93], v[90:91] op_sel:[1,1] op_sel_hi:[0,1]
	s_delay_alu instid0(VALU_DEP_1) | instskip(SKIP_1) | instid1(VALU_DEP_2)
	v_pk_fma_f32 v[96:97], v[92:93], v[90:91], v[94:95] op_sel_hi:[1,0,1]
	v_pk_fma_f32 v[90:91], v[92:93], v[90:91], v[94:95] neg_lo:[0,0,1] neg_hi:[0,0,1]
	v_mov_b32_e32 v91, v97
	s_delay_alu instid0(VALU_DEP_1)
	v_pk_add_f32 v[86:87], v[86:87], v[90:91]
	s_and_not1_b32 exec_lo, exec_lo, s11
	s_cbranch_execnz .LBB40_322
; %bb.323:
	s_or_b32 exec_lo, exec_lo, s11
.LBB40_324:
	s_delay_alu instid0(SALU_CYCLE_1) | instskip(SKIP_4) | instid1(VALU_DEP_1)
	s_or_b32 exec_lo, exec_lo, s10
	v_mov_b32_e32 v88, 0
	ds_load_b64 v[88:89], v88 offset:64
	s_wait_dscnt 0x0
	v_pk_mul_f32 v[90:91], v[86:87], v[88:89] op_sel:[1,1] op_sel_hi:[0,1]
	v_pk_fma_f32 v[92:93], v[86:87], v[88:89], v[90:91] op_sel_hi:[1,0,1]
	v_pk_fma_f32 v[86:87], v[86:87], v[88:89], v[90:91] neg_lo:[0,0,1] neg_hi:[0,0,1]
	s_delay_alu instid0(VALU_DEP_2)
	v_mov_b32_e32 v87, v93
	scratch_store_b64 off, v[86:87], off offset:64
.LBB40_325:
	s_wait_xcnt 0x0
	s_or_b32 exec_lo, exec_lo, s2
	scratch_load_b64 v[86:87], off, off offset:56
	v_cmp_lt_u32_e64 s1, 7, v0
	s_wait_loadcnt 0x0
	ds_store_b64 v1, v[86:87]
	s_wait_storecnt_dscnt 0x0
	s_barrier_signal -1
	s_barrier_wait -1
	s_wait_xcnt 0x0
	s_and_saveexec_b32 s2, s1
	s_cbranch_execz .LBB40_335
; %bb.326:
	s_and_not1_b32 vcc_lo, exec_lo, s3
	s_cbranch_vccnz .LBB40_328
; %bb.327:
	scratch_load_b64 v[86:87], v39, off
	ds_load_b64 v[88:89], v1
	s_wait_loadcnt_dscnt 0x0
	v_pk_mul_f32 v[90:91], v[88:89], v[86:87] op_sel:[1,1] op_sel_hi:[0,1]
	s_delay_alu instid0(VALU_DEP_1) | instskip(SKIP_1) | instid1(VALU_DEP_2)
	v_pk_fma_f32 v[92:93], v[88:89], v[86:87], v[90:91] op_sel_hi:[1,0,1]
	v_pk_fma_f32 v[86:87], v[88:89], v[86:87], v[90:91] neg_lo:[0,0,1] neg_hi:[0,0,1]
	v_mov_b32_e32 v87, v93
	s_cbranch_execz .LBB40_329
	s_branch .LBB40_330
.LBB40_328:
                                        ; implicit-def: $vgpr86_vgpr87
.LBB40_329:
	ds_load_b64 v[86:87], v1
.LBB40_330:
	s_and_saveexec_b32 s10, s0
	s_cbranch_execz .LBB40_334
; %bb.331:
	v_add_nc_u32_e32 v88, -8, v0
	s_movk_i32 s11, 0x190
	s_mov_b32 s0, 0
.LBB40_332:                             ; =>This Inner Loop Header: Depth=1
	scratch_load_b64 v[90:91], off, s9
	v_dual_mov_b32 v89, s11 :: v_dual_add_nc_u32 v88, -1, v88
	s_add_co_i32 s11, s11, 8
	s_wait_xcnt 0x0
	s_add_co_i32 s9, s9, 8
	ds_load_b64 v[92:93], v89
	v_cmp_eq_u32_e32 vcc_lo, 0, v88
	s_or_b32 s0, vcc_lo, s0
	s_wait_loadcnt_dscnt 0x0
	v_pk_mul_f32 v[94:95], v[92:93], v[90:91] op_sel:[1,1] op_sel_hi:[0,1]
	s_delay_alu instid0(VALU_DEP_1) | instskip(SKIP_1) | instid1(VALU_DEP_2)
	v_pk_fma_f32 v[96:97], v[92:93], v[90:91], v[94:95] op_sel_hi:[1,0,1]
	v_pk_fma_f32 v[90:91], v[92:93], v[90:91], v[94:95] neg_lo:[0,0,1] neg_hi:[0,0,1]
	v_mov_b32_e32 v91, v97
	s_delay_alu instid0(VALU_DEP_1)
	v_pk_add_f32 v[86:87], v[86:87], v[90:91]
	s_and_not1_b32 exec_lo, exec_lo, s0
	s_cbranch_execnz .LBB40_332
; %bb.333:
	s_or_b32 exec_lo, exec_lo, s0
.LBB40_334:
	s_delay_alu instid0(SALU_CYCLE_1) | instskip(SKIP_4) | instid1(VALU_DEP_1)
	s_or_b32 exec_lo, exec_lo, s10
	v_mov_b32_e32 v88, 0
	ds_load_b64 v[88:89], v88 offset:56
	s_wait_dscnt 0x0
	v_pk_mul_f32 v[90:91], v[86:87], v[88:89] op_sel:[1,1] op_sel_hi:[0,1]
	v_pk_fma_f32 v[92:93], v[86:87], v[88:89], v[90:91] op_sel_hi:[1,0,1]
	v_pk_fma_f32 v[86:87], v[86:87], v[88:89], v[90:91] neg_lo:[0,0,1] neg_hi:[0,0,1]
	s_delay_alu instid0(VALU_DEP_2)
	v_mov_b32_e32 v87, v93
	scratch_store_b64 off, v[86:87], off offset:56
.LBB40_335:
	s_wait_xcnt 0x0
	s_or_b32 exec_lo, exec_lo, s2
	scratch_load_b64 v[86:87], off, off offset:48
	v_cmp_lt_u32_e64 s0, 6, v0
	s_wait_loadcnt 0x0
	ds_store_b64 v1, v[86:87]
	s_wait_storecnt_dscnt 0x0
	s_barrier_signal -1
	s_barrier_wait -1
	s_wait_xcnt 0x0
	s_and_saveexec_b32 s2, s0
	s_cbranch_execz .LBB40_345
; %bb.336:
	s_and_not1_b32 vcc_lo, exec_lo, s3
	s_cbranch_vccnz .LBB40_338
; %bb.337:
	scratch_load_b64 v[86:87], v39, off
	ds_load_b64 v[88:89], v1
	s_wait_loadcnt_dscnt 0x0
	v_pk_mul_f32 v[90:91], v[88:89], v[86:87] op_sel:[1,1] op_sel_hi:[0,1]
	s_delay_alu instid0(VALU_DEP_1) | instskip(SKIP_1) | instid1(VALU_DEP_2)
	v_pk_fma_f32 v[92:93], v[88:89], v[86:87], v[90:91] op_sel_hi:[1,0,1]
	v_pk_fma_f32 v[86:87], v[88:89], v[86:87], v[90:91] neg_lo:[0,0,1] neg_hi:[0,0,1]
	v_mov_b32_e32 v87, v93
	s_cbranch_execz .LBB40_339
	s_branch .LBB40_340
.LBB40_338:
                                        ; implicit-def: $vgpr86_vgpr87
.LBB40_339:
	ds_load_b64 v[86:87], v1
.LBB40_340:
	s_and_saveexec_b32 s9, s1
	s_cbranch_execz .LBB40_344
; %bb.341:
	v_add_nc_u32_e32 v88, -7, v0
	s_mov_b32 s1, 56
	s_movk_i32 s11, 0x188
	s_mov_b32 s10, 0
.LBB40_342:                             ; =>This Inner Loop Header: Depth=1
	scratch_load_b64 v[90:91], off, s1
	v_dual_mov_b32 v89, s11 :: v_dual_add_nc_u32 v88, -1, v88
	s_add_co_i32 s11, s11, 8
	s_wait_xcnt 0x0
	s_add_co_i32 s1, s1, 8
	ds_load_b64 v[92:93], v89
	v_cmp_eq_u32_e32 vcc_lo, 0, v88
	s_or_b32 s10, vcc_lo, s10
	s_wait_loadcnt_dscnt 0x0
	v_pk_mul_f32 v[94:95], v[92:93], v[90:91] op_sel:[1,1] op_sel_hi:[0,1]
	s_delay_alu instid0(VALU_DEP_1) | instskip(SKIP_1) | instid1(VALU_DEP_2)
	v_pk_fma_f32 v[96:97], v[92:93], v[90:91], v[94:95] op_sel_hi:[1,0,1]
	v_pk_fma_f32 v[90:91], v[92:93], v[90:91], v[94:95] neg_lo:[0,0,1] neg_hi:[0,0,1]
	v_mov_b32_e32 v91, v97
	s_delay_alu instid0(VALU_DEP_1)
	v_pk_add_f32 v[86:87], v[86:87], v[90:91]
	s_and_not1_b32 exec_lo, exec_lo, s10
	s_cbranch_execnz .LBB40_342
; %bb.343:
	s_or_b32 exec_lo, exec_lo, s10
.LBB40_344:
	s_delay_alu instid0(SALU_CYCLE_1) | instskip(SKIP_4) | instid1(VALU_DEP_1)
	s_or_b32 exec_lo, exec_lo, s9
	v_mov_b32_e32 v88, 0
	ds_load_b64 v[88:89], v88 offset:48
	s_wait_dscnt 0x0
	v_pk_mul_f32 v[90:91], v[86:87], v[88:89] op_sel:[1,1] op_sel_hi:[0,1]
	v_pk_fma_f32 v[92:93], v[86:87], v[88:89], v[90:91] op_sel_hi:[1,0,1]
	v_pk_fma_f32 v[86:87], v[86:87], v[88:89], v[90:91] neg_lo:[0,0,1] neg_hi:[0,0,1]
	s_delay_alu instid0(VALU_DEP_2)
	v_mov_b32_e32 v87, v93
	scratch_store_b64 off, v[86:87], off offset:48
.LBB40_345:
	s_wait_xcnt 0x0
	s_or_b32 exec_lo, exec_lo, s2
	scratch_load_b64 v[86:87], off, off offset:40
	v_cmp_lt_u32_e64 s1, 5, v0
	s_wait_loadcnt 0x0
	ds_store_b64 v1, v[86:87]
	s_wait_storecnt_dscnt 0x0
	s_barrier_signal -1
	s_barrier_wait -1
	s_wait_xcnt 0x0
	s_and_saveexec_b32 s2, s1
	s_cbranch_execz .LBB40_355
; %bb.346:
	s_and_not1_b32 vcc_lo, exec_lo, s3
	s_cbranch_vccnz .LBB40_348
; %bb.347:
	scratch_load_b64 v[86:87], v39, off
	ds_load_b64 v[88:89], v1
	s_wait_loadcnt_dscnt 0x0
	v_pk_mul_f32 v[90:91], v[88:89], v[86:87] op_sel:[1,1] op_sel_hi:[0,1]
	s_delay_alu instid0(VALU_DEP_1) | instskip(SKIP_1) | instid1(VALU_DEP_2)
	v_pk_fma_f32 v[92:93], v[88:89], v[86:87], v[90:91] op_sel_hi:[1,0,1]
	v_pk_fma_f32 v[86:87], v[88:89], v[86:87], v[90:91] neg_lo:[0,0,1] neg_hi:[0,0,1]
	v_mov_b32_e32 v87, v93
	s_cbranch_execz .LBB40_349
	s_branch .LBB40_350
.LBB40_348:
                                        ; implicit-def: $vgpr86_vgpr87
.LBB40_349:
	ds_load_b64 v[86:87], v1
.LBB40_350:
	s_and_saveexec_b32 s9, s0
	s_cbranch_execz .LBB40_354
; %bb.351:
	v_add_nc_u32_e32 v88, -6, v0
	s_movk_i32 s10, 0x180
	s_mov_b32 s0, 0
.LBB40_352:                             ; =>This Inner Loop Header: Depth=1
	scratch_load_b64 v[90:91], off, s8
	v_dual_mov_b32 v89, s10 :: v_dual_add_nc_u32 v88, -1, v88
	s_add_co_i32 s10, s10, 8
	s_wait_xcnt 0x0
	s_add_co_i32 s8, s8, 8
	ds_load_b64 v[92:93], v89
	v_cmp_eq_u32_e32 vcc_lo, 0, v88
	s_or_b32 s0, vcc_lo, s0
	s_wait_loadcnt_dscnt 0x0
	v_pk_mul_f32 v[94:95], v[92:93], v[90:91] op_sel:[1,1] op_sel_hi:[0,1]
	s_delay_alu instid0(VALU_DEP_1) | instskip(SKIP_1) | instid1(VALU_DEP_2)
	v_pk_fma_f32 v[96:97], v[92:93], v[90:91], v[94:95] op_sel_hi:[1,0,1]
	v_pk_fma_f32 v[90:91], v[92:93], v[90:91], v[94:95] neg_lo:[0,0,1] neg_hi:[0,0,1]
	v_mov_b32_e32 v91, v97
	s_delay_alu instid0(VALU_DEP_1)
	v_pk_add_f32 v[86:87], v[86:87], v[90:91]
	s_and_not1_b32 exec_lo, exec_lo, s0
	s_cbranch_execnz .LBB40_352
; %bb.353:
	s_or_b32 exec_lo, exec_lo, s0
.LBB40_354:
	s_delay_alu instid0(SALU_CYCLE_1) | instskip(SKIP_4) | instid1(VALU_DEP_1)
	s_or_b32 exec_lo, exec_lo, s9
	v_mov_b32_e32 v88, 0
	ds_load_b64 v[88:89], v88 offset:40
	s_wait_dscnt 0x0
	v_pk_mul_f32 v[90:91], v[86:87], v[88:89] op_sel:[1,1] op_sel_hi:[0,1]
	v_pk_fma_f32 v[92:93], v[86:87], v[88:89], v[90:91] op_sel_hi:[1,0,1]
	v_pk_fma_f32 v[86:87], v[86:87], v[88:89], v[90:91] neg_lo:[0,0,1] neg_hi:[0,0,1]
	s_delay_alu instid0(VALU_DEP_2)
	v_mov_b32_e32 v87, v93
	scratch_store_b64 off, v[86:87], off offset:40
.LBB40_355:
	s_wait_xcnt 0x0
	s_or_b32 exec_lo, exec_lo, s2
	scratch_load_b64 v[86:87], off, off offset:32
	v_cmp_lt_u32_e64 s0, 4, v0
	s_wait_loadcnt 0x0
	ds_store_b64 v1, v[86:87]
	s_wait_storecnt_dscnt 0x0
	s_barrier_signal -1
	s_barrier_wait -1
	s_wait_xcnt 0x0
	s_and_saveexec_b32 s2, s0
	s_cbranch_execz .LBB40_365
; %bb.356:
	s_and_not1_b32 vcc_lo, exec_lo, s3
	s_cbranch_vccnz .LBB40_358
; %bb.357:
	scratch_load_b64 v[86:87], v39, off
	ds_load_b64 v[88:89], v1
	s_wait_loadcnt_dscnt 0x0
	v_pk_mul_f32 v[90:91], v[88:89], v[86:87] op_sel:[1,1] op_sel_hi:[0,1]
	s_delay_alu instid0(VALU_DEP_1) | instskip(SKIP_1) | instid1(VALU_DEP_2)
	v_pk_fma_f32 v[92:93], v[88:89], v[86:87], v[90:91] op_sel_hi:[1,0,1]
	v_pk_fma_f32 v[86:87], v[88:89], v[86:87], v[90:91] neg_lo:[0,0,1] neg_hi:[0,0,1]
	v_mov_b32_e32 v87, v93
	s_cbranch_execz .LBB40_359
	s_branch .LBB40_360
.LBB40_358:
                                        ; implicit-def: $vgpr86_vgpr87
.LBB40_359:
	ds_load_b64 v[86:87], v1
.LBB40_360:
	s_and_saveexec_b32 s8, s1
	s_cbranch_execz .LBB40_364
; %bb.361:
	v_add_nc_u32_e32 v88, -5, v0
	s_mov_b32 s1, 40
	s_movk_i32 s10, 0x178
	s_mov_b32 s9, 0
.LBB40_362:                             ; =>This Inner Loop Header: Depth=1
	scratch_load_b64 v[90:91], off, s1
	v_dual_mov_b32 v89, s10 :: v_dual_add_nc_u32 v88, -1, v88
	s_add_co_i32 s10, s10, 8
	s_wait_xcnt 0x0
	s_add_co_i32 s1, s1, 8
	ds_load_b64 v[92:93], v89
	v_cmp_eq_u32_e32 vcc_lo, 0, v88
	s_or_b32 s9, vcc_lo, s9
	s_wait_loadcnt_dscnt 0x0
	v_pk_mul_f32 v[94:95], v[92:93], v[90:91] op_sel:[1,1] op_sel_hi:[0,1]
	s_delay_alu instid0(VALU_DEP_1) | instskip(SKIP_1) | instid1(VALU_DEP_2)
	v_pk_fma_f32 v[96:97], v[92:93], v[90:91], v[94:95] op_sel_hi:[1,0,1]
	v_pk_fma_f32 v[90:91], v[92:93], v[90:91], v[94:95] neg_lo:[0,0,1] neg_hi:[0,0,1]
	v_mov_b32_e32 v91, v97
	s_delay_alu instid0(VALU_DEP_1)
	v_pk_add_f32 v[86:87], v[86:87], v[90:91]
	s_and_not1_b32 exec_lo, exec_lo, s9
	s_cbranch_execnz .LBB40_362
; %bb.363:
	s_or_b32 exec_lo, exec_lo, s9
.LBB40_364:
	s_delay_alu instid0(SALU_CYCLE_1) | instskip(SKIP_4) | instid1(VALU_DEP_1)
	s_or_b32 exec_lo, exec_lo, s8
	v_mov_b32_e32 v88, 0
	ds_load_b64 v[88:89], v88 offset:32
	s_wait_dscnt 0x0
	v_pk_mul_f32 v[90:91], v[86:87], v[88:89] op_sel:[1,1] op_sel_hi:[0,1]
	v_pk_fma_f32 v[92:93], v[86:87], v[88:89], v[90:91] op_sel_hi:[1,0,1]
	v_pk_fma_f32 v[86:87], v[86:87], v[88:89], v[90:91] neg_lo:[0,0,1] neg_hi:[0,0,1]
	s_delay_alu instid0(VALU_DEP_2)
	v_mov_b32_e32 v87, v93
	scratch_store_b64 off, v[86:87], off offset:32
.LBB40_365:
	s_wait_xcnt 0x0
	s_or_b32 exec_lo, exec_lo, s2
	scratch_load_b64 v[86:87], off, off offset:24
	v_cmp_lt_u32_e64 s2, 3, v0
	s_wait_loadcnt 0x0
	ds_store_b64 v1, v[86:87]
	s_wait_storecnt_dscnt 0x0
	s_barrier_signal -1
	s_barrier_wait -1
	s_wait_xcnt 0x0
	s_and_saveexec_b32 s1, s2
	s_cbranch_execz .LBB40_375
; %bb.366:
	s_and_not1_b32 vcc_lo, exec_lo, s3
	s_cbranch_vccnz .LBB40_368
; %bb.367:
	scratch_load_b64 v[86:87], v39, off
	ds_load_b64 v[88:89], v1
	s_wait_loadcnt_dscnt 0x0
	v_pk_mul_f32 v[90:91], v[88:89], v[86:87] op_sel:[1,1] op_sel_hi:[0,1]
	s_delay_alu instid0(VALU_DEP_1) | instskip(SKIP_1) | instid1(VALU_DEP_2)
	v_pk_fma_f32 v[92:93], v[88:89], v[86:87], v[90:91] op_sel_hi:[1,0,1]
	v_pk_fma_f32 v[86:87], v[88:89], v[86:87], v[90:91] neg_lo:[0,0,1] neg_hi:[0,0,1]
	v_mov_b32_e32 v87, v93
	s_cbranch_execz .LBB40_369
	s_branch .LBB40_370
.LBB40_368:
                                        ; implicit-def: $vgpr86_vgpr87
.LBB40_369:
	ds_load_b64 v[86:87], v1
.LBB40_370:
	s_and_saveexec_b32 s8, s0
	s_cbranch_execz .LBB40_374
; %bb.371:
	v_add_nc_u32_e32 v88, -4, v0
	s_movk_i32 s9, 0x170
	s_mov_b32 s0, 0
.LBB40_372:                             ; =>This Inner Loop Header: Depth=1
	scratch_load_b64 v[90:91], off, s5
	v_dual_mov_b32 v89, s9 :: v_dual_add_nc_u32 v88, -1, v88
	s_add_co_i32 s9, s9, 8
	s_wait_xcnt 0x0
	s_add_co_i32 s5, s5, 8
	ds_load_b64 v[92:93], v89
	v_cmp_eq_u32_e32 vcc_lo, 0, v88
	s_or_b32 s0, vcc_lo, s0
	s_wait_loadcnt_dscnt 0x0
	v_pk_mul_f32 v[94:95], v[92:93], v[90:91] op_sel:[1,1] op_sel_hi:[0,1]
	s_delay_alu instid0(VALU_DEP_1) | instskip(SKIP_1) | instid1(VALU_DEP_2)
	v_pk_fma_f32 v[96:97], v[92:93], v[90:91], v[94:95] op_sel_hi:[1,0,1]
	v_pk_fma_f32 v[90:91], v[92:93], v[90:91], v[94:95] neg_lo:[0,0,1] neg_hi:[0,0,1]
	v_mov_b32_e32 v91, v97
	s_delay_alu instid0(VALU_DEP_1)
	v_pk_add_f32 v[86:87], v[86:87], v[90:91]
	s_and_not1_b32 exec_lo, exec_lo, s0
	s_cbranch_execnz .LBB40_372
; %bb.373:
	s_or_b32 exec_lo, exec_lo, s0
.LBB40_374:
	s_delay_alu instid0(SALU_CYCLE_1) | instskip(SKIP_4) | instid1(VALU_DEP_1)
	s_or_b32 exec_lo, exec_lo, s8
	v_mov_b32_e32 v88, 0
	ds_load_b64 v[88:89], v88 offset:24
	s_wait_dscnt 0x0
	v_pk_mul_f32 v[90:91], v[86:87], v[88:89] op_sel:[1,1] op_sel_hi:[0,1]
	v_pk_fma_f32 v[92:93], v[86:87], v[88:89], v[90:91] op_sel_hi:[1,0,1]
	v_pk_fma_f32 v[86:87], v[86:87], v[88:89], v[90:91] neg_lo:[0,0,1] neg_hi:[0,0,1]
	s_delay_alu instid0(VALU_DEP_2)
	v_mov_b32_e32 v87, v93
	scratch_store_b64 off, v[86:87], off offset:24
.LBB40_375:
	s_wait_xcnt 0x0
	s_or_b32 exec_lo, exec_lo, s1
	scratch_load_b64 v[86:87], off, off offset:16
	v_cmp_lt_u32_e64 s1, 2, v0
	s_wait_loadcnt 0x0
	ds_store_b64 v1, v[86:87]
	s_wait_storecnt_dscnt 0x0
	s_barrier_signal -1
	s_barrier_wait -1
	s_wait_xcnt 0x0
	s_and_saveexec_b32 s0, s1
	s_cbranch_execz .LBB40_385
; %bb.376:
	s_and_not1_b32 vcc_lo, exec_lo, s3
	s_cbranch_vccnz .LBB40_378
; %bb.377:
	scratch_load_b64 v[86:87], v39, off
	ds_load_b64 v[88:89], v1
	s_wait_loadcnt_dscnt 0x0
	v_pk_mul_f32 v[90:91], v[88:89], v[86:87] op_sel:[1,1] op_sel_hi:[0,1]
	s_delay_alu instid0(VALU_DEP_1) | instskip(SKIP_1) | instid1(VALU_DEP_2)
	v_pk_fma_f32 v[92:93], v[88:89], v[86:87], v[90:91] op_sel_hi:[1,0,1]
	v_pk_fma_f32 v[86:87], v[88:89], v[86:87], v[90:91] neg_lo:[0,0,1] neg_hi:[0,0,1]
	v_mov_b32_e32 v87, v93
	s_cbranch_execz .LBB40_379
	s_branch .LBB40_380
.LBB40_378:
                                        ; implicit-def: $vgpr86_vgpr87
.LBB40_379:
	ds_load_b64 v[86:87], v1
.LBB40_380:
	s_and_saveexec_b32 s5, s2
	s_cbranch_execz .LBB40_384
; %bb.381:
	v_add_nc_u32_e32 v88, -3, v0
	s_mov_b32 s2, 24
	s_movk_i32 s9, 0x168
	s_mov_b32 s8, 0
.LBB40_382:                             ; =>This Inner Loop Header: Depth=1
	scratch_load_b64 v[90:91], off, s2
	v_dual_mov_b32 v89, s9 :: v_dual_add_nc_u32 v88, -1, v88
	s_add_co_i32 s9, s9, 8
	s_wait_xcnt 0x0
	s_add_co_i32 s2, s2, 8
	ds_load_b64 v[92:93], v89
	v_cmp_eq_u32_e32 vcc_lo, 0, v88
	s_or_b32 s8, vcc_lo, s8
	s_wait_loadcnt_dscnt 0x0
	v_pk_mul_f32 v[94:95], v[92:93], v[90:91] op_sel:[1,1] op_sel_hi:[0,1]
	s_delay_alu instid0(VALU_DEP_1) | instskip(SKIP_1) | instid1(VALU_DEP_2)
	v_pk_fma_f32 v[96:97], v[92:93], v[90:91], v[94:95] op_sel_hi:[1,0,1]
	v_pk_fma_f32 v[90:91], v[92:93], v[90:91], v[94:95] neg_lo:[0,0,1] neg_hi:[0,0,1]
	v_mov_b32_e32 v91, v97
	s_delay_alu instid0(VALU_DEP_1)
	v_pk_add_f32 v[86:87], v[86:87], v[90:91]
	s_and_not1_b32 exec_lo, exec_lo, s8
	s_cbranch_execnz .LBB40_382
; %bb.383:
	s_or_b32 exec_lo, exec_lo, s8
.LBB40_384:
	s_delay_alu instid0(SALU_CYCLE_1) | instskip(SKIP_4) | instid1(VALU_DEP_1)
	s_or_b32 exec_lo, exec_lo, s5
	v_mov_b32_e32 v88, 0
	ds_load_b64 v[88:89], v88 offset:16
	s_wait_dscnt 0x0
	v_pk_mul_f32 v[90:91], v[86:87], v[88:89] op_sel:[1,1] op_sel_hi:[0,1]
	v_pk_fma_f32 v[92:93], v[86:87], v[88:89], v[90:91] op_sel_hi:[1,0,1]
	v_pk_fma_f32 v[86:87], v[86:87], v[88:89], v[90:91] neg_lo:[0,0,1] neg_hi:[0,0,1]
	s_delay_alu instid0(VALU_DEP_2)
	v_mov_b32_e32 v87, v93
	scratch_store_b64 off, v[86:87], off offset:16
.LBB40_385:
	s_wait_xcnt 0x0
	s_or_b32 exec_lo, exec_lo, s0
	scratch_load_b64 v[86:87], off, off offset:8
	v_cmp_lt_u32_e64 s0, 1, v0
	s_wait_loadcnt 0x0
	ds_store_b64 v1, v[86:87]
	s_wait_storecnt_dscnt 0x0
	s_barrier_signal -1
	s_barrier_wait -1
	s_wait_xcnt 0x0
	s_and_saveexec_b32 s2, s0
	s_cbranch_execz .LBB40_395
; %bb.386:
	s_and_not1_b32 vcc_lo, exec_lo, s3
	s_cbranch_vccnz .LBB40_388
; %bb.387:
	scratch_load_b64 v[86:87], v39, off
	ds_load_b64 v[88:89], v1
	s_wait_loadcnt_dscnt 0x0
	v_pk_mul_f32 v[90:91], v[88:89], v[86:87] op_sel:[1,1] op_sel_hi:[0,1]
	s_delay_alu instid0(VALU_DEP_1) | instskip(SKIP_1) | instid1(VALU_DEP_2)
	v_pk_fma_f32 v[92:93], v[88:89], v[86:87], v[90:91] op_sel_hi:[1,0,1]
	v_pk_fma_f32 v[86:87], v[88:89], v[86:87], v[90:91] neg_lo:[0,0,1] neg_hi:[0,0,1]
	v_mov_b32_e32 v87, v93
	s_cbranch_execz .LBB40_389
	s_branch .LBB40_390
.LBB40_388:
                                        ; implicit-def: $vgpr86_vgpr87
.LBB40_389:
	ds_load_b64 v[86:87], v1
.LBB40_390:
	s_and_saveexec_b32 s5, s1
	s_cbranch_execz .LBB40_394
; %bb.391:
	v_add_nc_u32_e32 v88, -2, v0
	s_movk_i32 s8, 0x160
	s_mov_b32 s1, 0
.LBB40_392:                             ; =>This Inner Loop Header: Depth=1
	scratch_load_b64 v[90:91], off, s4
	v_dual_mov_b32 v89, s8 :: v_dual_add_nc_u32 v88, -1, v88
	s_add_co_i32 s8, s8, 8
	s_wait_xcnt 0x0
	s_add_co_i32 s4, s4, 8
	ds_load_b64 v[92:93], v89
	v_cmp_eq_u32_e32 vcc_lo, 0, v88
	s_or_b32 s1, vcc_lo, s1
	s_wait_loadcnt_dscnt 0x0
	v_pk_mul_f32 v[94:95], v[92:93], v[90:91] op_sel:[1,1] op_sel_hi:[0,1]
	s_delay_alu instid0(VALU_DEP_1) | instskip(SKIP_1) | instid1(VALU_DEP_2)
	v_pk_fma_f32 v[96:97], v[92:93], v[90:91], v[94:95] op_sel_hi:[1,0,1]
	v_pk_fma_f32 v[90:91], v[92:93], v[90:91], v[94:95] neg_lo:[0,0,1] neg_hi:[0,0,1]
	v_mov_b32_e32 v91, v97
	s_delay_alu instid0(VALU_DEP_1)
	v_pk_add_f32 v[86:87], v[86:87], v[90:91]
	s_and_not1_b32 exec_lo, exec_lo, s1
	s_cbranch_execnz .LBB40_392
; %bb.393:
	s_or_b32 exec_lo, exec_lo, s1
.LBB40_394:
	s_delay_alu instid0(SALU_CYCLE_1) | instskip(SKIP_4) | instid1(VALU_DEP_1)
	s_or_b32 exec_lo, exec_lo, s5
	v_mov_b32_e32 v88, 0
	ds_load_b64 v[88:89], v88 offset:8
	s_wait_dscnt 0x0
	v_pk_mul_f32 v[90:91], v[86:87], v[88:89] op_sel:[1,1] op_sel_hi:[0,1]
	v_pk_fma_f32 v[92:93], v[86:87], v[88:89], v[90:91] op_sel_hi:[1,0,1]
	v_pk_fma_f32 v[86:87], v[86:87], v[88:89], v[90:91] neg_lo:[0,0,1] neg_hi:[0,0,1]
	s_delay_alu instid0(VALU_DEP_2)
	v_mov_b32_e32 v87, v93
	scratch_store_b64 off, v[86:87], off offset:8
.LBB40_395:
	s_wait_xcnt 0x0
	s_or_b32 exec_lo, exec_lo, s2
	scratch_load_b64 v[86:87], off, off
	s_mov_b32 s2, 0
	s_mov_b32 s1, 0
	s_mov_b32 s5, exec_lo
                                        ; implicit-def: $vgpr110
                                        ; implicit-def: $sgpr4
	s_wait_loadcnt 0x0
	ds_store_b64 v1, v[86:87]
	s_wait_storecnt_dscnt 0x0
	s_barrier_signal -1
	s_barrier_wait -1
	s_wait_xcnt 0x0
	v_cmpx_ne_u32_e32 0, v0
	s_cbranch_execz .LBB40_405
; %bb.396:
	s_and_not1_b32 vcc_lo, exec_lo, s3
	s_cbranch_vccnz .LBB40_398
; %bb.397:
	scratch_load_b64 v[88:89], v39, off
	ds_load_b64 v[90:91], v1
	s_wait_loadcnt_dscnt 0x0
	v_dual_mul_f32 v86, v91, v89 :: v_dual_mul_f32 v87, v90, v89
	s_delay_alu instid0(VALU_DEP_1)
	v_dual_fma_f32 v86, v90, v88, -v86 :: v_dual_fmac_f32 v87, v91, v88
	s_and_not1_b32 vcc_lo, exec_lo, s1
	s_cbranch_vccz .LBB40_399
	s_branch .LBB40_400
.LBB40_398:
                                        ; implicit-def: $vgpr86
.LBB40_399:
	ds_load_b64 v[86:87], v1
.LBB40_400:
	s_and_saveexec_b32 s1, s0
	s_cbranch_execz .LBB40_404
; %bb.401:
	v_add_nc_u32_e32 v88, -1, v0
	s_or_b32 s0, 0, 8
	s_movk_i32 s8, 0x158
	s_mov_b32 s4, 0
.LBB40_402:                             ; =>This Inner Loop Header: Depth=1
	scratch_load_b64 v[90:91], off, s0
	v_mov_b32_e32 v89, s8
	s_add_co_i32 s8, s8, 8
	s_wait_xcnt 0x0
	s_add_co_i32 s0, s0, 8
	v_add_nc_u32_e32 v88, -1, v88
	ds_load_b64 v[92:93], v89
	v_cmp_eq_u32_e32 vcc_lo, 0, v88
	s_or_b32 s4, vcc_lo, s4
	s_wait_loadcnt_dscnt 0x0
	v_dual_mul_f32 v89, v93, v91 :: v_dual_mul_f32 v91, v92, v91
	s_delay_alu instid0(VALU_DEP_1) | instskip(NEXT) | instid1(VALU_DEP_1)
	v_dual_fma_f32 v89, v92, v90, -v89 :: v_dual_fmac_f32 v91, v93, v90
	v_dual_add_f32 v86, v86, v89 :: v_dual_add_f32 v87, v87, v91
	s_and_not1_b32 exec_lo, exec_lo, s4
	s_cbranch_execnz .LBB40_402
; %bb.403:
	s_or_b32 exec_lo, exec_lo, s4
.LBB40_404:
	s_delay_alu instid0(SALU_CYCLE_1)
	s_or_b32 exec_lo, exec_lo, s1
	v_mov_b32_e32 v88, 0
	s_mov_b32 s1, exec_lo
	s_or_b32 s4, 0, 4
	ds_load_b64 v[88:89], v88
	s_wait_dscnt 0x0
	v_dual_mul_f32 v90, v87, v89 :: v_dual_mul_f32 v110, v86, v89
	s_delay_alu instid0(VALU_DEP_1) | instskip(NEXT) | instid1(VALU_DEP_2)
	v_fma_f32 v86, v86, v88, -v90
	v_fmac_f32_e32 v110, v87, v88
	scratch_store_b32 off, v86, off
.LBB40_405:
	s_wait_xcnt 0x0
	s_or_b32 exec_lo, exec_lo, s5
	s_delay_alu instid0(SALU_CYCLE_1)
	s_and_b32 vcc_lo, exec_lo, s2
	s_cbranch_vccz .LBB40_801
.LBB40_406:
	scratch_load_b64 v[86:87], off, off offset:8
	v_cmp_eq_u32_e64 s0, 0, v0
	s_wait_loadcnt 0x0
	ds_store_b64 v1, v[86:87]
	s_wait_storecnt_dscnt 0x0
	s_barrier_signal -1
	s_barrier_wait -1
	s_wait_xcnt 0x0
	s_and_saveexec_b32 s2, s0
	s_cbranch_execz .LBB40_412
; %bb.407:
	s_and_b32 vcc_lo, exec_lo, s3
	s_cbranch_vccz .LBB40_409
; %bb.408:
	scratch_load_b64 v[86:87], v39, off
	ds_load_b64 v[88:89], v1
	s_wait_loadcnt_dscnt 0x0
	v_pk_mul_f32 v[90:91], v[88:89], v[86:87] op_sel:[1,1] op_sel_hi:[0,1]
	v_pk_mul_f32 v[92:93], v[88:89], v[86:87] op_sel_hi:[1,0]
	s_delay_alu instid0(VALU_DEP_2) | instskip(NEXT) | instid1(VALU_DEP_2)
	v_pk_fma_f32 v[86:87], v[88:89], v[86:87], v[90:91] op_sel_hi:[1,0,1]
	v_sub_f32_e32 v86, v92, v90
	s_cbranch_execz .LBB40_410
	s_branch .LBB40_411
.LBB40_409:
                                        ; implicit-def: $vgpr87
.LBB40_410:
	ds_load_b64 v[86:87], v1
.LBB40_411:
	s_wait_dscnt 0x0
	v_dual_mov_b32 v88, 0 :: v_dual_mov_b32 v90, v87
	v_mov_b32_e32 v91, v86
	ds_load_b64 v[88:89], v88 offset:8
	s_wait_dscnt 0x0
	v_pk_mul_f32 v[90:91], v[90:91], v[88:89] op_sel:[0,1]
	s_delay_alu instid0(VALU_DEP_1) | instskip(SKIP_1) | instid1(VALU_DEP_2)
	v_pk_fma_f32 v[92:93], v[86:87], v[88:89], v[90:91] op_sel_hi:[1,0,1]
	v_pk_fma_f32 v[86:87], v[86:87], v[88:89], v[90:91] neg_lo:[0,0,1] neg_hi:[0,0,1]
	v_mov_b32_e32 v87, v93
	scratch_store_b64 off, v[86:87], off offset:8
.LBB40_412:
	s_wait_xcnt 0x0
	s_or_b32 exec_lo, exec_lo, s2
	scratch_load_b64 v[86:87], off, off offset:16
	v_cndmask_b32_e64 v88, 0, 1, s3
	s_mov_b32 s2, exec_lo
	s_wait_loadcnt 0x0
	ds_store_b64 v1, v[86:87]
	s_wait_storecnt_dscnt 0x0
	s_barrier_signal -1
	s_barrier_wait -1
	s_wait_xcnt 0x0
	v_cmpx_gt_u32_e32 2, v0
	s_cbranch_execz .LBB40_420
; %bb.413:
	s_and_not1_b32 vcc_lo, exec_lo, s3
	s_cbranch_vccnz .LBB40_415
; %bb.414:
	scratch_load_b64 v[86:87], v39, off
	ds_load_b64 v[90:91], v1
	s_wait_loadcnt_dscnt 0x0
	v_pk_mul_f32 v[92:93], v[90:91], v[86:87] op_sel:[1,1] op_sel_hi:[0,1]
	s_delay_alu instid0(VALU_DEP_1) | instskip(SKIP_1) | instid1(VALU_DEP_2)
	v_pk_fma_f32 v[94:95], v[90:91], v[86:87], v[92:93] op_sel_hi:[1,0,1]
	v_pk_fma_f32 v[86:87], v[90:91], v[86:87], v[92:93] neg_lo:[0,0,1] neg_hi:[0,0,1]
	v_mov_b32_e32 v87, v95
	s_cbranch_execz .LBB40_416
	s_branch .LBB40_417
.LBB40_415:
                                        ; implicit-def: $vgpr86_vgpr87
.LBB40_416:
	ds_load_b64 v[86:87], v1
.LBB40_417:
	s_and_saveexec_b32 s3, s0
	s_cbranch_execz .LBB40_419
; %bb.418:
	scratch_load_b64 v[90:91], off, off offset:8
	v_mov_b32_e32 v89, 0
	ds_load_b64 v[92:93], v89 offset:344
	s_wait_loadcnt_dscnt 0x0
	v_pk_mul_f32 v[94:95], v[92:93], v[90:91] op_sel:[1,1] op_sel_hi:[0,1]
	s_delay_alu instid0(VALU_DEP_1) | instskip(SKIP_1) | instid1(VALU_DEP_2)
	v_pk_fma_f32 v[96:97], v[92:93], v[90:91], v[94:95] op_sel_hi:[1,0,1]
	v_pk_fma_f32 v[90:91], v[92:93], v[90:91], v[94:95] neg_lo:[0,0,1] neg_hi:[0,0,1]
	v_mov_b32_e32 v91, v97
	s_delay_alu instid0(VALU_DEP_1)
	v_pk_add_f32 v[86:87], v[86:87], v[90:91]
.LBB40_419:
	s_or_b32 exec_lo, exec_lo, s3
	v_mov_b32_e32 v89, 0
	ds_load_b64 v[90:91], v89 offset:16
	s_wait_dscnt 0x0
	v_pk_mul_f32 v[92:93], v[86:87], v[90:91] op_sel:[1,1] op_sel_hi:[0,1]
	s_delay_alu instid0(VALU_DEP_1) | instskip(SKIP_1) | instid1(VALU_DEP_2)
	v_pk_fma_f32 v[94:95], v[86:87], v[90:91], v[92:93] op_sel_hi:[1,0,1]
	v_pk_fma_f32 v[86:87], v[86:87], v[90:91], v[92:93] neg_lo:[0,0,1] neg_hi:[0,0,1]
	v_mov_b32_e32 v87, v95
	scratch_store_b64 off, v[86:87], off offset:16
.LBB40_420:
	s_wait_xcnt 0x0
	s_or_b32 exec_lo, exec_lo, s2
	scratch_load_b64 v[86:87], off, off offset:24
	s_mov_b32 s2, exec_lo
	s_wait_loadcnt 0x0
	ds_store_b64 v1, v[86:87]
	s_wait_storecnt_dscnt 0x0
	s_barrier_signal -1
	s_barrier_wait -1
	s_wait_xcnt 0x0
	v_cmpx_gt_u32_e32 3, v0
	s_cbranch_execz .LBB40_430
; %bb.421:
	v_cmp_ne_u32_e32 vcc_lo, 1, v88
	s_cbranch_vccnz .LBB40_423
; %bb.422:
	scratch_load_b64 v[86:87], v39, off
	ds_load_b64 v[90:91], v1
	s_wait_loadcnt_dscnt 0x0
	v_pk_mul_f32 v[92:93], v[90:91], v[86:87] op_sel:[1,1] op_sel_hi:[0,1]
	s_delay_alu instid0(VALU_DEP_1) | instskip(SKIP_1) | instid1(VALU_DEP_2)
	v_pk_fma_f32 v[94:95], v[90:91], v[86:87], v[92:93] op_sel_hi:[1,0,1]
	v_pk_fma_f32 v[86:87], v[90:91], v[86:87], v[92:93] neg_lo:[0,0,1] neg_hi:[0,0,1]
	v_mov_b32_e32 v87, v95
	s_cbranch_execz .LBB40_424
	s_branch .LBB40_425
.LBB40_423:
                                        ; implicit-def: $vgpr86_vgpr87
.LBB40_424:
	ds_load_b64 v[86:87], v1
.LBB40_425:
	s_mov_b32 s3, exec_lo
	v_cmpx_ne_u32_e32 2, v0
	s_cbranch_execz .LBB40_429
; %bb.426:
	scratch_load_b64 v[90:91], v39, off offset:8
	ds_load_b64 v[92:93], v1 offset:8
	s_wait_loadcnt_dscnt 0x0
	v_pk_mul_f32 v[94:95], v[92:93], v[90:91] op_sel:[1,1] op_sel_hi:[0,1]
	s_delay_alu instid0(VALU_DEP_1) | instskip(SKIP_1) | instid1(VALU_DEP_2)
	v_pk_fma_f32 v[96:97], v[92:93], v[90:91], v[94:95] op_sel_hi:[1,0,1]
	v_pk_fma_f32 v[90:91], v[92:93], v[90:91], v[94:95] neg_lo:[0,0,1] neg_hi:[0,0,1]
	v_mov_b32_e32 v91, v97
	s_delay_alu instid0(VALU_DEP_1)
	v_pk_add_f32 v[86:87], v[86:87], v[90:91]
	s_and_saveexec_b32 s4, s0
	s_cbranch_execz .LBB40_428
; %bb.427:
	scratch_load_b64 v[90:91], off, off offset:16
	v_mov_b32_e32 v89, 0
	ds_load_b64 v[92:93], v89 offset:352
	s_wait_loadcnt_dscnt 0x0
	v_pk_mul_f32 v[94:95], v[92:93], v[90:91] op_sel:[1,1] op_sel_hi:[0,1]
	s_delay_alu instid0(VALU_DEP_1) | instskip(SKIP_1) | instid1(VALU_DEP_2)
	v_pk_fma_f32 v[96:97], v[92:93], v[90:91], v[94:95] op_sel_hi:[1,0,1]
	v_pk_fma_f32 v[90:91], v[92:93], v[90:91], v[94:95] neg_lo:[0,0,1] neg_hi:[0,0,1]
	v_mov_b32_e32 v91, v97
	s_delay_alu instid0(VALU_DEP_1)
	v_pk_add_f32 v[86:87], v[86:87], v[90:91]
.LBB40_428:
	s_or_b32 exec_lo, exec_lo, s4
.LBB40_429:
	s_delay_alu instid0(SALU_CYCLE_1) | instskip(SKIP_4) | instid1(VALU_DEP_1)
	s_or_b32 exec_lo, exec_lo, s3
	v_mov_b32_e32 v89, 0
	ds_load_b64 v[90:91], v89 offset:24
	s_wait_dscnt 0x0
	v_pk_mul_f32 v[92:93], v[86:87], v[90:91] op_sel:[1,1] op_sel_hi:[0,1]
	v_pk_fma_f32 v[94:95], v[86:87], v[90:91], v[92:93] op_sel_hi:[1,0,1]
	v_pk_fma_f32 v[86:87], v[86:87], v[90:91], v[92:93] neg_lo:[0,0,1] neg_hi:[0,0,1]
	s_delay_alu instid0(VALU_DEP_2)
	v_mov_b32_e32 v87, v95
	scratch_store_b64 off, v[86:87], off offset:24
.LBB40_430:
	s_wait_xcnt 0x0
	s_or_b32 exec_lo, exec_lo, s2
	scratch_load_b64 v[86:87], off, off offset:32
	s_mov_b32 s0, exec_lo
	s_wait_loadcnt 0x0
	ds_store_b64 v1, v[86:87]
	s_wait_storecnt_dscnt 0x0
	s_barrier_signal -1
	s_barrier_wait -1
	s_wait_xcnt 0x0
	v_cmpx_gt_u32_e32 4, v0
	s_cbranch_execz .LBB40_440
; %bb.431:
	v_cmp_ne_u32_e32 vcc_lo, 1, v88
	s_cbranch_vccnz .LBB40_433
; %bb.432:
	scratch_load_b64 v[86:87], v39, off
	ds_load_b64 v[90:91], v1
	s_wait_loadcnt_dscnt 0x0
	v_pk_mul_f32 v[92:93], v[90:91], v[86:87] op_sel:[1,1] op_sel_hi:[0,1]
	s_delay_alu instid0(VALU_DEP_1) | instskip(SKIP_1) | instid1(VALU_DEP_2)
	v_pk_fma_f32 v[94:95], v[90:91], v[86:87], v[92:93] op_sel_hi:[1,0,1]
	v_pk_fma_f32 v[86:87], v[90:91], v[86:87], v[92:93] neg_lo:[0,0,1] neg_hi:[0,0,1]
	v_mov_b32_e32 v87, v95
	s_cbranch_execz .LBB40_434
	s_branch .LBB40_435
.LBB40_433:
                                        ; implicit-def: $vgpr86_vgpr87
.LBB40_434:
	ds_load_b64 v[86:87], v1
.LBB40_435:
	s_mov_b32 s2, exec_lo
	v_cmpx_ne_u32_e32 3, v0
	s_cbranch_execz .LBB40_439
; %bb.436:
	v_add_nc_u32_e32 v89, 0x158, v38
	v_add3_u32 v90, 0, v38, 8
	v_mov_b32_e32 v91, v0
	s_mov_b32 s3, 0
.LBB40_437:                             ; =>This Inner Loop Header: Depth=1
	scratch_load_b64 v[92:93], v90, off
	ds_load_b64 v[94:95], v89
	s_wait_xcnt 0x0
	v_dual_add_nc_u32 v89, 8, v89 :: v_dual_add_nc_u32 v90, 8, v90
	s_wait_loadcnt_dscnt 0x0
	v_pk_mul_f32 v[96:97], v[94:95], v[92:93] op_sel:[1,1] op_sel_hi:[0,1]
	s_delay_alu instid0(VALU_DEP_1) | instskip(SKIP_2) | instid1(VALU_DEP_3)
	v_pk_fma_f32 v[98:99], v[94:95], v[92:93], v[96:97] op_sel_hi:[1,0,1]
	v_add_nc_u32_e32 v91, 1, v91
	v_pk_fma_f32 v[92:93], v[94:95], v[92:93], v[96:97] neg_lo:[0,0,1] neg_hi:[0,0,1]
	v_mov_b32_e32 v93, v99
	s_delay_alu instid0(VALU_DEP_3) | instskip(NEXT) | instid1(VALU_DEP_2)
	v_cmp_lt_u32_e32 vcc_lo, 2, v91
	v_pk_add_f32 v[86:87], v[86:87], v[92:93]
	s_or_b32 s3, vcc_lo, s3
	s_delay_alu instid0(SALU_CYCLE_1)
	s_and_not1_b32 exec_lo, exec_lo, s3
	s_cbranch_execnz .LBB40_437
; %bb.438:
	s_or_b32 exec_lo, exec_lo, s3
.LBB40_439:
	s_delay_alu instid0(SALU_CYCLE_1) | instskip(SKIP_4) | instid1(VALU_DEP_1)
	s_or_b32 exec_lo, exec_lo, s2
	v_mov_b32_e32 v89, 0
	ds_load_b64 v[90:91], v89 offset:32
	s_wait_dscnt 0x0
	v_pk_mul_f32 v[92:93], v[86:87], v[90:91] op_sel:[1,1] op_sel_hi:[0,1]
	v_pk_fma_f32 v[94:95], v[86:87], v[90:91], v[92:93] op_sel_hi:[1,0,1]
	v_pk_fma_f32 v[86:87], v[86:87], v[90:91], v[92:93] neg_lo:[0,0,1] neg_hi:[0,0,1]
	s_delay_alu instid0(VALU_DEP_2)
	v_mov_b32_e32 v87, v95
	scratch_store_b64 off, v[86:87], off offset:32
.LBB40_440:
	s_wait_xcnt 0x0
	s_or_b32 exec_lo, exec_lo, s0
	scratch_load_b64 v[86:87], off, off offset:40
	s_mov_b32 s0, exec_lo
	s_wait_loadcnt 0x0
	ds_store_b64 v1, v[86:87]
	s_wait_storecnt_dscnt 0x0
	s_barrier_signal -1
	s_barrier_wait -1
	s_wait_xcnt 0x0
	v_cmpx_gt_u32_e32 5, v0
	s_cbranch_execz .LBB40_450
; %bb.441:
	v_cmp_ne_u32_e32 vcc_lo, 1, v88
	s_cbranch_vccnz .LBB40_443
; %bb.442:
	scratch_load_b64 v[86:87], v39, off
	ds_load_b64 v[90:91], v1
	s_wait_loadcnt_dscnt 0x0
	v_pk_mul_f32 v[92:93], v[90:91], v[86:87] op_sel:[1,1] op_sel_hi:[0,1]
	s_delay_alu instid0(VALU_DEP_1) | instskip(SKIP_1) | instid1(VALU_DEP_2)
	v_pk_fma_f32 v[94:95], v[90:91], v[86:87], v[92:93] op_sel_hi:[1,0,1]
	v_pk_fma_f32 v[86:87], v[90:91], v[86:87], v[92:93] neg_lo:[0,0,1] neg_hi:[0,0,1]
	v_mov_b32_e32 v87, v95
	s_cbranch_execz .LBB40_444
	s_branch .LBB40_445
.LBB40_443:
                                        ; implicit-def: $vgpr86_vgpr87
.LBB40_444:
	ds_load_b64 v[86:87], v1
.LBB40_445:
	s_mov_b32 s2, exec_lo
	v_cmpx_ne_u32_e32 4, v0
	s_cbranch_execz .LBB40_449
; %bb.446:
	v_add_nc_u32_e32 v89, 0x158, v38
	v_add3_u32 v90, 0, v38, 8
	v_mov_b32_e32 v91, v0
	s_mov_b32 s3, 0
.LBB40_447:                             ; =>This Inner Loop Header: Depth=1
	scratch_load_b64 v[92:93], v90, off
	ds_load_b64 v[94:95], v89
	s_wait_xcnt 0x0
	v_dual_add_nc_u32 v89, 8, v89 :: v_dual_add_nc_u32 v90, 8, v90
	s_wait_loadcnt_dscnt 0x0
	v_pk_mul_f32 v[96:97], v[94:95], v[92:93] op_sel:[1,1] op_sel_hi:[0,1]
	s_delay_alu instid0(VALU_DEP_1) | instskip(SKIP_2) | instid1(VALU_DEP_3)
	v_pk_fma_f32 v[98:99], v[94:95], v[92:93], v[96:97] op_sel_hi:[1,0,1]
	v_add_nc_u32_e32 v91, 1, v91
	v_pk_fma_f32 v[92:93], v[94:95], v[92:93], v[96:97] neg_lo:[0,0,1] neg_hi:[0,0,1]
	v_mov_b32_e32 v93, v99
	s_delay_alu instid0(VALU_DEP_3) | instskip(NEXT) | instid1(VALU_DEP_2)
	v_cmp_lt_u32_e32 vcc_lo, 3, v91
	v_pk_add_f32 v[86:87], v[86:87], v[92:93]
	s_or_b32 s3, vcc_lo, s3
	s_delay_alu instid0(SALU_CYCLE_1)
	s_and_not1_b32 exec_lo, exec_lo, s3
	s_cbranch_execnz .LBB40_447
; %bb.448:
	s_or_b32 exec_lo, exec_lo, s3
.LBB40_449:
	s_delay_alu instid0(SALU_CYCLE_1) | instskip(SKIP_4) | instid1(VALU_DEP_1)
	s_or_b32 exec_lo, exec_lo, s2
	v_mov_b32_e32 v89, 0
	ds_load_b64 v[90:91], v89 offset:40
	s_wait_dscnt 0x0
	v_pk_mul_f32 v[92:93], v[86:87], v[90:91] op_sel:[1,1] op_sel_hi:[0,1]
	v_pk_fma_f32 v[94:95], v[86:87], v[90:91], v[92:93] op_sel_hi:[1,0,1]
	v_pk_fma_f32 v[86:87], v[86:87], v[90:91], v[92:93] neg_lo:[0,0,1] neg_hi:[0,0,1]
	s_delay_alu instid0(VALU_DEP_2)
	v_mov_b32_e32 v87, v95
	scratch_store_b64 off, v[86:87], off offset:40
.LBB40_450:
	s_wait_xcnt 0x0
	s_or_b32 exec_lo, exec_lo, s0
	scratch_load_b64 v[86:87], off, off offset:48
	s_mov_b32 s0, exec_lo
	s_wait_loadcnt 0x0
	ds_store_b64 v1, v[86:87]
	s_wait_storecnt_dscnt 0x0
	s_barrier_signal -1
	s_barrier_wait -1
	s_wait_xcnt 0x0
	v_cmpx_gt_u32_e32 6, v0
	s_cbranch_execz .LBB40_460
; %bb.451:
	v_cmp_ne_u32_e32 vcc_lo, 1, v88
	s_cbranch_vccnz .LBB40_453
; %bb.452:
	scratch_load_b64 v[86:87], v39, off
	ds_load_b64 v[90:91], v1
	s_wait_loadcnt_dscnt 0x0
	v_pk_mul_f32 v[92:93], v[90:91], v[86:87] op_sel:[1,1] op_sel_hi:[0,1]
	s_delay_alu instid0(VALU_DEP_1) | instskip(SKIP_1) | instid1(VALU_DEP_2)
	v_pk_fma_f32 v[94:95], v[90:91], v[86:87], v[92:93] op_sel_hi:[1,0,1]
	v_pk_fma_f32 v[86:87], v[90:91], v[86:87], v[92:93] neg_lo:[0,0,1] neg_hi:[0,0,1]
	v_mov_b32_e32 v87, v95
	s_cbranch_execz .LBB40_454
	s_branch .LBB40_455
.LBB40_453:
                                        ; implicit-def: $vgpr86_vgpr87
.LBB40_454:
	ds_load_b64 v[86:87], v1
.LBB40_455:
	s_mov_b32 s2, exec_lo
	v_cmpx_ne_u32_e32 5, v0
	s_cbranch_execz .LBB40_459
; %bb.456:
	v_add_nc_u32_e32 v89, 0x158, v38
	v_add3_u32 v90, 0, v38, 8
	v_mov_b32_e32 v91, v0
	s_mov_b32 s3, 0
.LBB40_457:                             ; =>This Inner Loop Header: Depth=1
	scratch_load_b64 v[92:93], v90, off
	ds_load_b64 v[94:95], v89
	s_wait_xcnt 0x0
	v_dual_add_nc_u32 v89, 8, v89 :: v_dual_add_nc_u32 v90, 8, v90
	s_wait_loadcnt_dscnt 0x0
	v_pk_mul_f32 v[96:97], v[94:95], v[92:93] op_sel:[1,1] op_sel_hi:[0,1]
	s_delay_alu instid0(VALU_DEP_1) | instskip(SKIP_2) | instid1(VALU_DEP_3)
	v_pk_fma_f32 v[98:99], v[94:95], v[92:93], v[96:97] op_sel_hi:[1,0,1]
	v_add_nc_u32_e32 v91, 1, v91
	v_pk_fma_f32 v[92:93], v[94:95], v[92:93], v[96:97] neg_lo:[0,0,1] neg_hi:[0,0,1]
	v_mov_b32_e32 v93, v99
	s_delay_alu instid0(VALU_DEP_3) | instskip(NEXT) | instid1(VALU_DEP_2)
	v_cmp_lt_u32_e32 vcc_lo, 4, v91
	v_pk_add_f32 v[86:87], v[86:87], v[92:93]
	s_or_b32 s3, vcc_lo, s3
	s_delay_alu instid0(SALU_CYCLE_1)
	s_and_not1_b32 exec_lo, exec_lo, s3
	s_cbranch_execnz .LBB40_457
; %bb.458:
	s_or_b32 exec_lo, exec_lo, s3
.LBB40_459:
	s_delay_alu instid0(SALU_CYCLE_1) | instskip(SKIP_4) | instid1(VALU_DEP_1)
	s_or_b32 exec_lo, exec_lo, s2
	v_mov_b32_e32 v89, 0
	ds_load_b64 v[90:91], v89 offset:48
	s_wait_dscnt 0x0
	v_pk_mul_f32 v[92:93], v[86:87], v[90:91] op_sel:[1,1] op_sel_hi:[0,1]
	v_pk_fma_f32 v[94:95], v[86:87], v[90:91], v[92:93] op_sel_hi:[1,0,1]
	v_pk_fma_f32 v[86:87], v[86:87], v[90:91], v[92:93] neg_lo:[0,0,1] neg_hi:[0,0,1]
	s_delay_alu instid0(VALU_DEP_2)
	v_mov_b32_e32 v87, v95
	scratch_store_b64 off, v[86:87], off offset:48
.LBB40_460:
	s_wait_xcnt 0x0
	s_or_b32 exec_lo, exec_lo, s0
	scratch_load_b64 v[86:87], off, off offset:56
	s_mov_b32 s0, exec_lo
	s_wait_loadcnt 0x0
	ds_store_b64 v1, v[86:87]
	s_wait_storecnt_dscnt 0x0
	s_barrier_signal -1
	s_barrier_wait -1
	s_wait_xcnt 0x0
	v_cmpx_gt_u32_e32 7, v0
	s_cbranch_execz .LBB40_470
; %bb.461:
	v_cmp_ne_u32_e32 vcc_lo, 1, v88
	s_cbranch_vccnz .LBB40_463
; %bb.462:
	scratch_load_b64 v[86:87], v39, off
	ds_load_b64 v[90:91], v1
	s_wait_loadcnt_dscnt 0x0
	v_pk_mul_f32 v[92:93], v[90:91], v[86:87] op_sel:[1,1] op_sel_hi:[0,1]
	s_delay_alu instid0(VALU_DEP_1) | instskip(SKIP_1) | instid1(VALU_DEP_2)
	v_pk_fma_f32 v[94:95], v[90:91], v[86:87], v[92:93] op_sel_hi:[1,0,1]
	v_pk_fma_f32 v[86:87], v[90:91], v[86:87], v[92:93] neg_lo:[0,0,1] neg_hi:[0,0,1]
	v_mov_b32_e32 v87, v95
	s_cbranch_execz .LBB40_464
	s_branch .LBB40_465
.LBB40_463:
                                        ; implicit-def: $vgpr86_vgpr87
.LBB40_464:
	ds_load_b64 v[86:87], v1
.LBB40_465:
	s_mov_b32 s2, exec_lo
	v_cmpx_ne_u32_e32 6, v0
	s_cbranch_execz .LBB40_469
; %bb.466:
	v_add_nc_u32_e32 v89, 0x158, v38
	v_add3_u32 v90, 0, v38, 8
	v_mov_b32_e32 v91, v0
	s_mov_b32 s3, 0
.LBB40_467:                             ; =>This Inner Loop Header: Depth=1
	scratch_load_b64 v[92:93], v90, off
	ds_load_b64 v[94:95], v89
	s_wait_xcnt 0x0
	v_dual_add_nc_u32 v89, 8, v89 :: v_dual_add_nc_u32 v90, 8, v90
	s_wait_loadcnt_dscnt 0x0
	v_pk_mul_f32 v[96:97], v[94:95], v[92:93] op_sel:[1,1] op_sel_hi:[0,1]
	s_delay_alu instid0(VALU_DEP_1) | instskip(SKIP_2) | instid1(VALU_DEP_3)
	v_pk_fma_f32 v[98:99], v[94:95], v[92:93], v[96:97] op_sel_hi:[1,0,1]
	v_add_nc_u32_e32 v91, 1, v91
	v_pk_fma_f32 v[92:93], v[94:95], v[92:93], v[96:97] neg_lo:[0,0,1] neg_hi:[0,0,1]
	v_mov_b32_e32 v93, v99
	s_delay_alu instid0(VALU_DEP_3) | instskip(NEXT) | instid1(VALU_DEP_2)
	v_cmp_lt_u32_e32 vcc_lo, 5, v91
	v_pk_add_f32 v[86:87], v[86:87], v[92:93]
	s_or_b32 s3, vcc_lo, s3
	s_delay_alu instid0(SALU_CYCLE_1)
	s_and_not1_b32 exec_lo, exec_lo, s3
	s_cbranch_execnz .LBB40_467
; %bb.468:
	s_or_b32 exec_lo, exec_lo, s3
.LBB40_469:
	s_delay_alu instid0(SALU_CYCLE_1) | instskip(SKIP_4) | instid1(VALU_DEP_1)
	s_or_b32 exec_lo, exec_lo, s2
	v_mov_b32_e32 v89, 0
	ds_load_b64 v[90:91], v89 offset:56
	s_wait_dscnt 0x0
	v_pk_mul_f32 v[92:93], v[86:87], v[90:91] op_sel:[1,1] op_sel_hi:[0,1]
	v_pk_fma_f32 v[94:95], v[86:87], v[90:91], v[92:93] op_sel_hi:[1,0,1]
	v_pk_fma_f32 v[86:87], v[86:87], v[90:91], v[92:93] neg_lo:[0,0,1] neg_hi:[0,0,1]
	s_delay_alu instid0(VALU_DEP_2)
	v_mov_b32_e32 v87, v95
	scratch_store_b64 off, v[86:87], off offset:56
.LBB40_470:
	s_wait_xcnt 0x0
	s_or_b32 exec_lo, exec_lo, s0
	scratch_load_b64 v[86:87], off, off offset:64
	s_mov_b32 s0, exec_lo
	s_wait_loadcnt 0x0
	ds_store_b64 v1, v[86:87]
	s_wait_storecnt_dscnt 0x0
	s_barrier_signal -1
	s_barrier_wait -1
	s_wait_xcnt 0x0
	v_cmpx_gt_u32_e32 8, v0
	s_cbranch_execz .LBB40_480
; %bb.471:
	v_cmp_ne_u32_e32 vcc_lo, 1, v88
	s_cbranch_vccnz .LBB40_473
; %bb.472:
	scratch_load_b64 v[86:87], v39, off
	ds_load_b64 v[90:91], v1
	s_wait_loadcnt_dscnt 0x0
	v_pk_mul_f32 v[92:93], v[90:91], v[86:87] op_sel:[1,1] op_sel_hi:[0,1]
	s_delay_alu instid0(VALU_DEP_1) | instskip(SKIP_1) | instid1(VALU_DEP_2)
	v_pk_fma_f32 v[94:95], v[90:91], v[86:87], v[92:93] op_sel_hi:[1,0,1]
	v_pk_fma_f32 v[86:87], v[90:91], v[86:87], v[92:93] neg_lo:[0,0,1] neg_hi:[0,0,1]
	v_mov_b32_e32 v87, v95
	s_cbranch_execz .LBB40_474
	s_branch .LBB40_475
.LBB40_473:
                                        ; implicit-def: $vgpr86_vgpr87
.LBB40_474:
	ds_load_b64 v[86:87], v1
.LBB40_475:
	s_mov_b32 s2, exec_lo
	v_cmpx_ne_u32_e32 7, v0
	s_cbranch_execz .LBB40_479
; %bb.476:
	v_add_nc_u32_e32 v89, 0x158, v38
	v_add3_u32 v90, 0, v38, 8
	v_mov_b32_e32 v91, v0
	s_mov_b32 s3, 0
.LBB40_477:                             ; =>This Inner Loop Header: Depth=1
	scratch_load_b64 v[92:93], v90, off
	ds_load_b64 v[94:95], v89
	s_wait_xcnt 0x0
	v_dual_add_nc_u32 v89, 8, v89 :: v_dual_add_nc_u32 v90, 8, v90
	s_wait_loadcnt_dscnt 0x0
	v_pk_mul_f32 v[96:97], v[94:95], v[92:93] op_sel:[1,1] op_sel_hi:[0,1]
	s_delay_alu instid0(VALU_DEP_1) | instskip(SKIP_2) | instid1(VALU_DEP_3)
	v_pk_fma_f32 v[98:99], v[94:95], v[92:93], v[96:97] op_sel_hi:[1,0,1]
	v_add_nc_u32_e32 v91, 1, v91
	v_pk_fma_f32 v[92:93], v[94:95], v[92:93], v[96:97] neg_lo:[0,0,1] neg_hi:[0,0,1]
	v_mov_b32_e32 v93, v99
	s_delay_alu instid0(VALU_DEP_3) | instskip(NEXT) | instid1(VALU_DEP_2)
	v_cmp_lt_u32_e32 vcc_lo, 6, v91
	v_pk_add_f32 v[86:87], v[86:87], v[92:93]
	s_or_b32 s3, vcc_lo, s3
	s_delay_alu instid0(SALU_CYCLE_1)
	s_and_not1_b32 exec_lo, exec_lo, s3
	s_cbranch_execnz .LBB40_477
; %bb.478:
	s_or_b32 exec_lo, exec_lo, s3
.LBB40_479:
	s_delay_alu instid0(SALU_CYCLE_1) | instskip(SKIP_4) | instid1(VALU_DEP_1)
	s_or_b32 exec_lo, exec_lo, s2
	v_mov_b32_e32 v89, 0
	ds_load_b64 v[90:91], v89 offset:64
	s_wait_dscnt 0x0
	v_pk_mul_f32 v[92:93], v[86:87], v[90:91] op_sel:[1,1] op_sel_hi:[0,1]
	v_pk_fma_f32 v[94:95], v[86:87], v[90:91], v[92:93] op_sel_hi:[1,0,1]
	v_pk_fma_f32 v[86:87], v[86:87], v[90:91], v[92:93] neg_lo:[0,0,1] neg_hi:[0,0,1]
	s_delay_alu instid0(VALU_DEP_2)
	v_mov_b32_e32 v87, v95
	scratch_store_b64 off, v[86:87], off offset:64
.LBB40_480:
	s_wait_xcnt 0x0
	s_or_b32 exec_lo, exec_lo, s0
	scratch_load_b64 v[86:87], off, off offset:72
	s_mov_b32 s0, exec_lo
	s_wait_loadcnt 0x0
	ds_store_b64 v1, v[86:87]
	s_wait_storecnt_dscnt 0x0
	s_barrier_signal -1
	s_barrier_wait -1
	s_wait_xcnt 0x0
	v_cmpx_gt_u32_e32 9, v0
	s_cbranch_execz .LBB40_490
; %bb.481:
	v_cmp_ne_u32_e32 vcc_lo, 1, v88
	s_cbranch_vccnz .LBB40_483
; %bb.482:
	scratch_load_b64 v[86:87], v39, off
	ds_load_b64 v[90:91], v1
	s_wait_loadcnt_dscnt 0x0
	v_pk_mul_f32 v[92:93], v[90:91], v[86:87] op_sel:[1,1] op_sel_hi:[0,1]
	s_delay_alu instid0(VALU_DEP_1) | instskip(SKIP_1) | instid1(VALU_DEP_2)
	v_pk_fma_f32 v[94:95], v[90:91], v[86:87], v[92:93] op_sel_hi:[1,0,1]
	v_pk_fma_f32 v[86:87], v[90:91], v[86:87], v[92:93] neg_lo:[0,0,1] neg_hi:[0,0,1]
	v_mov_b32_e32 v87, v95
	s_cbranch_execz .LBB40_484
	s_branch .LBB40_485
.LBB40_483:
                                        ; implicit-def: $vgpr86_vgpr87
.LBB40_484:
	ds_load_b64 v[86:87], v1
.LBB40_485:
	s_mov_b32 s2, exec_lo
	v_cmpx_ne_u32_e32 8, v0
	s_cbranch_execz .LBB40_489
; %bb.486:
	v_add_nc_u32_e32 v89, 0x158, v38
	v_add3_u32 v90, 0, v38, 8
	v_mov_b32_e32 v91, v0
	s_mov_b32 s3, 0
.LBB40_487:                             ; =>This Inner Loop Header: Depth=1
	scratch_load_b64 v[92:93], v90, off
	ds_load_b64 v[94:95], v89
	s_wait_xcnt 0x0
	v_dual_add_nc_u32 v89, 8, v89 :: v_dual_add_nc_u32 v90, 8, v90
	s_wait_loadcnt_dscnt 0x0
	v_pk_mul_f32 v[96:97], v[94:95], v[92:93] op_sel:[1,1] op_sel_hi:[0,1]
	s_delay_alu instid0(VALU_DEP_1) | instskip(SKIP_2) | instid1(VALU_DEP_3)
	v_pk_fma_f32 v[98:99], v[94:95], v[92:93], v[96:97] op_sel_hi:[1,0,1]
	v_add_nc_u32_e32 v91, 1, v91
	v_pk_fma_f32 v[92:93], v[94:95], v[92:93], v[96:97] neg_lo:[0,0,1] neg_hi:[0,0,1]
	v_mov_b32_e32 v93, v99
	s_delay_alu instid0(VALU_DEP_3) | instskip(NEXT) | instid1(VALU_DEP_2)
	v_cmp_lt_u32_e32 vcc_lo, 7, v91
	v_pk_add_f32 v[86:87], v[86:87], v[92:93]
	s_or_b32 s3, vcc_lo, s3
	s_delay_alu instid0(SALU_CYCLE_1)
	s_and_not1_b32 exec_lo, exec_lo, s3
	s_cbranch_execnz .LBB40_487
; %bb.488:
	s_or_b32 exec_lo, exec_lo, s3
.LBB40_489:
	s_delay_alu instid0(SALU_CYCLE_1) | instskip(SKIP_4) | instid1(VALU_DEP_1)
	s_or_b32 exec_lo, exec_lo, s2
	v_mov_b32_e32 v89, 0
	ds_load_b64 v[90:91], v89 offset:72
	s_wait_dscnt 0x0
	v_pk_mul_f32 v[92:93], v[86:87], v[90:91] op_sel:[1,1] op_sel_hi:[0,1]
	v_pk_fma_f32 v[94:95], v[86:87], v[90:91], v[92:93] op_sel_hi:[1,0,1]
	v_pk_fma_f32 v[86:87], v[86:87], v[90:91], v[92:93] neg_lo:[0,0,1] neg_hi:[0,0,1]
	s_delay_alu instid0(VALU_DEP_2)
	v_mov_b32_e32 v87, v95
	scratch_store_b64 off, v[86:87], off offset:72
.LBB40_490:
	s_wait_xcnt 0x0
	s_or_b32 exec_lo, exec_lo, s0
	scratch_load_b64 v[86:87], off, off offset:80
	s_mov_b32 s0, exec_lo
	s_wait_loadcnt 0x0
	ds_store_b64 v1, v[86:87]
	s_wait_storecnt_dscnt 0x0
	s_barrier_signal -1
	s_barrier_wait -1
	s_wait_xcnt 0x0
	v_cmpx_gt_u32_e32 10, v0
	s_cbranch_execz .LBB40_500
; %bb.491:
	v_cmp_ne_u32_e32 vcc_lo, 1, v88
	s_cbranch_vccnz .LBB40_493
; %bb.492:
	scratch_load_b64 v[86:87], v39, off
	ds_load_b64 v[90:91], v1
	s_wait_loadcnt_dscnt 0x0
	v_pk_mul_f32 v[92:93], v[90:91], v[86:87] op_sel:[1,1] op_sel_hi:[0,1]
	s_delay_alu instid0(VALU_DEP_1) | instskip(SKIP_1) | instid1(VALU_DEP_2)
	v_pk_fma_f32 v[94:95], v[90:91], v[86:87], v[92:93] op_sel_hi:[1,0,1]
	v_pk_fma_f32 v[86:87], v[90:91], v[86:87], v[92:93] neg_lo:[0,0,1] neg_hi:[0,0,1]
	v_mov_b32_e32 v87, v95
	s_cbranch_execz .LBB40_494
	s_branch .LBB40_495
.LBB40_493:
                                        ; implicit-def: $vgpr86_vgpr87
.LBB40_494:
	ds_load_b64 v[86:87], v1
.LBB40_495:
	s_mov_b32 s2, exec_lo
	v_cmpx_ne_u32_e32 9, v0
	s_cbranch_execz .LBB40_499
; %bb.496:
	v_add_nc_u32_e32 v89, 0x158, v38
	v_add3_u32 v90, 0, v38, 8
	v_mov_b32_e32 v91, v0
	s_mov_b32 s3, 0
.LBB40_497:                             ; =>This Inner Loop Header: Depth=1
	scratch_load_b64 v[92:93], v90, off
	ds_load_b64 v[94:95], v89
	s_wait_xcnt 0x0
	v_dual_add_nc_u32 v89, 8, v89 :: v_dual_add_nc_u32 v90, 8, v90
	s_wait_loadcnt_dscnt 0x0
	v_pk_mul_f32 v[96:97], v[94:95], v[92:93] op_sel:[1,1] op_sel_hi:[0,1]
	s_delay_alu instid0(VALU_DEP_1) | instskip(SKIP_2) | instid1(VALU_DEP_3)
	v_pk_fma_f32 v[98:99], v[94:95], v[92:93], v[96:97] op_sel_hi:[1,0,1]
	v_add_nc_u32_e32 v91, 1, v91
	v_pk_fma_f32 v[92:93], v[94:95], v[92:93], v[96:97] neg_lo:[0,0,1] neg_hi:[0,0,1]
	v_mov_b32_e32 v93, v99
	s_delay_alu instid0(VALU_DEP_3) | instskip(NEXT) | instid1(VALU_DEP_2)
	v_cmp_lt_u32_e32 vcc_lo, 8, v91
	v_pk_add_f32 v[86:87], v[86:87], v[92:93]
	s_or_b32 s3, vcc_lo, s3
	s_delay_alu instid0(SALU_CYCLE_1)
	s_and_not1_b32 exec_lo, exec_lo, s3
	s_cbranch_execnz .LBB40_497
; %bb.498:
	s_or_b32 exec_lo, exec_lo, s3
.LBB40_499:
	s_delay_alu instid0(SALU_CYCLE_1) | instskip(SKIP_4) | instid1(VALU_DEP_1)
	s_or_b32 exec_lo, exec_lo, s2
	v_mov_b32_e32 v89, 0
	ds_load_b64 v[90:91], v89 offset:80
	s_wait_dscnt 0x0
	v_pk_mul_f32 v[92:93], v[86:87], v[90:91] op_sel:[1,1] op_sel_hi:[0,1]
	v_pk_fma_f32 v[94:95], v[86:87], v[90:91], v[92:93] op_sel_hi:[1,0,1]
	v_pk_fma_f32 v[86:87], v[86:87], v[90:91], v[92:93] neg_lo:[0,0,1] neg_hi:[0,0,1]
	s_delay_alu instid0(VALU_DEP_2)
	v_mov_b32_e32 v87, v95
	scratch_store_b64 off, v[86:87], off offset:80
.LBB40_500:
	s_wait_xcnt 0x0
	s_or_b32 exec_lo, exec_lo, s0
	scratch_load_b64 v[86:87], off, off offset:88
	s_mov_b32 s0, exec_lo
	s_wait_loadcnt 0x0
	ds_store_b64 v1, v[86:87]
	s_wait_storecnt_dscnt 0x0
	s_barrier_signal -1
	s_barrier_wait -1
	s_wait_xcnt 0x0
	v_cmpx_gt_u32_e32 11, v0
	s_cbranch_execz .LBB40_510
; %bb.501:
	v_cmp_ne_u32_e32 vcc_lo, 1, v88
	s_cbranch_vccnz .LBB40_503
; %bb.502:
	scratch_load_b64 v[86:87], v39, off
	ds_load_b64 v[90:91], v1
	s_wait_loadcnt_dscnt 0x0
	v_pk_mul_f32 v[92:93], v[90:91], v[86:87] op_sel:[1,1] op_sel_hi:[0,1]
	s_delay_alu instid0(VALU_DEP_1) | instskip(SKIP_1) | instid1(VALU_DEP_2)
	v_pk_fma_f32 v[94:95], v[90:91], v[86:87], v[92:93] op_sel_hi:[1,0,1]
	v_pk_fma_f32 v[86:87], v[90:91], v[86:87], v[92:93] neg_lo:[0,0,1] neg_hi:[0,0,1]
	v_mov_b32_e32 v87, v95
	s_cbranch_execz .LBB40_504
	s_branch .LBB40_505
.LBB40_503:
                                        ; implicit-def: $vgpr86_vgpr87
.LBB40_504:
	ds_load_b64 v[86:87], v1
.LBB40_505:
	s_mov_b32 s2, exec_lo
	v_cmpx_ne_u32_e32 10, v0
	s_cbranch_execz .LBB40_509
; %bb.506:
	v_add_nc_u32_e32 v89, 0x158, v38
	v_add3_u32 v90, 0, v38, 8
	v_mov_b32_e32 v91, v0
	s_mov_b32 s3, 0
.LBB40_507:                             ; =>This Inner Loop Header: Depth=1
	scratch_load_b64 v[92:93], v90, off
	ds_load_b64 v[94:95], v89
	s_wait_xcnt 0x0
	v_dual_add_nc_u32 v89, 8, v89 :: v_dual_add_nc_u32 v90, 8, v90
	s_wait_loadcnt_dscnt 0x0
	v_pk_mul_f32 v[96:97], v[94:95], v[92:93] op_sel:[1,1] op_sel_hi:[0,1]
	s_delay_alu instid0(VALU_DEP_1) | instskip(SKIP_2) | instid1(VALU_DEP_3)
	v_pk_fma_f32 v[98:99], v[94:95], v[92:93], v[96:97] op_sel_hi:[1,0,1]
	v_add_nc_u32_e32 v91, 1, v91
	v_pk_fma_f32 v[92:93], v[94:95], v[92:93], v[96:97] neg_lo:[0,0,1] neg_hi:[0,0,1]
	v_mov_b32_e32 v93, v99
	s_delay_alu instid0(VALU_DEP_3) | instskip(NEXT) | instid1(VALU_DEP_2)
	v_cmp_lt_u32_e32 vcc_lo, 9, v91
	v_pk_add_f32 v[86:87], v[86:87], v[92:93]
	s_or_b32 s3, vcc_lo, s3
	s_delay_alu instid0(SALU_CYCLE_1)
	s_and_not1_b32 exec_lo, exec_lo, s3
	s_cbranch_execnz .LBB40_507
; %bb.508:
	s_or_b32 exec_lo, exec_lo, s3
.LBB40_509:
	s_delay_alu instid0(SALU_CYCLE_1) | instskip(SKIP_4) | instid1(VALU_DEP_1)
	s_or_b32 exec_lo, exec_lo, s2
	v_mov_b32_e32 v89, 0
	ds_load_b64 v[90:91], v89 offset:88
	s_wait_dscnt 0x0
	v_pk_mul_f32 v[92:93], v[86:87], v[90:91] op_sel:[1,1] op_sel_hi:[0,1]
	v_pk_fma_f32 v[94:95], v[86:87], v[90:91], v[92:93] op_sel_hi:[1,0,1]
	v_pk_fma_f32 v[86:87], v[86:87], v[90:91], v[92:93] neg_lo:[0,0,1] neg_hi:[0,0,1]
	s_delay_alu instid0(VALU_DEP_2)
	v_mov_b32_e32 v87, v95
	scratch_store_b64 off, v[86:87], off offset:88
.LBB40_510:
	s_wait_xcnt 0x0
	s_or_b32 exec_lo, exec_lo, s0
	scratch_load_b64 v[86:87], off, off offset:96
	s_mov_b32 s0, exec_lo
	s_wait_loadcnt 0x0
	ds_store_b64 v1, v[86:87]
	s_wait_storecnt_dscnt 0x0
	s_barrier_signal -1
	s_barrier_wait -1
	s_wait_xcnt 0x0
	v_cmpx_gt_u32_e32 12, v0
	s_cbranch_execz .LBB40_520
; %bb.511:
	v_cmp_ne_u32_e32 vcc_lo, 1, v88
	s_cbranch_vccnz .LBB40_513
; %bb.512:
	scratch_load_b64 v[86:87], v39, off
	ds_load_b64 v[90:91], v1
	s_wait_loadcnt_dscnt 0x0
	v_pk_mul_f32 v[92:93], v[90:91], v[86:87] op_sel:[1,1] op_sel_hi:[0,1]
	s_delay_alu instid0(VALU_DEP_1) | instskip(SKIP_1) | instid1(VALU_DEP_2)
	v_pk_fma_f32 v[94:95], v[90:91], v[86:87], v[92:93] op_sel_hi:[1,0,1]
	v_pk_fma_f32 v[86:87], v[90:91], v[86:87], v[92:93] neg_lo:[0,0,1] neg_hi:[0,0,1]
	v_mov_b32_e32 v87, v95
	s_cbranch_execz .LBB40_514
	s_branch .LBB40_515
.LBB40_513:
                                        ; implicit-def: $vgpr86_vgpr87
.LBB40_514:
	ds_load_b64 v[86:87], v1
.LBB40_515:
	s_mov_b32 s2, exec_lo
	v_cmpx_ne_u32_e32 11, v0
	s_cbranch_execz .LBB40_519
; %bb.516:
	v_add_nc_u32_e32 v89, 0x158, v38
	v_add3_u32 v90, 0, v38, 8
	v_mov_b32_e32 v91, v0
	s_mov_b32 s3, 0
.LBB40_517:                             ; =>This Inner Loop Header: Depth=1
	scratch_load_b64 v[92:93], v90, off
	ds_load_b64 v[94:95], v89
	s_wait_xcnt 0x0
	v_dual_add_nc_u32 v89, 8, v89 :: v_dual_add_nc_u32 v90, 8, v90
	s_wait_loadcnt_dscnt 0x0
	v_pk_mul_f32 v[96:97], v[94:95], v[92:93] op_sel:[1,1] op_sel_hi:[0,1]
	s_delay_alu instid0(VALU_DEP_1) | instskip(SKIP_2) | instid1(VALU_DEP_3)
	v_pk_fma_f32 v[98:99], v[94:95], v[92:93], v[96:97] op_sel_hi:[1,0,1]
	v_add_nc_u32_e32 v91, 1, v91
	v_pk_fma_f32 v[92:93], v[94:95], v[92:93], v[96:97] neg_lo:[0,0,1] neg_hi:[0,0,1]
	v_mov_b32_e32 v93, v99
	s_delay_alu instid0(VALU_DEP_3) | instskip(NEXT) | instid1(VALU_DEP_2)
	v_cmp_lt_u32_e32 vcc_lo, 10, v91
	v_pk_add_f32 v[86:87], v[86:87], v[92:93]
	s_or_b32 s3, vcc_lo, s3
	s_delay_alu instid0(SALU_CYCLE_1)
	s_and_not1_b32 exec_lo, exec_lo, s3
	s_cbranch_execnz .LBB40_517
; %bb.518:
	s_or_b32 exec_lo, exec_lo, s3
.LBB40_519:
	s_delay_alu instid0(SALU_CYCLE_1) | instskip(SKIP_4) | instid1(VALU_DEP_1)
	s_or_b32 exec_lo, exec_lo, s2
	v_mov_b32_e32 v89, 0
	ds_load_b64 v[90:91], v89 offset:96
	s_wait_dscnt 0x0
	v_pk_mul_f32 v[92:93], v[86:87], v[90:91] op_sel:[1,1] op_sel_hi:[0,1]
	v_pk_fma_f32 v[94:95], v[86:87], v[90:91], v[92:93] op_sel_hi:[1,0,1]
	v_pk_fma_f32 v[86:87], v[86:87], v[90:91], v[92:93] neg_lo:[0,0,1] neg_hi:[0,0,1]
	s_delay_alu instid0(VALU_DEP_2)
	v_mov_b32_e32 v87, v95
	scratch_store_b64 off, v[86:87], off offset:96
.LBB40_520:
	s_wait_xcnt 0x0
	s_or_b32 exec_lo, exec_lo, s0
	scratch_load_b64 v[86:87], off, off offset:104
	s_mov_b32 s0, exec_lo
	s_wait_loadcnt 0x0
	ds_store_b64 v1, v[86:87]
	s_wait_storecnt_dscnt 0x0
	s_barrier_signal -1
	s_barrier_wait -1
	s_wait_xcnt 0x0
	v_cmpx_gt_u32_e32 13, v0
	s_cbranch_execz .LBB40_530
; %bb.521:
	v_cmp_ne_u32_e32 vcc_lo, 1, v88
	s_cbranch_vccnz .LBB40_523
; %bb.522:
	scratch_load_b64 v[86:87], v39, off
	ds_load_b64 v[90:91], v1
	s_wait_loadcnt_dscnt 0x0
	v_pk_mul_f32 v[92:93], v[90:91], v[86:87] op_sel:[1,1] op_sel_hi:[0,1]
	s_delay_alu instid0(VALU_DEP_1) | instskip(SKIP_1) | instid1(VALU_DEP_2)
	v_pk_fma_f32 v[94:95], v[90:91], v[86:87], v[92:93] op_sel_hi:[1,0,1]
	v_pk_fma_f32 v[86:87], v[90:91], v[86:87], v[92:93] neg_lo:[0,0,1] neg_hi:[0,0,1]
	v_mov_b32_e32 v87, v95
	s_cbranch_execz .LBB40_524
	s_branch .LBB40_525
.LBB40_523:
                                        ; implicit-def: $vgpr86_vgpr87
.LBB40_524:
	ds_load_b64 v[86:87], v1
.LBB40_525:
	s_mov_b32 s2, exec_lo
	v_cmpx_ne_u32_e32 12, v0
	s_cbranch_execz .LBB40_529
; %bb.526:
	v_add_nc_u32_e32 v89, 0x158, v38
	v_add3_u32 v90, 0, v38, 8
	v_mov_b32_e32 v91, v0
	s_mov_b32 s3, 0
.LBB40_527:                             ; =>This Inner Loop Header: Depth=1
	scratch_load_b64 v[92:93], v90, off
	ds_load_b64 v[94:95], v89
	s_wait_xcnt 0x0
	v_dual_add_nc_u32 v89, 8, v89 :: v_dual_add_nc_u32 v90, 8, v90
	s_wait_loadcnt_dscnt 0x0
	v_pk_mul_f32 v[96:97], v[94:95], v[92:93] op_sel:[1,1] op_sel_hi:[0,1]
	s_delay_alu instid0(VALU_DEP_1) | instskip(SKIP_2) | instid1(VALU_DEP_3)
	v_pk_fma_f32 v[98:99], v[94:95], v[92:93], v[96:97] op_sel_hi:[1,0,1]
	v_add_nc_u32_e32 v91, 1, v91
	v_pk_fma_f32 v[92:93], v[94:95], v[92:93], v[96:97] neg_lo:[0,0,1] neg_hi:[0,0,1]
	v_mov_b32_e32 v93, v99
	s_delay_alu instid0(VALU_DEP_3) | instskip(NEXT) | instid1(VALU_DEP_2)
	v_cmp_lt_u32_e32 vcc_lo, 11, v91
	v_pk_add_f32 v[86:87], v[86:87], v[92:93]
	s_or_b32 s3, vcc_lo, s3
	s_delay_alu instid0(SALU_CYCLE_1)
	s_and_not1_b32 exec_lo, exec_lo, s3
	s_cbranch_execnz .LBB40_527
; %bb.528:
	s_or_b32 exec_lo, exec_lo, s3
.LBB40_529:
	s_delay_alu instid0(SALU_CYCLE_1) | instskip(SKIP_4) | instid1(VALU_DEP_1)
	s_or_b32 exec_lo, exec_lo, s2
	v_mov_b32_e32 v89, 0
	ds_load_b64 v[90:91], v89 offset:104
	s_wait_dscnt 0x0
	v_pk_mul_f32 v[92:93], v[86:87], v[90:91] op_sel:[1,1] op_sel_hi:[0,1]
	v_pk_fma_f32 v[94:95], v[86:87], v[90:91], v[92:93] op_sel_hi:[1,0,1]
	v_pk_fma_f32 v[86:87], v[86:87], v[90:91], v[92:93] neg_lo:[0,0,1] neg_hi:[0,0,1]
	s_delay_alu instid0(VALU_DEP_2)
	v_mov_b32_e32 v87, v95
	scratch_store_b64 off, v[86:87], off offset:104
.LBB40_530:
	s_wait_xcnt 0x0
	s_or_b32 exec_lo, exec_lo, s0
	scratch_load_b64 v[86:87], off, off offset:112
	s_mov_b32 s0, exec_lo
	s_wait_loadcnt 0x0
	ds_store_b64 v1, v[86:87]
	s_wait_storecnt_dscnt 0x0
	s_barrier_signal -1
	s_barrier_wait -1
	s_wait_xcnt 0x0
	v_cmpx_gt_u32_e32 14, v0
	s_cbranch_execz .LBB40_540
; %bb.531:
	v_cmp_ne_u32_e32 vcc_lo, 1, v88
	s_cbranch_vccnz .LBB40_533
; %bb.532:
	scratch_load_b64 v[86:87], v39, off
	ds_load_b64 v[90:91], v1
	s_wait_loadcnt_dscnt 0x0
	v_pk_mul_f32 v[92:93], v[90:91], v[86:87] op_sel:[1,1] op_sel_hi:[0,1]
	s_delay_alu instid0(VALU_DEP_1) | instskip(SKIP_1) | instid1(VALU_DEP_2)
	v_pk_fma_f32 v[94:95], v[90:91], v[86:87], v[92:93] op_sel_hi:[1,0,1]
	v_pk_fma_f32 v[86:87], v[90:91], v[86:87], v[92:93] neg_lo:[0,0,1] neg_hi:[0,0,1]
	v_mov_b32_e32 v87, v95
	s_cbranch_execz .LBB40_534
	s_branch .LBB40_535
.LBB40_533:
                                        ; implicit-def: $vgpr86_vgpr87
.LBB40_534:
	ds_load_b64 v[86:87], v1
.LBB40_535:
	s_mov_b32 s2, exec_lo
	v_cmpx_ne_u32_e32 13, v0
	s_cbranch_execz .LBB40_539
; %bb.536:
	v_add_nc_u32_e32 v89, 0x158, v38
	v_add3_u32 v90, 0, v38, 8
	v_mov_b32_e32 v91, v0
	s_mov_b32 s3, 0
.LBB40_537:                             ; =>This Inner Loop Header: Depth=1
	scratch_load_b64 v[92:93], v90, off
	ds_load_b64 v[94:95], v89
	s_wait_xcnt 0x0
	v_dual_add_nc_u32 v89, 8, v89 :: v_dual_add_nc_u32 v90, 8, v90
	s_wait_loadcnt_dscnt 0x0
	v_pk_mul_f32 v[96:97], v[94:95], v[92:93] op_sel:[1,1] op_sel_hi:[0,1]
	s_delay_alu instid0(VALU_DEP_1) | instskip(SKIP_2) | instid1(VALU_DEP_3)
	v_pk_fma_f32 v[98:99], v[94:95], v[92:93], v[96:97] op_sel_hi:[1,0,1]
	v_add_nc_u32_e32 v91, 1, v91
	v_pk_fma_f32 v[92:93], v[94:95], v[92:93], v[96:97] neg_lo:[0,0,1] neg_hi:[0,0,1]
	v_mov_b32_e32 v93, v99
	s_delay_alu instid0(VALU_DEP_3) | instskip(NEXT) | instid1(VALU_DEP_2)
	v_cmp_lt_u32_e32 vcc_lo, 12, v91
	v_pk_add_f32 v[86:87], v[86:87], v[92:93]
	s_or_b32 s3, vcc_lo, s3
	s_delay_alu instid0(SALU_CYCLE_1)
	s_and_not1_b32 exec_lo, exec_lo, s3
	s_cbranch_execnz .LBB40_537
; %bb.538:
	s_or_b32 exec_lo, exec_lo, s3
.LBB40_539:
	s_delay_alu instid0(SALU_CYCLE_1) | instskip(SKIP_4) | instid1(VALU_DEP_1)
	s_or_b32 exec_lo, exec_lo, s2
	v_mov_b32_e32 v89, 0
	ds_load_b64 v[90:91], v89 offset:112
	s_wait_dscnt 0x0
	v_pk_mul_f32 v[92:93], v[86:87], v[90:91] op_sel:[1,1] op_sel_hi:[0,1]
	v_pk_fma_f32 v[94:95], v[86:87], v[90:91], v[92:93] op_sel_hi:[1,0,1]
	v_pk_fma_f32 v[86:87], v[86:87], v[90:91], v[92:93] neg_lo:[0,0,1] neg_hi:[0,0,1]
	s_delay_alu instid0(VALU_DEP_2)
	v_mov_b32_e32 v87, v95
	scratch_store_b64 off, v[86:87], off offset:112
.LBB40_540:
	s_wait_xcnt 0x0
	s_or_b32 exec_lo, exec_lo, s0
	scratch_load_b64 v[86:87], off, off offset:120
	s_mov_b32 s0, exec_lo
	s_wait_loadcnt 0x0
	ds_store_b64 v1, v[86:87]
	s_wait_storecnt_dscnt 0x0
	s_barrier_signal -1
	s_barrier_wait -1
	s_wait_xcnt 0x0
	v_cmpx_gt_u32_e32 15, v0
	s_cbranch_execz .LBB40_550
; %bb.541:
	v_cmp_ne_u32_e32 vcc_lo, 1, v88
	s_cbranch_vccnz .LBB40_543
; %bb.542:
	scratch_load_b64 v[86:87], v39, off
	ds_load_b64 v[90:91], v1
	s_wait_loadcnt_dscnt 0x0
	v_pk_mul_f32 v[92:93], v[90:91], v[86:87] op_sel:[1,1] op_sel_hi:[0,1]
	s_delay_alu instid0(VALU_DEP_1) | instskip(SKIP_1) | instid1(VALU_DEP_2)
	v_pk_fma_f32 v[94:95], v[90:91], v[86:87], v[92:93] op_sel_hi:[1,0,1]
	v_pk_fma_f32 v[86:87], v[90:91], v[86:87], v[92:93] neg_lo:[0,0,1] neg_hi:[0,0,1]
	v_mov_b32_e32 v87, v95
	s_cbranch_execz .LBB40_544
	s_branch .LBB40_545
.LBB40_543:
                                        ; implicit-def: $vgpr86_vgpr87
.LBB40_544:
	ds_load_b64 v[86:87], v1
.LBB40_545:
	s_mov_b32 s2, exec_lo
	v_cmpx_ne_u32_e32 14, v0
	s_cbranch_execz .LBB40_549
; %bb.546:
	v_add_nc_u32_e32 v89, 0x158, v38
	v_add3_u32 v90, 0, v38, 8
	v_mov_b32_e32 v91, v0
	s_mov_b32 s3, 0
.LBB40_547:                             ; =>This Inner Loop Header: Depth=1
	scratch_load_b64 v[92:93], v90, off
	ds_load_b64 v[94:95], v89
	s_wait_xcnt 0x0
	v_dual_add_nc_u32 v89, 8, v89 :: v_dual_add_nc_u32 v90, 8, v90
	s_wait_loadcnt_dscnt 0x0
	v_pk_mul_f32 v[96:97], v[94:95], v[92:93] op_sel:[1,1] op_sel_hi:[0,1]
	s_delay_alu instid0(VALU_DEP_1) | instskip(SKIP_2) | instid1(VALU_DEP_3)
	v_pk_fma_f32 v[98:99], v[94:95], v[92:93], v[96:97] op_sel_hi:[1,0,1]
	v_add_nc_u32_e32 v91, 1, v91
	v_pk_fma_f32 v[92:93], v[94:95], v[92:93], v[96:97] neg_lo:[0,0,1] neg_hi:[0,0,1]
	v_mov_b32_e32 v93, v99
	s_delay_alu instid0(VALU_DEP_3) | instskip(NEXT) | instid1(VALU_DEP_2)
	v_cmp_lt_u32_e32 vcc_lo, 13, v91
	v_pk_add_f32 v[86:87], v[86:87], v[92:93]
	s_or_b32 s3, vcc_lo, s3
	s_delay_alu instid0(SALU_CYCLE_1)
	s_and_not1_b32 exec_lo, exec_lo, s3
	s_cbranch_execnz .LBB40_547
; %bb.548:
	s_or_b32 exec_lo, exec_lo, s3
.LBB40_549:
	s_delay_alu instid0(SALU_CYCLE_1) | instskip(SKIP_4) | instid1(VALU_DEP_1)
	s_or_b32 exec_lo, exec_lo, s2
	v_mov_b32_e32 v89, 0
	ds_load_b64 v[90:91], v89 offset:120
	s_wait_dscnt 0x0
	v_pk_mul_f32 v[92:93], v[86:87], v[90:91] op_sel:[1,1] op_sel_hi:[0,1]
	v_pk_fma_f32 v[94:95], v[86:87], v[90:91], v[92:93] op_sel_hi:[1,0,1]
	v_pk_fma_f32 v[86:87], v[86:87], v[90:91], v[92:93] neg_lo:[0,0,1] neg_hi:[0,0,1]
	s_delay_alu instid0(VALU_DEP_2)
	v_mov_b32_e32 v87, v95
	scratch_store_b64 off, v[86:87], off offset:120
.LBB40_550:
	s_wait_xcnt 0x0
	s_or_b32 exec_lo, exec_lo, s0
	scratch_load_b64 v[86:87], off, off offset:128
	s_mov_b32 s0, exec_lo
	s_wait_loadcnt 0x0
	ds_store_b64 v1, v[86:87]
	s_wait_storecnt_dscnt 0x0
	s_barrier_signal -1
	s_barrier_wait -1
	s_wait_xcnt 0x0
	v_cmpx_gt_u32_e32 16, v0
	s_cbranch_execz .LBB40_560
; %bb.551:
	v_cmp_ne_u32_e32 vcc_lo, 1, v88
	s_cbranch_vccnz .LBB40_553
; %bb.552:
	scratch_load_b64 v[86:87], v39, off
	ds_load_b64 v[90:91], v1
	s_wait_loadcnt_dscnt 0x0
	v_pk_mul_f32 v[92:93], v[90:91], v[86:87] op_sel:[1,1] op_sel_hi:[0,1]
	s_delay_alu instid0(VALU_DEP_1) | instskip(SKIP_1) | instid1(VALU_DEP_2)
	v_pk_fma_f32 v[94:95], v[90:91], v[86:87], v[92:93] op_sel_hi:[1,0,1]
	v_pk_fma_f32 v[86:87], v[90:91], v[86:87], v[92:93] neg_lo:[0,0,1] neg_hi:[0,0,1]
	v_mov_b32_e32 v87, v95
	s_cbranch_execz .LBB40_554
	s_branch .LBB40_555
.LBB40_553:
                                        ; implicit-def: $vgpr86_vgpr87
.LBB40_554:
	ds_load_b64 v[86:87], v1
.LBB40_555:
	s_mov_b32 s2, exec_lo
	v_cmpx_ne_u32_e32 15, v0
	s_cbranch_execz .LBB40_559
; %bb.556:
	v_add_nc_u32_e32 v89, 0x158, v38
	v_add3_u32 v90, 0, v38, 8
	v_mov_b32_e32 v91, v0
	s_mov_b32 s3, 0
.LBB40_557:                             ; =>This Inner Loop Header: Depth=1
	scratch_load_b64 v[92:93], v90, off
	ds_load_b64 v[94:95], v89
	s_wait_xcnt 0x0
	v_dual_add_nc_u32 v89, 8, v89 :: v_dual_add_nc_u32 v90, 8, v90
	s_wait_loadcnt_dscnt 0x0
	v_pk_mul_f32 v[96:97], v[94:95], v[92:93] op_sel:[1,1] op_sel_hi:[0,1]
	s_delay_alu instid0(VALU_DEP_1) | instskip(SKIP_2) | instid1(VALU_DEP_3)
	v_pk_fma_f32 v[98:99], v[94:95], v[92:93], v[96:97] op_sel_hi:[1,0,1]
	v_add_nc_u32_e32 v91, 1, v91
	v_pk_fma_f32 v[92:93], v[94:95], v[92:93], v[96:97] neg_lo:[0,0,1] neg_hi:[0,0,1]
	v_mov_b32_e32 v93, v99
	s_delay_alu instid0(VALU_DEP_3) | instskip(NEXT) | instid1(VALU_DEP_2)
	v_cmp_lt_u32_e32 vcc_lo, 14, v91
	v_pk_add_f32 v[86:87], v[86:87], v[92:93]
	s_or_b32 s3, vcc_lo, s3
	s_delay_alu instid0(SALU_CYCLE_1)
	s_and_not1_b32 exec_lo, exec_lo, s3
	s_cbranch_execnz .LBB40_557
; %bb.558:
	s_or_b32 exec_lo, exec_lo, s3
.LBB40_559:
	s_delay_alu instid0(SALU_CYCLE_1) | instskip(SKIP_4) | instid1(VALU_DEP_1)
	s_or_b32 exec_lo, exec_lo, s2
	v_mov_b32_e32 v89, 0
	ds_load_b64 v[90:91], v89 offset:128
	s_wait_dscnt 0x0
	v_pk_mul_f32 v[92:93], v[86:87], v[90:91] op_sel:[1,1] op_sel_hi:[0,1]
	v_pk_fma_f32 v[94:95], v[86:87], v[90:91], v[92:93] op_sel_hi:[1,0,1]
	v_pk_fma_f32 v[86:87], v[86:87], v[90:91], v[92:93] neg_lo:[0,0,1] neg_hi:[0,0,1]
	s_delay_alu instid0(VALU_DEP_2)
	v_mov_b32_e32 v87, v95
	scratch_store_b64 off, v[86:87], off offset:128
.LBB40_560:
	s_wait_xcnt 0x0
	s_or_b32 exec_lo, exec_lo, s0
	scratch_load_b64 v[86:87], off, off offset:136
	s_mov_b32 s0, exec_lo
	s_wait_loadcnt 0x0
	ds_store_b64 v1, v[86:87]
	s_wait_storecnt_dscnt 0x0
	s_barrier_signal -1
	s_barrier_wait -1
	s_wait_xcnt 0x0
	v_cmpx_gt_u32_e32 17, v0
	s_cbranch_execz .LBB40_570
; %bb.561:
	v_cmp_ne_u32_e32 vcc_lo, 1, v88
	s_cbranch_vccnz .LBB40_563
; %bb.562:
	scratch_load_b64 v[86:87], v39, off
	ds_load_b64 v[90:91], v1
	s_wait_loadcnt_dscnt 0x0
	v_pk_mul_f32 v[92:93], v[90:91], v[86:87] op_sel:[1,1] op_sel_hi:[0,1]
	s_delay_alu instid0(VALU_DEP_1) | instskip(SKIP_1) | instid1(VALU_DEP_2)
	v_pk_fma_f32 v[94:95], v[90:91], v[86:87], v[92:93] op_sel_hi:[1,0,1]
	v_pk_fma_f32 v[86:87], v[90:91], v[86:87], v[92:93] neg_lo:[0,0,1] neg_hi:[0,0,1]
	v_mov_b32_e32 v87, v95
	s_cbranch_execz .LBB40_564
	s_branch .LBB40_565
.LBB40_563:
                                        ; implicit-def: $vgpr86_vgpr87
.LBB40_564:
	ds_load_b64 v[86:87], v1
.LBB40_565:
	s_mov_b32 s2, exec_lo
	v_cmpx_ne_u32_e32 16, v0
	s_cbranch_execz .LBB40_569
; %bb.566:
	v_add_nc_u32_e32 v89, 0x158, v38
	v_add3_u32 v90, 0, v38, 8
	v_mov_b32_e32 v91, v0
	s_mov_b32 s3, 0
.LBB40_567:                             ; =>This Inner Loop Header: Depth=1
	scratch_load_b64 v[92:93], v90, off
	ds_load_b64 v[94:95], v89
	s_wait_xcnt 0x0
	v_dual_add_nc_u32 v89, 8, v89 :: v_dual_add_nc_u32 v90, 8, v90
	s_wait_loadcnt_dscnt 0x0
	v_pk_mul_f32 v[96:97], v[94:95], v[92:93] op_sel:[1,1] op_sel_hi:[0,1]
	s_delay_alu instid0(VALU_DEP_1) | instskip(SKIP_2) | instid1(VALU_DEP_3)
	v_pk_fma_f32 v[98:99], v[94:95], v[92:93], v[96:97] op_sel_hi:[1,0,1]
	v_add_nc_u32_e32 v91, 1, v91
	v_pk_fma_f32 v[92:93], v[94:95], v[92:93], v[96:97] neg_lo:[0,0,1] neg_hi:[0,0,1]
	v_mov_b32_e32 v93, v99
	s_delay_alu instid0(VALU_DEP_3) | instskip(NEXT) | instid1(VALU_DEP_2)
	v_cmp_lt_u32_e32 vcc_lo, 15, v91
	v_pk_add_f32 v[86:87], v[86:87], v[92:93]
	s_or_b32 s3, vcc_lo, s3
	s_delay_alu instid0(SALU_CYCLE_1)
	s_and_not1_b32 exec_lo, exec_lo, s3
	s_cbranch_execnz .LBB40_567
; %bb.568:
	s_or_b32 exec_lo, exec_lo, s3
.LBB40_569:
	s_delay_alu instid0(SALU_CYCLE_1) | instskip(SKIP_4) | instid1(VALU_DEP_1)
	s_or_b32 exec_lo, exec_lo, s2
	v_mov_b32_e32 v89, 0
	ds_load_b64 v[90:91], v89 offset:136
	s_wait_dscnt 0x0
	v_pk_mul_f32 v[92:93], v[86:87], v[90:91] op_sel:[1,1] op_sel_hi:[0,1]
	v_pk_fma_f32 v[94:95], v[86:87], v[90:91], v[92:93] op_sel_hi:[1,0,1]
	v_pk_fma_f32 v[86:87], v[86:87], v[90:91], v[92:93] neg_lo:[0,0,1] neg_hi:[0,0,1]
	s_delay_alu instid0(VALU_DEP_2)
	v_mov_b32_e32 v87, v95
	scratch_store_b64 off, v[86:87], off offset:136
.LBB40_570:
	s_wait_xcnt 0x0
	s_or_b32 exec_lo, exec_lo, s0
	scratch_load_b64 v[86:87], off, off offset:144
	s_mov_b32 s0, exec_lo
	s_wait_loadcnt 0x0
	ds_store_b64 v1, v[86:87]
	s_wait_storecnt_dscnt 0x0
	s_barrier_signal -1
	s_barrier_wait -1
	s_wait_xcnt 0x0
	v_cmpx_gt_u32_e32 18, v0
	s_cbranch_execz .LBB40_580
; %bb.571:
	v_cmp_ne_u32_e32 vcc_lo, 1, v88
	s_cbranch_vccnz .LBB40_573
; %bb.572:
	scratch_load_b64 v[86:87], v39, off
	ds_load_b64 v[90:91], v1
	s_wait_loadcnt_dscnt 0x0
	v_pk_mul_f32 v[92:93], v[90:91], v[86:87] op_sel:[1,1] op_sel_hi:[0,1]
	s_delay_alu instid0(VALU_DEP_1) | instskip(SKIP_1) | instid1(VALU_DEP_2)
	v_pk_fma_f32 v[94:95], v[90:91], v[86:87], v[92:93] op_sel_hi:[1,0,1]
	v_pk_fma_f32 v[86:87], v[90:91], v[86:87], v[92:93] neg_lo:[0,0,1] neg_hi:[0,0,1]
	v_mov_b32_e32 v87, v95
	s_cbranch_execz .LBB40_574
	s_branch .LBB40_575
.LBB40_573:
                                        ; implicit-def: $vgpr86_vgpr87
.LBB40_574:
	ds_load_b64 v[86:87], v1
.LBB40_575:
	s_mov_b32 s2, exec_lo
	v_cmpx_ne_u32_e32 17, v0
	s_cbranch_execz .LBB40_579
; %bb.576:
	v_add_nc_u32_e32 v89, 0x158, v38
	v_add3_u32 v90, 0, v38, 8
	v_mov_b32_e32 v91, v0
	s_mov_b32 s3, 0
.LBB40_577:                             ; =>This Inner Loop Header: Depth=1
	scratch_load_b64 v[92:93], v90, off
	ds_load_b64 v[94:95], v89
	s_wait_xcnt 0x0
	v_dual_add_nc_u32 v89, 8, v89 :: v_dual_add_nc_u32 v90, 8, v90
	s_wait_loadcnt_dscnt 0x0
	v_pk_mul_f32 v[96:97], v[94:95], v[92:93] op_sel:[1,1] op_sel_hi:[0,1]
	s_delay_alu instid0(VALU_DEP_1) | instskip(SKIP_2) | instid1(VALU_DEP_3)
	v_pk_fma_f32 v[98:99], v[94:95], v[92:93], v[96:97] op_sel_hi:[1,0,1]
	v_add_nc_u32_e32 v91, 1, v91
	v_pk_fma_f32 v[92:93], v[94:95], v[92:93], v[96:97] neg_lo:[0,0,1] neg_hi:[0,0,1]
	v_mov_b32_e32 v93, v99
	s_delay_alu instid0(VALU_DEP_3) | instskip(NEXT) | instid1(VALU_DEP_2)
	v_cmp_lt_u32_e32 vcc_lo, 16, v91
	v_pk_add_f32 v[86:87], v[86:87], v[92:93]
	s_or_b32 s3, vcc_lo, s3
	s_delay_alu instid0(SALU_CYCLE_1)
	s_and_not1_b32 exec_lo, exec_lo, s3
	s_cbranch_execnz .LBB40_577
; %bb.578:
	s_or_b32 exec_lo, exec_lo, s3
.LBB40_579:
	s_delay_alu instid0(SALU_CYCLE_1) | instskip(SKIP_4) | instid1(VALU_DEP_1)
	s_or_b32 exec_lo, exec_lo, s2
	v_mov_b32_e32 v89, 0
	ds_load_b64 v[90:91], v89 offset:144
	s_wait_dscnt 0x0
	v_pk_mul_f32 v[92:93], v[86:87], v[90:91] op_sel:[1,1] op_sel_hi:[0,1]
	v_pk_fma_f32 v[94:95], v[86:87], v[90:91], v[92:93] op_sel_hi:[1,0,1]
	v_pk_fma_f32 v[86:87], v[86:87], v[90:91], v[92:93] neg_lo:[0,0,1] neg_hi:[0,0,1]
	s_delay_alu instid0(VALU_DEP_2)
	v_mov_b32_e32 v87, v95
	scratch_store_b64 off, v[86:87], off offset:144
.LBB40_580:
	s_wait_xcnt 0x0
	s_or_b32 exec_lo, exec_lo, s0
	scratch_load_b64 v[86:87], off, off offset:152
	s_mov_b32 s0, exec_lo
	s_wait_loadcnt 0x0
	ds_store_b64 v1, v[86:87]
	s_wait_storecnt_dscnt 0x0
	s_barrier_signal -1
	s_barrier_wait -1
	s_wait_xcnt 0x0
	v_cmpx_gt_u32_e32 19, v0
	s_cbranch_execz .LBB40_590
; %bb.581:
	v_cmp_ne_u32_e32 vcc_lo, 1, v88
	s_cbranch_vccnz .LBB40_583
; %bb.582:
	scratch_load_b64 v[86:87], v39, off
	ds_load_b64 v[90:91], v1
	s_wait_loadcnt_dscnt 0x0
	v_pk_mul_f32 v[92:93], v[90:91], v[86:87] op_sel:[1,1] op_sel_hi:[0,1]
	s_delay_alu instid0(VALU_DEP_1) | instskip(SKIP_1) | instid1(VALU_DEP_2)
	v_pk_fma_f32 v[94:95], v[90:91], v[86:87], v[92:93] op_sel_hi:[1,0,1]
	v_pk_fma_f32 v[86:87], v[90:91], v[86:87], v[92:93] neg_lo:[0,0,1] neg_hi:[0,0,1]
	v_mov_b32_e32 v87, v95
	s_cbranch_execz .LBB40_584
	s_branch .LBB40_585
.LBB40_583:
                                        ; implicit-def: $vgpr86_vgpr87
.LBB40_584:
	ds_load_b64 v[86:87], v1
.LBB40_585:
	s_mov_b32 s2, exec_lo
	v_cmpx_ne_u32_e32 18, v0
	s_cbranch_execz .LBB40_589
; %bb.586:
	v_add_nc_u32_e32 v89, 0x158, v38
	v_add3_u32 v90, 0, v38, 8
	v_mov_b32_e32 v91, v0
	s_mov_b32 s3, 0
.LBB40_587:                             ; =>This Inner Loop Header: Depth=1
	scratch_load_b64 v[92:93], v90, off
	ds_load_b64 v[94:95], v89
	s_wait_xcnt 0x0
	v_dual_add_nc_u32 v89, 8, v89 :: v_dual_add_nc_u32 v90, 8, v90
	s_wait_loadcnt_dscnt 0x0
	v_pk_mul_f32 v[96:97], v[94:95], v[92:93] op_sel:[1,1] op_sel_hi:[0,1]
	s_delay_alu instid0(VALU_DEP_1) | instskip(SKIP_2) | instid1(VALU_DEP_3)
	v_pk_fma_f32 v[98:99], v[94:95], v[92:93], v[96:97] op_sel_hi:[1,0,1]
	v_add_nc_u32_e32 v91, 1, v91
	v_pk_fma_f32 v[92:93], v[94:95], v[92:93], v[96:97] neg_lo:[0,0,1] neg_hi:[0,0,1]
	v_mov_b32_e32 v93, v99
	s_delay_alu instid0(VALU_DEP_3) | instskip(NEXT) | instid1(VALU_DEP_2)
	v_cmp_lt_u32_e32 vcc_lo, 17, v91
	v_pk_add_f32 v[86:87], v[86:87], v[92:93]
	s_or_b32 s3, vcc_lo, s3
	s_delay_alu instid0(SALU_CYCLE_1)
	s_and_not1_b32 exec_lo, exec_lo, s3
	s_cbranch_execnz .LBB40_587
; %bb.588:
	s_or_b32 exec_lo, exec_lo, s3
.LBB40_589:
	s_delay_alu instid0(SALU_CYCLE_1) | instskip(SKIP_4) | instid1(VALU_DEP_1)
	s_or_b32 exec_lo, exec_lo, s2
	v_mov_b32_e32 v89, 0
	ds_load_b64 v[90:91], v89 offset:152
	s_wait_dscnt 0x0
	v_pk_mul_f32 v[92:93], v[86:87], v[90:91] op_sel:[1,1] op_sel_hi:[0,1]
	v_pk_fma_f32 v[94:95], v[86:87], v[90:91], v[92:93] op_sel_hi:[1,0,1]
	v_pk_fma_f32 v[86:87], v[86:87], v[90:91], v[92:93] neg_lo:[0,0,1] neg_hi:[0,0,1]
	s_delay_alu instid0(VALU_DEP_2)
	v_mov_b32_e32 v87, v95
	scratch_store_b64 off, v[86:87], off offset:152
.LBB40_590:
	s_wait_xcnt 0x0
	s_or_b32 exec_lo, exec_lo, s0
	scratch_load_b64 v[86:87], off, off offset:160
	s_mov_b32 s0, exec_lo
	s_wait_loadcnt 0x0
	ds_store_b64 v1, v[86:87]
	s_wait_storecnt_dscnt 0x0
	s_barrier_signal -1
	s_barrier_wait -1
	s_wait_xcnt 0x0
	v_cmpx_gt_u32_e32 20, v0
	s_cbranch_execz .LBB40_600
; %bb.591:
	v_cmp_ne_u32_e32 vcc_lo, 1, v88
	s_cbranch_vccnz .LBB40_593
; %bb.592:
	scratch_load_b64 v[86:87], v39, off
	ds_load_b64 v[90:91], v1
	s_wait_loadcnt_dscnt 0x0
	v_pk_mul_f32 v[92:93], v[90:91], v[86:87] op_sel:[1,1] op_sel_hi:[0,1]
	s_delay_alu instid0(VALU_DEP_1) | instskip(SKIP_1) | instid1(VALU_DEP_2)
	v_pk_fma_f32 v[94:95], v[90:91], v[86:87], v[92:93] op_sel_hi:[1,0,1]
	v_pk_fma_f32 v[86:87], v[90:91], v[86:87], v[92:93] neg_lo:[0,0,1] neg_hi:[0,0,1]
	v_mov_b32_e32 v87, v95
	s_cbranch_execz .LBB40_594
	s_branch .LBB40_595
.LBB40_593:
                                        ; implicit-def: $vgpr86_vgpr87
.LBB40_594:
	ds_load_b64 v[86:87], v1
.LBB40_595:
	s_mov_b32 s2, exec_lo
	v_cmpx_ne_u32_e32 19, v0
	s_cbranch_execz .LBB40_599
; %bb.596:
	v_add_nc_u32_e32 v89, 0x158, v38
	v_add3_u32 v90, 0, v38, 8
	v_mov_b32_e32 v91, v0
	s_mov_b32 s3, 0
.LBB40_597:                             ; =>This Inner Loop Header: Depth=1
	scratch_load_b64 v[92:93], v90, off
	ds_load_b64 v[94:95], v89
	s_wait_xcnt 0x0
	v_dual_add_nc_u32 v89, 8, v89 :: v_dual_add_nc_u32 v90, 8, v90
	s_wait_loadcnt_dscnt 0x0
	v_pk_mul_f32 v[96:97], v[94:95], v[92:93] op_sel:[1,1] op_sel_hi:[0,1]
	s_delay_alu instid0(VALU_DEP_1) | instskip(SKIP_2) | instid1(VALU_DEP_3)
	v_pk_fma_f32 v[98:99], v[94:95], v[92:93], v[96:97] op_sel_hi:[1,0,1]
	v_add_nc_u32_e32 v91, 1, v91
	v_pk_fma_f32 v[92:93], v[94:95], v[92:93], v[96:97] neg_lo:[0,0,1] neg_hi:[0,0,1]
	v_mov_b32_e32 v93, v99
	s_delay_alu instid0(VALU_DEP_3) | instskip(NEXT) | instid1(VALU_DEP_2)
	v_cmp_lt_u32_e32 vcc_lo, 18, v91
	v_pk_add_f32 v[86:87], v[86:87], v[92:93]
	s_or_b32 s3, vcc_lo, s3
	s_delay_alu instid0(SALU_CYCLE_1)
	s_and_not1_b32 exec_lo, exec_lo, s3
	s_cbranch_execnz .LBB40_597
; %bb.598:
	s_or_b32 exec_lo, exec_lo, s3
.LBB40_599:
	s_delay_alu instid0(SALU_CYCLE_1) | instskip(SKIP_4) | instid1(VALU_DEP_1)
	s_or_b32 exec_lo, exec_lo, s2
	v_mov_b32_e32 v89, 0
	ds_load_b64 v[90:91], v89 offset:160
	s_wait_dscnt 0x0
	v_pk_mul_f32 v[92:93], v[86:87], v[90:91] op_sel:[1,1] op_sel_hi:[0,1]
	v_pk_fma_f32 v[94:95], v[86:87], v[90:91], v[92:93] op_sel_hi:[1,0,1]
	v_pk_fma_f32 v[86:87], v[86:87], v[90:91], v[92:93] neg_lo:[0,0,1] neg_hi:[0,0,1]
	s_delay_alu instid0(VALU_DEP_2)
	v_mov_b32_e32 v87, v95
	scratch_store_b64 off, v[86:87], off offset:160
.LBB40_600:
	s_wait_xcnt 0x0
	s_or_b32 exec_lo, exec_lo, s0
	scratch_load_b64 v[86:87], off, off offset:168
	s_mov_b32 s0, exec_lo
	s_wait_loadcnt 0x0
	ds_store_b64 v1, v[86:87]
	s_wait_storecnt_dscnt 0x0
	s_barrier_signal -1
	s_barrier_wait -1
	s_wait_xcnt 0x0
	v_cmpx_gt_u32_e32 21, v0
	s_cbranch_execz .LBB40_610
; %bb.601:
	v_cmp_ne_u32_e32 vcc_lo, 1, v88
	s_cbranch_vccnz .LBB40_603
; %bb.602:
	scratch_load_b64 v[86:87], v39, off
	ds_load_b64 v[90:91], v1
	s_wait_loadcnt_dscnt 0x0
	v_pk_mul_f32 v[92:93], v[90:91], v[86:87] op_sel:[1,1] op_sel_hi:[0,1]
	s_delay_alu instid0(VALU_DEP_1) | instskip(SKIP_1) | instid1(VALU_DEP_2)
	v_pk_fma_f32 v[94:95], v[90:91], v[86:87], v[92:93] op_sel_hi:[1,0,1]
	v_pk_fma_f32 v[86:87], v[90:91], v[86:87], v[92:93] neg_lo:[0,0,1] neg_hi:[0,0,1]
	v_mov_b32_e32 v87, v95
	s_cbranch_execz .LBB40_604
	s_branch .LBB40_605
.LBB40_603:
                                        ; implicit-def: $vgpr86_vgpr87
.LBB40_604:
	ds_load_b64 v[86:87], v1
.LBB40_605:
	s_mov_b32 s2, exec_lo
	v_cmpx_ne_u32_e32 20, v0
	s_cbranch_execz .LBB40_609
; %bb.606:
	v_add_nc_u32_e32 v89, 0x158, v38
	v_add3_u32 v90, 0, v38, 8
	v_mov_b32_e32 v91, v0
	s_mov_b32 s3, 0
.LBB40_607:                             ; =>This Inner Loop Header: Depth=1
	scratch_load_b64 v[92:93], v90, off
	ds_load_b64 v[94:95], v89
	s_wait_xcnt 0x0
	v_dual_add_nc_u32 v89, 8, v89 :: v_dual_add_nc_u32 v90, 8, v90
	s_wait_loadcnt_dscnt 0x0
	v_pk_mul_f32 v[96:97], v[94:95], v[92:93] op_sel:[1,1] op_sel_hi:[0,1]
	s_delay_alu instid0(VALU_DEP_1) | instskip(SKIP_2) | instid1(VALU_DEP_3)
	v_pk_fma_f32 v[98:99], v[94:95], v[92:93], v[96:97] op_sel_hi:[1,0,1]
	v_add_nc_u32_e32 v91, 1, v91
	v_pk_fma_f32 v[92:93], v[94:95], v[92:93], v[96:97] neg_lo:[0,0,1] neg_hi:[0,0,1]
	v_mov_b32_e32 v93, v99
	s_delay_alu instid0(VALU_DEP_3) | instskip(NEXT) | instid1(VALU_DEP_2)
	v_cmp_lt_u32_e32 vcc_lo, 19, v91
	v_pk_add_f32 v[86:87], v[86:87], v[92:93]
	s_or_b32 s3, vcc_lo, s3
	s_delay_alu instid0(SALU_CYCLE_1)
	s_and_not1_b32 exec_lo, exec_lo, s3
	s_cbranch_execnz .LBB40_607
; %bb.608:
	s_or_b32 exec_lo, exec_lo, s3
.LBB40_609:
	s_delay_alu instid0(SALU_CYCLE_1) | instskip(SKIP_4) | instid1(VALU_DEP_1)
	s_or_b32 exec_lo, exec_lo, s2
	v_mov_b32_e32 v89, 0
	ds_load_b64 v[90:91], v89 offset:168
	s_wait_dscnt 0x0
	v_pk_mul_f32 v[92:93], v[86:87], v[90:91] op_sel:[1,1] op_sel_hi:[0,1]
	v_pk_fma_f32 v[94:95], v[86:87], v[90:91], v[92:93] op_sel_hi:[1,0,1]
	v_pk_fma_f32 v[86:87], v[86:87], v[90:91], v[92:93] neg_lo:[0,0,1] neg_hi:[0,0,1]
	s_delay_alu instid0(VALU_DEP_2)
	v_mov_b32_e32 v87, v95
	scratch_store_b64 off, v[86:87], off offset:168
.LBB40_610:
	s_wait_xcnt 0x0
	s_or_b32 exec_lo, exec_lo, s0
	scratch_load_b64 v[86:87], off, off offset:176
	s_mov_b32 s0, exec_lo
	s_wait_loadcnt 0x0
	ds_store_b64 v1, v[86:87]
	s_wait_storecnt_dscnt 0x0
	s_barrier_signal -1
	s_barrier_wait -1
	s_wait_xcnt 0x0
	v_cmpx_gt_u32_e32 22, v0
	s_cbranch_execz .LBB40_620
; %bb.611:
	v_cmp_ne_u32_e32 vcc_lo, 1, v88
	s_cbranch_vccnz .LBB40_613
; %bb.612:
	scratch_load_b64 v[86:87], v39, off
	ds_load_b64 v[90:91], v1
	s_wait_loadcnt_dscnt 0x0
	v_pk_mul_f32 v[92:93], v[90:91], v[86:87] op_sel:[1,1] op_sel_hi:[0,1]
	s_delay_alu instid0(VALU_DEP_1) | instskip(SKIP_1) | instid1(VALU_DEP_2)
	v_pk_fma_f32 v[94:95], v[90:91], v[86:87], v[92:93] op_sel_hi:[1,0,1]
	v_pk_fma_f32 v[86:87], v[90:91], v[86:87], v[92:93] neg_lo:[0,0,1] neg_hi:[0,0,1]
	v_mov_b32_e32 v87, v95
	s_cbranch_execz .LBB40_614
	s_branch .LBB40_615
.LBB40_613:
                                        ; implicit-def: $vgpr86_vgpr87
.LBB40_614:
	ds_load_b64 v[86:87], v1
.LBB40_615:
	s_mov_b32 s2, exec_lo
	v_cmpx_ne_u32_e32 21, v0
	s_cbranch_execz .LBB40_619
; %bb.616:
	v_add_nc_u32_e32 v89, 0x158, v38
	v_add3_u32 v90, 0, v38, 8
	v_mov_b32_e32 v91, v0
	s_mov_b32 s3, 0
.LBB40_617:                             ; =>This Inner Loop Header: Depth=1
	scratch_load_b64 v[92:93], v90, off
	ds_load_b64 v[94:95], v89
	s_wait_xcnt 0x0
	v_dual_add_nc_u32 v89, 8, v89 :: v_dual_add_nc_u32 v90, 8, v90
	s_wait_loadcnt_dscnt 0x0
	v_pk_mul_f32 v[96:97], v[94:95], v[92:93] op_sel:[1,1] op_sel_hi:[0,1]
	s_delay_alu instid0(VALU_DEP_1) | instskip(SKIP_2) | instid1(VALU_DEP_3)
	v_pk_fma_f32 v[98:99], v[94:95], v[92:93], v[96:97] op_sel_hi:[1,0,1]
	v_add_nc_u32_e32 v91, 1, v91
	v_pk_fma_f32 v[92:93], v[94:95], v[92:93], v[96:97] neg_lo:[0,0,1] neg_hi:[0,0,1]
	v_mov_b32_e32 v93, v99
	s_delay_alu instid0(VALU_DEP_3) | instskip(NEXT) | instid1(VALU_DEP_2)
	v_cmp_lt_u32_e32 vcc_lo, 20, v91
	v_pk_add_f32 v[86:87], v[86:87], v[92:93]
	s_or_b32 s3, vcc_lo, s3
	s_delay_alu instid0(SALU_CYCLE_1)
	s_and_not1_b32 exec_lo, exec_lo, s3
	s_cbranch_execnz .LBB40_617
; %bb.618:
	s_or_b32 exec_lo, exec_lo, s3
.LBB40_619:
	s_delay_alu instid0(SALU_CYCLE_1) | instskip(SKIP_4) | instid1(VALU_DEP_1)
	s_or_b32 exec_lo, exec_lo, s2
	v_mov_b32_e32 v89, 0
	ds_load_b64 v[90:91], v89 offset:176
	s_wait_dscnt 0x0
	v_pk_mul_f32 v[92:93], v[86:87], v[90:91] op_sel:[1,1] op_sel_hi:[0,1]
	v_pk_fma_f32 v[94:95], v[86:87], v[90:91], v[92:93] op_sel_hi:[1,0,1]
	v_pk_fma_f32 v[86:87], v[86:87], v[90:91], v[92:93] neg_lo:[0,0,1] neg_hi:[0,0,1]
	s_delay_alu instid0(VALU_DEP_2)
	v_mov_b32_e32 v87, v95
	scratch_store_b64 off, v[86:87], off offset:176
.LBB40_620:
	s_wait_xcnt 0x0
	s_or_b32 exec_lo, exec_lo, s0
	scratch_load_b64 v[86:87], off, off offset:184
	s_mov_b32 s0, exec_lo
	s_wait_loadcnt 0x0
	ds_store_b64 v1, v[86:87]
	s_wait_storecnt_dscnt 0x0
	s_barrier_signal -1
	s_barrier_wait -1
	s_wait_xcnt 0x0
	v_cmpx_gt_u32_e32 23, v0
	s_cbranch_execz .LBB40_630
; %bb.621:
	v_cmp_ne_u32_e32 vcc_lo, 1, v88
	s_cbranch_vccnz .LBB40_623
; %bb.622:
	scratch_load_b64 v[86:87], v39, off
	ds_load_b64 v[90:91], v1
	s_wait_loadcnt_dscnt 0x0
	v_pk_mul_f32 v[92:93], v[90:91], v[86:87] op_sel:[1,1] op_sel_hi:[0,1]
	s_delay_alu instid0(VALU_DEP_1) | instskip(SKIP_1) | instid1(VALU_DEP_2)
	v_pk_fma_f32 v[94:95], v[90:91], v[86:87], v[92:93] op_sel_hi:[1,0,1]
	v_pk_fma_f32 v[86:87], v[90:91], v[86:87], v[92:93] neg_lo:[0,0,1] neg_hi:[0,0,1]
	v_mov_b32_e32 v87, v95
	s_cbranch_execz .LBB40_624
	s_branch .LBB40_625
.LBB40_623:
                                        ; implicit-def: $vgpr86_vgpr87
.LBB40_624:
	ds_load_b64 v[86:87], v1
.LBB40_625:
	s_mov_b32 s2, exec_lo
	v_cmpx_ne_u32_e32 22, v0
	s_cbranch_execz .LBB40_629
; %bb.626:
	v_add_nc_u32_e32 v89, 0x158, v38
	v_add3_u32 v90, 0, v38, 8
	v_mov_b32_e32 v91, v0
	s_mov_b32 s3, 0
.LBB40_627:                             ; =>This Inner Loop Header: Depth=1
	scratch_load_b64 v[92:93], v90, off
	ds_load_b64 v[94:95], v89
	s_wait_xcnt 0x0
	v_dual_add_nc_u32 v89, 8, v89 :: v_dual_add_nc_u32 v90, 8, v90
	s_wait_loadcnt_dscnt 0x0
	v_pk_mul_f32 v[96:97], v[94:95], v[92:93] op_sel:[1,1] op_sel_hi:[0,1]
	s_delay_alu instid0(VALU_DEP_1) | instskip(SKIP_2) | instid1(VALU_DEP_3)
	v_pk_fma_f32 v[98:99], v[94:95], v[92:93], v[96:97] op_sel_hi:[1,0,1]
	v_add_nc_u32_e32 v91, 1, v91
	v_pk_fma_f32 v[92:93], v[94:95], v[92:93], v[96:97] neg_lo:[0,0,1] neg_hi:[0,0,1]
	v_mov_b32_e32 v93, v99
	s_delay_alu instid0(VALU_DEP_3) | instskip(NEXT) | instid1(VALU_DEP_2)
	v_cmp_lt_u32_e32 vcc_lo, 21, v91
	v_pk_add_f32 v[86:87], v[86:87], v[92:93]
	s_or_b32 s3, vcc_lo, s3
	s_delay_alu instid0(SALU_CYCLE_1)
	s_and_not1_b32 exec_lo, exec_lo, s3
	s_cbranch_execnz .LBB40_627
; %bb.628:
	s_or_b32 exec_lo, exec_lo, s3
.LBB40_629:
	s_delay_alu instid0(SALU_CYCLE_1) | instskip(SKIP_4) | instid1(VALU_DEP_1)
	s_or_b32 exec_lo, exec_lo, s2
	v_mov_b32_e32 v89, 0
	ds_load_b64 v[90:91], v89 offset:184
	s_wait_dscnt 0x0
	v_pk_mul_f32 v[92:93], v[86:87], v[90:91] op_sel:[1,1] op_sel_hi:[0,1]
	v_pk_fma_f32 v[94:95], v[86:87], v[90:91], v[92:93] op_sel_hi:[1,0,1]
	v_pk_fma_f32 v[86:87], v[86:87], v[90:91], v[92:93] neg_lo:[0,0,1] neg_hi:[0,0,1]
	s_delay_alu instid0(VALU_DEP_2)
	v_mov_b32_e32 v87, v95
	scratch_store_b64 off, v[86:87], off offset:184
.LBB40_630:
	s_wait_xcnt 0x0
	s_or_b32 exec_lo, exec_lo, s0
	scratch_load_b64 v[86:87], off, off offset:192
	s_mov_b32 s0, exec_lo
	s_wait_loadcnt 0x0
	ds_store_b64 v1, v[86:87]
	s_wait_storecnt_dscnt 0x0
	s_barrier_signal -1
	s_barrier_wait -1
	s_wait_xcnt 0x0
	v_cmpx_gt_u32_e32 24, v0
	s_cbranch_execz .LBB40_640
; %bb.631:
	v_cmp_ne_u32_e32 vcc_lo, 1, v88
	s_cbranch_vccnz .LBB40_633
; %bb.632:
	scratch_load_b64 v[86:87], v39, off
	ds_load_b64 v[90:91], v1
	s_wait_loadcnt_dscnt 0x0
	v_pk_mul_f32 v[92:93], v[90:91], v[86:87] op_sel:[1,1] op_sel_hi:[0,1]
	s_delay_alu instid0(VALU_DEP_1) | instskip(SKIP_1) | instid1(VALU_DEP_2)
	v_pk_fma_f32 v[94:95], v[90:91], v[86:87], v[92:93] op_sel_hi:[1,0,1]
	v_pk_fma_f32 v[86:87], v[90:91], v[86:87], v[92:93] neg_lo:[0,0,1] neg_hi:[0,0,1]
	v_mov_b32_e32 v87, v95
	s_cbranch_execz .LBB40_634
	s_branch .LBB40_635
.LBB40_633:
                                        ; implicit-def: $vgpr86_vgpr87
.LBB40_634:
	ds_load_b64 v[86:87], v1
.LBB40_635:
	s_mov_b32 s2, exec_lo
	v_cmpx_ne_u32_e32 23, v0
	s_cbranch_execz .LBB40_639
; %bb.636:
	v_add_nc_u32_e32 v89, 0x158, v38
	v_add3_u32 v90, 0, v38, 8
	v_mov_b32_e32 v91, v0
	s_mov_b32 s3, 0
.LBB40_637:                             ; =>This Inner Loop Header: Depth=1
	scratch_load_b64 v[92:93], v90, off
	ds_load_b64 v[94:95], v89
	s_wait_xcnt 0x0
	v_dual_add_nc_u32 v89, 8, v89 :: v_dual_add_nc_u32 v90, 8, v90
	s_wait_loadcnt_dscnt 0x0
	v_pk_mul_f32 v[96:97], v[94:95], v[92:93] op_sel:[1,1] op_sel_hi:[0,1]
	s_delay_alu instid0(VALU_DEP_1) | instskip(SKIP_2) | instid1(VALU_DEP_3)
	v_pk_fma_f32 v[98:99], v[94:95], v[92:93], v[96:97] op_sel_hi:[1,0,1]
	v_add_nc_u32_e32 v91, 1, v91
	v_pk_fma_f32 v[92:93], v[94:95], v[92:93], v[96:97] neg_lo:[0,0,1] neg_hi:[0,0,1]
	v_mov_b32_e32 v93, v99
	s_delay_alu instid0(VALU_DEP_3) | instskip(NEXT) | instid1(VALU_DEP_2)
	v_cmp_lt_u32_e32 vcc_lo, 22, v91
	v_pk_add_f32 v[86:87], v[86:87], v[92:93]
	s_or_b32 s3, vcc_lo, s3
	s_delay_alu instid0(SALU_CYCLE_1)
	s_and_not1_b32 exec_lo, exec_lo, s3
	s_cbranch_execnz .LBB40_637
; %bb.638:
	s_or_b32 exec_lo, exec_lo, s3
.LBB40_639:
	s_delay_alu instid0(SALU_CYCLE_1) | instskip(SKIP_4) | instid1(VALU_DEP_1)
	s_or_b32 exec_lo, exec_lo, s2
	v_mov_b32_e32 v89, 0
	ds_load_b64 v[90:91], v89 offset:192
	s_wait_dscnt 0x0
	v_pk_mul_f32 v[92:93], v[86:87], v[90:91] op_sel:[1,1] op_sel_hi:[0,1]
	v_pk_fma_f32 v[94:95], v[86:87], v[90:91], v[92:93] op_sel_hi:[1,0,1]
	v_pk_fma_f32 v[86:87], v[86:87], v[90:91], v[92:93] neg_lo:[0,0,1] neg_hi:[0,0,1]
	s_delay_alu instid0(VALU_DEP_2)
	v_mov_b32_e32 v87, v95
	scratch_store_b64 off, v[86:87], off offset:192
.LBB40_640:
	s_wait_xcnt 0x0
	s_or_b32 exec_lo, exec_lo, s0
	scratch_load_b64 v[86:87], off, off offset:200
	s_mov_b32 s0, exec_lo
	s_wait_loadcnt 0x0
	ds_store_b64 v1, v[86:87]
	s_wait_storecnt_dscnt 0x0
	s_barrier_signal -1
	s_barrier_wait -1
	s_wait_xcnt 0x0
	v_cmpx_gt_u32_e32 25, v0
	s_cbranch_execz .LBB40_650
; %bb.641:
	v_cmp_ne_u32_e32 vcc_lo, 1, v88
	s_cbranch_vccnz .LBB40_643
; %bb.642:
	scratch_load_b64 v[86:87], v39, off
	ds_load_b64 v[90:91], v1
	s_wait_loadcnt_dscnt 0x0
	v_pk_mul_f32 v[92:93], v[90:91], v[86:87] op_sel:[1,1] op_sel_hi:[0,1]
	s_delay_alu instid0(VALU_DEP_1) | instskip(SKIP_1) | instid1(VALU_DEP_2)
	v_pk_fma_f32 v[94:95], v[90:91], v[86:87], v[92:93] op_sel_hi:[1,0,1]
	v_pk_fma_f32 v[86:87], v[90:91], v[86:87], v[92:93] neg_lo:[0,0,1] neg_hi:[0,0,1]
	v_mov_b32_e32 v87, v95
	s_cbranch_execz .LBB40_644
	s_branch .LBB40_645
.LBB40_643:
                                        ; implicit-def: $vgpr86_vgpr87
.LBB40_644:
	ds_load_b64 v[86:87], v1
.LBB40_645:
	s_mov_b32 s2, exec_lo
	v_cmpx_ne_u32_e32 24, v0
	s_cbranch_execz .LBB40_649
; %bb.646:
	v_add_nc_u32_e32 v89, 0x158, v38
	v_add3_u32 v90, 0, v38, 8
	v_mov_b32_e32 v91, v0
	s_mov_b32 s3, 0
.LBB40_647:                             ; =>This Inner Loop Header: Depth=1
	scratch_load_b64 v[92:93], v90, off
	ds_load_b64 v[94:95], v89
	s_wait_xcnt 0x0
	v_dual_add_nc_u32 v89, 8, v89 :: v_dual_add_nc_u32 v90, 8, v90
	s_wait_loadcnt_dscnt 0x0
	v_pk_mul_f32 v[96:97], v[94:95], v[92:93] op_sel:[1,1] op_sel_hi:[0,1]
	s_delay_alu instid0(VALU_DEP_1) | instskip(SKIP_2) | instid1(VALU_DEP_3)
	v_pk_fma_f32 v[98:99], v[94:95], v[92:93], v[96:97] op_sel_hi:[1,0,1]
	v_add_nc_u32_e32 v91, 1, v91
	v_pk_fma_f32 v[92:93], v[94:95], v[92:93], v[96:97] neg_lo:[0,0,1] neg_hi:[0,0,1]
	v_mov_b32_e32 v93, v99
	s_delay_alu instid0(VALU_DEP_3) | instskip(NEXT) | instid1(VALU_DEP_2)
	v_cmp_lt_u32_e32 vcc_lo, 23, v91
	v_pk_add_f32 v[86:87], v[86:87], v[92:93]
	s_or_b32 s3, vcc_lo, s3
	s_delay_alu instid0(SALU_CYCLE_1)
	s_and_not1_b32 exec_lo, exec_lo, s3
	s_cbranch_execnz .LBB40_647
; %bb.648:
	s_or_b32 exec_lo, exec_lo, s3
.LBB40_649:
	s_delay_alu instid0(SALU_CYCLE_1) | instskip(SKIP_4) | instid1(VALU_DEP_1)
	s_or_b32 exec_lo, exec_lo, s2
	v_mov_b32_e32 v89, 0
	ds_load_b64 v[90:91], v89 offset:200
	s_wait_dscnt 0x0
	v_pk_mul_f32 v[92:93], v[86:87], v[90:91] op_sel:[1,1] op_sel_hi:[0,1]
	v_pk_fma_f32 v[94:95], v[86:87], v[90:91], v[92:93] op_sel_hi:[1,0,1]
	v_pk_fma_f32 v[86:87], v[86:87], v[90:91], v[92:93] neg_lo:[0,0,1] neg_hi:[0,0,1]
	s_delay_alu instid0(VALU_DEP_2)
	v_mov_b32_e32 v87, v95
	scratch_store_b64 off, v[86:87], off offset:200
.LBB40_650:
	s_wait_xcnt 0x0
	s_or_b32 exec_lo, exec_lo, s0
	scratch_load_b64 v[86:87], off, off offset:208
	s_mov_b32 s0, exec_lo
	s_wait_loadcnt 0x0
	ds_store_b64 v1, v[86:87]
	s_wait_storecnt_dscnt 0x0
	s_barrier_signal -1
	s_barrier_wait -1
	s_wait_xcnt 0x0
	v_cmpx_gt_u32_e32 26, v0
	s_cbranch_execz .LBB40_660
; %bb.651:
	v_cmp_ne_u32_e32 vcc_lo, 1, v88
	s_cbranch_vccnz .LBB40_653
; %bb.652:
	scratch_load_b64 v[86:87], v39, off
	ds_load_b64 v[90:91], v1
	s_wait_loadcnt_dscnt 0x0
	v_pk_mul_f32 v[92:93], v[90:91], v[86:87] op_sel:[1,1] op_sel_hi:[0,1]
	s_delay_alu instid0(VALU_DEP_1) | instskip(SKIP_1) | instid1(VALU_DEP_2)
	v_pk_fma_f32 v[94:95], v[90:91], v[86:87], v[92:93] op_sel_hi:[1,0,1]
	v_pk_fma_f32 v[86:87], v[90:91], v[86:87], v[92:93] neg_lo:[0,0,1] neg_hi:[0,0,1]
	v_mov_b32_e32 v87, v95
	s_cbranch_execz .LBB40_654
	s_branch .LBB40_655
.LBB40_653:
                                        ; implicit-def: $vgpr86_vgpr87
.LBB40_654:
	ds_load_b64 v[86:87], v1
.LBB40_655:
	s_mov_b32 s2, exec_lo
	v_cmpx_ne_u32_e32 25, v0
	s_cbranch_execz .LBB40_659
; %bb.656:
	v_add_nc_u32_e32 v89, 0x158, v38
	v_add3_u32 v90, 0, v38, 8
	v_mov_b32_e32 v91, v0
	s_mov_b32 s3, 0
.LBB40_657:                             ; =>This Inner Loop Header: Depth=1
	scratch_load_b64 v[92:93], v90, off
	ds_load_b64 v[94:95], v89
	s_wait_xcnt 0x0
	v_dual_add_nc_u32 v89, 8, v89 :: v_dual_add_nc_u32 v90, 8, v90
	s_wait_loadcnt_dscnt 0x0
	v_pk_mul_f32 v[96:97], v[94:95], v[92:93] op_sel:[1,1] op_sel_hi:[0,1]
	s_delay_alu instid0(VALU_DEP_1) | instskip(SKIP_2) | instid1(VALU_DEP_3)
	v_pk_fma_f32 v[98:99], v[94:95], v[92:93], v[96:97] op_sel_hi:[1,0,1]
	v_add_nc_u32_e32 v91, 1, v91
	v_pk_fma_f32 v[92:93], v[94:95], v[92:93], v[96:97] neg_lo:[0,0,1] neg_hi:[0,0,1]
	v_mov_b32_e32 v93, v99
	s_delay_alu instid0(VALU_DEP_3) | instskip(NEXT) | instid1(VALU_DEP_2)
	v_cmp_lt_u32_e32 vcc_lo, 24, v91
	v_pk_add_f32 v[86:87], v[86:87], v[92:93]
	s_or_b32 s3, vcc_lo, s3
	s_delay_alu instid0(SALU_CYCLE_1)
	s_and_not1_b32 exec_lo, exec_lo, s3
	s_cbranch_execnz .LBB40_657
; %bb.658:
	s_or_b32 exec_lo, exec_lo, s3
.LBB40_659:
	s_delay_alu instid0(SALU_CYCLE_1) | instskip(SKIP_4) | instid1(VALU_DEP_1)
	s_or_b32 exec_lo, exec_lo, s2
	v_mov_b32_e32 v89, 0
	ds_load_b64 v[90:91], v89 offset:208
	s_wait_dscnt 0x0
	v_pk_mul_f32 v[92:93], v[86:87], v[90:91] op_sel:[1,1] op_sel_hi:[0,1]
	v_pk_fma_f32 v[94:95], v[86:87], v[90:91], v[92:93] op_sel_hi:[1,0,1]
	v_pk_fma_f32 v[86:87], v[86:87], v[90:91], v[92:93] neg_lo:[0,0,1] neg_hi:[0,0,1]
	s_delay_alu instid0(VALU_DEP_2)
	v_mov_b32_e32 v87, v95
	scratch_store_b64 off, v[86:87], off offset:208
.LBB40_660:
	s_wait_xcnt 0x0
	s_or_b32 exec_lo, exec_lo, s0
	scratch_load_b64 v[86:87], off, off offset:216
	s_mov_b32 s0, exec_lo
	s_wait_loadcnt 0x0
	ds_store_b64 v1, v[86:87]
	s_wait_storecnt_dscnt 0x0
	s_barrier_signal -1
	s_barrier_wait -1
	s_wait_xcnt 0x0
	v_cmpx_gt_u32_e32 27, v0
	s_cbranch_execz .LBB40_670
; %bb.661:
	v_cmp_ne_u32_e32 vcc_lo, 1, v88
	s_cbranch_vccnz .LBB40_663
; %bb.662:
	scratch_load_b64 v[86:87], v39, off
	ds_load_b64 v[90:91], v1
	s_wait_loadcnt_dscnt 0x0
	v_pk_mul_f32 v[92:93], v[90:91], v[86:87] op_sel:[1,1] op_sel_hi:[0,1]
	s_delay_alu instid0(VALU_DEP_1) | instskip(SKIP_1) | instid1(VALU_DEP_2)
	v_pk_fma_f32 v[94:95], v[90:91], v[86:87], v[92:93] op_sel_hi:[1,0,1]
	v_pk_fma_f32 v[86:87], v[90:91], v[86:87], v[92:93] neg_lo:[0,0,1] neg_hi:[0,0,1]
	v_mov_b32_e32 v87, v95
	s_cbranch_execz .LBB40_664
	s_branch .LBB40_665
.LBB40_663:
                                        ; implicit-def: $vgpr86_vgpr87
.LBB40_664:
	ds_load_b64 v[86:87], v1
.LBB40_665:
	s_mov_b32 s2, exec_lo
	v_cmpx_ne_u32_e32 26, v0
	s_cbranch_execz .LBB40_669
; %bb.666:
	v_add_nc_u32_e32 v89, 0x158, v38
	v_add3_u32 v90, 0, v38, 8
	v_mov_b32_e32 v91, v0
	s_mov_b32 s3, 0
.LBB40_667:                             ; =>This Inner Loop Header: Depth=1
	scratch_load_b64 v[92:93], v90, off
	ds_load_b64 v[94:95], v89
	s_wait_xcnt 0x0
	v_dual_add_nc_u32 v89, 8, v89 :: v_dual_add_nc_u32 v90, 8, v90
	s_wait_loadcnt_dscnt 0x0
	v_pk_mul_f32 v[96:97], v[94:95], v[92:93] op_sel:[1,1] op_sel_hi:[0,1]
	s_delay_alu instid0(VALU_DEP_1) | instskip(SKIP_2) | instid1(VALU_DEP_3)
	v_pk_fma_f32 v[98:99], v[94:95], v[92:93], v[96:97] op_sel_hi:[1,0,1]
	v_add_nc_u32_e32 v91, 1, v91
	v_pk_fma_f32 v[92:93], v[94:95], v[92:93], v[96:97] neg_lo:[0,0,1] neg_hi:[0,0,1]
	v_mov_b32_e32 v93, v99
	s_delay_alu instid0(VALU_DEP_3) | instskip(NEXT) | instid1(VALU_DEP_2)
	v_cmp_lt_u32_e32 vcc_lo, 25, v91
	v_pk_add_f32 v[86:87], v[86:87], v[92:93]
	s_or_b32 s3, vcc_lo, s3
	s_delay_alu instid0(SALU_CYCLE_1)
	s_and_not1_b32 exec_lo, exec_lo, s3
	s_cbranch_execnz .LBB40_667
; %bb.668:
	s_or_b32 exec_lo, exec_lo, s3
.LBB40_669:
	s_delay_alu instid0(SALU_CYCLE_1) | instskip(SKIP_4) | instid1(VALU_DEP_1)
	s_or_b32 exec_lo, exec_lo, s2
	v_mov_b32_e32 v89, 0
	ds_load_b64 v[90:91], v89 offset:216
	s_wait_dscnt 0x0
	v_pk_mul_f32 v[92:93], v[86:87], v[90:91] op_sel:[1,1] op_sel_hi:[0,1]
	v_pk_fma_f32 v[94:95], v[86:87], v[90:91], v[92:93] op_sel_hi:[1,0,1]
	v_pk_fma_f32 v[86:87], v[86:87], v[90:91], v[92:93] neg_lo:[0,0,1] neg_hi:[0,0,1]
	s_delay_alu instid0(VALU_DEP_2)
	v_mov_b32_e32 v87, v95
	scratch_store_b64 off, v[86:87], off offset:216
.LBB40_670:
	s_wait_xcnt 0x0
	s_or_b32 exec_lo, exec_lo, s0
	scratch_load_b64 v[86:87], off, off offset:224
	s_mov_b32 s0, exec_lo
	s_wait_loadcnt 0x0
	ds_store_b64 v1, v[86:87]
	s_wait_storecnt_dscnt 0x0
	s_barrier_signal -1
	s_barrier_wait -1
	s_wait_xcnt 0x0
	v_cmpx_gt_u32_e32 28, v0
	s_cbranch_execz .LBB40_680
; %bb.671:
	v_cmp_ne_u32_e32 vcc_lo, 1, v88
	s_cbranch_vccnz .LBB40_673
; %bb.672:
	scratch_load_b64 v[86:87], v39, off
	ds_load_b64 v[90:91], v1
	s_wait_loadcnt_dscnt 0x0
	v_pk_mul_f32 v[92:93], v[90:91], v[86:87] op_sel:[1,1] op_sel_hi:[0,1]
	s_delay_alu instid0(VALU_DEP_1) | instskip(SKIP_1) | instid1(VALU_DEP_2)
	v_pk_fma_f32 v[94:95], v[90:91], v[86:87], v[92:93] op_sel_hi:[1,0,1]
	v_pk_fma_f32 v[86:87], v[90:91], v[86:87], v[92:93] neg_lo:[0,0,1] neg_hi:[0,0,1]
	v_mov_b32_e32 v87, v95
	s_cbranch_execz .LBB40_674
	s_branch .LBB40_675
.LBB40_673:
                                        ; implicit-def: $vgpr86_vgpr87
.LBB40_674:
	ds_load_b64 v[86:87], v1
.LBB40_675:
	s_mov_b32 s2, exec_lo
	v_cmpx_ne_u32_e32 27, v0
	s_cbranch_execz .LBB40_679
; %bb.676:
	v_add_nc_u32_e32 v89, 0x158, v38
	v_add3_u32 v90, 0, v38, 8
	v_mov_b32_e32 v91, v0
	s_mov_b32 s3, 0
.LBB40_677:                             ; =>This Inner Loop Header: Depth=1
	scratch_load_b64 v[92:93], v90, off
	ds_load_b64 v[94:95], v89
	s_wait_xcnt 0x0
	v_dual_add_nc_u32 v89, 8, v89 :: v_dual_add_nc_u32 v90, 8, v90
	s_wait_loadcnt_dscnt 0x0
	v_pk_mul_f32 v[96:97], v[94:95], v[92:93] op_sel:[1,1] op_sel_hi:[0,1]
	s_delay_alu instid0(VALU_DEP_1) | instskip(SKIP_2) | instid1(VALU_DEP_3)
	v_pk_fma_f32 v[98:99], v[94:95], v[92:93], v[96:97] op_sel_hi:[1,0,1]
	v_add_nc_u32_e32 v91, 1, v91
	v_pk_fma_f32 v[92:93], v[94:95], v[92:93], v[96:97] neg_lo:[0,0,1] neg_hi:[0,0,1]
	v_mov_b32_e32 v93, v99
	s_delay_alu instid0(VALU_DEP_3) | instskip(NEXT) | instid1(VALU_DEP_2)
	v_cmp_lt_u32_e32 vcc_lo, 26, v91
	v_pk_add_f32 v[86:87], v[86:87], v[92:93]
	s_or_b32 s3, vcc_lo, s3
	s_delay_alu instid0(SALU_CYCLE_1)
	s_and_not1_b32 exec_lo, exec_lo, s3
	s_cbranch_execnz .LBB40_677
; %bb.678:
	s_or_b32 exec_lo, exec_lo, s3
.LBB40_679:
	s_delay_alu instid0(SALU_CYCLE_1) | instskip(SKIP_4) | instid1(VALU_DEP_1)
	s_or_b32 exec_lo, exec_lo, s2
	v_mov_b32_e32 v89, 0
	ds_load_b64 v[90:91], v89 offset:224
	s_wait_dscnt 0x0
	v_pk_mul_f32 v[92:93], v[86:87], v[90:91] op_sel:[1,1] op_sel_hi:[0,1]
	v_pk_fma_f32 v[94:95], v[86:87], v[90:91], v[92:93] op_sel_hi:[1,0,1]
	v_pk_fma_f32 v[86:87], v[86:87], v[90:91], v[92:93] neg_lo:[0,0,1] neg_hi:[0,0,1]
	s_delay_alu instid0(VALU_DEP_2)
	v_mov_b32_e32 v87, v95
	scratch_store_b64 off, v[86:87], off offset:224
.LBB40_680:
	s_wait_xcnt 0x0
	s_or_b32 exec_lo, exec_lo, s0
	scratch_load_b64 v[86:87], off, off offset:232
	s_mov_b32 s0, exec_lo
	s_wait_loadcnt 0x0
	ds_store_b64 v1, v[86:87]
	s_wait_storecnt_dscnt 0x0
	s_barrier_signal -1
	s_barrier_wait -1
	s_wait_xcnt 0x0
	v_cmpx_gt_u32_e32 29, v0
	s_cbranch_execz .LBB40_690
; %bb.681:
	v_cmp_ne_u32_e32 vcc_lo, 1, v88
	s_cbranch_vccnz .LBB40_683
; %bb.682:
	scratch_load_b64 v[86:87], v39, off
	ds_load_b64 v[90:91], v1
	s_wait_loadcnt_dscnt 0x0
	v_pk_mul_f32 v[92:93], v[90:91], v[86:87] op_sel:[1,1] op_sel_hi:[0,1]
	s_delay_alu instid0(VALU_DEP_1) | instskip(SKIP_1) | instid1(VALU_DEP_2)
	v_pk_fma_f32 v[94:95], v[90:91], v[86:87], v[92:93] op_sel_hi:[1,0,1]
	v_pk_fma_f32 v[86:87], v[90:91], v[86:87], v[92:93] neg_lo:[0,0,1] neg_hi:[0,0,1]
	v_mov_b32_e32 v87, v95
	s_cbranch_execz .LBB40_684
	s_branch .LBB40_685
.LBB40_683:
                                        ; implicit-def: $vgpr86_vgpr87
.LBB40_684:
	ds_load_b64 v[86:87], v1
.LBB40_685:
	s_mov_b32 s2, exec_lo
	v_cmpx_ne_u32_e32 28, v0
	s_cbranch_execz .LBB40_689
; %bb.686:
	v_add_nc_u32_e32 v89, 0x158, v38
	v_add3_u32 v90, 0, v38, 8
	v_mov_b32_e32 v91, v0
	s_mov_b32 s3, 0
.LBB40_687:                             ; =>This Inner Loop Header: Depth=1
	scratch_load_b64 v[92:93], v90, off
	ds_load_b64 v[94:95], v89
	s_wait_xcnt 0x0
	v_dual_add_nc_u32 v89, 8, v89 :: v_dual_add_nc_u32 v90, 8, v90
	s_wait_loadcnt_dscnt 0x0
	v_pk_mul_f32 v[96:97], v[94:95], v[92:93] op_sel:[1,1] op_sel_hi:[0,1]
	s_delay_alu instid0(VALU_DEP_1) | instskip(SKIP_2) | instid1(VALU_DEP_3)
	v_pk_fma_f32 v[98:99], v[94:95], v[92:93], v[96:97] op_sel_hi:[1,0,1]
	v_add_nc_u32_e32 v91, 1, v91
	v_pk_fma_f32 v[92:93], v[94:95], v[92:93], v[96:97] neg_lo:[0,0,1] neg_hi:[0,0,1]
	v_mov_b32_e32 v93, v99
	s_delay_alu instid0(VALU_DEP_3) | instskip(NEXT) | instid1(VALU_DEP_2)
	v_cmp_lt_u32_e32 vcc_lo, 27, v91
	v_pk_add_f32 v[86:87], v[86:87], v[92:93]
	s_or_b32 s3, vcc_lo, s3
	s_delay_alu instid0(SALU_CYCLE_1)
	s_and_not1_b32 exec_lo, exec_lo, s3
	s_cbranch_execnz .LBB40_687
; %bb.688:
	s_or_b32 exec_lo, exec_lo, s3
.LBB40_689:
	s_delay_alu instid0(SALU_CYCLE_1) | instskip(SKIP_4) | instid1(VALU_DEP_1)
	s_or_b32 exec_lo, exec_lo, s2
	v_mov_b32_e32 v89, 0
	ds_load_b64 v[90:91], v89 offset:232
	s_wait_dscnt 0x0
	v_pk_mul_f32 v[92:93], v[86:87], v[90:91] op_sel:[1,1] op_sel_hi:[0,1]
	v_pk_fma_f32 v[94:95], v[86:87], v[90:91], v[92:93] op_sel_hi:[1,0,1]
	v_pk_fma_f32 v[86:87], v[86:87], v[90:91], v[92:93] neg_lo:[0,0,1] neg_hi:[0,0,1]
	s_delay_alu instid0(VALU_DEP_2)
	v_mov_b32_e32 v87, v95
	scratch_store_b64 off, v[86:87], off offset:232
.LBB40_690:
	s_wait_xcnt 0x0
	s_or_b32 exec_lo, exec_lo, s0
	scratch_load_b64 v[86:87], off, off offset:240
	s_mov_b32 s0, exec_lo
	s_wait_loadcnt 0x0
	ds_store_b64 v1, v[86:87]
	s_wait_storecnt_dscnt 0x0
	s_barrier_signal -1
	s_barrier_wait -1
	s_wait_xcnt 0x0
	v_cmpx_gt_u32_e32 30, v0
	s_cbranch_execz .LBB40_700
; %bb.691:
	v_cmp_ne_u32_e32 vcc_lo, 1, v88
	s_cbranch_vccnz .LBB40_693
; %bb.692:
	scratch_load_b64 v[86:87], v39, off
	ds_load_b64 v[90:91], v1
	s_wait_loadcnt_dscnt 0x0
	v_pk_mul_f32 v[92:93], v[90:91], v[86:87] op_sel:[1,1] op_sel_hi:[0,1]
	s_delay_alu instid0(VALU_DEP_1) | instskip(SKIP_1) | instid1(VALU_DEP_2)
	v_pk_fma_f32 v[94:95], v[90:91], v[86:87], v[92:93] op_sel_hi:[1,0,1]
	v_pk_fma_f32 v[86:87], v[90:91], v[86:87], v[92:93] neg_lo:[0,0,1] neg_hi:[0,0,1]
	v_mov_b32_e32 v87, v95
	s_cbranch_execz .LBB40_694
	s_branch .LBB40_695
.LBB40_693:
                                        ; implicit-def: $vgpr86_vgpr87
.LBB40_694:
	ds_load_b64 v[86:87], v1
.LBB40_695:
	s_mov_b32 s2, exec_lo
	v_cmpx_ne_u32_e32 29, v0
	s_cbranch_execz .LBB40_699
; %bb.696:
	v_add_nc_u32_e32 v89, 0x158, v38
	v_add3_u32 v90, 0, v38, 8
	v_mov_b32_e32 v91, v0
	s_mov_b32 s3, 0
.LBB40_697:                             ; =>This Inner Loop Header: Depth=1
	scratch_load_b64 v[92:93], v90, off
	ds_load_b64 v[94:95], v89
	s_wait_xcnt 0x0
	v_dual_add_nc_u32 v89, 8, v89 :: v_dual_add_nc_u32 v90, 8, v90
	s_wait_loadcnt_dscnt 0x0
	v_pk_mul_f32 v[96:97], v[94:95], v[92:93] op_sel:[1,1] op_sel_hi:[0,1]
	s_delay_alu instid0(VALU_DEP_1) | instskip(SKIP_2) | instid1(VALU_DEP_3)
	v_pk_fma_f32 v[98:99], v[94:95], v[92:93], v[96:97] op_sel_hi:[1,0,1]
	v_add_nc_u32_e32 v91, 1, v91
	v_pk_fma_f32 v[92:93], v[94:95], v[92:93], v[96:97] neg_lo:[0,0,1] neg_hi:[0,0,1]
	v_mov_b32_e32 v93, v99
	s_delay_alu instid0(VALU_DEP_3) | instskip(NEXT) | instid1(VALU_DEP_2)
	v_cmp_lt_u32_e32 vcc_lo, 28, v91
	v_pk_add_f32 v[86:87], v[86:87], v[92:93]
	s_or_b32 s3, vcc_lo, s3
	s_delay_alu instid0(SALU_CYCLE_1)
	s_and_not1_b32 exec_lo, exec_lo, s3
	s_cbranch_execnz .LBB40_697
; %bb.698:
	s_or_b32 exec_lo, exec_lo, s3
.LBB40_699:
	s_delay_alu instid0(SALU_CYCLE_1) | instskip(SKIP_4) | instid1(VALU_DEP_1)
	s_or_b32 exec_lo, exec_lo, s2
	v_mov_b32_e32 v89, 0
	ds_load_b64 v[90:91], v89 offset:240
	s_wait_dscnt 0x0
	v_pk_mul_f32 v[92:93], v[86:87], v[90:91] op_sel:[1,1] op_sel_hi:[0,1]
	v_pk_fma_f32 v[94:95], v[86:87], v[90:91], v[92:93] op_sel_hi:[1,0,1]
	v_pk_fma_f32 v[86:87], v[86:87], v[90:91], v[92:93] neg_lo:[0,0,1] neg_hi:[0,0,1]
	s_delay_alu instid0(VALU_DEP_2)
	v_mov_b32_e32 v87, v95
	scratch_store_b64 off, v[86:87], off offset:240
.LBB40_700:
	s_wait_xcnt 0x0
	s_or_b32 exec_lo, exec_lo, s0
	scratch_load_b64 v[86:87], off, off offset:248
	s_mov_b32 s0, exec_lo
	s_wait_loadcnt 0x0
	ds_store_b64 v1, v[86:87]
	s_wait_storecnt_dscnt 0x0
	s_barrier_signal -1
	s_barrier_wait -1
	s_wait_xcnt 0x0
	v_cmpx_gt_u32_e32 31, v0
	s_cbranch_execz .LBB40_710
; %bb.701:
	v_cmp_ne_u32_e32 vcc_lo, 1, v88
	s_cbranch_vccnz .LBB40_703
; %bb.702:
	scratch_load_b64 v[86:87], v39, off
	ds_load_b64 v[90:91], v1
	s_wait_loadcnt_dscnt 0x0
	v_pk_mul_f32 v[92:93], v[90:91], v[86:87] op_sel:[1,1] op_sel_hi:[0,1]
	s_delay_alu instid0(VALU_DEP_1) | instskip(SKIP_1) | instid1(VALU_DEP_2)
	v_pk_fma_f32 v[94:95], v[90:91], v[86:87], v[92:93] op_sel_hi:[1,0,1]
	v_pk_fma_f32 v[86:87], v[90:91], v[86:87], v[92:93] neg_lo:[0,0,1] neg_hi:[0,0,1]
	v_mov_b32_e32 v87, v95
	s_cbranch_execz .LBB40_704
	s_branch .LBB40_705
.LBB40_703:
                                        ; implicit-def: $vgpr86_vgpr87
.LBB40_704:
	ds_load_b64 v[86:87], v1
.LBB40_705:
	s_mov_b32 s2, exec_lo
	v_cmpx_ne_u32_e32 30, v0
	s_cbranch_execz .LBB40_709
; %bb.706:
	v_add_nc_u32_e32 v89, 0x158, v38
	v_add3_u32 v90, 0, v38, 8
	v_mov_b32_e32 v91, v0
	s_mov_b32 s3, 0
.LBB40_707:                             ; =>This Inner Loop Header: Depth=1
	scratch_load_b64 v[92:93], v90, off
	ds_load_b64 v[94:95], v89
	s_wait_xcnt 0x0
	v_dual_add_nc_u32 v89, 8, v89 :: v_dual_add_nc_u32 v90, 8, v90
	s_wait_loadcnt_dscnt 0x0
	v_pk_mul_f32 v[96:97], v[94:95], v[92:93] op_sel:[1,1] op_sel_hi:[0,1]
	s_delay_alu instid0(VALU_DEP_1) | instskip(SKIP_2) | instid1(VALU_DEP_3)
	v_pk_fma_f32 v[98:99], v[94:95], v[92:93], v[96:97] op_sel_hi:[1,0,1]
	v_add_nc_u32_e32 v91, 1, v91
	v_pk_fma_f32 v[92:93], v[94:95], v[92:93], v[96:97] neg_lo:[0,0,1] neg_hi:[0,0,1]
	v_mov_b32_e32 v93, v99
	s_delay_alu instid0(VALU_DEP_3) | instskip(NEXT) | instid1(VALU_DEP_2)
	v_cmp_lt_u32_e32 vcc_lo, 29, v91
	v_pk_add_f32 v[86:87], v[86:87], v[92:93]
	s_or_b32 s3, vcc_lo, s3
	s_delay_alu instid0(SALU_CYCLE_1)
	s_and_not1_b32 exec_lo, exec_lo, s3
	s_cbranch_execnz .LBB40_707
; %bb.708:
	s_or_b32 exec_lo, exec_lo, s3
.LBB40_709:
	s_delay_alu instid0(SALU_CYCLE_1) | instskip(SKIP_4) | instid1(VALU_DEP_1)
	s_or_b32 exec_lo, exec_lo, s2
	v_mov_b32_e32 v89, 0
	ds_load_b64 v[90:91], v89 offset:248
	s_wait_dscnt 0x0
	v_pk_mul_f32 v[92:93], v[86:87], v[90:91] op_sel:[1,1] op_sel_hi:[0,1]
	v_pk_fma_f32 v[94:95], v[86:87], v[90:91], v[92:93] op_sel_hi:[1,0,1]
	v_pk_fma_f32 v[86:87], v[86:87], v[90:91], v[92:93] neg_lo:[0,0,1] neg_hi:[0,0,1]
	s_delay_alu instid0(VALU_DEP_2)
	v_mov_b32_e32 v87, v95
	scratch_store_b64 off, v[86:87], off offset:248
.LBB40_710:
	s_wait_xcnt 0x0
	s_or_b32 exec_lo, exec_lo, s0
	scratch_load_b64 v[86:87], off, off offset:256
	s_mov_b32 s0, exec_lo
	s_wait_loadcnt 0x0
	ds_store_b64 v1, v[86:87]
	s_wait_storecnt_dscnt 0x0
	s_barrier_signal -1
	s_barrier_wait -1
	s_wait_xcnt 0x0
	v_cmpx_gt_u32_e32 32, v0
	s_cbranch_execz .LBB40_720
; %bb.711:
	v_cmp_ne_u32_e32 vcc_lo, 1, v88
	s_cbranch_vccnz .LBB40_713
; %bb.712:
	scratch_load_b64 v[86:87], v39, off
	ds_load_b64 v[90:91], v1
	s_wait_loadcnt_dscnt 0x0
	v_pk_mul_f32 v[92:93], v[90:91], v[86:87] op_sel:[1,1] op_sel_hi:[0,1]
	s_delay_alu instid0(VALU_DEP_1) | instskip(SKIP_1) | instid1(VALU_DEP_2)
	v_pk_fma_f32 v[94:95], v[90:91], v[86:87], v[92:93] op_sel_hi:[1,0,1]
	v_pk_fma_f32 v[86:87], v[90:91], v[86:87], v[92:93] neg_lo:[0,0,1] neg_hi:[0,0,1]
	v_mov_b32_e32 v87, v95
	s_cbranch_execz .LBB40_714
	s_branch .LBB40_715
.LBB40_713:
                                        ; implicit-def: $vgpr86_vgpr87
.LBB40_714:
	ds_load_b64 v[86:87], v1
.LBB40_715:
	s_mov_b32 s2, exec_lo
	v_cmpx_ne_u32_e32 31, v0
	s_cbranch_execz .LBB40_719
; %bb.716:
	v_add_nc_u32_e32 v89, 0x158, v38
	v_add3_u32 v90, 0, v38, 8
	v_mov_b32_e32 v91, v0
	s_mov_b32 s3, 0
.LBB40_717:                             ; =>This Inner Loop Header: Depth=1
	scratch_load_b64 v[92:93], v90, off
	ds_load_b64 v[94:95], v89
	s_wait_xcnt 0x0
	v_dual_add_nc_u32 v89, 8, v89 :: v_dual_add_nc_u32 v90, 8, v90
	s_wait_loadcnt_dscnt 0x0
	v_pk_mul_f32 v[96:97], v[94:95], v[92:93] op_sel:[1,1] op_sel_hi:[0,1]
	s_delay_alu instid0(VALU_DEP_1) | instskip(SKIP_2) | instid1(VALU_DEP_3)
	v_pk_fma_f32 v[98:99], v[94:95], v[92:93], v[96:97] op_sel_hi:[1,0,1]
	v_add_nc_u32_e32 v91, 1, v91
	v_pk_fma_f32 v[92:93], v[94:95], v[92:93], v[96:97] neg_lo:[0,0,1] neg_hi:[0,0,1]
	v_mov_b32_e32 v93, v99
	s_delay_alu instid0(VALU_DEP_3) | instskip(NEXT) | instid1(VALU_DEP_2)
	v_cmp_lt_u32_e32 vcc_lo, 30, v91
	v_pk_add_f32 v[86:87], v[86:87], v[92:93]
	s_or_b32 s3, vcc_lo, s3
	s_delay_alu instid0(SALU_CYCLE_1)
	s_and_not1_b32 exec_lo, exec_lo, s3
	s_cbranch_execnz .LBB40_717
; %bb.718:
	s_or_b32 exec_lo, exec_lo, s3
.LBB40_719:
	s_delay_alu instid0(SALU_CYCLE_1) | instskip(SKIP_4) | instid1(VALU_DEP_1)
	s_or_b32 exec_lo, exec_lo, s2
	v_mov_b32_e32 v89, 0
	ds_load_b64 v[90:91], v89 offset:256
	s_wait_dscnt 0x0
	v_pk_mul_f32 v[92:93], v[86:87], v[90:91] op_sel:[1,1] op_sel_hi:[0,1]
	v_pk_fma_f32 v[94:95], v[86:87], v[90:91], v[92:93] op_sel_hi:[1,0,1]
	v_pk_fma_f32 v[86:87], v[86:87], v[90:91], v[92:93] neg_lo:[0,0,1] neg_hi:[0,0,1]
	s_delay_alu instid0(VALU_DEP_2)
	v_mov_b32_e32 v87, v95
	scratch_store_b64 off, v[86:87], off offset:256
.LBB40_720:
	s_wait_xcnt 0x0
	s_or_b32 exec_lo, exec_lo, s0
	scratch_load_b64 v[86:87], off, off offset:264
	s_mov_b32 s0, exec_lo
	s_wait_loadcnt 0x0
	ds_store_b64 v1, v[86:87]
	s_wait_storecnt_dscnt 0x0
	s_barrier_signal -1
	s_barrier_wait -1
	s_wait_xcnt 0x0
	v_cmpx_gt_u32_e32 33, v0
	s_cbranch_execz .LBB40_730
; %bb.721:
	v_cmp_ne_u32_e32 vcc_lo, 1, v88
	s_cbranch_vccnz .LBB40_723
; %bb.722:
	scratch_load_b64 v[86:87], v39, off
	ds_load_b64 v[90:91], v1
	s_wait_loadcnt_dscnt 0x0
	v_pk_mul_f32 v[92:93], v[90:91], v[86:87] op_sel:[1,1] op_sel_hi:[0,1]
	s_delay_alu instid0(VALU_DEP_1) | instskip(SKIP_1) | instid1(VALU_DEP_2)
	v_pk_fma_f32 v[94:95], v[90:91], v[86:87], v[92:93] op_sel_hi:[1,0,1]
	v_pk_fma_f32 v[86:87], v[90:91], v[86:87], v[92:93] neg_lo:[0,0,1] neg_hi:[0,0,1]
	v_mov_b32_e32 v87, v95
	s_cbranch_execz .LBB40_724
	s_branch .LBB40_725
.LBB40_723:
                                        ; implicit-def: $vgpr86_vgpr87
.LBB40_724:
	ds_load_b64 v[86:87], v1
.LBB40_725:
	s_mov_b32 s2, exec_lo
	v_cmpx_ne_u32_e32 32, v0
	s_cbranch_execz .LBB40_729
; %bb.726:
	v_add_nc_u32_e32 v89, 0x158, v38
	v_add3_u32 v90, 0, v38, 8
	v_mov_b32_e32 v91, v0
	s_mov_b32 s3, 0
.LBB40_727:                             ; =>This Inner Loop Header: Depth=1
	scratch_load_b64 v[92:93], v90, off
	ds_load_b64 v[94:95], v89
	s_wait_xcnt 0x0
	v_dual_add_nc_u32 v89, 8, v89 :: v_dual_add_nc_u32 v90, 8, v90
	s_wait_loadcnt_dscnt 0x0
	v_pk_mul_f32 v[96:97], v[94:95], v[92:93] op_sel:[1,1] op_sel_hi:[0,1]
	s_delay_alu instid0(VALU_DEP_1) | instskip(SKIP_2) | instid1(VALU_DEP_3)
	v_pk_fma_f32 v[98:99], v[94:95], v[92:93], v[96:97] op_sel_hi:[1,0,1]
	v_add_nc_u32_e32 v91, 1, v91
	v_pk_fma_f32 v[92:93], v[94:95], v[92:93], v[96:97] neg_lo:[0,0,1] neg_hi:[0,0,1]
	v_mov_b32_e32 v93, v99
	s_delay_alu instid0(VALU_DEP_3) | instskip(NEXT) | instid1(VALU_DEP_2)
	v_cmp_lt_u32_e32 vcc_lo, 31, v91
	v_pk_add_f32 v[86:87], v[86:87], v[92:93]
	s_or_b32 s3, vcc_lo, s3
	s_delay_alu instid0(SALU_CYCLE_1)
	s_and_not1_b32 exec_lo, exec_lo, s3
	s_cbranch_execnz .LBB40_727
; %bb.728:
	s_or_b32 exec_lo, exec_lo, s3
.LBB40_729:
	s_delay_alu instid0(SALU_CYCLE_1) | instskip(SKIP_4) | instid1(VALU_DEP_1)
	s_or_b32 exec_lo, exec_lo, s2
	v_mov_b32_e32 v89, 0
	ds_load_b64 v[90:91], v89 offset:264
	s_wait_dscnt 0x0
	v_pk_mul_f32 v[92:93], v[86:87], v[90:91] op_sel:[1,1] op_sel_hi:[0,1]
	v_pk_fma_f32 v[94:95], v[86:87], v[90:91], v[92:93] op_sel_hi:[1,0,1]
	v_pk_fma_f32 v[86:87], v[86:87], v[90:91], v[92:93] neg_lo:[0,0,1] neg_hi:[0,0,1]
	s_delay_alu instid0(VALU_DEP_2)
	v_mov_b32_e32 v87, v95
	scratch_store_b64 off, v[86:87], off offset:264
.LBB40_730:
	s_wait_xcnt 0x0
	s_or_b32 exec_lo, exec_lo, s0
	scratch_load_b64 v[86:87], off, off offset:272
	s_mov_b32 s0, exec_lo
	s_wait_loadcnt 0x0
	ds_store_b64 v1, v[86:87]
	s_wait_storecnt_dscnt 0x0
	s_barrier_signal -1
	s_barrier_wait -1
	s_wait_xcnt 0x0
	v_cmpx_gt_u32_e32 34, v0
	s_cbranch_execz .LBB40_740
; %bb.731:
	v_cmp_ne_u32_e32 vcc_lo, 1, v88
	s_cbranch_vccnz .LBB40_733
; %bb.732:
	scratch_load_b64 v[86:87], v39, off
	ds_load_b64 v[90:91], v1
	s_wait_loadcnt_dscnt 0x0
	v_pk_mul_f32 v[92:93], v[90:91], v[86:87] op_sel:[1,1] op_sel_hi:[0,1]
	s_delay_alu instid0(VALU_DEP_1) | instskip(SKIP_1) | instid1(VALU_DEP_2)
	v_pk_fma_f32 v[94:95], v[90:91], v[86:87], v[92:93] op_sel_hi:[1,0,1]
	v_pk_fma_f32 v[86:87], v[90:91], v[86:87], v[92:93] neg_lo:[0,0,1] neg_hi:[0,0,1]
	v_mov_b32_e32 v87, v95
	s_cbranch_execz .LBB40_734
	s_branch .LBB40_735
.LBB40_733:
                                        ; implicit-def: $vgpr86_vgpr87
.LBB40_734:
	ds_load_b64 v[86:87], v1
.LBB40_735:
	s_mov_b32 s2, exec_lo
	v_cmpx_ne_u32_e32 33, v0
	s_cbranch_execz .LBB40_739
; %bb.736:
	v_add_nc_u32_e32 v89, 0x158, v38
	v_add3_u32 v90, 0, v38, 8
	v_mov_b32_e32 v91, v0
	s_mov_b32 s3, 0
.LBB40_737:                             ; =>This Inner Loop Header: Depth=1
	scratch_load_b64 v[92:93], v90, off
	ds_load_b64 v[94:95], v89
	s_wait_xcnt 0x0
	v_dual_add_nc_u32 v89, 8, v89 :: v_dual_add_nc_u32 v90, 8, v90
	s_wait_loadcnt_dscnt 0x0
	v_pk_mul_f32 v[96:97], v[94:95], v[92:93] op_sel:[1,1] op_sel_hi:[0,1]
	s_delay_alu instid0(VALU_DEP_1) | instskip(SKIP_2) | instid1(VALU_DEP_3)
	v_pk_fma_f32 v[98:99], v[94:95], v[92:93], v[96:97] op_sel_hi:[1,0,1]
	v_add_nc_u32_e32 v91, 1, v91
	v_pk_fma_f32 v[92:93], v[94:95], v[92:93], v[96:97] neg_lo:[0,0,1] neg_hi:[0,0,1]
	v_mov_b32_e32 v93, v99
	s_delay_alu instid0(VALU_DEP_3) | instskip(NEXT) | instid1(VALU_DEP_2)
	v_cmp_lt_u32_e32 vcc_lo, 32, v91
	v_pk_add_f32 v[86:87], v[86:87], v[92:93]
	s_or_b32 s3, vcc_lo, s3
	s_delay_alu instid0(SALU_CYCLE_1)
	s_and_not1_b32 exec_lo, exec_lo, s3
	s_cbranch_execnz .LBB40_737
; %bb.738:
	s_or_b32 exec_lo, exec_lo, s3
.LBB40_739:
	s_delay_alu instid0(SALU_CYCLE_1) | instskip(SKIP_4) | instid1(VALU_DEP_1)
	s_or_b32 exec_lo, exec_lo, s2
	v_mov_b32_e32 v89, 0
	ds_load_b64 v[90:91], v89 offset:272
	s_wait_dscnt 0x0
	v_pk_mul_f32 v[92:93], v[86:87], v[90:91] op_sel:[1,1] op_sel_hi:[0,1]
	v_pk_fma_f32 v[94:95], v[86:87], v[90:91], v[92:93] op_sel_hi:[1,0,1]
	v_pk_fma_f32 v[86:87], v[86:87], v[90:91], v[92:93] neg_lo:[0,0,1] neg_hi:[0,0,1]
	s_delay_alu instid0(VALU_DEP_2)
	v_mov_b32_e32 v87, v95
	scratch_store_b64 off, v[86:87], off offset:272
.LBB40_740:
	s_wait_xcnt 0x0
	s_or_b32 exec_lo, exec_lo, s0
	scratch_load_b64 v[86:87], off, off offset:280
	s_mov_b32 s0, exec_lo
	s_wait_loadcnt 0x0
	ds_store_b64 v1, v[86:87]
	s_wait_storecnt_dscnt 0x0
	s_barrier_signal -1
	s_barrier_wait -1
	s_wait_xcnt 0x0
	v_cmpx_gt_u32_e32 35, v0
	s_cbranch_execz .LBB40_750
; %bb.741:
	v_cmp_ne_u32_e32 vcc_lo, 1, v88
	s_cbranch_vccnz .LBB40_743
; %bb.742:
	scratch_load_b64 v[86:87], v39, off
	ds_load_b64 v[90:91], v1
	s_wait_loadcnt_dscnt 0x0
	v_pk_mul_f32 v[92:93], v[90:91], v[86:87] op_sel:[1,1] op_sel_hi:[0,1]
	s_delay_alu instid0(VALU_DEP_1) | instskip(SKIP_1) | instid1(VALU_DEP_2)
	v_pk_fma_f32 v[94:95], v[90:91], v[86:87], v[92:93] op_sel_hi:[1,0,1]
	v_pk_fma_f32 v[86:87], v[90:91], v[86:87], v[92:93] neg_lo:[0,0,1] neg_hi:[0,0,1]
	v_mov_b32_e32 v87, v95
	s_cbranch_execz .LBB40_744
	s_branch .LBB40_745
.LBB40_743:
                                        ; implicit-def: $vgpr86_vgpr87
.LBB40_744:
	ds_load_b64 v[86:87], v1
.LBB40_745:
	s_mov_b32 s2, exec_lo
	v_cmpx_ne_u32_e32 34, v0
	s_cbranch_execz .LBB40_749
; %bb.746:
	v_add_nc_u32_e32 v89, 0x158, v38
	v_add3_u32 v90, 0, v38, 8
	v_mov_b32_e32 v91, v0
	s_mov_b32 s3, 0
.LBB40_747:                             ; =>This Inner Loop Header: Depth=1
	scratch_load_b64 v[92:93], v90, off
	ds_load_b64 v[94:95], v89
	s_wait_xcnt 0x0
	v_dual_add_nc_u32 v89, 8, v89 :: v_dual_add_nc_u32 v90, 8, v90
	s_wait_loadcnt_dscnt 0x0
	v_pk_mul_f32 v[96:97], v[94:95], v[92:93] op_sel:[1,1] op_sel_hi:[0,1]
	s_delay_alu instid0(VALU_DEP_1) | instskip(SKIP_2) | instid1(VALU_DEP_3)
	v_pk_fma_f32 v[98:99], v[94:95], v[92:93], v[96:97] op_sel_hi:[1,0,1]
	v_add_nc_u32_e32 v91, 1, v91
	v_pk_fma_f32 v[92:93], v[94:95], v[92:93], v[96:97] neg_lo:[0,0,1] neg_hi:[0,0,1]
	v_mov_b32_e32 v93, v99
	s_delay_alu instid0(VALU_DEP_3) | instskip(NEXT) | instid1(VALU_DEP_2)
	v_cmp_lt_u32_e32 vcc_lo, 33, v91
	v_pk_add_f32 v[86:87], v[86:87], v[92:93]
	s_or_b32 s3, vcc_lo, s3
	s_delay_alu instid0(SALU_CYCLE_1)
	s_and_not1_b32 exec_lo, exec_lo, s3
	s_cbranch_execnz .LBB40_747
; %bb.748:
	s_or_b32 exec_lo, exec_lo, s3
.LBB40_749:
	s_delay_alu instid0(SALU_CYCLE_1) | instskip(SKIP_4) | instid1(VALU_DEP_1)
	s_or_b32 exec_lo, exec_lo, s2
	v_mov_b32_e32 v89, 0
	ds_load_b64 v[90:91], v89 offset:280
	s_wait_dscnt 0x0
	v_pk_mul_f32 v[92:93], v[86:87], v[90:91] op_sel:[1,1] op_sel_hi:[0,1]
	v_pk_fma_f32 v[94:95], v[86:87], v[90:91], v[92:93] op_sel_hi:[1,0,1]
	v_pk_fma_f32 v[86:87], v[86:87], v[90:91], v[92:93] neg_lo:[0,0,1] neg_hi:[0,0,1]
	s_delay_alu instid0(VALU_DEP_2)
	v_mov_b32_e32 v87, v95
	scratch_store_b64 off, v[86:87], off offset:280
.LBB40_750:
	s_wait_xcnt 0x0
	s_or_b32 exec_lo, exec_lo, s0
	scratch_load_b64 v[86:87], off, off offset:288
	s_mov_b32 s0, exec_lo
	s_wait_loadcnt 0x0
	ds_store_b64 v1, v[86:87]
	s_wait_storecnt_dscnt 0x0
	s_barrier_signal -1
	s_barrier_wait -1
	s_wait_xcnt 0x0
	v_cmpx_gt_u32_e32 36, v0
	s_cbranch_execz .LBB40_760
; %bb.751:
	v_cmp_ne_u32_e32 vcc_lo, 1, v88
	s_cbranch_vccnz .LBB40_753
; %bb.752:
	scratch_load_b64 v[86:87], v39, off
	ds_load_b64 v[90:91], v1
	s_wait_loadcnt_dscnt 0x0
	v_pk_mul_f32 v[92:93], v[90:91], v[86:87] op_sel:[1,1] op_sel_hi:[0,1]
	s_delay_alu instid0(VALU_DEP_1) | instskip(SKIP_1) | instid1(VALU_DEP_2)
	v_pk_fma_f32 v[94:95], v[90:91], v[86:87], v[92:93] op_sel_hi:[1,0,1]
	v_pk_fma_f32 v[86:87], v[90:91], v[86:87], v[92:93] neg_lo:[0,0,1] neg_hi:[0,0,1]
	v_mov_b32_e32 v87, v95
	s_cbranch_execz .LBB40_754
	s_branch .LBB40_755
.LBB40_753:
                                        ; implicit-def: $vgpr86_vgpr87
.LBB40_754:
	ds_load_b64 v[86:87], v1
.LBB40_755:
	s_mov_b32 s2, exec_lo
	v_cmpx_ne_u32_e32 35, v0
	s_cbranch_execz .LBB40_759
; %bb.756:
	v_add_nc_u32_e32 v89, 0x158, v38
	v_add3_u32 v90, 0, v38, 8
	v_mov_b32_e32 v91, v0
	s_mov_b32 s3, 0
.LBB40_757:                             ; =>This Inner Loop Header: Depth=1
	scratch_load_b64 v[92:93], v90, off
	ds_load_b64 v[94:95], v89
	s_wait_xcnt 0x0
	v_dual_add_nc_u32 v89, 8, v89 :: v_dual_add_nc_u32 v90, 8, v90
	s_wait_loadcnt_dscnt 0x0
	v_pk_mul_f32 v[96:97], v[94:95], v[92:93] op_sel:[1,1] op_sel_hi:[0,1]
	s_delay_alu instid0(VALU_DEP_1) | instskip(SKIP_2) | instid1(VALU_DEP_3)
	v_pk_fma_f32 v[98:99], v[94:95], v[92:93], v[96:97] op_sel_hi:[1,0,1]
	v_add_nc_u32_e32 v91, 1, v91
	v_pk_fma_f32 v[92:93], v[94:95], v[92:93], v[96:97] neg_lo:[0,0,1] neg_hi:[0,0,1]
	v_mov_b32_e32 v93, v99
	s_delay_alu instid0(VALU_DEP_3) | instskip(NEXT) | instid1(VALU_DEP_2)
	v_cmp_lt_u32_e32 vcc_lo, 34, v91
	v_pk_add_f32 v[86:87], v[86:87], v[92:93]
	s_or_b32 s3, vcc_lo, s3
	s_delay_alu instid0(SALU_CYCLE_1)
	s_and_not1_b32 exec_lo, exec_lo, s3
	s_cbranch_execnz .LBB40_757
; %bb.758:
	s_or_b32 exec_lo, exec_lo, s3
.LBB40_759:
	s_delay_alu instid0(SALU_CYCLE_1) | instskip(SKIP_4) | instid1(VALU_DEP_1)
	s_or_b32 exec_lo, exec_lo, s2
	v_mov_b32_e32 v89, 0
	ds_load_b64 v[90:91], v89 offset:288
	s_wait_dscnt 0x0
	v_pk_mul_f32 v[92:93], v[86:87], v[90:91] op_sel:[1,1] op_sel_hi:[0,1]
	v_pk_fma_f32 v[94:95], v[86:87], v[90:91], v[92:93] op_sel_hi:[1,0,1]
	v_pk_fma_f32 v[86:87], v[86:87], v[90:91], v[92:93] neg_lo:[0,0,1] neg_hi:[0,0,1]
	s_delay_alu instid0(VALU_DEP_2)
	v_mov_b32_e32 v87, v95
	scratch_store_b64 off, v[86:87], off offset:288
.LBB40_760:
	s_wait_xcnt 0x0
	s_or_b32 exec_lo, exec_lo, s0
	scratch_load_b64 v[86:87], off, off offset:296
	s_mov_b32 s0, exec_lo
	s_wait_loadcnt 0x0
	ds_store_b64 v1, v[86:87]
	s_wait_storecnt_dscnt 0x0
	s_barrier_signal -1
	s_barrier_wait -1
	s_wait_xcnt 0x0
	v_cmpx_gt_u32_e32 37, v0
	s_cbranch_execz .LBB40_770
; %bb.761:
	v_cmp_ne_u32_e32 vcc_lo, 1, v88
	s_cbranch_vccnz .LBB40_763
; %bb.762:
	scratch_load_b64 v[86:87], v39, off
	ds_load_b64 v[90:91], v1
	s_wait_loadcnt_dscnt 0x0
	v_pk_mul_f32 v[92:93], v[90:91], v[86:87] op_sel:[1,1] op_sel_hi:[0,1]
	s_delay_alu instid0(VALU_DEP_1) | instskip(SKIP_1) | instid1(VALU_DEP_2)
	v_pk_fma_f32 v[94:95], v[90:91], v[86:87], v[92:93] op_sel_hi:[1,0,1]
	v_pk_fma_f32 v[86:87], v[90:91], v[86:87], v[92:93] neg_lo:[0,0,1] neg_hi:[0,0,1]
	v_mov_b32_e32 v87, v95
	s_cbranch_execz .LBB40_764
	s_branch .LBB40_765
.LBB40_763:
                                        ; implicit-def: $vgpr86_vgpr87
.LBB40_764:
	ds_load_b64 v[86:87], v1
.LBB40_765:
	s_mov_b32 s2, exec_lo
	v_cmpx_ne_u32_e32 36, v0
	s_cbranch_execz .LBB40_769
; %bb.766:
	v_add_nc_u32_e32 v89, 0x158, v38
	v_add3_u32 v90, 0, v38, 8
	v_mov_b32_e32 v91, v0
	s_mov_b32 s3, 0
.LBB40_767:                             ; =>This Inner Loop Header: Depth=1
	scratch_load_b64 v[92:93], v90, off
	ds_load_b64 v[94:95], v89
	s_wait_xcnt 0x0
	v_dual_add_nc_u32 v89, 8, v89 :: v_dual_add_nc_u32 v90, 8, v90
	s_wait_loadcnt_dscnt 0x0
	v_pk_mul_f32 v[96:97], v[94:95], v[92:93] op_sel:[1,1] op_sel_hi:[0,1]
	s_delay_alu instid0(VALU_DEP_1) | instskip(SKIP_2) | instid1(VALU_DEP_3)
	v_pk_fma_f32 v[98:99], v[94:95], v[92:93], v[96:97] op_sel_hi:[1,0,1]
	v_add_nc_u32_e32 v91, 1, v91
	v_pk_fma_f32 v[92:93], v[94:95], v[92:93], v[96:97] neg_lo:[0,0,1] neg_hi:[0,0,1]
	v_mov_b32_e32 v93, v99
	s_delay_alu instid0(VALU_DEP_3) | instskip(NEXT) | instid1(VALU_DEP_2)
	v_cmp_lt_u32_e32 vcc_lo, 35, v91
	v_pk_add_f32 v[86:87], v[86:87], v[92:93]
	s_or_b32 s3, vcc_lo, s3
	s_delay_alu instid0(SALU_CYCLE_1)
	s_and_not1_b32 exec_lo, exec_lo, s3
	s_cbranch_execnz .LBB40_767
; %bb.768:
	s_or_b32 exec_lo, exec_lo, s3
.LBB40_769:
	s_delay_alu instid0(SALU_CYCLE_1) | instskip(SKIP_4) | instid1(VALU_DEP_1)
	s_or_b32 exec_lo, exec_lo, s2
	v_mov_b32_e32 v89, 0
	ds_load_b64 v[90:91], v89 offset:296
	s_wait_dscnt 0x0
	v_pk_mul_f32 v[92:93], v[86:87], v[90:91] op_sel:[1,1] op_sel_hi:[0,1]
	v_pk_fma_f32 v[94:95], v[86:87], v[90:91], v[92:93] op_sel_hi:[1,0,1]
	v_pk_fma_f32 v[86:87], v[86:87], v[90:91], v[92:93] neg_lo:[0,0,1] neg_hi:[0,0,1]
	s_delay_alu instid0(VALU_DEP_2)
	v_mov_b32_e32 v87, v95
	scratch_store_b64 off, v[86:87], off offset:296
.LBB40_770:
	s_wait_xcnt 0x0
	s_or_b32 exec_lo, exec_lo, s0
	scratch_load_b64 v[86:87], off, off offset:304
	s_mov_b32 s0, exec_lo
	s_wait_loadcnt 0x0
	ds_store_b64 v1, v[86:87]
	s_wait_storecnt_dscnt 0x0
	s_barrier_signal -1
	s_barrier_wait -1
	s_wait_xcnt 0x0
	v_cmpx_gt_u32_e32 38, v0
	s_cbranch_execz .LBB40_780
; %bb.771:
	v_cmp_ne_u32_e32 vcc_lo, 1, v88
	s_cbranch_vccnz .LBB40_773
; %bb.772:
	scratch_load_b64 v[86:87], v39, off
	ds_load_b64 v[90:91], v1
	s_wait_loadcnt_dscnt 0x0
	v_pk_mul_f32 v[92:93], v[90:91], v[86:87] op_sel:[1,1] op_sel_hi:[0,1]
	s_delay_alu instid0(VALU_DEP_1) | instskip(SKIP_1) | instid1(VALU_DEP_2)
	v_pk_fma_f32 v[94:95], v[90:91], v[86:87], v[92:93] op_sel_hi:[1,0,1]
	v_pk_fma_f32 v[86:87], v[90:91], v[86:87], v[92:93] neg_lo:[0,0,1] neg_hi:[0,0,1]
	v_mov_b32_e32 v87, v95
	s_cbranch_execz .LBB40_774
	s_branch .LBB40_775
.LBB40_773:
                                        ; implicit-def: $vgpr86_vgpr87
.LBB40_774:
	ds_load_b64 v[86:87], v1
.LBB40_775:
	s_mov_b32 s2, exec_lo
	v_cmpx_ne_u32_e32 37, v0
	s_cbranch_execz .LBB40_779
; %bb.776:
	v_add_nc_u32_e32 v89, 0x158, v38
	v_add3_u32 v90, 0, v38, 8
	v_mov_b32_e32 v91, v0
	s_mov_b32 s3, 0
.LBB40_777:                             ; =>This Inner Loop Header: Depth=1
	scratch_load_b64 v[92:93], v90, off
	ds_load_b64 v[94:95], v89
	s_wait_xcnt 0x0
	v_dual_add_nc_u32 v89, 8, v89 :: v_dual_add_nc_u32 v90, 8, v90
	s_wait_loadcnt_dscnt 0x0
	v_pk_mul_f32 v[96:97], v[94:95], v[92:93] op_sel:[1,1] op_sel_hi:[0,1]
	s_delay_alu instid0(VALU_DEP_1) | instskip(SKIP_2) | instid1(VALU_DEP_3)
	v_pk_fma_f32 v[98:99], v[94:95], v[92:93], v[96:97] op_sel_hi:[1,0,1]
	v_add_nc_u32_e32 v91, 1, v91
	v_pk_fma_f32 v[92:93], v[94:95], v[92:93], v[96:97] neg_lo:[0,0,1] neg_hi:[0,0,1]
	v_mov_b32_e32 v93, v99
	s_delay_alu instid0(VALU_DEP_3) | instskip(NEXT) | instid1(VALU_DEP_2)
	v_cmp_lt_u32_e32 vcc_lo, 36, v91
	v_pk_add_f32 v[86:87], v[86:87], v[92:93]
	s_or_b32 s3, vcc_lo, s3
	s_delay_alu instid0(SALU_CYCLE_1)
	s_and_not1_b32 exec_lo, exec_lo, s3
	s_cbranch_execnz .LBB40_777
; %bb.778:
	s_or_b32 exec_lo, exec_lo, s3
.LBB40_779:
	s_delay_alu instid0(SALU_CYCLE_1) | instskip(SKIP_4) | instid1(VALU_DEP_1)
	s_or_b32 exec_lo, exec_lo, s2
	v_mov_b32_e32 v89, 0
	ds_load_b64 v[90:91], v89 offset:304
	s_wait_dscnt 0x0
	v_pk_mul_f32 v[92:93], v[86:87], v[90:91] op_sel:[1,1] op_sel_hi:[0,1]
	v_pk_fma_f32 v[94:95], v[86:87], v[90:91], v[92:93] op_sel_hi:[1,0,1]
	v_pk_fma_f32 v[86:87], v[86:87], v[90:91], v[92:93] neg_lo:[0,0,1] neg_hi:[0,0,1]
	s_delay_alu instid0(VALU_DEP_2)
	v_mov_b32_e32 v87, v95
	scratch_store_b64 off, v[86:87], off offset:304
.LBB40_780:
	s_wait_xcnt 0x0
	s_or_b32 exec_lo, exec_lo, s0
	scratch_load_b64 v[86:87], off, off offset:312
	v_cmp_gt_u32_e64 s0, 39, v0
	s_wait_loadcnt 0x0
	ds_store_b64 v1, v[86:87]
	s_wait_storecnt_dscnt 0x0
	s_barrier_signal -1
	s_barrier_wait -1
	s_wait_xcnt 0x0
	s_and_saveexec_b32 s2, s0
	s_cbranch_execz .LBB40_790
; %bb.781:
	v_cmp_ne_u32_e32 vcc_lo, 1, v88
	s_cbranch_vccnz .LBB40_783
; %bb.782:
	scratch_load_b64 v[86:87], v39, off
	ds_load_b64 v[90:91], v1
	s_wait_loadcnt_dscnt 0x0
	v_pk_mul_f32 v[92:93], v[90:91], v[86:87] op_sel:[1,1] op_sel_hi:[0,1]
	s_delay_alu instid0(VALU_DEP_1) | instskip(SKIP_1) | instid1(VALU_DEP_2)
	v_pk_fma_f32 v[94:95], v[90:91], v[86:87], v[92:93] op_sel_hi:[1,0,1]
	v_pk_fma_f32 v[86:87], v[90:91], v[86:87], v[92:93] neg_lo:[0,0,1] neg_hi:[0,0,1]
	v_mov_b32_e32 v87, v95
	s_cbranch_execz .LBB40_784
	s_branch .LBB40_785
.LBB40_783:
                                        ; implicit-def: $vgpr86_vgpr87
.LBB40_784:
	ds_load_b64 v[86:87], v1
.LBB40_785:
	s_mov_b32 s3, exec_lo
	v_cmpx_ne_u32_e32 38, v0
	s_cbranch_execz .LBB40_789
; %bb.786:
	v_add_nc_u32_e32 v89, 0x158, v38
	v_add3_u32 v90, 0, v38, 8
	v_mov_b32_e32 v91, v0
	s_mov_b32 s4, 0
.LBB40_787:                             ; =>This Inner Loop Header: Depth=1
	scratch_load_b64 v[92:93], v90, off
	ds_load_b64 v[94:95], v89
	s_wait_xcnt 0x0
	v_dual_add_nc_u32 v89, 8, v89 :: v_dual_add_nc_u32 v90, 8, v90
	s_wait_loadcnt_dscnt 0x0
	v_pk_mul_f32 v[96:97], v[94:95], v[92:93] op_sel:[1,1] op_sel_hi:[0,1]
	s_delay_alu instid0(VALU_DEP_1) | instskip(SKIP_2) | instid1(VALU_DEP_3)
	v_pk_fma_f32 v[98:99], v[94:95], v[92:93], v[96:97] op_sel_hi:[1,0,1]
	v_add_nc_u32_e32 v91, 1, v91
	v_pk_fma_f32 v[92:93], v[94:95], v[92:93], v[96:97] neg_lo:[0,0,1] neg_hi:[0,0,1]
	v_mov_b32_e32 v93, v99
	s_delay_alu instid0(VALU_DEP_3) | instskip(NEXT) | instid1(VALU_DEP_2)
	v_cmp_lt_u32_e32 vcc_lo, 37, v91
	v_pk_add_f32 v[86:87], v[86:87], v[92:93]
	s_or_b32 s4, vcc_lo, s4
	s_delay_alu instid0(SALU_CYCLE_1)
	s_and_not1_b32 exec_lo, exec_lo, s4
	s_cbranch_execnz .LBB40_787
; %bb.788:
	s_or_b32 exec_lo, exec_lo, s4
.LBB40_789:
	s_delay_alu instid0(SALU_CYCLE_1) | instskip(SKIP_4) | instid1(VALU_DEP_1)
	s_or_b32 exec_lo, exec_lo, s3
	v_mov_b32_e32 v89, 0
	ds_load_b64 v[90:91], v89 offset:312
	s_wait_dscnt 0x0
	v_pk_mul_f32 v[92:93], v[86:87], v[90:91] op_sel:[1,1] op_sel_hi:[0,1]
	v_pk_fma_f32 v[94:95], v[86:87], v[90:91], v[92:93] op_sel_hi:[1,0,1]
	v_pk_fma_f32 v[86:87], v[86:87], v[90:91], v[92:93] neg_lo:[0,0,1] neg_hi:[0,0,1]
	s_delay_alu instid0(VALU_DEP_2)
	v_mov_b32_e32 v87, v95
	scratch_store_b64 off, v[86:87], off offset:312
.LBB40_790:
	s_wait_xcnt 0x0
	s_or_b32 exec_lo, exec_lo, s2
	scratch_load_b64 v[86:87], off, off offset:320
	s_mov_b32 s2, exec_lo
                                        ; implicit-def: $vgpr110
                                        ; implicit-def: $sgpr4
	s_wait_loadcnt 0x0
	ds_store_b64 v1, v[86:87]
	s_wait_storecnt_dscnt 0x0
	s_barrier_signal -1
	s_barrier_wait -1
	s_wait_xcnt 0x0
	v_cmpx_ne_u32_e32 40, v0
	s_cbranch_execz .LBB40_800
; %bb.791:
	v_cmp_ne_u32_e32 vcc_lo, 1, v88
	s_cbranch_vccnz .LBB40_793
; %bb.792:
	scratch_load_b64 v[88:89], v39, off
	ds_load_b64 v[90:91], v1
	s_wait_loadcnt_dscnt 0x0
	v_dual_mul_f32 v39, v91, v89 :: v_dual_mul_f32 v87, v90, v89
	s_delay_alu instid0(VALU_DEP_1) | instskip(NEXT) | instid1(VALU_DEP_2)
	v_fma_f32 v86, v90, v88, -v39
	v_fmac_f32_e32 v87, v91, v88
	s_cbranch_execz .LBB40_794
	s_branch .LBB40_795
.LBB40_793:
                                        ; implicit-def: $vgpr87
.LBB40_794:
	ds_load_b64 v[86:87], v1
.LBB40_795:
	s_and_saveexec_b32 s3, s0
	s_cbranch_execz .LBB40_799
; %bb.796:
	v_add_nc_u32_e32 v1, 0x158, v38
	v_add3_u32 v38, 0, v38, 8
	s_mov_b32 s0, 0
.LBB40_797:                             ; =>This Inner Loop Header: Depth=1
	scratch_load_b64 v[88:89], v38, off
	ds_load_b64 v[90:91], v1
	v_dual_add_nc_u32 v0, 1, v0 :: v_dual_add_nc_u32 v1, 8, v1
	s_delay_alu instid0(VALU_DEP_1) | instskip(SKIP_3) | instid1(VALU_DEP_1)
	v_cmp_lt_u32_e32 vcc_lo, 38, v0
	s_or_b32 s0, vcc_lo, s0
	s_wait_loadcnt_dscnt 0x0
	v_dual_mul_f32 v39, v91, v89 :: v_dual_mul_f32 v89, v90, v89
	v_dual_fma_f32 v39, v90, v88, -v39 :: v_dual_fmac_f32 v89, v91, v88
	s_delay_alu instid0(VALU_DEP_1) | instskip(NEXT) | instid1(VALU_DEP_2)
	v_dual_add_nc_u32 v38, 8, v38 :: v_dual_add_f32 v86, v86, v39
	v_add_f32_e32 v87, v87, v89
	s_and_not1_b32 exec_lo, exec_lo, s0
	s_cbranch_execnz .LBB40_797
; %bb.798:
	s_or_b32 exec_lo, exec_lo, s0
.LBB40_799:
	s_delay_alu instid0(SALU_CYCLE_1)
	s_or_b32 exec_lo, exec_lo, s3
	v_mov_b32_e32 v0, 0
	s_movk_i32 s4, 0x144
	s_or_b32 s1, s1, exec_lo
	ds_load_b64 v[0:1], v0 offset:320
	s_wait_dscnt 0x0
	v_dual_mul_f32 v38, v87, v1 :: v_dual_mul_f32 v110, v86, v1
	s_delay_alu instid0(VALU_DEP_1) | instskip(NEXT) | instid1(VALU_DEP_2)
	v_fma_f32 v1, v86, v0, -v38
	v_fmac_f32_e32 v110, v87, v0
	scratch_store_b32 off, v1, off offset:320
.LBB40_800:
	s_wait_xcnt 0x0
	s_or_b32 exec_lo, exec_lo, s2
.LBB40_801:
	v_lshl_add_u64 v[108:109], v[6:7], 3, s[6:7]
	v_lshl_add_u64 v[106:107], v[8:9], 3, s[6:7]
	;; [unrolled: 1-line block ×39, first 2 shown]
	s_and_saveexec_b32 s0, s1
	s_cbranch_execz .LBB40_803
; %bb.802:
	scratch_store_b32 off, v110, s4
.LBB40_803:
	s_wait_xcnt 0x0
	s_or_b32 exec_lo, exec_lo, s0
	s_clause 0x6
	scratch_load_b128 v[58:61], off, off
	scratch_load_b128 v[62:65], off, off offset:16
	scratch_load_b128 v[66:69], off, off offset:32
	;; [unrolled: 1-line block ×6, first 2 shown]
	s_wait_loadcnt 0x6
	s_clause 0x1
	global_store_b64 v[2:3], v[58:59], off
	global_store_b64 v[4:5], v[60:61], off
	scratch_load_b128 v[2:5], off, off offset:112
	s_wait_loadcnt 0x6
	s_clause 0x1
	global_store_b64 v[108:109], v[62:63], off
	global_store_b64 v[106:107], v[64:65], off
	s_wait_loadcnt 0x5
	s_clause 0x1
	global_store_b64 v[104:105], v[66:67], off
	global_store_b64 v[102:103], v[68:69], off
	;; [unrolled: 4-line block ×6, first 2 shown]
	s_clause 0xc
	scratch_load_b128 v[58:61], off, off offset:128
	scratch_load_b128 v[62:65], off, off offset:144
	;; [unrolled: 1-line block ×12, first 2 shown]
	scratch_load_b64 v[86:87], off, off offset:320
	s_wait_loadcnt 0xd
	s_clause 0x1
	global_store_b64 v[0:1], v[2:3], off
	global_store_b64 v[6:7], v[4:5], off
	s_wait_loadcnt 0xc
	s_clause 0x1
	global_store_b64 v[8:9], v[58:59], off
	global_store_b64 v[10:11], v[60:61], off
	;; [unrolled: 4-line block ×13, first 2 shown]
	s_wait_loadcnt 0x0
	global_store_b64 v[56:57], v[86:87], off
.LBB40_804:
	s_sendmsg sendmsg(MSG_DEALLOC_VGPRS)
	s_endpgm
	.section	.rodata,"a",@progbits
	.p2align	6, 0x0
	.amdhsa_kernel _ZN9rocsolver6v33100L18trti2_kernel_smallILi41E19rocblas_complex_numIfEPS3_EEv13rocblas_fill_17rocblas_diagonal_T1_iil
		.amdhsa_group_segment_fixed_size 664
		.amdhsa_private_segment_fixed_size 336
		.amdhsa_kernarg_size 32
		.amdhsa_user_sgpr_count 2
		.amdhsa_user_sgpr_dispatch_ptr 0
		.amdhsa_user_sgpr_queue_ptr 0
		.amdhsa_user_sgpr_kernarg_segment_ptr 1
		.amdhsa_user_sgpr_dispatch_id 0
		.amdhsa_user_sgpr_kernarg_preload_length 0
		.amdhsa_user_sgpr_kernarg_preload_offset 0
		.amdhsa_user_sgpr_private_segment_size 0
		.amdhsa_wavefront_size32 1
		.amdhsa_uses_dynamic_stack 0
		.amdhsa_enable_private_segment 1
		.amdhsa_system_sgpr_workgroup_id_x 1
		.amdhsa_system_sgpr_workgroup_id_y 0
		.amdhsa_system_sgpr_workgroup_id_z 0
		.amdhsa_system_sgpr_workgroup_info 0
		.amdhsa_system_vgpr_workitem_id 0
		.amdhsa_next_free_vgpr 122
		.amdhsa_next_free_sgpr 27
		.amdhsa_named_barrier_count 0
		.amdhsa_reserve_vcc 1
		.amdhsa_float_round_mode_32 0
		.amdhsa_float_round_mode_16_64 0
		.amdhsa_float_denorm_mode_32 3
		.amdhsa_float_denorm_mode_16_64 3
		.amdhsa_fp16_overflow 0
		.amdhsa_memory_ordered 1
		.amdhsa_forward_progress 1
		.amdhsa_inst_pref_size 243
		.amdhsa_round_robin_scheduling 0
		.amdhsa_exception_fp_ieee_invalid_op 0
		.amdhsa_exception_fp_denorm_src 0
		.amdhsa_exception_fp_ieee_div_zero 0
		.amdhsa_exception_fp_ieee_overflow 0
		.amdhsa_exception_fp_ieee_underflow 0
		.amdhsa_exception_fp_ieee_inexact 0
		.amdhsa_exception_int_div_zero 0
	.end_amdhsa_kernel
	.section	.text._ZN9rocsolver6v33100L18trti2_kernel_smallILi41E19rocblas_complex_numIfEPS3_EEv13rocblas_fill_17rocblas_diagonal_T1_iil,"axG",@progbits,_ZN9rocsolver6v33100L18trti2_kernel_smallILi41E19rocblas_complex_numIfEPS3_EEv13rocblas_fill_17rocblas_diagonal_T1_iil,comdat
.Lfunc_end40:
	.size	_ZN9rocsolver6v33100L18trti2_kernel_smallILi41E19rocblas_complex_numIfEPS3_EEv13rocblas_fill_17rocblas_diagonal_T1_iil, .Lfunc_end40-_ZN9rocsolver6v33100L18trti2_kernel_smallILi41E19rocblas_complex_numIfEPS3_EEv13rocblas_fill_17rocblas_diagonal_T1_iil
                                        ; -- End function
	.set _ZN9rocsolver6v33100L18trti2_kernel_smallILi41E19rocblas_complex_numIfEPS3_EEv13rocblas_fill_17rocblas_diagonal_T1_iil.num_vgpr, 122
	.set _ZN9rocsolver6v33100L18trti2_kernel_smallILi41E19rocblas_complex_numIfEPS3_EEv13rocblas_fill_17rocblas_diagonal_T1_iil.num_agpr, 0
	.set _ZN9rocsolver6v33100L18trti2_kernel_smallILi41E19rocblas_complex_numIfEPS3_EEv13rocblas_fill_17rocblas_diagonal_T1_iil.numbered_sgpr, 27
	.set _ZN9rocsolver6v33100L18trti2_kernel_smallILi41E19rocblas_complex_numIfEPS3_EEv13rocblas_fill_17rocblas_diagonal_T1_iil.num_named_barrier, 0
	.set _ZN9rocsolver6v33100L18trti2_kernel_smallILi41E19rocblas_complex_numIfEPS3_EEv13rocblas_fill_17rocblas_diagonal_T1_iil.private_seg_size, 336
	.set _ZN9rocsolver6v33100L18trti2_kernel_smallILi41E19rocblas_complex_numIfEPS3_EEv13rocblas_fill_17rocblas_diagonal_T1_iil.uses_vcc, 1
	.set _ZN9rocsolver6v33100L18trti2_kernel_smallILi41E19rocblas_complex_numIfEPS3_EEv13rocblas_fill_17rocblas_diagonal_T1_iil.uses_flat_scratch, 1
	.set _ZN9rocsolver6v33100L18trti2_kernel_smallILi41E19rocblas_complex_numIfEPS3_EEv13rocblas_fill_17rocblas_diagonal_T1_iil.has_dyn_sized_stack, 0
	.set _ZN9rocsolver6v33100L18trti2_kernel_smallILi41E19rocblas_complex_numIfEPS3_EEv13rocblas_fill_17rocblas_diagonal_T1_iil.has_recursion, 0
	.set _ZN9rocsolver6v33100L18trti2_kernel_smallILi41E19rocblas_complex_numIfEPS3_EEv13rocblas_fill_17rocblas_diagonal_T1_iil.has_indirect_call, 0
	.section	.AMDGPU.csdata,"",@progbits
; Kernel info:
; codeLenInByte = 31008
; TotalNumSgprs: 29
; NumVgprs: 122
; ScratchSize: 336
; MemoryBound: 0
; FloatMode: 240
; IeeeMode: 1
; LDSByteSize: 664 bytes/workgroup (compile time only)
; SGPRBlocks: 0
; VGPRBlocks: 7
; NumSGPRsForWavesPerEU: 29
; NumVGPRsForWavesPerEU: 122
; NamedBarCnt: 0
; Occupancy: 8
; WaveLimiterHint : 0
; COMPUTE_PGM_RSRC2:SCRATCH_EN: 1
; COMPUTE_PGM_RSRC2:USER_SGPR: 2
; COMPUTE_PGM_RSRC2:TRAP_HANDLER: 0
; COMPUTE_PGM_RSRC2:TGID_X_EN: 1
; COMPUTE_PGM_RSRC2:TGID_Y_EN: 0
; COMPUTE_PGM_RSRC2:TGID_Z_EN: 0
; COMPUTE_PGM_RSRC2:TIDIG_COMP_CNT: 0
	.section	.text._ZN9rocsolver6v33100L18trti2_kernel_smallILi42E19rocblas_complex_numIfEPS3_EEv13rocblas_fill_17rocblas_diagonal_T1_iil,"axG",@progbits,_ZN9rocsolver6v33100L18trti2_kernel_smallILi42E19rocblas_complex_numIfEPS3_EEv13rocblas_fill_17rocblas_diagonal_T1_iil,comdat
	.globl	_ZN9rocsolver6v33100L18trti2_kernel_smallILi42E19rocblas_complex_numIfEPS3_EEv13rocblas_fill_17rocblas_diagonal_T1_iil ; -- Begin function _ZN9rocsolver6v33100L18trti2_kernel_smallILi42E19rocblas_complex_numIfEPS3_EEv13rocblas_fill_17rocblas_diagonal_T1_iil
	.p2align	8
	.type	_ZN9rocsolver6v33100L18trti2_kernel_smallILi42E19rocblas_complex_numIfEPS3_EEv13rocblas_fill_17rocblas_diagonal_T1_iil,@function
_ZN9rocsolver6v33100L18trti2_kernel_smallILi42E19rocblas_complex_numIfEPS3_EEv13rocblas_fill_17rocblas_diagonal_T1_iil: ; @_ZN9rocsolver6v33100L18trti2_kernel_smallILi42E19rocblas_complex_numIfEPS3_EEv13rocblas_fill_17rocblas_diagonal_T1_iil
; %bb.0:
	s_mov_b32 s2, exec_lo
	v_cmpx_gt_u32_e32 42, v0
	s_cbranch_execz .LBB41_824
; %bb.1:
	s_load_b256 s[4:11], s[0:1], 0x0
	s_wait_xcnt 0x0
	s_bfe_u32 s0, ttmp6, 0x4000c
	s_and_b32 s1, ttmp6, 15
	s_add_co_i32 s0, s0, 1
	s_getreg_b32 s2, hwreg(HW_REG_IB_STS2, 6, 4)
	s_mul_i32 s0, ttmp9, s0
	v_lshlrev_b32_e32 v38, 3, v0
	s_add_co_i32 s0, s1, s0
	v_mov_b32_e32 v39, 0
	s_wait_kmcnt 0x0
	v_add3_u32 v6, s9, s9, v0
	s_ashr_i32 s1, s8, 31
	s_cmp_eq_u32 s2, 0
	s_cselect_b32 s2, ttmp9, s0
	s_delay_alu instid0(VALU_DEP_1)
	v_add_nc_u32_e32 v8, s9, v6
	s_ashr_i32 s3, s2, 31
	s_mov_b32 s0, s8
	s_mul_u64 s[2:3], s[10:11], s[2:3]
	s_lshl_b64 s[0:1], s[0:1], 3
	v_add_nc_u32_e32 v10, s9, v8
	s_lshl_b64 s[2:3], s[2:3], 3
	s_delay_alu instid0(SALU_CYCLE_1) | instskip(NEXT) | instid1(SALU_CYCLE_1)
	s_add_nc_u64 s[2:3], s[6:7], s[2:3]
	s_add_nc_u64 s[6:7], s[2:3], s[0:1]
	s_delay_alu instid0(VALU_DEP_1)
	v_add_nc_u32_e32 v12, s9, v10
	v_add_nc_u64_e32 v[2:3], s[6:7], v[38:39]
	s_mov_b32 s0, s9
	s_ashr_i32 s1, s9, 31
	s_cmp_lg_u32 s5, 0x84
	v_add_nc_u32_e32 v14, s9, v12
	s_cselect_b32 s3, -1, 0
	s_delay_alu instid0(VALU_DEP_2) | instskip(SKIP_1) | instid1(VALU_DEP_2)
	v_lshl_add_u64 v[4:5], s[0:1], 3, v[2:3]
	s_mov_b32 s0, -1
	v_add_nc_u32_e32 v16, s9, v14
	s_and_b32 vcc_lo, exec_lo, s3
	s_delay_alu instid0(VALU_DEP_1)
	v_add_nc_u32_e32 v18, s9, v16
	s_clause 0x5
	global_load_b64 v[62:63], v10, s[6:7] scale_offset
	global_load_b64 v[64:65], v12, s[6:7] scale_offset
	;; [unrolled: 1-line block ×3, first 2 shown]
	global_load_b64 v[68:69], v[4:5], off
	global_load_b64 v[70:71], v6, s[6:7] scale_offset
	global_load_b64 v[72:73], v8, s[6:7] scale_offset
	v_add_nc_u32_e32 v20, s9, v18
	s_delay_alu instid0(VALU_DEP_1)
	v_add_nc_u32_e32 v22, s9, v20
	s_clause 0x3
	global_load_b64 v[74:75], v14, s[6:7] scale_offset
	global_load_b64 v[76:77], v16, s[6:7] scale_offset
	;; [unrolled: 1-line block ×4, first 2 shown]
	v_add_nc_u32_e32 v24, s9, v22
	s_delay_alu instid0(VALU_DEP_1) | instskip(NEXT) | instid1(VALU_DEP_1)
	v_add_nc_u32_e32 v26, s9, v24
	v_add_nc_u32_e32 v28, s9, v26
	s_delay_alu instid0(VALU_DEP_1) | instskip(SKIP_4) | instid1(VALU_DEP_1)
	v_add_nc_u32_e32 v30, s9, v28
	s_clause 0x1
	global_load_b64 v[82:83], v22, s[6:7] scale_offset
	global_load_b64 v[84:85], v24, s[6:7] scale_offset
	v_add_nc_u32_e32 v32, s9, v30
	v_add_nc_u32_e32 v34, s9, v32
	s_clause 0x3
	global_load_b64 v[86:87], v26, s[6:7] scale_offset
	global_load_b64 v[88:89], v28, s[6:7] scale_offset
	;; [unrolled: 1-line block ×4, first 2 shown]
	v_add_nc_u32_e32 v36, s9, v34
	s_delay_alu instid0(VALU_DEP_1) | instskip(NEXT) | instid1(VALU_DEP_1)
	v_add_nc_u32_e32 v40, s9, v36
	v_add_nc_u32_e32 v42, s9, v40
	s_clause 0x1
	global_load_b64 v[94:95], v34, s[6:7] scale_offset
	global_load_b64 v[96:97], v36, s[6:7] scale_offset
	v_add_nc_u32_e32 v44, s9, v42
	s_clause 0x1
	global_load_b64 v[98:99], v40, s[6:7] scale_offset
	global_load_b64 v[100:101], v42, s[6:7] scale_offset
	v_add_nc_u32_e32 v46, s9, v44
	s_delay_alu instid0(VALU_DEP_1) | instskip(NEXT) | instid1(VALU_DEP_1)
	v_add_nc_u32_e32 v48, s9, v46
	v_add_nc_u32_e32 v50, s9, v48
	s_delay_alu instid0(VALU_DEP_1) | instskip(NEXT) | instid1(VALU_DEP_1)
	v_add_nc_u32_e32 v52, s9, v50
	;; [unrolled: 3-line block ×3, first 2 shown]
	v_add_nc_u32_e32 v58, s9, v56
	s_delay_alu instid0(VALU_DEP_1)
	v_add_nc_u32_e32 v60, s9, v58
	s_wait_loadcnt 0x12
	scratch_store_b128 off, v[62:65], off offset:32
	s_wait_xcnt 0x0
	v_add_nc_u32_e32 v62, s9, v60
	s_clause 0x3
	global_load_b64 v[102:103], v44, s[6:7] scale_offset
	global_load_b64 v[104:105], v46, s[6:7] scale_offset
	;; [unrolled: 1-line block ×4, first 2 shown]
	s_wait_loadcnt 0x14
	scratch_store_b128 off, v[66:69], off
	s_clause 0x1
	global_load_b64 v[110:111], v52, s[6:7] scale_offset
	global_load_b64 v[112:113], v54, s[6:7] scale_offset
	s_wait_loadcnt 0x14
	scratch_store_b128 off, v[70:73], off offset:16
	v_add_nc_u32_e32 v64, s9, v62
	s_wait_loadcnt 0x12
	scratch_store_b128 off, v[74:77], off offset:48
	s_clause 0x1
	global_load_b64 v[114:115], v56, s[6:7] scale_offset
	global_load_b64 v[116:117], v58, s[6:7] scale_offset
	s_wait_loadcnt 0x12
	scratch_store_b128 off, v[78:81], off offset:64
	s_wait_xcnt 0x7
	v_add_nc_u32_e32 v66, s9, v64
	s_delay_alu instid0(VALU_DEP_1)
	v_add_nc_u32_e32 v68, s9, v66
	s_clause 0x1
	global_load_b64 v[118:119], v60, s[6:7] scale_offset
	global_load_b64 v[120:121], v62, s[6:7] scale_offset
	s_wait_xcnt 0x6
	v_add_nc_u32_e32 v70, s9, v68
	s_delay_alu instid0(VALU_DEP_1)
	v_add_nc_u32_e32 v72, s9, v70
	s_wait_loadcnt 0x12
	scratch_store_b128 off, v[82:85], off offset:80
	s_clause 0x1
	global_load_b64 v[122:123], v64, s[6:7] scale_offset
	global_load_b64 v[124:125], v66, s[6:7] scale_offset
	s_wait_xcnt 0x8
	v_add_nc_u32_e32 v74, s9, v72
	s_delay_alu instid0(VALU_DEP_1)
	v_add_nc_u32_e32 v76, s9, v74
	s_wait_loadcnt 0x12
	scratch_store_b128 off, v[86:89], off offset:96
	s_wait_loadcnt 0x10
	scratch_store_b128 off, v[90:93], off offset:112
	s_wait_xcnt 0x7
	v_add_nc_u32_e32 v78, s9, v76
	s_delay_alu instid0(VALU_DEP_1) | instskip(SKIP_1) | instid1(VALU_DEP_1)
	v_add_nc_u32_e32 v80, s9, v78
	s_wait_xcnt 0x4
	v_add_nc_u32_e32 v82, s9, v80
	s_wait_loadcnt 0xe
	scratch_store_b128 off, v[94:97], off offset:128
	v_add_nc_u32_e32 v84, s9, v82
	s_wait_loadcnt 0xc
	scratch_store_b128 off, v[98:101], off offset:144
	s_wait_xcnt 0x3
	v_add_nc_u32_e32 v86, s9, v84
	s_wait_loadcnt 0xa
	scratch_store_b128 off, v[102:105], off offset:160
	s_wait_loadcnt 0x8
	scratch_store_b128 off, v[106:109], off offset:176
	;; [unrolled: 2-line block ×3, first 2 shown]
	s_clause 0x3
	global_load_b64 v[88:89], v68, s[6:7] scale_offset
	global_load_b64 v[90:91], v70, s[6:7] scale_offset
	;; [unrolled: 1-line block ×4, first 2 shown]
	s_wait_loadcnt 0x8
	scratch_store_b128 off, v[114:117], off offset:208
	s_wait_loadcnt 0x6
	scratch_store_b128 off, v[118:121], off offset:224
	s_clause 0x3
	global_load_b64 v[96:97], v76, s[6:7] scale_offset
	global_load_b64 v[98:99], v78, s[6:7] scale_offset
	;; [unrolled: 1-line block ×4, first 2 shown]
	s_wait_loadcnt 0x8
	scratch_store_b128 off, v[122:125], off offset:240
	s_clause 0x1
	global_load_b64 v[104:105], v84, s[6:7] scale_offset
	global_load_b64 v[106:107], v86, s[6:7] scale_offset
	s_wait_loadcnt 0x8
	scratch_store_b128 off, v[88:91], off offset:256
	s_wait_loadcnt 0x6
	scratch_store_b128 off, v[92:95], off offset:272
	s_wait_loadcnt 0x4
	scratch_store_b128 off, v[96:99], off offset:288
	s_wait_loadcnt 0x2
	scratch_store_b128 off, v[100:103], off offset:304
	s_wait_loadcnt 0x0
	scratch_store_b128 off, v[104:107], off offset:320
	s_cbranch_vccz .LBB41_7
; %bb.2:
	scratch_load_b64 v[88:89], v0, off scale_offset
                                        ; implicit-def: $vgpr93
                                        ; implicit-def: $vgpr90
	s_wait_loadcnt 0x0
	v_cmp_ngt_f32_e64 s0, |v88|, |v89|
	s_wait_xcnt 0x0
	s_and_saveexec_b32 s1, s0
	s_delay_alu instid0(SALU_CYCLE_1)
	s_xor_b32 s0, exec_lo, s1
	s_cbranch_execz .LBB41_4
; %bb.3:
	v_div_scale_f32 v1, null, v89, v89, v88
	v_div_scale_f32 v11, vcc_lo, v88, v89, v88
	s_delay_alu instid0(VALU_DEP_2) | instskip(SKIP_1) | instid1(TRANS32_DEP_1)
	v_rcp_f32_e32 v7, v1
	v_nop
	v_fma_f32 v9, -v1, v7, 1.0
	s_delay_alu instid0(VALU_DEP_1) | instskip(NEXT) | instid1(VALU_DEP_1)
	v_fmac_f32_e32 v7, v9, v7
	v_mul_f32_e32 v9, v11, v7
	s_delay_alu instid0(VALU_DEP_1) | instskip(NEXT) | instid1(VALU_DEP_1)
	v_fma_f32 v13, -v1, v9, v11
	v_fmac_f32_e32 v9, v13, v7
	s_delay_alu instid0(VALU_DEP_1) | instskip(NEXT) | instid1(VALU_DEP_1)
	v_fma_f32 v1, -v1, v9, v11
	v_div_fmas_f32 v1, v1, v7, v9
	s_delay_alu instid0(VALU_DEP_1) | instskip(NEXT) | instid1(VALU_DEP_1)
	v_div_fixup_f32 v1, v1, v89, v88
	v_fmac_f32_e32 v89, v88, v1
	s_delay_alu instid0(VALU_DEP_1) | instskip(NEXT) | instid1(VALU_DEP_1)
	v_div_scale_f32 v7, null, v89, v89, -1.0
	v_rcp_f32_e32 v9, v7
	v_nop
	s_delay_alu instid0(TRANS32_DEP_1) | instskip(NEXT) | instid1(VALU_DEP_1)
	v_fma_f32 v11, -v7, v9, 1.0
	v_fmac_f32_e32 v9, v11, v9
	v_div_scale_f32 v11, vcc_lo, -1.0, v89, -1.0
	s_delay_alu instid0(VALU_DEP_1) | instskip(NEXT) | instid1(VALU_DEP_1)
	v_mul_f32_e32 v13, v11, v9
	v_fma_f32 v15, -v7, v13, v11
	s_delay_alu instid0(VALU_DEP_1) | instskip(NEXT) | instid1(VALU_DEP_1)
	v_fmac_f32_e32 v13, v15, v9
	v_fma_f32 v7, -v7, v13, v11
	s_delay_alu instid0(VALU_DEP_1) | instskip(NEXT) | instid1(VALU_DEP_1)
	v_div_fmas_f32 v7, v7, v9, v13
	v_div_fixup_f32 v93, v7, v89, -1.0
                                        ; implicit-def: $vgpr88_vgpr89
	s_delay_alu instid0(VALU_DEP_1) | instskip(NEXT) | instid1(VALU_DEP_1)
	v_mul_f32_e32 v90, v1, v93
	v_xor_b32_e32 v92, 0x80000000, v90
.LBB41_4:
	s_or_saveexec_b32 s0, s0
	v_lshl_add_u32 v1, v0, 3, 0
	s_xor_b32 exec_lo, exec_lo, s0
	s_cbranch_execz .LBB41_6
; %bb.5:
	v_div_scale_f32 v7, null, v88, v88, v89
	v_div_scale_f32 v13, vcc_lo, v89, v88, v89
	s_delay_alu instid0(VALU_DEP_2) | instskip(SKIP_1) | instid1(TRANS32_DEP_1)
	v_rcp_f32_e32 v9, v7
	v_nop
	v_fma_f32 v11, -v7, v9, 1.0
	s_delay_alu instid0(VALU_DEP_1) | instskip(NEXT) | instid1(VALU_DEP_1)
	v_fmac_f32_e32 v9, v11, v9
	v_mul_f32_e32 v11, v13, v9
	s_delay_alu instid0(VALU_DEP_1) | instskip(NEXT) | instid1(VALU_DEP_1)
	v_fma_f32 v15, -v7, v11, v13
	v_fmac_f32_e32 v11, v15, v9
	s_delay_alu instid0(VALU_DEP_1) | instskip(NEXT) | instid1(VALU_DEP_1)
	v_fma_f32 v7, -v7, v11, v13
	v_div_fmas_f32 v7, v7, v9, v11
	s_delay_alu instid0(VALU_DEP_1) | instskip(NEXT) | instid1(VALU_DEP_1)
	v_div_fixup_f32 v7, v7, v88, v89
	v_fmac_f32_e32 v88, v89, v7
	s_delay_alu instid0(VALU_DEP_1) | instskip(SKIP_1) | instid1(VALU_DEP_2)
	v_div_scale_f32 v9, null, v88, v88, 1.0
	v_div_scale_f32 v15, vcc_lo, 1.0, v88, 1.0
	v_rcp_f32_e32 v11, v9
	v_nop
	s_delay_alu instid0(TRANS32_DEP_1) | instskip(NEXT) | instid1(VALU_DEP_1)
	v_fma_f32 v13, -v9, v11, 1.0
	v_fmac_f32_e32 v11, v13, v11
	s_delay_alu instid0(VALU_DEP_1) | instskip(NEXT) | instid1(VALU_DEP_1)
	v_mul_f32_e32 v13, v15, v11
	v_fma_f32 v17, -v9, v13, v15
	s_delay_alu instid0(VALU_DEP_1) | instskip(NEXT) | instid1(VALU_DEP_1)
	v_fmac_f32_e32 v13, v17, v11
	v_fma_f32 v9, -v9, v13, v15
	s_delay_alu instid0(VALU_DEP_1) | instskip(NEXT) | instid1(VALU_DEP_1)
	v_div_fmas_f32 v9, v9, v11, v13
	v_div_fixup_f32 v92, v9, v88, 1.0
	s_delay_alu instid0(VALU_DEP_1)
	v_xor_b32_e32 v90, 0x80000000, v92
	v_mul_f32_e64 v93, v7, -v92
.LBB41_6:
	s_or_b32 exec_lo, exec_lo, s0
	s_delay_alu instid0(VALU_DEP_1)
	v_xor_b32_e32 v91, 0x80000000, v93
	s_mov_b32 s0, 0
	scratch_store_b64 v1, v[92:93], off
	ds_store_b64 v38, v[90:91]
.LBB41_7:
	s_and_b32 vcc_lo, exec_lo, s0
	s_cbranch_vccz .LBB41_9
; %bb.8:
	s_mov_b64 s[0:1], 0xbf800000
	s_wait_xcnt 0x4
	v_mov_b64_e32 v[88:89], s[0:1]
	ds_store_b64 v38, v[88:89]
.LBB41_9:
	v_dual_ashrrev_i32 v7, 31, v6 :: v_dual_ashrrev_i32 v9, 31, v8
	v_dual_ashrrev_i32 v11, 31, v10 :: v_dual_ashrrev_i32 v13, 31, v12
	v_dual_ashrrev_i32 v15, 31, v14 :: v_dual_ashrrev_i32 v17, 31, v16
	v_dual_ashrrev_i32 v19, 31, v18 :: v_dual_ashrrev_i32 v21, 31, v20
	v_dual_ashrrev_i32 v23, 31, v22 :: v_dual_ashrrev_i32 v25, 31, v24
	v_dual_ashrrev_i32 v27, 31, v26 :: v_dual_ashrrev_i32 v29, 31, v28
	v_dual_ashrrev_i32 v31, 31, v30 :: v_dual_ashrrev_i32 v33, 31, v32
	v_dual_ashrrev_i32 v35, 31, v34 :: v_dual_ashrrev_i32 v37, 31, v36
	v_dual_ashrrev_i32 v41, 31, v40 :: v_dual_ashrrev_i32 v43, 31, v42
	v_dual_ashrrev_i32 v45, 31, v44 :: v_dual_ashrrev_i32 v47, 31, v46
	v_dual_ashrrev_i32 v49, 31, v48 :: v_dual_ashrrev_i32 v51, 31, v50
	v_dual_ashrrev_i32 v53, 31, v52 :: v_dual_ashrrev_i32 v55, 31, v54
	v_dual_ashrrev_i32 v57, 31, v56 :: v_dual_ashrrev_i32 v59, 31, v58
	v_dual_ashrrev_i32 v61, 31, v60 :: v_dual_ashrrev_i32 v63, 31, v62
	v_dual_ashrrev_i32 v65, 31, v64 :: v_dual_ashrrev_i32 v67, 31, v66
	v_dual_ashrrev_i32 v69, 31, v68 :: v_dual_ashrrev_i32 v71, 31, v70
	v_dual_ashrrev_i32 v73, 31, v72 :: v_dual_ashrrev_i32 v75, 31, v74
	v_dual_ashrrev_i32 v77, 31, v76 :: v_dual_ashrrev_i32 v79, 31, v78
	v_dual_ashrrev_i32 v81, 31, v80 :: v_dual_ashrrev_i32 v83, 31, v82
	v_dual_ashrrev_i32 v85, 31, v84 :: v_dual_ashrrev_i32 v87, 31, v86
	s_wait_xcnt 0x0
	v_add_nc_u32_e32 v1, 0x150, v38
	v_mov_b32_e32 v39, v38
	s_cmp_eq_u32 s4, 0x79
	s_cbranch_scc1 .LBB41_13
; %bb.10:
	scratch_load_b64 v[88:89], off, off offset:320
	v_cmp_eq_u32_e64 s0, 41, v0
	s_movk_i32 s1, 0x50
	s_movk_i32 s10, 0x60
	;; [unrolled: 1-line block ×15, first 2 shown]
	s_wait_loadcnt 0x0
	ds_store_b64 v1, v[88:89]
	s_wait_storecnt_dscnt 0x0
	s_barrier_signal -1
	s_barrier_wait -1
	s_wait_xcnt 0x0
	s_and_saveexec_b32 s2, s0
	s_cbranch_execz .LBB41_17
; %bb.11:
	s_and_b32 vcc_lo, exec_lo, s3
	s_cbranch_vccz .LBB41_14
; %bb.12:
	scratch_load_b64 v[88:89], v39, off
	ds_load_b64 v[90:91], v1
	s_wait_loadcnt_dscnt 0x0
	v_pk_mul_f32 v[92:93], v[90:91], v[88:89] op_sel:[1,1] op_sel_hi:[0,1]
	v_pk_mul_f32 v[94:95], v[90:91], v[88:89] op_sel_hi:[1,0]
	s_delay_alu instid0(VALU_DEP_2) | instskip(NEXT) | instid1(VALU_DEP_2)
	v_pk_fma_f32 v[88:89], v[90:91], v[88:89], v[92:93] op_sel_hi:[1,0,1]
	v_sub_f32_e32 v88, v94, v92
	s_cbranch_execz .LBB41_15
	s_branch .LBB41_16
.LBB41_13:
	s_mov_b32 s1, 0
                                        ; implicit-def: $vgpr116
                                        ; implicit-def: $sgpr4
	s_cbranch_execnz .LBB41_416
	s_branch .LBB41_821
.LBB41_14:
                                        ; implicit-def: $vgpr89
.LBB41_15:
	ds_load_b64 v[88:89], v1
.LBB41_16:
	s_wait_dscnt 0x0
	v_dual_mov_b32 v90, 0 :: v_dual_mov_b32 v92, v89
	v_mov_b32_e32 v93, v88
	ds_load_b64 v[90:91], v90 offset:320
	s_wait_dscnt 0x0
	v_pk_mul_f32 v[92:93], v[92:93], v[90:91] op_sel:[0,1]
	s_delay_alu instid0(VALU_DEP_1) | instskip(SKIP_1) | instid1(VALU_DEP_2)
	v_pk_fma_f32 v[94:95], v[88:89], v[90:91], v[92:93] op_sel_hi:[1,0,1]
	v_pk_fma_f32 v[88:89], v[88:89], v[90:91], v[92:93] neg_lo:[0,0,1] neg_hi:[0,0,1]
	v_mov_b32_e32 v89, v95
	scratch_store_b64 off, v[88:89], off offset:320
.LBB41_17:
	s_wait_xcnt 0x0
	s_or_b32 exec_lo, exec_lo, s2
	scratch_load_b64 v[88:89], off, off offset:312
	s_mov_b32 s9, s1
	v_cmp_lt_u32_e64 s1, 39, v0
	s_mov_b32 s4, 16
	s_mov_b32 s5, 32
	;; [unrolled: 1-line block ×4, first 2 shown]
	s_wait_loadcnt 0x0
	ds_store_b64 v1, v[88:89]
	s_wait_storecnt_dscnt 0x0
	s_barrier_signal -1
	s_barrier_wait -1
	s_wait_xcnt 0x0
	s_and_saveexec_b32 s24, s1
	s_cbranch_execz .LBB41_25
; %bb.18:
	s_and_not1_b32 vcc_lo, exec_lo, s3
	s_cbranch_vccnz .LBB41_20
; %bb.19:
	scratch_load_b64 v[88:89], v39, off
	ds_load_b64 v[90:91], v1
	s_wait_loadcnt_dscnt 0x0
	v_pk_mul_f32 v[92:93], v[90:91], v[88:89] op_sel:[1,1] op_sel_hi:[0,1]
	s_delay_alu instid0(VALU_DEP_1) | instskip(SKIP_1) | instid1(VALU_DEP_2)
	v_pk_fma_f32 v[94:95], v[90:91], v[88:89], v[92:93] op_sel_hi:[1,0,1]
	v_pk_fma_f32 v[88:89], v[90:91], v[88:89], v[92:93] neg_lo:[0,0,1] neg_hi:[0,0,1]
	v_mov_b32_e32 v89, v95
	s_cbranch_execz .LBB41_21
	s_branch .LBB41_22
.LBB41_20:
                                        ; implicit-def: $vgpr88_vgpr89
.LBB41_21:
	ds_load_b64 v[88:89], v1
.LBB41_22:
	s_and_saveexec_b32 s25, s0
	s_cbranch_execz .LBB41_24
; %bb.23:
	scratch_load_b64 v[90:91], off, off offset:320
	v_mov_b32_e32 v92, 0
	ds_load_b64 v[92:93], v92 offset:656
	s_wait_loadcnt_dscnt 0x0
	v_pk_mul_f32 v[94:95], v[92:93], v[90:91] op_sel:[1,1] op_sel_hi:[0,1]
	s_delay_alu instid0(VALU_DEP_1) | instskip(SKIP_1) | instid1(VALU_DEP_2)
	v_pk_fma_f32 v[96:97], v[92:93], v[90:91], v[94:95] op_sel_hi:[1,0,1]
	v_pk_fma_f32 v[90:91], v[92:93], v[90:91], v[94:95] neg_lo:[0,0,1] neg_hi:[0,0,1]
	v_mov_b32_e32 v91, v97
	s_delay_alu instid0(VALU_DEP_1)
	v_pk_add_f32 v[88:89], v[88:89], v[90:91]
.LBB41_24:
	s_or_b32 exec_lo, exec_lo, s25
	v_mov_b32_e32 v90, 0
	ds_load_b64 v[90:91], v90 offset:312
	s_wait_dscnt 0x0
	v_pk_mul_f32 v[92:93], v[88:89], v[90:91] op_sel:[1,1] op_sel_hi:[0,1]
	s_delay_alu instid0(VALU_DEP_1) | instskip(SKIP_1) | instid1(VALU_DEP_2)
	v_pk_fma_f32 v[94:95], v[88:89], v[90:91], v[92:93] op_sel_hi:[1,0,1]
	v_pk_fma_f32 v[88:89], v[88:89], v[90:91], v[92:93] neg_lo:[0,0,1] neg_hi:[0,0,1]
	v_mov_b32_e32 v89, v95
	scratch_store_b64 off, v[88:89], off offset:312
.LBB41_25:
	s_wait_xcnt 0x0
	s_or_b32 exec_lo, exec_lo, s24
	scratch_load_b64 v[88:89], off, off offset:304
	v_cmp_lt_u32_e64 s0, 38, v0
	s_wait_loadcnt 0x0
	ds_store_b64 v1, v[88:89]
	s_wait_storecnt_dscnt 0x0
	s_barrier_signal -1
	s_barrier_wait -1
	s_wait_xcnt 0x0
	s_and_saveexec_b32 s24, s0
	s_cbranch_execz .LBB41_35
; %bb.26:
	s_and_not1_b32 vcc_lo, exec_lo, s3
	s_cbranch_vccnz .LBB41_28
; %bb.27:
	scratch_load_b64 v[88:89], v39, off
	ds_load_b64 v[90:91], v1
	s_wait_loadcnt_dscnt 0x0
	v_pk_mul_f32 v[92:93], v[90:91], v[88:89] op_sel:[1,1] op_sel_hi:[0,1]
	s_delay_alu instid0(VALU_DEP_1) | instskip(SKIP_1) | instid1(VALU_DEP_2)
	v_pk_fma_f32 v[94:95], v[90:91], v[88:89], v[92:93] op_sel_hi:[1,0,1]
	v_pk_fma_f32 v[88:89], v[90:91], v[88:89], v[92:93] neg_lo:[0,0,1] neg_hi:[0,0,1]
	v_mov_b32_e32 v89, v95
	s_cbranch_execz .LBB41_29
	s_branch .LBB41_30
.LBB41_28:
                                        ; implicit-def: $vgpr88_vgpr89
.LBB41_29:
	ds_load_b64 v[88:89], v1
.LBB41_30:
	s_and_saveexec_b32 s25, s1
	s_cbranch_execz .LBB41_34
; %bb.31:
	v_subrev_nc_u32_e32 v90, 39, v0
	s_movk_i32 s1, 0x138
	s_movk_i32 s27, 0x288
	s_mov_b32 s26, 0
.LBB41_32:                              ; =>This Inner Loop Header: Depth=1
	scratch_load_b64 v[92:93], off, s1
	v_dual_mov_b32 v91, s27 :: v_dual_add_nc_u32 v90, -1, v90
	s_add_co_i32 s27, s27, 8
	s_wait_xcnt 0x0
	s_add_co_i32 s1, s1, 8
	ds_load_b64 v[94:95], v91
	v_cmp_eq_u32_e32 vcc_lo, 0, v90
	s_or_b32 s26, vcc_lo, s26
	s_wait_loadcnt_dscnt 0x0
	v_pk_mul_f32 v[96:97], v[94:95], v[92:93] op_sel:[1,1] op_sel_hi:[0,1]
	s_delay_alu instid0(VALU_DEP_1) | instskip(SKIP_1) | instid1(VALU_DEP_2)
	v_pk_fma_f32 v[98:99], v[94:95], v[92:93], v[96:97] op_sel_hi:[1,0,1]
	v_pk_fma_f32 v[92:93], v[94:95], v[92:93], v[96:97] neg_lo:[0,0,1] neg_hi:[0,0,1]
	v_mov_b32_e32 v93, v99
	s_delay_alu instid0(VALU_DEP_1)
	v_pk_add_f32 v[88:89], v[88:89], v[92:93]
	s_and_not1_b32 exec_lo, exec_lo, s26
	s_cbranch_execnz .LBB41_32
; %bb.33:
	s_or_b32 exec_lo, exec_lo, s26
.LBB41_34:
	s_delay_alu instid0(SALU_CYCLE_1) | instskip(SKIP_4) | instid1(VALU_DEP_1)
	s_or_b32 exec_lo, exec_lo, s25
	v_mov_b32_e32 v90, 0
	ds_load_b64 v[90:91], v90 offset:304
	s_wait_dscnt 0x0
	v_pk_mul_f32 v[92:93], v[88:89], v[90:91] op_sel:[1,1] op_sel_hi:[0,1]
	v_pk_fma_f32 v[94:95], v[88:89], v[90:91], v[92:93] op_sel_hi:[1,0,1]
	v_pk_fma_f32 v[88:89], v[88:89], v[90:91], v[92:93] neg_lo:[0,0,1] neg_hi:[0,0,1]
	s_delay_alu instid0(VALU_DEP_2)
	v_mov_b32_e32 v89, v95
	scratch_store_b64 off, v[88:89], off offset:304
.LBB41_35:
	s_wait_xcnt 0x0
	s_or_b32 exec_lo, exec_lo, s24
	scratch_load_b64 v[88:89], off, off offset:296
	v_cmp_lt_u32_e64 s1, 37, v0
	s_wait_loadcnt 0x0
	ds_store_b64 v1, v[88:89]
	s_wait_storecnt_dscnt 0x0
	s_barrier_signal -1
	s_barrier_wait -1
	s_wait_xcnt 0x0
	s_and_saveexec_b32 s24, s1
	s_cbranch_execz .LBB41_45
; %bb.36:
	s_and_not1_b32 vcc_lo, exec_lo, s3
	s_cbranch_vccnz .LBB41_38
; %bb.37:
	scratch_load_b64 v[88:89], v39, off
	ds_load_b64 v[90:91], v1
	s_wait_loadcnt_dscnt 0x0
	v_pk_mul_f32 v[92:93], v[90:91], v[88:89] op_sel:[1,1] op_sel_hi:[0,1]
	s_delay_alu instid0(VALU_DEP_1) | instskip(SKIP_1) | instid1(VALU_DEP_2)
	v_pk_fma_f32 v[94:95], v[90:91], v[88:89], v[92:93] op_sel_hi:[1,0,1]
	v_pk_fma_f32 v[88:89], v[90:91], v[88:89], v[92:93] neg_lo:[0,0,1] neg_hi:[0,0,1]
	v_mov_b32_e32 v89, v95
	s_cbranch_execz .LBB41_39
	s_branch .LBB41_40
.LBB41_38:
                                        ; implicit-def: $vgpr88_vgpr89
.LBB41_39:
	ds_load_b64 v[88:89], v1
.LBB41_40:
	s_and_saveexec_b32 s25, s0
	s_cbranch_execz .LBB41_44
; %bb.41:
	v_subrev_nc_u32_e32 v90, 38, v0
	s_movk_i32 s26, 0x280
	s_mov_b32 s0, 0
.LBB41_42:                              ; =>This Inner Loop Header: Depth=1
	scratch_load_b64 v[92:93], off, s23
	v_dual_mov_b32 v91, s26 :: v_dual_add_nc_u32 v90, -1, v90
	s_add_co_i32 s26, s26, 8
	s_wait_xcnt 0x0
	s_add_co_i32 s23, s23, 8
	ds_load_b64 v[94:95], v91
	v_cmp_eq_u32_e32 vcc_lo, 0, v90
	s_or_b32 s0, vcc_lo, s0
	s_wait_loadcnt_dscnt 0x0
	v_pk_mul_f32 v[96:97], v[94:95], v[92:93] op_sel:[1,1] op_sel_hi:[0,1]
	s_delay_alu instid0(VALU_DEP_1) | instskip(SKIP_1) | instid1(VALU_DEP_2)
	v_pk_fma_f32 v[98:99], v[94:95], v[92:93], v[96:97] op_sel_hi:[1,0,1]
	v_pk_fma_f32 v[92:93], v[94:95], v[92:93], v[96:97] neg_lo:[0,0,1] neg_hi:[0,0,1]
	v_mov_b32_e32 v93, v99
	s_delay_alu instid0(VALU_DEP_1)
	v_pk_add_f32 v[88:89], v[88:89], v[92:93]
	s_and_not1_b32 exec_lo, exec_lo, s0
	s_cbranch_execnz .LBB41_42
; %bb.43:
	s_or_b32 exec_lo, exec_lo, s0
.LBB41_44:
	s_delay_alu instid0(SALU_CYCLE_1) | instskip(SKIP_4) | instid1(VALU_DEP_1)
	s_or_b32 exec_lo, exec_lo, s25
	v_mov_b32_e32 v90, 0
	ds_load_b64 v[90:91], v90 offset:296
	s_wait_dscnt 0x0
	v_pk_mul_f32 v[92:93], v[88:89], v[90:91] op_sel:[1,1] op_sel_hi:[0,1]
	v_pk_fma_f32 v[94:95], v[88:89], v[90:91], v[92:93] op_sel_hi:[1,0,1]
	v_pk_fma_f32 v[88:89], v[88:89], v[90:91], v[92:93] neg_lo:[0,0,1] neg_hi:[0,0,1]
	s_delay_alu instid0(VALU_DEP_2)
	v_mov_b32_e32 v89, v95
	scratch_store_b64 off, v[88:89], off offset:296
.LBB41_45:
	s_wait_xcnt 0x0
	s_or_b32 exec_lo, exec_lo, s24
	scratch_load_b64 v[88:89], off, off offset:288
	v_cmp_lt_u32_e64 s0, 36, v0
	s_wait_loadcnt 0x0
	ds_store_b64 v1, v[88:89]
	s_wait_storecnt_dscnt 0x0
	s_barrier_signal -1
	s_barrier_wait -1
	s_wait_xcnt 0x0
	s_and_saveexec_b32 s23, s0
	s_cbranch_execz .LBB41_55
; %bb.46:
	s_and_not1_b32 vcc_lo, exec_lo, s3
	s_cbranch_vccnz .LBB41_48
; %bb.47:
	scratch_load_b64 v[88:89], v39, off
	ds_load_b64 v[90:91], v1
	s_wait_loadcnt_dscnt 0x0
	v_pk_mul_f32 v[92:93], v[90:91], v[88:89] op_sel:[1,1] op_sel_hi:[0,1]
	s_delay_alu instid0(VALU_DEP_1) | instskip(SKIP_1) | instid1(VALU_DEP_2)
	v_pk_fma_f32 v[94:95], v[90:91], v[88:89], v[92:93] op_sel_hi:[1,0,1]
	v_pk_fma_f32 v[88:89], v[90:91], v[88:89], v[92:93] neg_lo:[0,0,1] neg_hi:[0,0,1]
	v_mov_b32_e32 v89, v95
	s_cbranch_execz .LBB41_49
	s_branch .LBB41_50
.LBB41_48:
                                        ; implicit-def: $vgpr88_vgpr89
.LBB41_49:
	ds_load_b64 v[88:89], v1
.LBB41_50:
	s_and_saveexec_b32 s24, s1
	s_cbranch_execz .LBB41_54
; %bb.51:
	v_subrev_nc_u32_e32 v90, 37, v0
	s_movk_i32 s1, 0x128
	s_movk_i32 s26, 0x278
	s_mov_b32 s25, 0
.LBB41_52:                              ; =>This Inner Loop Header: Depth=1
	scratch_load_b64 v[92:93], off, s1
	v_dual_mov_b32 v91, s26 :: v_dual_add_nc_u32 v90, -1, v90
	s_add_co_i32 s26, s26, 8
	s_wait_xcnt 0x0
	s_add_co_i32 s1, s1, 8
	ds_load_b64 v[94:95], v91
	v_cmp_eq_u32_e32 vcc_lo, 0, v90
	s_or_b32 s25, vcc_lo, s25
	s_wait_loadcnt_dscnt 0x0
	v_pk_mul_f32 v[96:97], v[94:95], v[92:93] op_sel:[1,1] op_sel_hi:[0,1]
	s_delay_alu instid0(VALU_DEP_1) | instskip(SKIP_1) | instid1(VALU_DEP_2)
	v_pk_fma_f32 v[98:99], v[94:95], v[92:93], v[96:97] op_sel_hi:[1,0,1]
	v_pk_fma_f32 v[92:93], v[94:95], v[92:93], v[96:97] neg_lo:[0,0,1] neg_hi:[0,0,1]
	v_mov_b32_e32 v93, v99
	s_delay_alu instid0(VALU_DEP_1)
	v_pk_add_f32 v[88:89], v[88:89], v[92:93]
	s_and_not1_b32 exec_lo, exec_lo, s25
	s_cbranch_execnz .LBB41_52
; %bb.53:
	s_or_b32 exec_lo, exec_lo, s25
.LBB41_54:
	s_delay_alu instid0(SALU_CYCLE_1) | instskip(SKIP_4) | instid1(VALU_DEP_1)
	s_or_b32 exec_lo, exec_lo, s24
	v_mov_b32_e32 v90, 0
	ds_load_b64 v[90:91], v90 offset:288
	s_wait_dscnt 0x0
	v_pk_mul_f32 v[92:93], v[88:89], v[90:91] op_sel:[1,1] op_sel_hi:[0,1]
	v_pk_fma_f32 v[94:95], v[88:89], v[90:91], v[92:93] op_sel_hi:[1,0,1]
	v_pk_fma_f32 v[88:89], v[88:89], v[90:91], v[92:93] neg_lo:[0,0,1] neg_hi:[0,0,1]
	s_delay_alu instid0(VALU_DEP_2)
	v_mov_b32_e32 v89, v95
	scratch_store_b64 off, v[88:89], off offset:288
.LBB41_55:
	s_wait_xcnt 0x0
	s_or_b32 exec_lo, exec_lo, s23
	scratch_load_b64 v[88:89], off, off offset:280
	v_cmp_lt_u32_e64 s1, 35, v0
	s_wait_loadcnt 0x0
	ds_store_b64 v1, v[88:89]
	s_wait_storecnt_dscnt 0x0
	s_barrier_signal -1
	s_barrier_wait -1
	s_wait_xcnt 0x0
	s_and_saveexec_b32 s23, s1
	s_cbranch_execz .LBB41_65
; %bb.56:
	s_and_not1_b32 vcc_lo, exec_lo, s3
	s_cbranch_vccnz .LBB41_58
; %bb.57:
	scratch_load_b64 v[88:89], v39, off
	ds_load_b64 v[90:91], v1
	s_wait_loadcnt_dscnt 0x0
	v_pk_mul_f32 v[92:93], v[90:91], v[88:89] op_sel:[1,1] op_sel_hi:[0,1]
	s_delay_alu instid0(VALU_DEP_1) | instskip(SKIP_1) | instid1(VALU_DEP_2)
	v_pk_fma_f32 v[94:95], v[90:91], v[88:89], v[92:93] op_sel_hi:[1,0,1]
	v_pk_fma_f32 v[88:89], v[90:91], v[88:89], v[92:93] neg_lo:[0,0,1] neg_hi:[0,0,1]
	v_mov_b32_e32 v89, v95
	s_cbranch_execz .LBB41_59
	s_branch .LBB41_60
.LBB41_58:
                                        ; implicit-def: $vgpr88_vgpr89
.LBB41_59:
	ds_load_b64 v[88:89], v1
.LBB41_60:
	s_and_saveexec_b32 s24, s0
	s_cbranch_execz .LBB41_64
; %bb.61:
	v_subrev_nc_u32_e32 v90, 36, v0
	s_movk_i32 s25, 0x270
	s_mov_b32 s0, 0
.LBB41_62:                              ; =>This Inner Loop Header: Depth=1
	scratch_load_b64 v[92:93], off, s22
	v_dual_mov_b32 v91, s25 :: v_dual_add_nc_u32 v90, -1, v90
	s_add_co_i32 s25, s25, 8
	s_wait_xcnt 0x0
	s_add_co_i32 s22, s22, 8
	ds_load_b64 v[94:95], v91
	v_cmp_eq_u32_e32 vcc_lo, 0, v90
	s_or_b32 s0, vcc_lo, s0
	s_wait_loadcnt_dscnt 0x0
	v_pk_mul_f32 v[96:97], v[94:95], v[92:93] op_sel:[1,1] op_sel_hi:[0,1]
	s_delay_alu instid0(VALU_DEP_1) | instskip(SKIP_1) | instid1(VALU_DEP_2)
	v_pk_fma_f32 v[98:99], v[94:95], v[92:93], v[96:97] op_sel_hi:[1,0,1]
	v_pk_fma_f32 v[92:93], v[94:95], v[92:93], v[96:97] neg_lo:[0,0,1] neg_hi:[0,0,1]
	v_mov_b32_e32 v93, v99
	s_delay_alu instid0(VALU_DEP_1)
	v_pk_add_f32 v[88:89], v[88:89], v[92:93]
	s_and_not1_b32 exec_lo, exec_lo, s0
	s_cbranch_execnz .LBB41_62
; %bb.63:
	s_or_b32 exec_lo, exec_lo, s0
.LBB41_64:
	s_delay_alu instid0(SALU_CYCLE_1) | instskip(SKIP_4) | instid1(VALU_DEP_1)
	s_or_b32 exec_lo, exec_lo, s24
	v_mov_b32_e32 v90, 0
	ds_load_b64 v[90:91], v90 offset:280
	s_wait_dscnt 0x0
	v_pk_mul_f32 v[92:93], v[88:89], v[90:91] op_sel:[1,1] op_sel_hi:[0,1]
	v_pk_fma_f32 v[94:95], v[88:89], v[90:91], v[92:93] op_sel_hi:[1,0,1]
	v_pk_fma_f32 v[88:89], v[88:89], v[90:91], v[92:93] neg_lo:[0,0,1] neg_hi:[0,0,1]
	s_delay_alu instid0(VALU_DEP_2)
	v_mov_b32_e32 v89, v95
	scratch_store_b64 off, v[88:89], off offset:280
.LBB41_65:
	s_wait_xcnt 0x0
	s_or_b32 exec_lo, exec_lo, s23
	scratch_load_b64 v[88:89], off, off offset:272
	v_cmp_lt_u32_e64 s0, 34, v0
	s_wait_loadcnt 0x0
	ds_store_b64 v1, v[88:89]
	s_wait_storecnt_dscnt 0x0
	s_barrier_signal -1
	s_barrier_wait -1
	s_wait_xcnt 0x0
	s_and_saveexec_b32 s22, s0
	s_cbranch_execz .LBB41_75
; %bb.66:
	s_and_not1_b32 vcc_lo, exec_lo, s3
	s_cbranch_vccnz .LBB41_68
; %bb.67:
	scratch_load_b64 v[88:89], v39, off
	ds_load_b64 v[90:91], v1
	s_wait_loadcnt_dscnt 0x0
	v_pk_mul_f32 v[92:93], v[90:91], v[88:89] op_sel:[1,1] op_sel_hi:[0,1]
	s_delay_alu instid0(VALU_DEP_1) | instskip(SKIP_1) | instid1(VALU_DEP_2)
	v_pk_fma_f32 v[94:95], v[90:91], v[88:89], v[92:93] op_sel_hi:[1,0,1]
	v_pk_fma_f32 v[88:89], v[90:91], v[88:89], v[92:93] neg_lo:[0,0,1] neg_hi:[0,0,1]
	v_mov_b32_e32 v89, v95
	s_cbranch_execz .LBB41_69
	s_branch .LBB41_70
.LBB41_68:
                                        ; implicit-def: $vgpr88_vgpr89
.LBB41_69:
	ds_load_b64 v[88:89], v1
.LBB41_70:
	s_and_saveexec_b32 s23, s1
	s_cbranch_execz .LBB41_74
; %bb.71:
	v_subrev_nc_u32_e32 v90, 35, v0
	s_movk_i32 s1, 0x118
	s_movk_i32 s25, 0x268
	s_mov_b32 s24, 0
.LBB41_72:                              ; =>This Inner Loop Header: Depth=1
	scratch_load_b64 v[92:93], off, s1
	v_dual_mov_b32 v91, s25 :: v_dual_add_nc_u32 v90, -1, v90
	s_add_co_i32 s25, s25, 8
	s_wait_xcnt 0x0
	s_add_co_i32 s1, s1, 8
	ds_load_b64 v[94:95], v91
	v_cmp_eq_u32_e32 vcc_lo, 0, v90
	s_or_b32 s24, vcc_lo, s24
	s_wait_loadcnt_dscnt 0x0
	v_pk_mul_f32 v[96:97], v[94:95], v[92:93] op_sel:[1,1] op_sel_hi:[0,1]
	s_delay_alu instid0(VALU_DEP_1) | instskip(SKIP_1) | instid1(VALU_DEP_2)
	v_pk_fma_f32 v[98:99], v[94:95], v[92:93], v[96:97] op_sel_hi:[1,0,1]
	v_pk_fma_f32 v[92:93], v[94:95], v[92:93], v[96:97] neg_lo:[0,0,1] neg_hi:[0,0,1]
	v_mov_b32_e32 v93, v99
	s_delay_alu instid0(VALU_DEP_1)
	v_pk_add_f32 v[88:89], v[88:89], v[92:93]
	s_and_not1_b32 exec_lo, exec_lo, s24
	s_cbranch_execnz .LBB41_72
; %bb.73:
	s_or_b32 exec_lo, exec_lo, s24
.LBB41_74:
	s_delay_alu instid0(SALU_CYCLE_1) | instskip(SKIP_4) | instid1(VALU_DEP_1)
	s_or_b32 exec_lo, exec_lo, s23
	v_mov_b32_e32 v90, 0
	ds_load_b64 v[90:91], v90 offset:272
	s_wait_dscnt 0x0
	v_pk_mul_f32 v[92:93], v[88:89], v[90:91] op_sel:[1,1] op_sel_hi:[0,1]
	v_pk_fma_f32 v[94:95], v[88:89], v[90:91], v[92:93] op_sel_hi:[1,0,1]
	v_pk_fma_f32 v[88:89], v[88:89], v[90:91], v[92:93] neg_lo:[0,0,1] neg_hi:[0,0,1]
	s_delay_alu instid0(VALU_DEP_2)
	v_mov_b32_e32 v89, v95
	scratch_store_b64 off, v[88:89], off offset:272
.LBB41_75:
	s_wait_xcnt 0x0
	s_or_b32 exec_lo, exec_lo, s22
	scratch_load_b64 v[88:89], off, off offset:264
	v_cmp_lt_u32_e64 s1, 33, v0
	s_wait_loadcnt 0x0
	ds_store_b64 v1, v[88:89]
	s_wait_storecnt_dscnt 0x0
	s_barrier_signal -1
	s_barrier_wait -1
	s_wait_xcnt 0x0
	s_and_saveexec_b32 s22, s1
	s_cbranch_execz .LBB41_85
; %bb.76:
	s_and_not1_b32 vcc_lo, exec_lo, s3
	s_cbranch_vccnz .LBB41_78
; %bb.77:
	scratch_load_b64 v[88:89], v39, off
	ds_load_b64 v[90:91], v1
	s_wait_loadcnt_dscnt 0x0
	v_pk_mul_f32 v[92:93], v[90:91], v[88:89] op_sel:[1,1] op_sel_hi:[0,1]
	s_delay_alu instid0(VALU_DEP_1) | instskip(SKIP_1) | instid1(VALU_DEP_2)
	v_pk_fma_f32 v[94:95], v[90:91], v[88:89], v[92:93] op_sel_hi:[1,0,1]
	v_pk_fma_f32 v[88:89], v[90:91], v[88:89], v[92:93] neg_lo:[0,0,1] neg_hi:[0,0,1]
	v_mov_b32_e32 v89, v95
	s_cbranch_execz .LBB41_79
	s_branch .LBB41_80
.LBB41_78:
                                        ; implicit-def: $vgpr88_vgpr89
.LBB41_79:
	ds_load_b64 v[88:89], v1
.LBB41_80:
	s_and_saveexec_b32 s23, s0
	s_cbranch_execz .LBB41_84
; %bb.81:
	v_subrev_nc_u32_e32 v90, 34, v0
	s_movk_i32 s24, 0x260
	s_mov_b32 s0, 0
.LBB41_82:                              ; =>This Inner Loop Header: Depth=1
	scratch_load_b64 v[92:93], off, s21
	v_dual_mov_b32 v91, s24 :: v_dual_add_nc_u32 v90, -1, v90
	s_add_co_i32 s24, s24, 8
	s_wait_xcnt 0x0
	s_add_co_i32 s21, s21, 8
	ds_load_b64 v[94:95], v91
	v_cmp_eq_u32_e32 vcc_lo, 0, v90
	s_or_b32 s0, vcc_lo, s0
	s_wait_loadcnt_dscnt 0x0
	v_pk_mul_f32 v[96:97], v[94:95], v[92:93] op_sel:[1,1] op_sel_hi:[0,1]
	s_delay_alu instid0(VALU_DEP_1) | instskip(SKIP_1) | instid1(VALU_DEP_2)
	v_pk_fma_f32 v[98:99], v[94:95], v[92:93], v[96:97] op_sel_hi:[1,0,1]
	v_pk_fma_f32 v[92:93], v[94:95], v[92:93], v[96:97] neg_lo:[0,0,1] neg_hi:[0,0,1]
	v_mov_b32_e32 v93, v99
	s_delay_alu instid0(VALU_DEP_1)
	v_pk_add_f32 v[88:89], v[88:89], v[92:93]
	s_and_not1_b32 exec_lo, exec_lo, s0
	s_cbranch_execnz .LBB41_82
; %bb.83:
	s_or_b32 exec_lo, exec_lo, s0
.LBB41_84:
	s_delay_alu instid0(SALU_CYCLE_1) | instskip(SKIP_4) | instid1(VALU_DEP_1)
	s_or_b32 exec_lo, exec_lo, s23
	v_mov_b32_e32 v90, 0
	ds_load_b64 v[90:91], v90 offset:264
	s_wait_dscnt 0x0
	v_pk_mul_f32 v[92:93], v[88:89], v[90:91] op_sel:[1,1] op_sel_hi:[0,1]
	v_pk_fma_f32 v[94:95], v[88:89], v[90:91], v[92:93] op_sel_hi:[1,0,1]
	v_pk_fma_f32 v[88:89], v[88:89], v[90:91], v[92:93] neg_lo:[0,0,1] neg_hi:[0,0,1]
	s_delay_alu instid0(VALU_DEP_2)
	v_mov_b32_e32 v89, v95
	scratch_store_b64 off, v[88:89], off offset:264
.LBB41_85:
	s_wait_xcnt 0x0
	s_or_b32 exec_lo, exec_lo, s22
	scratch_load_b64 v[88:89], off, off offset:256
	v_cmp_lt_u32_e64 s0, 32, v0
	s_wait_loadcnt 0x0
	ds_store_b64 v1, v[88:89]
	s_wait_storecnt_dscnt 0x0
	s_barrier_signal -1
	s_barrier_wait -1
	s_wait_xcnt 0x0
	s_and_saveexec_b32 s21, s0
	s_cbranch_execz .LBB41_95
; %bb.86:
	s_and_not1_b32 vcc_lo, exec_lo, s3
	s_cbranch_vccnz .LBB41_88
; %bb.87:
	scratch_load_b64 v[88:89], v39, off
	ds_load_b64 v[90:91], v1
	s_wait_loadcnt_dscnt 0x0
	v_pk_mul_f32 v[92:93], v[90:91], v[88:89] op_sel:[1,1] op_sel_hi:[0,1]
	s_delay_alu instid0(VALU_DEP_1) | instskip(SKIP_1) | instid1(VALU_DEP_2)
	v_pk_fma_f32 v[94:95], v[90:91], v[88:89], v[92:93] op_sel_hi:[1,0,1]
	v_pk_fma_f32 v[88:89], v[90:91], v[88:89], v[92:93] neg_lo:[0,0,1] neg_hi:[0,0,1]
	v_mov_b32_e32 v89, v95
	s_cbranch_execz .LBB41_89
	s_branch .LBB41_90
.LBB41_88:
                                        ; implicit-def: $vgpr88_vgpr89
.LBB41_89:
	ds_load_b64 v[88:89], v1
.LBB41_90:
	s_and_saveexec_b32 s22, s1
	s_cbranch_execz .LBB41_94
; %bb.91:
	v_subrev_nc_u32_e32 v90, 33, v0
	s_movk_i32 s1, 0x108
	s_movk_i32 s24, 0x258
	s_mov_b32 s23, 0
.LBB41_92:                              ; =>This Inner Loop Header: Depth=1
	scratch_load_b64 v[92:93], off, s1
	v_dual_mov_b32 v91, s24 :: v_dual_add_nc_u32 v90, -1, v90
	s_add_co_i32 s24, s24, 8
	s_wait_xcnt 0x0
	s_add_co_i32 s1, s1, 8
	ds_load_b64 v[94:95], v91
	v_cmp_eq_u32_e32 vcc_lo, 0, v90
	s_or_b32 s23, vcc_lo, s23
	s_wait_loadcnt_dscnt 0x0
	v_pk_mul_f32 v[96:97], v[94:95], v[92:93] op_sel:[1,1] op_sel_hi:[0,1]
	s_delay_alu instid0(VALU_DEP_1) | instskip(SKIP_1) | instid1(VALU_DEP_2)
	v_pk_fma_f32 v[98:99], v[94:95], v[92:93], v[96:97] op_sel_hi:[1,0,1]
	v_pk_fma_f32 v[92:93], v[94:95], v[92:93], v[96:97] neg_lo:[0,0,1] neg_hi:[0,0,1]
	v_mov_b32_e32 v93, v99
	s_delay_alu instid0(VALU_DEP_1)
	v_pk_add_f32 v[88:89], v[88:89], v[92:93]
	s_and_not1_b32 exec_lo, exec_lo, s23
	s_cbranch_execnz .LBB41_92
; %bb.93:
	s_or_b32 exec_lo, exec_lo, s23
.LBB41_94:
	s_delay_alu instid0(SALU_CYCLE_1) | instskip(SKIP_4) | instid1(VALU_DEP_1)
	s_or_b32 exec_lo, exec_lo, s22
	v_mov_b32_e32 v90, 0
	ds_load_b64 v[90:91], v90 offset:256
	s_wait_dscnt 0x0
	v_pk_mul_f32 v[92:93], v[88:89], v[90:91] op_sel:[1,1] op_sel_hi:[0,1]
	v_pk_fma_f32 v[94:95], v[88:89], v[90:91], v[92:93] op_sel_hi:[1,0,1]
	v_pk_fma_f32 v[88:89], v[88:89], v[90:91], v[92:93] neg_lo:[0,0,1] neg_hi:[0,0,1]
	s_delay_alu instid0(VALU_DEP_2)
	v_mov_b32_e32 v89, v95
	scratch_store_b64 off, v[88:89], off offset:256
.LBB41_95:
	s_wait_xcnt 0x0
	s_or_b32 exec_lo, exec_lo, s21
	scratch_load_b64 v[88:89], off, off offset:248
	v_cmp_lt_u32_e64 s1, 31, v0
	s_wait_loadcnt 0x0
	ds_store_b64 v1, v[88:89]
	s_wait_storecnt_dscnt 0x0
	s_barrier_signal -1
	s_barrier_wait -1
	s_wait_xcnt 0x0
	s_and_saveexec_b32 s21, s1
	s_cbranch_execz .LBB41_105
; %bb.96:
	s_and_not1_b32 vcc_lo, exec_lo, s3
	s_cbranch_vccnz .LBB41_98
; %bb.97:
	scratch_load_b64 v[88:89], v39, off
	ds_load_b64 v[90:91], v1
	s_wait_loadcnt_dscnt 0x0
	v_pk_mul_f32 v[92:93], v[90:91], v[88:89] op_sel:[1,1] op_sel_hi:[0,1]
	s_delay_alu instid0(VALU_DEP_1) | instskip(SKIP_1) | instid1(VALU_DEP_2)
	v_pk_fma_f32 v[94:95], v[90:91], v[88:89], v[92:93] op_sel_hi:[1,0,1]
	v_pk_fma_f32 v[88:89], v[90:91], v[88:89], v[92:93] neg_lo:[0,0,1] neg_hi:[0,0,1]
	v_mov_b32_e32 v89, v95
	s_cbranch_execz .LBB41_99
	s_branch .LBB41_100
.LBB41_98:
                                        ; implicit-def: $vgpr88_vgpr89
.LBB41_99:
	ds_load_b64 v[88:89], v1
.LBB41_100:
	s_and_saveexec_b32 s22, s0
	s_cbranch_execz .LBB41_104
; %bb.101:
	v_subrev_nc_u32_e32 v90, 32, v0
	s_movk_i32 s23, 0x250
	s_mov_b32 s0, 0
.LBB41_102:                             ; =>This Inner Loop Header: Depth=1
	scratch_load_b64 v[92:93], off, s20
	v_dual_mov_b32 v91, s23 :: v_dual_add_nc_u32 v90, -1, v90
	s_add_co_i32 s23, s23, 8
	s_wait_xcnt 0x0
	s_add_co_i32 s20, s20, 8
	ds_load_b64 v[94:95], v91
	v_cmp_eq_u32_e32 vcc_lo, 0, v90
	s_or_b32 s0, vcc_lo, s0
	s_wait_loadcnt_dscnt 0x0
	v_pk_mul_f32 v[96:97], v[94:95], v[92:93] op_sel:[1,1] op_sel_hi:[0,1]
	s_delay_alu instid0(VALU_DEP_1) | instskip(SKIP_1) | instid1(VALU_DEP_2)
	v_pk_fma_f32 v[98:99], v[94:95], v[92:93], v[96:97] op_sel_hi:[1,0,1]
	v_pk_fma_f32 v[92:93], v[94:95], v[92:93], v[96:97] neg_lo:[0,0,1] neg_hi:[0,0,1]
	v_mov_b32_e32 v93, v99
	s_delay_alu instid0(VALU_DEP_1)
	v_pk_add_f32 v[88:89], v[88:89], v[92:93]
	s_and_not1_b32 exec_lo, exec_lo, s0
	s_cbranch_execnz .LBB41_102
; %bb.103:
	s_or_b32 exec_lo, exec_lo, s0
.LBB41_104:
	s_delay_alu instid0(SALU_CYCLE_1) | instskip(SKIP_4) | instid1(VALU_DEP_1)
	s_or_b32 exec_lo, exec_lo, s22
	v_mov_b32_e32 v90, 0
	ds_load_b64 v[90:91], v90 offset:248
	s_wait_dscnt 0x0
	v_pk_mul_f32 v[92:93], v[88:89], v[90:91] op_sel:[1,1] op_sel_hi:[0,1]
	v_pk_fma_f32 v[94:95], v[88:89], v[90:91], v[92:93] op_sel_hi:[1,0,1]
	v_pk_fma_f32 v[88:89], v[88:89], v[90:91], v[92:93] neg_lo:[0,0,1] neg_hi:[0,0,1]
	s_delay_alu instid0(VALU_DEP_2)
	v_mov_b32_e32 v89, v95
	scratch_store_b64 off, v[88:89], off offset:248
.LBB41_105:
	s_wait_xcnt 0x0
	s_or_b32 exec_lo, exec_lo, s21
	scratch_load_b64 v[88:89], off, off offset:240
	v_cmp_lt_u32_e64 s0, 30, v0
	s_wait_loadcnt 0x0
	ds_store_b64 v1, v[88:89]
	s_wait_storecnt_dscnt 0x0
	s_barrier_signal -1
	s_barrier_wait -1
	s_wait_xcnt 0x0
	s_and_saveexec_b32 s20, s0
	s_cbranch_execz .LBB41_115
; %bb.106:
	s_and_not1_b32 vcc_lo, exec_lo, s3
	s_cbranch_vccnz .LBB41_108
; %bb.107:
	scratch_load_b64 v[88:89], v39, off
	ds_load_b64 v[90:91], v1
	s_wait_loadcnt_dscnt 0x0
	v_pk_mul_f32 v[92:93], v[90:91], v[88:89] op_sel:[1,1] op_sel_hi:[0,1]
	s_delay_alu instid0(VALU_DEP_1) | instskip(SKIP_1) | instid1(VALU_DEP_2)
	v_pk_fma_f32 v[94:95], v[90:91], v[88:89], v[92:93] op_sel_hi:[1,0,1]
	v_pk_fma_f32 v[88:89], v[90:91], v[88:89], v[92:93] neg_lo:[0,0,1] neg_hi:[0,0,1]
	v_mov_b32_e32 v89, v95
	s_cbranch_execz .LBB41_109
	s_branch .LBB41_110
.LBB41_108:
                                        ; implicit-def: $vgpr88_vgpr89
.LBB41_109:
	ds_load_b64 v[88:89], v1
.LBB41_110:
	s_and_saveexec_b32 s21, s1
	s_cbranch_execz .LBB41_114
; %bb.111:
	v_subrev_nc_u32_e32 v90, 31, v0
	s_movk_i32 s1, 0xf8
	s_movk_i32 s23, 0x248
	s_mov_b32 s22, 0
.LBB41_112:                             ; =>This Inner Loop Header: Depth=1
	scratch_load_b64 v[92:93], off, s1
	v_dual_mov_b32 v91, s23 :: v_dual_add_nc_u32 v90, -1, v90
	s_add_co_i32 s23, s23, 8
	s_wait_xcnt 0x0
	s_add_co_i32 s1, s1, 8
	ds_load_b64 v[94:95], v91
	v_cmp_eq_u32_e32 vcc_lo, 0, v90
	s_or_b32 s22, vcc_lo, s22
	s_wait_loadcnt_dscnt 0x0
	v_pk_mul_f32 v[96:97], v[94:95], v[92:93] op_sel:[1,1] op_sel_hi:[0,1]
	s_delay_alu instid0(VALU_DEP_1) | instskip(SKIP_1) | instid1(VALU_DEP_2)
	v_pk_fma_f32 v[98:99], v[94:95], v[92:93], v[96:97] op_sel_hi:[1,0,1]
	v_pk_fma_f32 v[92:93], v[94:95], v[92:93], v[96:97] neg_lo:[0,0,1] neg_hi:[0,0,1]
	v_mov_b32_e32 v93, v99
	s_delay_alu instid0(VALU_DEP_1)
	v_pk_add_f32 v[88:89], v[88:89], v[92:93]
	s_and_not1_b32 exec_lo, exec_lo, s22
	s_cbranch_execnz .LBB41_112
; %bb.113:
	s_or_b32 exec_lo, exec_lo, s22
.LBB41_114:
	s_delay_alu instid0(SALU_CYCLE_1) | instskip(SKIP_4) | instid1(VALU_DEP_1)
	s_or_b32 exec_lo, exec_lo, s21
	v_mov_b32_e32 v90, 0
	ds_load_b64 v[90:91], v90 offset:240
	s_wait_dscnt 0x0
	v_pk_mul_f32 v[92:93], v[88:89], v[90:91] op_sel:[1,1] op_sel_hi:[0,1]
	v_pk_fma_f32 v[94:95], v[88:89], v[90:91], v[92:93] op_sel_hi:[1,0,1]
	v_pk_fma_f32 v[88:89], v[88:89], v[90:91], v[92:93] neg_lo:[0,0,1] neg_hi:[0,0,1]
	s_delay_alu instid0(VALU_DEP_2)
	v_mov_b32_e32 v89, v95
	scratch_store_b64 off, v[88:89], off offset:240
.LBB41_115:
	s_wait_xcnt 0x0
	s_or_b32 exec_lo, exec_lo, s20
	scratch_load_b64 v[88:89], off, off offset:232
	v_cmp_lt_u32_e64 s1, 29, v0
	s_wait_loadcnt 0x0
	ds_store_b64 v1, v[88:89]
	s_wait_storecnt_dscnt 0x0
	s_barrier_signal -1
	s_barrier_wait -1
	s_wait_xcnt 0x0
	s_and_saveexec_b32 s20, s1
	s_cbranch_execz .LBB41_125
; %bb.116:
	s_and_not1_b32 vcc_lo, exec_lo, s3
	s_cbranch_vccnz .LBB41_118
; %bb.117:
	scratch_load_b64 v[88:89], v39, off
	ds_load_b64 v[90:91], v1
	s_wait_loadcnt_dscnt 0x0
	v_pk_mul_f32 v[92:93], v[90:91], v[88:89] op_sel:[1,1] op_sel_hi:[0,1]
	s_delay_alu instid0(VALU_DEP_1) | instskip(SKIP_1) | instid1(VALU_DEP_2)
	v_pk_fma_f32 v[94:95], v[90:91], v[88:89], v[92:93] op_sel_hi:[1,0,1]
	v_pk_fma_f32 v[88:89], v[90:91], v[88:89], v[92:93] neg_lo:[0,0,1] neg_hi:[0,0,1]
	v_mov_b32_e32 v89, v95
	s_cbranch_execz .LBB41_119
	s_branch .LBB41_120
.LBB41_118:
                                        ; implicit-def: $vgpr88_vgpr89
.LBB41_119:
	ds_load_b64 v[88:89], v1
.LBB41_120:
	s_and_saveexec_b32 s21, s0
	s_cbranch_execz .LBB41_124
; %bb.121:
	v_subrev_nc_u32_e32 v90, 30, v0
	s_movk_i32 s22, 0x240
	s_mov_b32 s0, 0
.LBB41_122:                             ; =>This Inner Loop Header: Depth=1
	scratch_load_b64 v[92:93], off, s19
	v_dual_mov_b32 v91, s22 :: v_dual_add_nc_u32 v90, -1, v90
	s_add_co_i32 s22, s22, 8
	s_wait_xcnt 0x0
	s_add_co_i32 s19, s19, 8
	ds_load_b64 v[94:95], v91
	v_cmp_eq_u32_e32 vcc_lo, 0, v90
	s_or_b32 s0, vcc_lo, s0
	s_wait_loadcnt_dscnt 0x0
	v_pk_mul_f32 v[96:97], v[94:95], v[92:93] op_sel:[1,1] op_sel_hi:[0,1]
	s_delay_alu instid0(VALU_DEP_1) | instskip(SKIP_1) | instid1(VALU_DEP_2)
	v_pk_fma_f32 v[98:99], v[94:95], v[92:93], v[96:97] op_sel_hi:[1,0,1]
	v_pk_fma_f32 v[92:93], v[94:95], v[92:93], v[96:97] neg_lo:[0,0,1] neg_hi:[0,0,1]
	v_mov_b32_e32 v93, v99
	s_delay_alu instid0(VALU_DEP_1)
	v_pk_add_f32 v[88:89], v[88:89], v[92:93]
	s_and_not1_b32 exec_lo, exec_lo, s0
	s_cbranch_execnz .LBB41_122
; %bb.123:
	s_or_b32 exec_lo, exec_lo, s0
.LBB41_124:
	s_delay_alu instid0(SALU_CYCLE_1) | instskip(SKIP_4) | instid1(VALU_DEP_1)
	s_or_b32 exec_lo, exec_lo, s21
	v_mov_b32_e32 v90, 0
	ds_load_b64 v[90:91], v90 offset:232
	s_wait_dscnt 0x0
	v_pk_mul_f32 v[92:93], v[88:89], v[90:91] op_sel:[1,1] op_sel_hi:[0,1]
	v_pk_fma_f32 v[94:95], v[88:89], v[90:91], v[92:93] op_sel_hi:[1,0,1]
	v_pk_fma_f32 v[88:89], v[88:89], v[90:91], v[92:93] neg_lo:[0,0,1] neg_hi:[0,0,1]
	s_delay_alu instid0(VALU_DEP_2)
	v_mov_b32_e32 v89, v95
	scratch_store_b64 off, v[88:89], off offset:232
.LBB41_125:
	s_wait_xcnt 0x0
	s_or_b32 exec_lo, exec_lo, s20
	scratch_load_b64 v[88:89], off, off offset:224
	v_cmp_lt_u32_e64 s0, 28, v0
	s_wait_loadcnt 0x0
	ds_store_b64 v1, v[88:89]
	s_wait_storecnt_dscnt 0x0
	s_barrier_signal -1
	s_barrier_wait -1
	s_wait_xcnt 0x0
	s_and_saveexec_b32 s19, s0
	s_cbranch_execz .LBB41_135
; %bb.126:
	s_and_not1_b32 vcc_lo, exec_lo, s3
	s_cbranch_vccnz .LBB41_128
; %bb.127:
	scratch_load_b64 v[88:89], v39, off
	ds_load_b64 v[90:91], v1
	s_wait_loadcnt_dscnt 0x0
	v_pk_mul_f32 v[92:93], v[90:91], v[88:89] op_sel:[1,1] op_sel_hi:[0,1]
	s_delay_alu instid0(VALU_DEP_1) | instskip(SKIP_1) | instid1(VALU_DEP_2)
	v_pk_fma_f32 v[94:95], v[90:91], v[88:89], v[92:93] op_sel_hi:[1,0,1]
	v_pk_fma_f32 v[88:89], v[90:91], v[88:89], v[92:93] neg_lo:[0,0,1] neg_hi:[0,0,1]
	v_mov_b32_e32 v89, v95
	s_cbranch_execz .LBB41_129
	s_branch .LBB41_130
.LBB41_128:
                                        ; implicit-def: $vgpr88_vgpr89
.LBB41_129:
	ds_load_b64 v[88:89], v1
.LBB41_130:
	s_and_saveexec_b32 s20, s1
	s_cbranch_execz .LBB41_134
; %bb.131:
	v_subrev_nc_u32_e32 v90, 29, v0
	s_movk_i32 s1, 0xe8
	s_movk_i32 s22, 0x238
	s_mov_b32 s21, 0
.LBB41_132:                             ; =>This Inner Loop Header: Depth=1
	scratch_load_b64 v[92:93], off, s1
	v_dual_mov_b32 v91, s22 :: v_dual_add_nc_u32 v90, -1, v90
	s_add_co_i32 s22, s22, 8
	s_wait_xcnt 0x0
	s_add_co_i32 s1, s1, 8
	ds_load_b64 v[94:95], v91
	v_cmp_eq_u32_e32 vcc_lo, 0, v90
	s_or_b32 s21, vcc_lo, s21
	s_wait_loadcnt_dscnt 0x0
	v_pk_mul_f32 v[96:97], v[94:95], v[92:93] op_sel:[1,1] op_sel_hi:[0,1]
	s_delay_alu instid0(VALU_DEP_1) | instskip(SKIP_1) | instid1(VALU_DEP_2)
	v_pk_fma_f32 v[98:99], v[94:95], v[92:93], v[96:97] op_sel_hi:[1,0,1]
	v_pk_fma_f32 v[92:93], v[94:95], v[92:93], v[96:97] neg_lo:[0,0,1] neg_hi:[0,0,1]
	v_mov_b32_e32 v93, v99
	s_delay_alu instid0(VALU_DEP_1)
	v_pk_add_f32 v[88:89], v[88:89], v[92:93]
	s_and_not1_b32 exec_lo, exec_lo, s21
	s_cbranch_execnz .LBB41_132
; %bb.133:
	s_or_b32 exec_lo, exec_lo, s21
.LBB41_134:
	s_delay_alu instid0(SALU_CYCLE_1) | instskip(SKIP_4) | instid1(VALU_DEP_1)
	s_or_b32 exec_lo, exec_lo, s20
	v_mov_b32_e32 v90, 0
	ds_load_b64 v[90:91], v90 offset:224
	s_wait_dscnt 0x0
	v_pk_mul_f32 v[92:93], v[88:89], v[90:91] op_sel:[1,1] op_sel_hi:[0,1]
	v_pk_fma_f32 v[94:95], v[88:89], v[90:91], v[92:93] op_sel_hi:[1,0,1]
	v_pk_fma_f32 v[88:89], v[88:89], v[90:91], v[92:93] neg_lo:[0,0,1] neg_hi:[0,0,1]
	s_delay_alu instid0(VALU_DEP_2)
	v_mov_b32_e32 v89, v95
	scratch_store_b64 off, v[88:89], off offset:224
.LBB41_135:
	s_wait_xcnt 0x0
	s_or_b32 exec_lo, exec_lo, s19
	scratch_load_b64 v[88:89], off, off offset:216
	v_cmp_lt_u32_e64 s1, 27, v0
	s_wait_loadcnt 0x0
	ds_store_b64 v1, v[88:89]
	s_wait_storecnt_dscnt 0x0
	s_barrier_signal -1
	s_barrier_wait -1
	s_wait_xcnt 0x0
	s_and_saveexec_b32 s19, s1
	s_cbranch_execz .LBB41_145
; %bb.136:
	s_and_not1_b32 vcc_lo, exec_lo, s3
	s_cbranch_vccnz .LBB41_138
; %bb.137:
	scratch_load_b64 v[88:89], v39, off
	ds_load_b64 v[90:91], v1
	s_wait_loadcnt_dscnt 0x0
	v_pk_mul_f32 v[92:93], v[90:91], v[88:89] op_sel:[1,1] op_sel_hi:[0,1]
	s_delay_alu instid0(VALU_DEP_1) | instskip(SKIP_1) | instid1(VALU_DEP_2)
	v_pk_fma_f32 v[94:95], v[90:91], v[88:89], v[92:93] op_sel_hi:[1,0,1]
	v_pk_fma_f32 v[88:89], v[90:91], v[88:89], v[92:93] neg_lo:[0,0,1] neg_hi:[0,0,1]
	v_mov_b32_e32 v89, v95
	s_cbranch_execz .LBB41_139
	s_branch .LBB41_140
.LBB41_138:
                                        ; implicit-def: $vgpr88_vgpr89
.LBB41_139:
	ds_load_b64 v[88:89], v1
.LBB41_140:
	s_and_saveexec_b32 s20, s0
	s_cbranch_execz .LBB41_144
; %bb.141:
	v_subrev_nc_u32_e32 v90, 28, v0
	s_movk_i32 s21, 0x230
	s_mov_b32 s0, 0
.LBB41_142:                             ; =>This Inner Loop Header: Depth=1
	scratch_load_b64 v[92:93], off, s18
	v_dual_mov_b32 v91, s21 :: v_dual_add_nc_u32 v90, -1, v90
	s_add_co_i32 s21, s21, 8
	s_wait_xcnt 0x0
	s_add_co_i32 s18, s18, 8
	ds_load_b64 v[94:95], v91
	v_cmp_eq_u32_e32 vcc_lo, 0, v90
	s_or_b32 s0, vcc_lo, s0
	s_wait_loadcnt_dscnt 0x0
	v_pk_mul_f32 v[96:97], v[94:95], v[92:93] op_sel:[1,1] op_sel_hi:[0,1]
	s_delay_alu instid0(VALU_DEP_1) | instskip(SKIP_1) | instid1(VALU_DEP_2)
	v_pk_fma_f32 v[98:99], v[94:95], v[92:93], v[96:97] op_sel_hi:[1,0,1]
	v_pk_fma_f32 v[92:93], v[94:95], v[92:93], v[96:97] neg_lo:[0,0,1] neg_hi:[0,0,1]
	v_mov_b32_e32 v93, v99
	s_delay_alu instid0(VALU_DEP_1)
	v_pk_add_f32 v[88:89], v[88:89], v[92:93]
	s_and_not1_b32 exec_lo, exec_lo, s0
	s_cbranch_execnz .LBB41_142
; %bb.143:
	s_or_b32 exec_lo, exec_lo, s0
.LBB41_144:
	s_delay_alu instid0(SALU_CYCLE_1) | instskip(SKIP_4) | instid1(VALU_DEP_1)
	s_or_b32 exec_lo, exec_lo, s20
	v_mov_b32_e32 v90, 0
	ds_load_b64 v[90:91], v90 offset:216
	s_wait_dscnt 0x0
	v_pk_mul_f32 v[92:93], v[88:89], v[90:91] op_sel:[1,1] op_sel_hi:[0,1]
	v_pk_fma_f32 v[94:95], v[88:89], v[90:91], v[92:93] op_sel_hi:[1,0,1]
	v_pk_fma_f32 v[88:89], v[88:89], v[90:91], v[92:93] neg_lo:[0,0,1] neg_hi:[0,0,1]
	s_delay_alu instid0(VALU_DEP_2)
	v_mov_b32_e32 v89, v95
	scratch_store_b64 off, v[88:89], off offset:216
.LBB41_145:
	s_wait_xcnt 0x0
	s_or_b32 exec_lo, exec_lo, s19
	scratch_load_b64 v[88:89], off, off offset:208
	v_cmp_lt_u32_e64 s0, 26, v0
	s_wait_loadcnt 0x0
	ds_store_b64 v1, v[88:89]
	s_wait_storecnt_dscnt 0x0
	s_barrier_signal -1
	s_barrier_wait -1
	s_wait_xcnt 0x0
	s_and_saveexec_b32 s18, s0
	s_cbranch_execz .LBB41_155
; %bb.146:
	s_and_not1_b32 vcc_lo, exec_lo, s3
	s_cbranch_vccnz .LBB41_148
; %bb.147:
	scratch_load_b64 v[88:89], v39, off
	ds_load_b64 v[90:91], v1
	s_wait_loadcnt_dscnt 0x0
	v_pk_mul_f32 v[92:93], v[90:91], v[88:89] op_sel:[1,1] op_sel_hi:[0,1]
	s_delay_alu instid0(VALU_DEP_1) | instskip(SKIP_1) | instid1(VALU_DEP_2)
	v_pk_fma_f32 v[94:95], v[90:91], v[88:89], v[92:93] op_sel_hi:[1,0,1]
	v_pk_fma_f32 v[88:89], v[90:91], v[88:89], v[92:93] neg_lo:[0,0,1] neg_hi:[0,0,1]
	v_mov_b32_e32 v89, v95
	s_cbranch_execz .LBB41_149
	s_branch .LBB41_150
.LBB41_148:
                                        ; implicit-def: $vgpr88_vgpr89
.LBB41_149:
	ds_load_b64 v[88:89], v1
.LBB41_150:
	s_and_saveexec_b32 s19, s1
	s_cbranch_execz .LBB41_154
; %bb.151:
	v_subrev_nc_u32_e32 v90, 27, v0
	s_movk_i32 s1, 0xd8
	s_movk_i32 s21, 0x228
	s_mov_b32 s20, 0
.LBB41_152:                             ; =>This Inner Loop Header: Depth=1
	scratch_load_b64 v[92:93], off, s1
	v_dual_mov_b32 v91, s21 :: v_dual_add_nc_u32 v90, -1, v90
	s_add_co_i32 s21, s21, 8
	s_wait_xcnt 0x0
	s_add_co_i32 s1, s1, 8
	ds_load_b64 v[94:95], v91
	v_cmp_eq_u32_e32 vcc_lo, 0, v90
	s_or_b32 s20, vcc_lo, s20
	s_wait_loadcnt_dscnt 0x0
	v_pk_mul_f32 v[96:97], v[94:95], v[92:93] op_sel:[1,1] op_sel_hi:[0,1]
	s_delay_alu instid0(VALU_DEP_1) | instskip(SKIP_1) | instid1(VALU_DEP_2)
	v_pk_fma_f32 v[98:99], v[94:95], v[92:93], v[96:97] op_sel_hi:[1,0,1]
	v_pk_fma_f32 v[92:93], v[94:95], v[92:93], v[96:97] neg_lo:[0,0,1] neg_hi:[0,0,1]
	v_mov_b32_e32 v93, v99
	s_delay_alu instid0(VALU_DEP_1)
	v_pk_add_f32 v[88:89], v[88:89], v[92:93]
	s_and_not1_b32 exec_lo, exec_lo, s20
	s_cbranch_execnz .LBB41_152
; %bb.153:
	s_or_b32 exec_lo, exec_lo, s20
.LBB41_154:
	s_delay_alu instid0(SALU_CYCLE_1) | instskip(SKIP_4) | instid1(VALU_DEP_1)
	s_or_b32 exec_lo, exec_lo, s19
	v_mov_b32_e32 v90, 0
	ds_load_b64 v[90:91], v90 offset:208
	s_wait_dscnt 0x0
	v_pk_mul_f32 v[92:93], v[88:89], v[90:91] op_sel:[1,1] op_sel_hi:[0,1]
	v_pk_fma_f32 v[94:95], v[88:89], v[90:91], v[92:93] op_sel_hi:[1,0,1]
	v_pk_fma_f32 v[88:89], v[88:89], v[90:91], v[92:93] neg_lo:[0,0,1] neg_hi:[0,0,1]
	s_delay_alu instid0(VALU_DEP_2)
	v_mov_b32_e32 v89, v95
	scratch_store_b64 off, v[88:89], off offset:208
.LBB41_155:
	s_wait_xcnt 0x0
	s_or_b32 exec_lo, exec_lo, s18
	scratch_load_b64 v[88:89], off, off offset:200
	v_cmp_lt_u32_e64 s1, 25, v0
	s_wait_loadcnt 0x0
	ds_store_b64 v1, v[88:89]
	s_wait_storecnt_dscnt 0x0
	s_barrier_signal -1
	s_barrier_wait -1
	s_wait_xcnt 0x0
	s_and_saveexec_b32 s18, s1
	s_cbranch_execz .LBB41_165
; %bb.156:
	s_and_not1_b32 vcc_lo, exec_lo, s3
	s_cbranch_vccnz .LBB41_158
; %bb.157:
	scratch_load_b64 v[88:89], v39, off
	ds_load_b64 v[90:91], v1
	s_wait_loadcnt_dscnt 0x0
	v_pk_mul_f32 v[92:93], v[90:91], v[88:89] op_sel:[1,1] op_sel_hi:[0,1]
	s_delay_alu instid0(VALU_DEP_1) | instskip(SKIP_1) | instid1(VALU_DEP_2)
	v_pk_fma_f32 v[94:95], v[90:91], v[88:89], v[92:93] op_sel_hi:[1,0,1]
	v_pk_fma_f32 v[88:89], v[90:91], v[88:89], v[92:93] neg_lo:[0,0,1] neg_hi:[0,0,1]
	v_mov_b32_e32 v89, v95
	s_cbranch_execz .LBB41_159
	s_branch .LBB41_160
.LBB41_158:
                                        ; implicit-def: $vgpr88_vgpr89
.LBB41_159:
	ds_load_b64 v[88:89], v1
.LBB41_160:
	s_and_saveexec_b32 s19, s0
	s_cbranch_execz .LBB41_164
; %bb.161:
	v_subrev_nc_u32_e32 v90, 26, v0
	s_movk_i32 s20, 0x220
	s_mov_b32 s0, 0
.LBB41_162:                             ; =>This Inner Loop Header: Depth=1
	scratch_load_b64 v[92:93], off, s17
	v_dual_mov_b32 v91, s20 :: v_dual_add_nc_u32 v90, -1, v90
	s_add_co_i32 s20, s20, 8
	s_wait_xcnt 0x0
	s_add_co_i32 s17, s17, 8
	ds_load_b64 v[94:95], v91
	v_cmp_eq_u32_e32 vcc_lo, 0, v90
	s_or_b32 s0, vcc_lo, s0
	s_wait_loadcnt_dscnt 0x0
	v_pk_mul_f32 v[96:97], v[94:95], v[92:93] op_sel:[1,1] op_sel_hi:[0,1]
	s_delay_alu instid0(VALU_DEP_1) | instskip(SKIP_1) | instid1(VALU_DEP_2)
	v_pk_fma_f32 v[98:99], v[94:95], v[92:93], v[96:97] op_sel_hi:[1,0,1]
	v_pk_fma_f32 v[92:93], v[94:95], v[92:93], v[96:97] neg_lo:[0,0,1] neg_hi:[0,0,1]
	v_mov_b32_e32 v93, v99
	s_delay_alu instid0(VALU_DEP_1)
	v_pk_add_f32 v[88:89], v[88:89], v[92:93]
	s_and_not1_b32 exec_lo, exec_lo, s0
	s_cbranch_execnz .LBB41_162
; %bb.163:
	s_or_b32 exec_lo, exec_lo, s0
.LBB41_164:
	s_delay_alu instid0(SALU_CYCLE_1) | instskip(SKIP_4) | instid1(VALU_DEP_1)
	s_or_b32 exec_lo, exec_lo, s19
	v_mov_b32_e32 v90, 0
	ds_load_b64 v[90:91], v90 offset:200
	s_wait_dscnt 0x0
	v_pk_mul_f32 v[92:93], v[88:89], v[90:91] op_sel:[1,1] op_sel_hi:[0,1]
	v_pk_fma_f32 v[94:95], v[88:89], v[90:91], v[92:93] op_sel_hi:[1,0,1]
	v_pk_fma_f32 v[88:89], v[88:89], v[90:91], v[92:93] neg_lo:[0,0,1] neg_hi:[0,0,1]
	s_delay_alu instid0(VALU_DEP_2)
	v_mov_b32_e32 v89, v95
	scratch_store_b64 off, v[88:89], off offset:200
.LBB41_165:
	s_wait_xcnt 0x0
	s_or_b32 exec_lo, exec_lo, s18
	scratch_load_b64 v[88:89], off, off offset:192
	v_cmp_lt_u32_e64 s0, 24, v0
	s_wait_loadcnt 0x0
	ds_store_b64 v1, v[88:89]
	s_wait_storecnt_dscnt 0x0
	s_barrier_signal -1
	s_barrier_wait -1
	s_wait_xcnt 0x0
	s_and_saveexec_b32 s17, s0
	s_cbranch_execz .LBB41_175
; %bb.166:
	s_and_not1_b32 vcc_lo, exec_lo, s3
	s_cbranch_vccnz .LBB41_168
; %bb.167:
	scratch_load_b64 v[88:89], v39, off
	ds_load_b64 v[90:91], v1
	s_wait_loadcnt_dscnt 0x0
	v_pk_mul_f32 v[92:93], v[90:91], v[88:89] op_sel:[1,1] op_sel_hi:[0,1]
	s_delay_alu instid0(VALU_DEP_1) | instskip(SKIP_1) | instid1(VALU_DEP_2)
	v_pk_fma_f32 v[94:95], v[90:91], v[88:89], v[92:93] op_sel_hi:[1,0,1]
	v_pk_fma_f32 v[88:89], v[90:91], v[88:89], v[92:93] neg_lo:[0,0,1] neg_hi:[0,0,1]
	v_mov_b32_e32 v89, v95
	s_cbranch_execz .LBB41_169
	s_branch .LBB41_170
.LBB41_168:
                                        ; implicit-def: $vgpr88_vgpr89
.LBB41_169:
	ds_load_b64 v[88:89], v1
.LBB41_170:
	s_and_saveexec_b32 s18, s1
	s_cbranch_execz .LBB41_174
; %bb.171:
	v_subrev_nc_u32_e32 v90, 25, v0
	s_movk_i32 s1, 0xc8
	s_movk_i32 s20, 0x218
	s_mov_b32 s19, 0
.LBB41_172:                             ; =>This Inner Loop Header: Depth=1
	scratch_load_b64 v[92:93], off, s1
	v_dual_mov_b32 v91, s20 :: v_dual_add_nc_u32 v90, -1, v90
	s_add_co_i32 s20, s20, 8
	s_wait_xcnt 0x0
	s_add_co_i32 s1, s1, 8
	ds_load_b64 v[94:95], v91
	v_cmp_eq_u32_e32 vcc_lo, 0, v90
	s_or_b32 s19, vcc_lo, s19
	s_wait_loadcnt_dscnt 0x0
	v_pk_mul_f32 v[96:97], v[94:95], v[92:93] op_sel:[1,1] op_sel_hi:[0,1]
	s_delay_alu instid0(VALU_DEP_1) | instskip(SKIP_1) | instid1(VALU_DEP_2)
	v_pk_fma_f32 v[98:99], v[94:95], v[92:93], v[96:97] op_sel_hi:[1,0,1]
	v_pk_fma_f32 v[92:93], v[94:95], v[92:93], v[96:97] neg_lo:[0,0,1] neg_hi:[0,0,1]
	v_mov_b32_e32 v93, v99
	s_delay_alu instid0(VALU_DEP_1)
	v_pk_add_f32 v[88:89], v[88:89], v[92:93]
	s_and_not1_b32 exec_lo, exec_lo, s19
	s_cbranch_execnz .LBB41_172
; %bb.173:
	s_or_b32 exec_lo, exec_lo, s19
.LBB41_174:
	s_delay_alu instid0(SALU_CYCLE_1) | instskip(SKIP_4) | instid1(VALU_DEP_1)
	s_or_b32 exec_lo, exec_lo, s18
	v_mov_b32_e32 v90, 0
	ds_load_b64 v[90:91], v90 offset:192
	s_wait_dscnt 0x0
	v_pk_mul_f32 v[92:93], v[88:89], v[90:91] op_sel:[1,1] op_sel_hi:[0,1]
	v_pk_fma_f32 v[94:95], v[88:89], v[90:91], v[92:93] op_sel_hi:[1,0,1]
	v_pk_fma_f32 v[88:89], v[88:89], v[90:91], v[92:93] neg_lo:[0,0,1] neg_hi:[0,0,1]
	s_delay_alu instid0(VALU_DEP_2)
	v_mov_b32_e32 v89, v95
	scratch_store_b64 off, v[88:89], off offset:192
.LBB41_175:
	s_wait_xcnt 0x0
	s_or_b32 exec_lo, exec_lo, s17
	scratch_load_b64 v[88:89], off, off offset:184
	v_cmp_lt_u32_e64 s1, 23, v0
	s_wait_loadcnt 0x0
	ds_store_b64 v1, v[88:89]
	s_wait_storecnt_dscnt 0x0
	s_barrier_signal -1
	s_barrier_wait -1
	s_wait_xcnt 0x0
	s_and_saveexec_b32 s17, s1
	s_cbranch_execz .LBB41_185
; %bb.176:
	s_and_not1_b32 vcc_lo, exec_lo, s3
	s_cbranch_vccnz .LBB41_178
; %bb.177:
	scratch_load_b64 v[88:89], v39, off
	ds_load_b64 v[90:91], v1
	s_wait_loadcnt_dscnt 0x0
	v_pk_mul_f32 v[92:93], v[90:91], v[88:89] op_sel:[1,1] op_sel_hi:[0,1]
	s_delay_alu instid0(VALU_DEP_1) | instskip(SKIP_1) | instid1(VALU_DEP_2)
	v_pk_fma_f32 v[94:95], v[90:91], v[88:89], v[92:93] op_sel_hi:[1,0,1]
	v_pk_fma_f32 v[88:89], v[90:91], v[88:89], v[92:93] neg_lo:[0,0,1] neg_hi:[0,0,1]
	v_mov_b32_e32 v89, v95
	s_cbranch_execz .LBB41_179
	s_branch .LBB41_180
.LBB41_178:
                                        ; implicit-def: $vgpr88_vgpr89
.LBB41_179:
	ds_load_b64 v[88:89], v1
.LBB41_180:
	s_and_saveexec_b32 s18, s0
	s_cbranch_execz .LBB41_184
; %bb.181:
	v_subrev_nc_u32_e32 v90, 24, v0
	s_movk_i32 s19, 0x210
	s_mov_b32 s0, 0
.LBB41_182:                             ; =>This Inner Loop Header: Depth=1
	scratch_load_b64 v[92:93], off, s16
	v_dual_mov_b32 v91, s19 :: v_dual_add_nc_u32 v90, -1, v90
	s_add_co_i32 s19, s19, 8
	s_wait_xcnt 0x0
	s_add_co_i32 s16, s16, 8
	ds_load_b64 v[94:95], v91
	v_cmp_eq_u32_e32 vcc_lo, 0, v90
	s_or_b32 s0, vcc_lo, s0
	s_wait_loadcnt_dscnt 0x0
	v_pk_mul_f32 v[96:97], v[94:95], v[92:93] op_sel:[1,1] op_sel_hi:[0,1]
	s_delay_alu instid0(VALU_DEP_1) | instskip(SKIP_1) | instid1(VALU_DEP_2)
	v_pk_fma_f32 v[98:99], v[94:95], v[92:93], v[96:97] op_sel_hi:[1,0,1]
	v_pk_fma_f32 v[92:93], v[94:95], v[92:93], v[96:97] neg_lo:[0,0,1] neg_hi:[0,0,1]
	v_mov_b32_e32 v93, v99
	s_delay_alu instid0(VALU_DEP_1)
	v_pk_add_f32 v[88:89], v[88:89], v[92:93]
	s_and_not1_b32 exec_lo, exec_lo, s0
	s_cbranch_execnz .LBB41_182
; %bb.183:
	s_or_b32 exec_lo, exec_lo, s0
.LBB41_184:
	s_delay_alu instid0(SALU_CYCLE_1) | instskip(SKIP_4) | instid1(VALU_DEP_1)
	s_or_b32 exec_lo, exec_lo, s18
	v_mov_b32_e32 v90, 0
	ds_load_b64 v[90:91], v90 offset:184
	s_wait_dscnt 0x0
	v_pk_mul_f32 v[92:93], v[88:89], v[90:91] op_sel:[1,1] op_sel_hi:[0,1]
	v_pk_fma_f32 v[94:95], v[88:89], v[90:91], v[92:93] op_sel_hi:[1,0,1]
	v_pk_fma_f32 v[88:89], v[88:89], v[90:91], v[92:93] neg_lo:[0,0,1] neg_hi:[0,0,1]
	s_delay_alu instid0(VALU_DEP_2)
	v_mov_b32_e32 v89, v95
	scratch_store_b64 off, v[88:89], off offset:184
.LBB41_185:
	s_wait_xcnt 0x0
	s_or_b32 exec_lo, exec_lo, s17
	scratch_load_b64 v[88:89], off, off offset:176
	v_cmp_lt_u32_e64 s0, 22, v0
	s_wait_loadcnt 0x0
	ds_store_b64 v1, v[88:89]
	s_wait_storecnt_dscnt 0x0
	s_barrier_signal -1
	s_barrier_wait -1
	s_wait_xcnt 0x0
	s_and_saveexec_b32 s16, s0
	s_cbranch_execz .LBB41_195
; %bb.186:
	s_and_not1_b32 vcc_lo, exec_lo, s3
	s_cbranch_vccnz .LBB41_188
; %bb.187:
	scratch_load_b64 v[88:89], v39, off
	ds_load_b64 v[90:91], v1
	s_wait_loadcnt_dscnt 0x0
	v_pk_mul_f32 v[92:93], v[90:91], v[88:89] op_sel:[1,1] op_sel_hi:[0,1]
	s_delay_alu instid0(VALU_DEP_1) | instskip(SKIP_1) | instid1(VALU_DEP_2)
	v_pk_fma_f32 v[94:95], v[90:91], v[88:89], v[92:93] op_sel_hi:[1,0,1]
	v_pk_fma_f32 v[88:89], v[90:91], v[88:89], v[92:93] neg_lo:[0,0,1] neg_hi:[0,0,1]
	v_mov_b32_e32 v89, v95
	s_cbranch_execz .LBB41_189
	s_branch .LBB41_190
.LBB41_188:
                                        ; implicit-def: $vgpr88_vgpr89
.LBB41_189:
	ds_load_b64 v[88:89], v1
.LBB41_190:
	s_and_saveexec_b32 s17, s1
	s_cbranch_execz .LBB41_194
; %bb.191:
	v_subrev_nc_u32_e32 v90, 23, v0
	s_movk_i32 s1, 0xb8
	s_movk_i32 s19, 0x208
	s_mov_b32 s18, 0
.LBB41_192:                             ; =>This Inner Loop Header: Depth=1
	scratch_load_b64 v[92:93], off, s1
	v_dual_mov_b32 v91, s19 :: v_dual_add_nc_u32 v90, -1, v90
	s_add_co_i32 s19, s19, 8
	s_wait_xcnt 0x0
	s_add_co_i32 s1, s1, 8
	ds_load_b64 v[94:95], v91
	v_cmp_eq_u32_e32 vcc_lo, 0, v90
	s_or_b32 s18, vcc_lo, s18
	s_wait_loadcnt_dscnt 0x0
	v_pk_mul_f32 v[96:97], v[94:95], v[92:93] op_sel:[1,1] op_sel_hi:[0,1]
	s_delay_alu instid0(VALU_DEP_1) | instskip(SKIP_1) | instid1(VALU_DEP_2)
	v_pk_fma_f32 v[98:99], v[94:95], v[92:93], v[96:97] op_sel_hi:[1,0,1]
	v_pk_fma_f32 v[92:93], v[94:95], v[92:93], v[96:97] neg_lo:[0,0,1] neg_hi:[0,0,1]
	v_mov_b32_e32 v93, v99
	s_delay_alu instid0(VALU_DEP_1)
	v_pk_add_f32 v[88:89], v[88:89], v[92:93]
	s_and_not1_b32 exec_lo, exec_lo, s18
	s_cbranch_execnz .LBB41_192
; %bb.193:
	s_or_b32 exec_lo, exec_lo, s18
.LBB41_194:
	s_delay_alu instid0(SALU_CYCLE_1) | instskip(SKIP_4) | instid1(VALU_DEP_1)
	s_or_b32 exec_lo, exec_lo, s17
	v_mov_b32_e32 v90, 0
	ds_load_b64 v[90:91], v90 offset:176
	s_wait_dscnt 0x0
	v_pk_mul_f32 v[92:93], v[88:89], v[90:91] op_sel:[1,1] op_sel_hi:[0,1]
	v_pk_fma_f32 v[94:95], v[88:89], v[90:91], v[92:93] op_sel_hi:[1,0,1]
	v_pk_fma_f32 v[88:89], v[88:89], v[90:91], v[92:93] neg_lo:[0,0,1] neg_hi:[0,0,1]
	s_delay_alu instid0(VALU_DEP_2)
	v_mov_b32_e32 v89, v95
	scratch_store_b64 off, v[88:89], off offset:176
.LBB41_195:
	s_wait_xcnt 0x0
	s_or_b32 exec_lo, exec_lo, s16
	scratch_load_b64 v[88:89], off, off offset:168
	v_cmp_lt_u32_e64 s1, 21, v0
	s_wait_loadcnt 0x0
	ds_store_b64 v1, v[88:89]
	s_wait_storecnt_dscnt 0x0
	s_barrier_signal -1
	s_barrier_wait -1
	s_wait_xcnt 0x0
	s_and_saveexec_b32 s16, s1
	s_cbranch_execz .LBB41_205
; %bb.196:
	s_and_not1_b32 vcc_lo, exec_lo, s3
	s_cbranch_vccnz .LBB41_198
; %bb.197:
	scratch_load_b64 v[88:89], v39, off
	ds_load_b64 v[90:91], v1
	s_wait_loadcnt_dscnt 0x0
	v_pk_mul_f32 v[92:93], v[90:91], v[88:89] op_sel:[1,1] op_sel_hi:[0,1]
	s_delay_alu instid0(VALU_DEP_1) | instskip(SKIP_1) | instid1(VALU_DEP_2)
	v_pk_fma_f32 v[94:95], v[90:91], v[88:89], v[92:93] op_sel_hi:[1,0,1]
	v_pk_fma_f32 v[88:89], v[90:91], v[88:89], v[92:93] neg_lo:[0,0,1] neg_hi:[0,0,1]
	v_mov_b32_e32 v89, v95
	s_cbranch_execz .LBB41_199
	s_branch .LBB41_200
.LBB41_198:
                                        ; implicit-def: $vgpr88_vgpr89
.LBB41_199:
	ds_load_b64 v[88:89], v1
.LBB41_200:
	s_and_saveexec_b32 s17, s0
	s_cbranch_execz .LBB41_204
; %bb.201:
	v_subrev_nc_u32_e32 v90, 22, v0
	s_movk_i32 s18, 0x200
	s_mov_b32 s0, 0
.LBB41_202:                             ; =>This Inner Loop Header: Depth=1
	scratch_load_b64 v[92:93], off, s15
	v_dual_mov_b32 v91, s18 :: v_dual_add_nc_u32 v90, -1, v90
	s_add_co_i32 s18, s18, 8
	s_wait_xcnt 0x0
	s_add_co_i32 s15, s15, 8
	ds_load_b64 v[94:95], v91
	v_cmp_eq_u32_e32 vcc_lo, 0, v90
	s_or_b32 s0, vcc_lo, s0
	s_wait_loadcnt_dscnt 0x0
	v_pk_mul_f32 v[96:97], v[94:95], v[92:93] op_sel:[1,1] op_sel_hi:[0,1]
	s_delay_alu instid0(VALU_DEP_1) | instskip(SKIP_1) | instid1(VALU_DEP_2)
	v_pk_fma_f32 v[98:99], v[94:95], v[92:93], v[96:97] op_sel_hi:[1,0,1]
	v_pk_fma_f32 v[92:93], v[94:95], v[92:93], v[96:97] neg_lo:[0,0,1] neg_hi:[0,0,1]
	v_mov_b32_e32 v93, v99
	s_delay_alu instid0(VALU_DEP_1)
	v_pk_add_f32 v[88:89], v[88:89], v[92:93]
	s_and_not1_b32 exec_lo, exec_lo, s0
	s_cbranch_execnz .LBB41_202
; %bb.203:
	s_or_b32 exec_lo, exec_lo, s0
.LBB41_204:
	s_delay_alu instid0(SALU_CYCLE_1) | instskip(SKIP_4) | instid1(VALU_DEP_1)
	s_or_b32 exec_lo, exec_lo, s17
	v_mov_b32_e32 v90, 0
	ds_load_b64 v[90:91], v90 offset:168
	s_wait_dscnt 0x0
	v_pk_mul_f32 v[92:93], v[88:89], v[90:91] op_sel:[1,1] op_sel_hi:[0,1]
	v_pk_fma_f32 v[94:95], v[88:89], v[90:91], v[92:93] op_sel_hi:[1,0,1]
	v_pk_fma_f32 v[88:89], v[88:89], v[90:91], v[92:93] neg_lo:[0,0,1] neg_hi:[0,0,1]
	s_delay_alu instid0(VALU_DEP_2)
	v_mov_b32_e32 v89, v95
	scratch_store_b64 off, v[88:89], off offset:168
.LBB41_205:
	s_wait_xcnt 0x0
	s_or_b32 exec_lo, exec_lo, s16
	scratch_load_b64 v[88:89], off, off offset:160
	v_cmp_lt_u32_e64 s0, 20, v0
	s_wait_loadcnt 0x0
	ds_store_b64 v1, v[88:89]
	s_wait_storecnt_dscnt 0x0
	s_barrier_signal -1
	s_barrier_wait -1
	s_wait_xcnt 0x0
	s_and_saveexec_b32 s15, s0
	s_cbranch_execz .LBB41_215
; %bb.206:
	s_and_not1_b32 vcc_lo, exec_lo, s3
	s_cbranch_vccnz .LBB41_208
; %bb.207:
	scratch_load_b64 v[88:89], v39, off
	ds_load_b64 v[90:91], v1
	s_wait_loadcnt_dscnt 0x0
	v_pk_mul_f32 v[92:93], v[90:91], v[88:89] op_sel:[1,1] op_sel_hi:[0,1]
	s_delay_alu instid0(VALU_DEP_1) | instskip(SKIP_1) | instid1(VALU_DEP_2)
	v_pk_fma_f32 v[94:95], v[90:91], v[88:89], v[92:93] op_sel_hi:[1,0,1]
	v_pk_fma_f32 v[88:89], v[90:91], v[88:89], v[92:93] neg_lo:[0,0,1] neg_hi:[0,0,1]
	v_mov_b32_e32 v89, v95
	s_cbranch_execz .LBB41_209
	s_branch .LBB41_210
.LBB41_208:
                                        ; implicit-def: $vgpr88_vgpr89
.LBB41_209:
	ds_load_b64 v[88:89], v1
.LBB41_210:
	s_and_saveexec_b32 s16, s1
	s_cbranch_execz .LBB41_214
; %bb.211:
	v_subrev_nc_u32_e32 v90, 21, v0
	s_movk_i32 s1, 0xa8
	s_movk_i32 s18, 0x1f8
	s_mov_b32 s17, 0
.LBB41_212:                             ; =>This Inner Loop Header: Depth=1
	scratch_load_b64 v[92:93], off, s1
	v_dual_mov_b32 v91, s18 :: v_dual_add_nc_u32 v90, -1, v90
	s_add_co_i32 s18, s18, 8
	s_wait_xcnt 0x0
	s_add_co_i32 s1, s1, 8
	ds_load_b64 v[94:95], v91
	v_cmp_eq_u32_e32 vcc_lo, 0, v90
	s_or_b32 s17, vcc_lo, s17
	s_wait_loadcnt_dscnt 0x0
	v_pk_mul_f32 v[96:97], v[94:95], v[92:93] op_sel:[1,1] op_sel_hi:[0,1]
	s_delay_alu instid0(VALU_DEP_1) | instskip(SKIP_1) | instid1(VALU_DEP_2)
	v_pk_fma_f32 v[98:99], v[94:95], v[92:93], v[96:97] op_sel_hi:[1,0,1]
	v_pk_fma_f32 v[92:93], v[94:95], v[92:93], v[96:97] neg_lo:[0,0,1] neg_hi:[0,0,1]
	v_mov_b32_e32 v93, v99
	s_delay_alu instid0(VALU_DEP_1)
	v_pk_add_f32 v[88:89], v[88:89], v[92:93]
	s_and_not1_b32 exec_lo, exec_lo, s17
	s_cbranch_execnz .LBB41_212
; %bb.213:
	s_or_b32 exec_lo, exec_lo, s17
.LBB41_214:
	s_delay_alu instid0(SALU_CYCLE_1) | instskip(SKIP_4) | instid1(VALU_DEP_1)
	s_or_b32 exec_lo, exec_lo, s16
	v_mov_b32_e32 v90, 0
	ds_load_b64 v[90:91], v90 offset:160
	s_wait_dscnt 0x0
	v_pk_mul_f32 v[92:93], v[88:89], v[90:91] op_sel:[1,1] op_sel_hi:[0,1]
	v_pk_fma_f32 v[94:95], v[88:89], v[90:91], v[92:93] op_sel_hi:[1,0,1]
	v_pk_fma_f32 v[88:89], v[88:89], v[90:91], v[92:93] neg_lo:[0,0,1] neg_hi:[0,0,1]
	s_delay_alu instid0(VALU_DEP_2)
	v_mov_b32_e32 v89, v95
	scratch_store_b64 off, v[88:89], off offset:160
.LBB41_215:
	s_wait_xcnt 0x0
	s_or_b32 exec_lo, exec_lo, s15
	scratch_load_b64 v[88:89], off, off offset:152
	v_cmp_lt_u32_e64 s1, 19, v0
	s_wait_loadcnt 0x0
	ds_store_b64 v1, v[88:89]
	s_wait_storecnt_dscnt 0x0
	s_barrier_signal -1
	s_barrier_wait -1
	s_wait_xcnt 0x0
	s_and_saveexec_b32 s15, s1
	s_cbranch_execz .LBB41_225
; %bb.216:
	s_and_not1_b32 vcc_lo, exec_lo, s3
	s_cbranch_vccnz .LBB41_218
; %bb.217:
	scratch_load_b64 v[88:89], v39, off
	ds_load_b64 v[90:91], v1
	s_wait_loadcnt_dscnt 0x0
	v_pk_mul_f32 v[92:93], v[90:91], v[88:89] op_sel:[1,1] op_sel_hi:[0,1]
	s_delay_alu instid0(VALU_DEP_1) | instskip(SKIP_1) | instid1(VALU_DEP_2)
	v_pk_fma_f32 v[94:95], v[90:91], v[88:89], v[92:93] op_sel_hi:[1,0,1]
	v_pk_fma_f32 v[88:89], v[90:91], v[88:89], v[92:93] neg_lo:[0,0,1] neg_hi:[0,0,1]
	v_mov_b32_e32 v89, v95
	s_cbranch_execz .LBB41_219
	s_branch .LBB41_220
.LBB41_218:
                                        ; implicit-def: $vgpr88_vgpr89
.LBB41_219:
	ds_load_b64 v[88:89], v1
.LBB41_220:
	s_and_saveexec_b32 s16, s0
	s_cbranch_execz .LBB41_224
; %bb.221:
	v_subrev_nc_u32_e32 v90, 20, v0
	s_movk_i32 s17, 0x1f0
	s_mov_b32 s0, 0
.LBB41_222:                             ; =>This Inner Loop Header: Depth=1
	scratch_load_b64 v[92:93], off, s14
	v_dual_mov_b32 v91, s17 :: v_dual_add_nc_u32 v90, -1, v90
	s_add_co_i32 s17, s17, 8
	s_wait_xcnt 0x0
	s_add_co_i32 s14, s14, 8
	ds_load_b64 v[94:95], v91
	v_cmp_eq_u32_e32 vcc_lo, 0, v90
	s_or_b32 s0, vcc_lo, s0
	s_wait_loadcnt_dscnt 0x0
	v_pk_mul_f32 v[96:97], v[94:95], v[92:93] op_sel:[1,1] op_sel_hi:[0,1]
	s_delay_alu instid0(VALU_DEP_1) | instskip(SKIP_1) | instid1(VALU_DEP_2)
	v_pk_fma_f32 v[98:99], v[94:95], v[92:93], v[96:97] op_sel_hi:[1,0,1]
	v_pk_fma_f32 v[92:93], v[94:95], v[92:93], v[96:97] neg_lo:[0,0,1] neg_hi:[0,0,1]
	v_mov_b32_e32 v93, v99
	s_delay_alu instid0(VALU_DEP_1)
	v_pk_add_f32 v[88:89], v[88:89], v[92:93]
	s_and_not1_b32 exec_lo, exec_lo, s0
	s_cbranch_execnz .LBB41_222
; %bb.223:
	s_or_b32 exec_lo, exec_lo, s0
.LBB41_224:
	s_delay_alu instid0(SALU_CYCLE_1) | instskip(SKIP_4) | instid1(VALU_DEP_1)
	s_or_b32 exec_lo, exec_lo, s16
	v_mov_b32_e32 v90, 0
	ds_load_b64 v[90:91], v90 offset:152
	s_wait_dscnt 0x0
	v_pk_mul_f32 v[92:93], v[88:89], v[90:91] op_sel:[1,1] op_sel_hi:[0,1]
	v_pk_fma_f32 v[94:95], v[88:89], v[90:91], v[92:93] op_sel_hi:[1,0,1]
	v_pk_fma_f32 v[88:89], v[88:89], v[90:91], v[92:93] neg_lo:[0,0,1] neg_hi:[0,0,1]
	s_delay_alu instid0(VALU_DEP_2)
	v_mov_b32_e32 v89, v95
	scratch_store_b64 off, v[88:89], off offset:152
.LBB41_225:
	s_wait_xcnt 0x0
	s_or_b32 exec_lo, exec_lo, s15
	scratch_load_b64 v[88:89], off, off offset:144
	v_cmp_lt_u32_e64 s0, 18, v0
	s_wait_loadcnt 0x0
	ds_store_b64 v1, v[88:89]
	s_wait_storecnt_dscnt 0x0
	s_barrier_signal -1
	s_barrier_wait -1
	s_wait_xcnt 0x0
	s_and_saveexec_b32 s14, s0
	s_cbranch_execz .LBB41_235
; %bb.226:
	s_and_not1_b32 vcc_lo, exec_lo, s3
	s_cbranch_vccnz .LBB41_228
; %bb.227:
	scratch_load_b64 v[88:89], v39, off
	ds_load_b64 v[90:91], v1
	s_wait_loadcnt_dscnt 0x0
	v_pk_mul_f32 v[92:93], v[90:91], v[88:89] op_sel:[1,1] op_sel_hi:[0,1]
	s_delay_alu instid0(VALU_DEP_1) | instskip(SKIP_1) | instid1(VALU_DEP_2)
	v_pk_fma_f32 v[94:95], v[90:91], v[88:89], v[92:93] op_sel_hi:[1,0,1]
	v_pk_fma_f32 v[88:89], v[90:91], v[88:89], v[92:93] neg_lo:[0,0,1] neg_hi:[0,0,1]
	v_mov_b32_e32 v89, v95
	s_cbranch_execz .LBB41_229
	s_branch .LBB41_230
.LBB41_228:
                                        ; implicit-def: $vgpr88_vgpr89
.LBB41_229:
	ds_load_b64 v[88:89], v1
.LBB41_230:
	s_and_saveexec_b32 s15, s1
	s_cbranch_execz .LBB41_234
; %bb.231:
	v_subrev_nc_u32_e32 v90, 19, v0
	s_movk_i32 s1, 0x98
	s_movk_i32 s17, 0x1e8
	s_mov_b32 s16, 0
.LBB41_232:                             ; =>This Inner Loop Header: Depth=1
	scratch_load_b64 v[92:93], off, s1
	v_dual_mov_b32 v91, s17 :: v_dual_add_nc_u32 v90, -1, v90
	s_add_co_i32 s17, s17, 8
	s_wait_xcnt 0x0
	s_add_co_i32 s1, s1, 8
	ds_load_b64 v[94:95], v91
	v_cmp_eq_u32_e32 vcc_lo, 0, v90
	s_or_b32 s16, vcc_lo, s16
	s_wait_loadcnt_dscnt 0x0
	v_pk_mul_f32 v[96:97], v[94:95], v[92:93] op_sel:[1,1] op_sel_hi:[0,1]
	s_delay_alu instid0(VALU_DEP_1) | instskip(SKIP_1) | instid1(VALU_DEP_2)
	v_pk_fma_f32 v[98:99], v[94:95], v[92:93], v[96:97] op_sel_hi:[1,0,1]
	v_pk_fma_f32 v[92:93], v[94:95], v[92:93], v[96:97] neg_lo:[0,0,1] neg_hi:[0,0,1]
	v_mov_b32_e32 v93, v99
	s_delay_alu instid0(VALU_DEP_1)
	v_pk_add_f32 v[88:89], v[88:89], v[92:93]
	s_and_not1_b32 exec_lo, exec_lo, s16
	s_cbranch_execnz .LBB41_232
; %bb.233:
	s_or_b32 exec_lo, exec_lo, s16
.LBB41_234:
	s_delay_alu instid0(SALU_CYCLE_1) | instskip(SKIP_4) | instid1(VALU_DEP_1)
	s_or_b32 exec_lo, exec_lo, s15
	v_mov_b32_e32 v90, 0
	ds_load_b64 v[90:91], v90 offset:144
	s_wait_dscnt 0x0
	v_pk_mul_f32 v[92:93], v[88:89], v[90:91] op_sel:[1,1] op_sel_hi:[0,1]
	v_pk_fma_f32 v[94:95], v[88:89], v[90:91], v[92:93] op_sel_hi:[1,0,1]
	v_pk_fma_f32 v[88:89], v[88:89], v[90:91], v[92:93] neg_lo:[0,0,1] neg_hi:[0,0,1]
	s_delay_alu instid0(VALU_DEP_2)
	v_mov_b32_e32 v89, v95
	scratch_store_b64 off, v[88:89], off offset:144
.LBB41_235:
	s_wait_xcnt 0x0
	s_or_b32 exec_lo, exec_lo, s14
	scratch_load_b64 v[88:89], off, off offset:136
	v_cmp_lt_u32_e64 s1, 17, v0
	s_wait_loadcnt 0x0
	ds_store_b64 v1, v[88:89]
	s_wait_storecnt_dscnt 0x0
	s_barrier_signal -1
	s_barrier_wait -1
	s_wait_xcnt 0x0
	s_and_saveexec_b32 s14, s1
	s_cbranch_execz .LBB41_245
; %bb.236:
	s_and_not1_b32 vcc_lo, exec_lo, s3
	s_cbranch_vccnz .LBB41_238
; %bb.237:
	scratch_load_b64 v[88:89], v39, off
	ds_load_b64 v[90:91], v1
	s_wait_loadcnt_dscnt 0x0
	v_pk_mul_f32 v[92:93], v[90:91], v[88:89] op_sel:[1,1] op_sel_hi:[0,1]
	s_delay_alu instid0(VALU_DEP_1) | instskip(SKIP_1) | instid1(VALU_DEP_2)
	v_pk_fma_f32 v[94:95], v[90:91], v[88:89], v[92:93] op_sel_hi:[1,0,1]
	v_pk_fma_f32 v[88:89], v[90:91], v[88:89], v[92:93] neg_lo:[0,0,1] neg_hi:[0,0,1]
	v_mov_b32_e32 v89, v95
	s_cbranch_execz .LBB41_239
	s_branch .LBB41_240
.LBB41_238:
                                        ; implicit-def: $vgpr88_vgpr89
.LBB41_239:
	ds_load_b64 v[88:89], v1
.LBB41_240:
	s_and_saveexec_b32 s15, s0
	s_cbranch_execz .LBB41_244
; %bb.241:
	v_subrev_nc_u32_e32 v90, 18, v0
	s_movk_i32 s16, 0x1e0
	s_mov_b32 s0, 0
.LBB41_242:                             ; =>This Inner Loop Header: Depth=1
	scratch_load_b64 v[92:93], off, s13
	v_dual_mov_b32 v91, s16 :: v_dual_add_nc_u32 v90, -1, v90
	s_add_co_i32 s16, s16, 8
	s_wait_xcnt 0x0
	s_add_co_i32 s13, s13, 8
	ds_load_b64 v[94:95], v91
	v_cmp_eq_u32_e32 vcc_lo, 0, v90
	s_or_b32 s0, vcc_lo, s0
	s_wait_loadcnt_dscnt 0x0
	v_pk_mul_f32 v[96:97], v[94:95], v[92:93] op_sel:[1,1] op_sel_hi:[0,1]
	s_delay_alu instid0(VALU_DEP_1) | instskip(SKIP_1) | instid1(VALU_DEP_2)
	v_pk_fma_f32 v[98:99], v[94:95], v[92:93], v[96:97] op_sel_hi:[1,0,1]
	v_pk_fma_f32 v[92:93], v[94:95], v[92:93], v[96:97] neg_lo:[0,0,1] neg_hi:[0,0,1]
	v_mov_b32_e32 v93, v99
	s_delay_alu instid0(VALU_DEP_1)
	v_pk_add_f32 v[88:89], v[88:89], v[92:93]
	s_and_not1_b32 exec_lo, exec_lo, s0
	s_cbranch_execnz .LBB41_242
; %bb.243:
	s_or_b32 exec_lo, exec_lo, s0
.LBB41_244:
	s_delay_alu instid0(SALU_CYCLE_1) | instskip(SKIP_4) | instid1(VALU_DEP_1)
	s_or_b32 exec_lo, exec_lo, s15
	v_mov_b32_e32 v90, 0
	ds_load_b64 v[90:91], v90 offset:136
	s_wait_dscnt 0x0
	v_pk_mul_f32 v[92:93], v[88:89], v[90:91] op_sel:[1,1] op_sel_hi:[0,1]
	v_pk_fma_f32 v[94:95], v[88:89], v[90:91], v[92:93] op_sel_hi:[1,0,1]
	v_pk_fma_f32 v[88:89], v[88:89], v[90:91], v[92:93] neg_lo:[0,0,1] neg_hi:[0,0,1]
	s_delay_alu instid0(VALU_DEP_2)
	v_mov_b32_e32 v89, v95
	scratch_store_b64 off, v[88:89], off offset:136
.LBB41_245:
	s_wait_xcnt 0x0
	s_or_b32 exec_lo, exec_lo, s14
	scratch_load_b64 v[88:89], off, off offset:128
	v_cmp_lt_u32_e64 s0, 16, v0
	s_wait_loadcnt 0x0
	ds_store_b64 v1, v[88:89]
	s_wait_storecnt_dscnt 0x0
	s_barrier_signal -1
	s_barrier_wait -1
	s_wait_xcnt 0x0
	s_and_saveexec_b32 s13, s0
	s_cbranch_execz .LBB41_255
; %bb.246:
	s_and_not1_b32 vcc_lo, exec_lo, s3
	s_cbranch_vccnz .LBB41_248
; %bb.247:
	scratch_load_b64 v[88:89], v39, off
	ds_load_b64 v[90:91], v1
	s_wait_loadcnt_dscnt 0x0
	v_pk_mul_f32 v[92:93], v[90:91], v[88:89] op_sel:[1,1] op_sel_hi:[0,1]
	s_delay_alu instid0(VALU_DEP_1) | instskip(SKIP_1) | instid1(VALU_DEP_2)
	v_pk_fma_f32 v[94:95], v[90:91], v[88:89], v[92:93] op_sel_hi:[1,0,1]
	v_pk_fma_f32 v[88:89], v[90:91], v[88:89], v[92:93] neg_lo:[0,0,1] neg_hi:[0,0,1]
	v_mov_b32_e32 v89, v95
	s_cbranch_execz .LBB41_249
	s_branch .LBB41_250
.LBB41_248:
                                        ; implicit-def: $vgpr88_vgpr89
.LBB41_249:
	ds_load_b64 v[88:89], v1
.LBB41_250:
	s_and_saveexec_b32 s14, s1
	s_cbranch_execz .LBB41_254
; %bb.251:
	v_subrev_nc_u32_e32 v90, 17, v0
	s_movk_i32 s1, 0x88
	s_movk_i32 s16, 0x1d8
	s_mov_b32 s15, 0
.LBB41_252:                             ; =>This Inner Loop Header: Depth=1
	scratch_load_b64 v[92:93], off, s1
	v_dual_mov_b32 v91, s16 :: v_dual_add_nc_u32 v90, -1, v90
	s_add_co_i32 s16, s16, 8
	s_wait_xcnt 0x0
	s_add_co_i32 s1, s1, 8
	ds_load_b64 v[94:95], v91
	v_cmp_eq_u32_e32 vcc_lo, 0, v90
	s_or_b32 s15, vcc_lo, s15
	s_wait_loadcnt_dscnt 0x0
	v_pk_mul_f32 v[96:97], v[94:95], v[92:93] op_sel:[1,1] op_sel_hi:[0,1]
	s_delay_alu instid0(VALU_DEP_1) | instskip(SKIP_1) | instid1(VALU_DEP_2)
	v_pk_fma_f32 v[98:99], v[94:95], v[92:93], v[96:97] op_sel_hi:[1,0,1]
	v_pk_fma_f32 v[92:93], v[94:95], v[92:93], v[96:97] neg_lo:[0,0,1] neg_hi:[0,0,1]
	v_mov_b32_e32 v93, v99
	s_delay_alu instid0(VALU_DEP_1)
	v_pk_add_f32 v[88:89], v[88:89], v[92:93]
	s_and_not1_b32 exec_lo, exec_lo, s15
	s_cbranch_execnz .LBB41_252
; %bb.253:
	s_or_b32 exec_lo, exec_lo, s15
.LBB41_254:
	s_delay_alu instid0(SALU_CYCLE_1) | instskip(SKIP_4) | instid1(VALU_DEP_1)
	s_or_b32 exec_lo, exec_lo, s14
	v_mov_b32_e32 v90, 0
	ds_load_b64 v[90:91], v90 offset:128
	s_wait_dscnt 0x0
	v_pk_mul_f32 v[92:93], v[88:89], v[90:91] op_sel:[1,1] op_sel_hi:[0,1]
	v_pk_fma_f32 v[94:95], v[88:89], v[90:91], v[92:93] op_sel_hi:[1,0,1]
	v_pk_fma_f32 v[88:89], v[88:89], v[90:91], v[92:93] neg_lo:[0,0,1] neg_hi:[0,0,1]
	s_delay_alu instid0(VALU_DEP_2)
	v_mov_b32_e32 v89, v95
	scratch_store_b64 off, v[88:89], off offset:128
.LBB41_255:
	s_wait_xcnt 0x0
	s_or_b32 exec_lo, exec_lo, s13
	scratch_load_b64 v[88:89], off, off offset:120
	v_cmp_lt_u32_e64 s1, 15, v0
	s_wait_loadcnt 0x0
	ds_store_b64 v1, v[88:89]
	s_wait_storecnt_dscnt 0x0
	s_barrier_signal -1
	s_barrier_wait -1
	s_wait_xcnt 0x0
	s_and_saveexec_b32 s13, s1
	s_cbranch_execz .LBB41_265
; %bb.256:
	s_and_not1_b32 vcc_lo, exec_lo, s3
	s_cbranch_vccnz .LBB41_258
; %bb.257:
	scratch_load_b64 v[88:89], v39, off
	ds_load_b64 v[90:91], v1
	s_wait_loadcnt_dscnt 0x0
	v_pk_mul_f32 v[92:93], v[90:91], v[88:89] op_sel:[1,1] op_sel_hi:[0,1]
	s_delay_alu instid0(VALU_DEP_1) | instskip(SKIP_1) | instid1(VALU_DEP_2)
	v_pk_fma_f32 v[94:95], v[90:91], v[88:89], v[92:93] op_sel_hi:[1,0,1]
	v_pk_fma_f32 v[88:89], v[90:91], v[88:89], v[92:93] neg_lo:[0,0,1] neg_hi:[0,0,1]
	v_mov_b32_e32 v89, v95
	s_cbranch_execz .LBB41_259
	s_branch .LBB41_260
.LBB41_258:
                                        ; implicit-def: $vgpr88_vgpr89
.LBB41_259:
	ds_load_b64 v[88:89], v1
.LBB41_260:
	s_and_saveexec_b32 s14, s0
	s_cbranch_execz .LBB41_264
; %bb.261:
	v_add_nc_u32_e32 v90, -16, v0
	s_movk_i32 s15, 0x1d0
	s_mov_b32 s0, 0
.LBB41_262:                             ; =>This Inner Loop Header: Depth=1
	scratch_load_b64 v[92:93], off, s12
	v_dual_mov_b32 v91, s15 :: v_dual_add_nc_u32 v90, -1, v90
	s_add_co_i32 s15, s15, 8
	s_wait_xcnt 0x0
	s_add_co_i32 s12, s12, 8
	ds_load_b64 v[94:95], v91
	v_cmp_eq_u32_e32 vcc_lo, 0, v90
	s_or_b32 s0, vcc_lo, s0
	s_wait_loadcnt_dscnt 0x0
	v_pk_mul_f32 v[96:97], v[94:95], v[92:93] op_sel:[1,1] op_sel_hi:[0,1]
	s_delay_alu instid0(VALU_DEP_1) | instskip(SKIP_1) | instid1(VALU_DEP_2)
	v_pk_fma_f32 v[98:99], v[94:95], v[92:93], v[96:97] op_sel_hi:[1,0,1]
	v_pk_fma_f32 v[92:93], v[94:95], v[92:93], v[96:97] neg_lo:[0,0,1] neg_hi:[0,0,1]
	v_mov_b32_e32 v93, v99
	s_delay_alu instid0(VALU_DEP_1)
	v_pk_add_f32 v[88:89], v[88:89], v[92:93]
	s_and_not1_b32 exec_lo, exec_lo, s0
	s_cbranch_execnz .LBB41_262
; %bb.263:
	s_or_b32 exec_lo, exec_lo, s0
.LBB41_264:
	s_delay_alu instid0(SALU_CYCLE_1) | instskip(SKIP_4) | instid1(VALU_DEP_1)
	s_or_b32 exec_lo, exec_lo, s14
	v_mov_b32_e32 v90, 0
	ds_load_b64 v[90:91], v90 offset:120
	s_wait_dscnt 0x0
	v_pk_mul_f32 v[92:93], v[88:89], v[90:91] op_sel:[1,1] op_sel_hi:[0,1]
	v_pk_fma_f32 v[94:95], v[88:89], v[90:91], v[92:93] op_sel_hi:[1,0,1]
	v_pk_fma_f32 v[88:89], v[88:89], v[90:91], v[92:93] neg_lo:[0,0,1] neg_hi:[0,0,1]
	s_delay_alu instid0(VALU_DEP_2)
	v_mov_b32_e32 v89, v95
	scratch_store_b64 off, v[88:89], off offset:120
.LBB41_265:
	s_wait_xcnt 0x0
	s_or_b32 exec_lo, exec_lo, s13
	scratch_load_b64 v[88:89], off, off offset:112
	v_cmp_lt_u32_e64 s0, 14, v0
	s_wait_loadcnt 0x0
	ds_store_b64 v1, v[88:89]
	s_wait_storecnt_dscnt 0x0
	s_barrier_signal -1
	s_barrier_wait -1
	s_wait_xcnt 0x0
	s_and_saveexec_b32 s12, s0
	s_cbranch_execz .LBB41_275
; %bb.266:
	s_and_not1_b32 vcc_lo, exec_lo, s3
	s_cbranch_vccnz .LBB41_268
; %bb.267:
	scratch_load_b64 v[88:89], v39, off
	ds_load_b64 v[90:91], v1
	s_wait_loadcnt_dscnt 0x0
	v_pk_mul_f32 v[92:93], v[90:91], v[88:89] op_sel:[1,1] op_sel_hi:[0,1]
	s_delay_alu instid0(VALU_DEP_1) | instskip(SKIP_1) | instid1(VALU_DEP_2)
	v_pk_fma_f32 v[94:95], v[90:91], v[88:89], v[92:93] op_sel_hi:[1,0,1]
	v_pk_fma_f32 v[88:89], v[90:91], v[88:89], v[92:93] neg_lo:[0,0,1] neg_hi:[0,0,1]
	v_mov_b32_e32 v89, v95
	s_cbranch_execz .LBB41_269
	s_branch .LBB41_270
.LBB41_268:
                                        ; implicit-def: $vgpr88_vgpr89
.LBB41_269:
	ds_load_b64 v[88:89], v1
.LBB41_270:
	s_and_saveexec_b32 s13, s1
	s_cbranch_execz .LBB41_274
; %bb.271:
	v_add_nc_u32_e32 v90, -15, v0
	s_movk_i32 s1, 0x78
	s_movk_i32 s15, 0x1c8
	s_mov_b32 s14, 0
.LBB41_272:                             ; =>This Inner Loop Header: Depth=1
	scratch_load_b64 v[92:93], off, s1
	v_dual_mov_b32 v91, s15 :: v_dual_add_nc_u32 v90, -1, v90
	s_add_co_i32 s15, s15, 8
	s_wait_xcnt 0x0
	s_add_co_i32 s1, s1, 8
	ds_load_b64 v[94:95], v91
	v_cmp_eq_u32_e32 vcc_lo, 0, v90
	s_or_b32 s14, vcc_lo, s14
	s_wait_loadcnt_dscnt 0x0
	v_pk_mul_f32 v[96:97], v[94:95], v[92:93] op_sel:[1,1] op_sel_hi:[0,1]
	s_delay_alu instid0(VALU_DEP_1) | instskip(SKIP_1) | instid1(VALU_DEP_2)
	v_pk_fma_f32 v[98:99], v[94:95], v[92:93], v[96:97] op_sel_hi:[1,0,1]
	v_pk_fma_f32 v[92:93], v[94:95], v[92:93], v[96:97] neg_lo:[0,0,1] neg_hi:[0,0,1]
	v_mov_b32_e32 v93, v99
	s_delay_alu instid0(VALU_DEP_1)
	v_pk_add_f32 v[88:89], v[88:89], v[92:93]
	s_and_not1_b32 exec_lo, exec_lo, s14
	s_cbranch_execnz .LBB41_272
; %bb.273:
	s_or_b32 exec_lo, exec_lo, s14
.LBB41_274:
	s_delay_alu instid0(SALU_CYCLE_1) | instskip(SKIP_4) | instid1(VALU_DEP_1)
	s_or_b32 exec_lo, exec_lo, s13
	v_mov_b32_e32 v90, 0
	ds_load_b64 v[90:91], v90 offset:112
	s_wait_dscnt 0x0
	v_pk_mul_f32 v[92:93], v[88:89], v[90:91] op_sel:[1,1] op_sel_hi:[0,1]
	v_pk_fma_f32 v[94:95], v[88:89], v[90:91], v[92:93] op_sel_hi:[1,0,1]
	v_pk_fma_f32 v[88:89], v[88:89], v[90:91], v[92:93] neg_lo:[0,0,1] neg_hi:[0,0,1]
	s_delay_alu instid0(VALU_DEP_2)
	v_mov_b32_e32 v89, v95
	scratch_store_b64 off, v[88:89], off offset:112
.LBB41_275:
	s_wait_xcnt 0x0
	s_or_b32 exec_lo, exec_lo, s12
	scratch_load_b64 v[88:89], off, off offset:104
	v_cmp_lt_u32_e64 s1, 13, v0
	s_wait_loadcnt 0x0
	ds_store_b64 v1, v[88:89]
	s_wait_storecnt_dscnt 0x0
	s_barrier_signal -1
	s_barrier_wait -1
	s_wait_xcnt 0x0
	s_and_saveexec_b32 s12, s1
	s_cbranch_execz .LBB41_285
; %bb.276:
	s_and_not1_b32 vcc_lo, exec_lo, s3
	s_cbranch_vccnz .LBB41_278
; %bb.277:
	scratch_load_b64 v[88:89], v39, off
	ds_load_b64 v[90:91], v1
	s_wait_loadcnt_dscnt 0x0
	v_pk_mul_f32 v[92:93], v[90:91], v[88:89] op_sel:[1,1] op_sel_hi:[0,1]
	s_delay_alu instid0(VALU_DEP_1) | instskip(SKIP_1) | instid1(VALU_DEP_2)
	v_pk_fma_f32 v[94:95], v[90:91], v[88:89], v[92:93] op_sel_hi:[1,0,1]
	v_pk_fma_f32 v[88:89], v[90:91], v[88:89], v[92:93] neg_lo:[0,0,1] neg_hi:[0,0,1]
	v_mov_b32_e32 v89, v95
	s_cbranch_execz .LBB41_279
	s_branch .LBB41_280
.LBB41_278:
                                        ; implicit-def: $vgpr88_vgpr89
.LBB41_279:
	ds_load_b64 v[88:89], v1
.LBB41_280:
	s_and_saveexec_b32 s13, s0
	s_cbranch_execz .LBB41_284
; %bb.281:
	v_add_nc_u32_e32 v90, -14, v0
	s_movk_i32 s14, 0x1c0
	s_mov_b32 s0, 0
.LBB41_282:                             ; =>This Inner Loop Header: Depth=1
	scratch_load_b64 v[92:93], off, s11
	v_dual_mov_b32 v91, s14 :: v_dual_add_nc_u32 v90, -1, v90
	s_add_co_i32 s14, s14, 8
	s_wait_xcnt 0x0
	s_add_co_i32 s11, s11, 8
	ds_load_b64 v[94:95], v91
	v_cmp_eq_u32_e32 vcc_lo, 0, v90
	s_or_b32 s0, vcc_lo, s0
	s_wait_loadcnt_dscnt 0x0
	v_pk_mul_f32 v[96:97], v[94:95], v[92:93] op_sel:[1,1] op_sel_hi:[0,1]
	s_delay_alu instid0(VALU_DEP_1) | instskip(SKIP_1) | instid1(VALU_DEP_2)
	v_pk_fma_f32 v[98:99], v[94:95], v[92:93], v[96:97] op_sel_hi:[1,0,1]
	v_pk_fma_f32 v[92:93], v[94:95], v[92:93], v[96:97] neg_lo:[0,0,1] neg_hi:[0,0,1]
	v_mov_b32_e32 v93, v99
	s_delay_alu instid0(VALU_DEP_1)
	v_pk_add_f32 v[88:89], v[88:89], v[92:93]
	s_and_not1_b32 exec_lo, exec_lo, s0
	s_cbranch_execnz .LBB41_282
; %bb.283:
	s_or_b32 exec_lo, exec_lo, s0
.LBB41_284:
	s_delay_alu instid0(SALU_CYCLE_1) | instskip(SKIP_4) | instid1(VALU_DEP_1)
	s_or_b32 exec_lo, exec_lo, s13
	v_mov_b32_e32 v90, 0
	ds_load_b64 v[90:91], v90 offset:104
	s_wait_dscnt 0x0
	v_pk_mul_f32 v[92:93], v[88:89], v[90:91] op_sel:[1,1] op_sel_hi:[0,1]
	v_pk_fma_f32 v[94:95], v[88:89], v[90:91], v[92:93] op_sel_hi:[1,0,1]
	v_pk_fma_f32 v[88:89], v[88:89], v[90:91], v[92:93] neg_lo:[0,0,1] neg_hi:[0,0,1]
	s_delay_alu instid0(VALU_DEP_2)
	v_mov_b32_e32 v89, v95
	scratch_store_b64 off, v[88:89], off offset:104
.LBB41_285:
	s_wait_xcnt 0x0
	s_or_b32 exec_lo, exec_lo, s12
	scratch_load_b64 v[88:89], off, off offset:96
	v_cmp_lt_u32_e64 s0, 12, v0
	s_wait_loadcnt 0x0
	ds_store_b64 v1, v[88:89]
	s_wait_storecnt_dscnt 0x0
	s_barrier_signal -1
	s_barrier_wait -1
	s_wait_xcnt 0x0
	s_and_saveexec_b32 s11, s0
	s_cbranch_execz .LBB41_295
; %bb.286:
	s_and_not1_b32 vcc_lo, exec_lo, s3
	s_cbranch_vccnz .LBB41_288
; %bb.287:
	scratch_load_b64 v[88:89], v39, off
	ds_load_b64 v[90:91], v1
	s_wait_loadcnt_dscnt 0x0
	v_pk_mul_f32 v[92:93], v[90:91], v[88:89] op_sel:[1,1] op_sel_hi:[0,1]
	s_delay_alu instid0(VALU_DEP_1) | instskip(SKIP_1) | instid1(VALU_DEP_2)
	v_pk_fma_f32 v[94:95], v[90:91], v[88:89], v[92:93] op_sel_hi:[1,0,1]
	v_pk_fma_f32 v[88:89], v[90:91], v[88:89], v[92:93] neg_lo:[0,0,1] neg_hi:[0,0,1]
	v_mov_b32_e32 v89, v95
	s_cbranch_execz .LBB41_289
	s_branch .LBB41_290
.LBB41_288:
                                        ; implicit-def: $vgpr88_vgpr89
.LBB41_289:
	ds_load_b64 v[88:89], v1
.LBB41_290:
	s_and_saveexec_b32 s12, s1
	s_cbranch_execz .LBB41_294
; %bb.291:
	v_add_nc_u32_e32 v90, -13, v0
	s_movk_i32 s1, 0x68
	s_movk_i32 s14, 0x1b8
	s_mov_b32 s13, 0
.LBB41_292:                             ; =>This Inner Loop Header: Depth=1
	scratch_load_b64 v[92:93], off, s1
	v_dual_mov_b32 v91, s14 :: v_dual_add_nc_u32 v90, -1, v90
	s_add_co_i32 s14, s14, 8
	s_wait_xcnt 0x0
	s_add_co_i32 s1, s1, 8
	ds_load_b64 v[94:95], v91
	v_cmp_eq_u32_e32 vcc_lo, 0, v90
	s_or_b32 s13, vcc_lo, s13
	s_wait_loadcnt_dscnt 0x0
	v_pk_mul_f32 v[96:97], v[94:95], v[92:93] op_sel:[1,1] op_sel_hi:[0,1]
	s_delay_alu instid0(VALU_DEP_1) | instskip(SKIP_1) | instid1(VALU_DEP_2)
	v_pk_fma_f32 v[98:99], v[94:95], v[92:93], v[96:97] op_sel_hi:[1,0,1]
	v_pk_fma_f32 v[92:93], v[94:95], v[92:93], v[96:97] neg_lo:[0,0,1] neg_hi:[0,0,1]
	v_mov_b32_e32 v93, v99
	s_delay_alu instid0(VALU_DEP_1)
	v_pk_add_f32 v[88:89], v[88:89], v[92:93]
	s_and_not1_b32 exec_lo, exec_lo, s13
	s_cbranch_execnz .LBB41_292
; %bb.293:
	s_or_b32 exec_lo, exec_lo, s13
.LBB41_294:
	s_delay_alu instid0(SALU_CYCLE_1) | instskip(SKIP_4) | instid1(VALU_DEP_1)
	s_or_b32 exec_lo, exec_lo, s12
	v_mov_b32_e32 v90, 0
	ds_load_b64 v[90:91], v90 offset:96
	s_wait_dscnt 0x0
	v_pk_mul_f32 v[92:93], v[88:89], v[90:91] op_sel:[1,1] op_sel_hi:[0,1]
	v_pk_fma_f32 v[94:95], v[88:89], v[90:91], v[92:93] op_sel_hi:[1,0,1]
	v_pk_fma_f32 v[88:89], v[88:89], v[90:91], v[92:93] neg_lo:[0,0,1] neg_hi:[0,0,1]
	s_delay_alu instid0(VALU_DEP_2)
	v_mov_b32_e32 v89, v95
	scratch_store_b64 off, v[88:89], off offset:96
.LBB41_295:
	s_wait_xcnt 0x0
	s_or_b32 exec_lo, exec_lo, s11
	scratch_load_b64 v[88:89], off, off offset:88
	v_cmp_lt_u32_e64 s1, 11, v0
	s_wait_loadcnt 0x0
	ds_store_b64 v1, v[88:89]
	s_wait_storecnt_dscnt 0x0
	s_barrier_signal -1
	s_barrier_wait -1
	s_wait_xcnt 0x0
	s_and_saveexec_b32 s11, s1
	s_cbranch_execz .LBB41_305
; %bb.296:
	s_and_not1_b32 vcc_lo, exec_lo, s3
	s_cbranch_vccnz .LBB41_298
; %bb.297:
	scratch_load_b64 v[88:89], v39, off
	ds_load_b64 v[90:91], v1
	s_wait_loadcnt_dscnt 0x0
	v_pk_mul_f32 v[92:93], v[90:91], v[88:89] op_sel:[1,1] op_sel_hi:[0,1]
	s_delay_alu instid0(VALU_DEP_1) | instskip(SKIP_1) | instid1(VALU_DEP_2)
	v_pk_fma_f32 v[94:95], v[90:91], v[88:89], v[92:93] op_sel_hi:[1,0,1]
	v_pk_fma_f32 v[88:89], v[90:91], v[88:89], v[92:93] neg_lo:[0,0,1] neg_hi:[0,0,1]
	v_mov_b32_e32 v89, v95
	s_cbranch_execz .LBB41_299
	s_branch .LBB41_300
.LBB41_298:
                                        ; implicit-def: $vgpr88_vgpr89
.LBB41_299:
	ds_load_b64 v[88:89], v1
.LBB41_300:
	s_and_saveexec_b32 s12, s0
	s_cbranch_execz .LBB41_304
; %bb.301:
	v_add_nc_u32_e32 v90, -12, v0
	s_movk_i32 s13, 0x1b0
	s_mov_b32 s0, 0
.LBB41_302:                             ; =>This Inner Loop Header: Depth=1
	scratch_load_b64 v[92:93], off, s10
	v_dual_mov_b32 v91, s13 :: v_dual_add_nc_u32 v90, -1, v90
	s_add_co_i32 s13, s13, 8
	s_wait_xcnt 0x0
	s_add_co_i32 s10, s10, 8
	ds_load_b64 v[94:95], v91
	v_cmp_eq_u32_e32 vcc_lo, 0, v90
	s_or_b32 s0, vcc_lo, s0
	s_wait_loadcnt_dscnt 0x0
	v_pk_mul_f32 v[96:97], v[94:95], v[92:93] op_sel:[1,1] op_sel_hi:[0,1]
	s_delay_alu instid0(VALU_DEP_1) | instskip(SKIP_1) | instid1(VALU_DEP_2)
	v_pk_fma_f32 v[98:99], v[94:95], v[92:93], v[96:97] op_sel_hi:[1,0,1]
	v_pk_fma_f32 v[92:93], v[94:95], v[92:93], v[96:97] neg_lo:[0,0,1] neg_hi:[0,0,1]
	v_mov_b32_e32 v93, v99
	s_delay_alu instid0(VALU_DEP_1)
	v_pk_add_f32 v[88:89], v[88:89], v[92:93]
	s_and_not1_b32 exec_lo, exec_lo, s0
	s_cbranch_execnz .LBB41_302
; %bb.303:
	s_or_b32 exec_lo, exec_lo, s0
.LBB41_304:
	s_delay_alu instid0(SALU_CYCLE_1) | instskip(SKIP_4) | instid1(VALU_DEP_1)
	s_or_b32 exec_lo, exec_lo, s12
	v_mov_b32_e32 v90, 0
	ds_load_b64 v[90:91], v90 offset:88
	s_wait_dscnt 0x0
	v_pk_mul_f32 v[92:93], v[88:89], v[90:91] op_sel:[1,1] op_sel_hi:[0,1]
	v_pk_fma_f32 v[94:95], v[88:89], v[90:91], v[92:93] op_sel_hi:[1,0,1]
	v_pk_fma_f32 v[88:89], v[88:89], v[90:91], v[92:93] neg_lo:[0,0,1] neg_hi:[0,0,1]
	s_delay_alu instid0(VALU_DEP_2)
	v_mov_b32_e32 v89, v95
	scratch_store_b64 off, v[88:89], off offset:88
.LBB41_305:
	s_wait_xcnt 0x0
	s_or_b32 exec_lo, exec_lo, s11
	scratch_load_b64 v[88:89], off, off offset:80
	v_cmp_lt_u32_e64 s0, 10, v0
	s_wait_loadcnt 0x0
	ds_store_b64 v1, v[88:89]
	s_wait_storecnt_dscnt 0x0
	s_barrier_signal -1
	s_barrier_wait -1
	s_wait_xcnt 0x0
	s_and_saveexec_b32 s10, s0
	s_cbranch_execz .LBB41_315
; %bb.306:
	s_and_not1_b32 vcc_lo, exec_lo, s3
	s_cbranch_vccnz .LBB41_308
; %bb.307:
	scratch_load_b64 v[88:89], v39, off
	ds_load_b64 v[90:91], v1
	s_wait_loadcnt_dscnt 0x0
	v_pk_mul_f32 v[92:93], v[90:91], v[88:89] op_sel:[1,1] op_sel_hi:[0,1]
	s_delay_alu instid0(VALU_DEP_1) | instskip(SKIP_1) | instid1(VALU_DEP_2)
	v_pk_fma_f32 v[94:95], v[90:91], v[88:89], v[92:93] op_sel_hi:[1,0,1]
	v_pk_fma_f32 v[88:89], v[90:91], v[88:89], v[92:93] neg_lo:[0,0,1] neg_hi:[0,0,1]
	v_mov_b32_e32 v89, v95
	s_cbranch_execz .LBB41_309
	s_branch .LBB41_310
.LBB41_308:
                                        ; implicit-def: $vgpr88_vgpr89
.LBB41_309:
	ds_load_b64 v[88:89], v1
.LBB41_310:
	s_and_saveexec_b32 s11, s1
	s_cbranch_execz .LBB41_314
; %bb.311:
	v_add_nc_u32_e32 v90, -11, v0
	s_movk_i32 s1, 0x58
	s_movk_i32 s13, 0x1a8
	s_mov_b32 s12, 0
.LBB41_312:                             ; =>This Inner Loop Header: Depth=1
	scratch_load_b64 v[92:93], off, s1
	v_dual_mov_b32 v91, s13 :: v_dual_add_nc_u32 v90, -1, v90
	s_add_co_i32 s13, s13, 8
	s_wait_xcnt 0x0
	s_add_co_i32 s1, s1, 8
	ds_load_b64 v[94:95], v91
	v_cmp_eq_u32_e32 vcc_lo, 0, v90
	s_or_b32 s12, vcc_lo, s12
	s_wait_loadcnt_dscnt 0x0
	v_pk_mul_f32 v[96:97], v[94:95], v[92:93] op_sel:[1,1] op_sel_hi:[0,1]
	s_delay_alu instid0(VALU_DEP_1) | instskip(SKIP_1) | instid1(VALU_DEP_2)
	v_pk_fma_f32 v[98:99], v[94:95], v[92:93], v[96:97] op_sel_hi:[1,0,1]
	v_pk_fma_f32 v[92:93], v[94:95], v[92:93], v[96:97] neg_lo:[0,0,1] neg_hi:[0,0,1]
	v_mov_b32_e32 v93, v99
	s_delay_alu instid0(VALU_DEP_1)
	v_pk_add_f32 v[88:89], v[88:89], v[92:93]
	s_and_not1_b32 exec_lo, exec_lo, s12
	s_cbranch_execnz .LBB41_312
; %bb.313:
	s_or_b32 exec_lo, exec_lo, s12
.LBB41_314:
	s_delay_alu instid0(SALU_CYCLE_1) | instskip(SKIP_4) | instid1(VALU_DEP_1)
	s_or_b32 exec_lo, exec_lo, s11
	v_mov_b32_e32 v90, 0
	ds_load_b64 v[90:91], v90 offset:80
	s_wait_dscnt 0x0
	v_pk_mul_f32 v[92:93], v[88:89], v[90:91] op_sel:[1,1] op_sel_hi:[0,1]
	v_pk_fma_f32 v[94:95], v[88:89], v[90:91], v[92:93] op_sel_hi:[1,0,1]
	v_pk_fma_f32 v[88:89], v[88:89], v[90:91], v[92:93] neg_lo:[0,0,1] neg_hi:[0,0,1]
	s_delay_alu instid0(VALU_DEP_2)
	v_mov_b32_e32 v89, v95
	scratch_store_b64 off, v[88:89], off offset:80
.LBB41_315:
	s_wait_xcnt 0x0
	s_or_b32 exec_lo, exec_lo, s10
	scratch_load_b64 v[88:89], off, off offset:72
	v_cmp_lt_u32_e64 s1, 9, v0
	s_wait_loadcnt 0x0
	ds_store_b64 v1, v[88:89]
	s_wait_storecnt_dscnt 0x0
	s_barrier_signal -1
	s_barrier_wait -1
	s_wait_xcnt 0x0
	s_and_saveexec_b32 s10, s1
	s_cbranch_execz .LBB41_325
; %bb.316:
	s_and_not1_b32 vcc_lo, exec_lo, s3
	s_cbranch_vccnz .LBB41_318
; %bb.317:
	scratch_load_b64 v[88:89], v39, off
	ds_load_b64 v[90:91], v1
	s_wait_loadcnt_dscnt 0x0
	v_pk_mul_f32 v[92:93], v[90:91], v[88:89] op_sel:[1,1] op_sel_hi:[0,1]
	s_delay_alu instid0(VALU_DEP_1) | instskip(SKIP_1) | instid1(VALU_DEP_2)
	v_pk_fma_f32 v[94:95], v[90:91], v[88:89], v[92:93] op_sel_hi:[1,0,1]
	v_pk_fma_f32 v[88:89], v[90:91], v[88:89], v[92:93] neg_lo:[0,0,1] neg_hi:[0,0,1]
	v_mov_b32_e32 v89, v95
	s_cbranch_execz .LBB41_319
	s_branch .LBB41_320
.LBB41_318:
                                        ; implicit-def: $vgpr88_vgpr89
.LBB41_319:
	ds_load_b64 v[88:89], v1
.LBB41_320:
	s_and_saveexec_b32 s11, s0
	s_cbranch_execz .LBB41_324
; %bb.321:
	v_add_nc_u32_e32 v90, -10, v0
	s_movk_i32 s12, 0x1a0
	s_mov_b32 s0, 0
.LBB41_322:                             ; =>This Inner Loop Header: Depth=1
	scratch_load_b64 v[92:93], off, s9
	v_dual_mov_b32 v91, s12 :: v_dual_add_nc_u32 v90, -1, v90
	s_add_co_i32 s12, s12, 8
	s_wait_xcnt 0x0
	s_add_co_i32 s9, s9, 8
	ds_load_b64 v[94:95], v91
	v_cmp_eq_u32_e32 vcc_lo, 0, v90
	s_or_b32 s0, vcc_lo, s0
	s_wait_loadcnt_dscnt 0x0
	v_pk_mul_f32 v[96:97], v[94:95], v[92:93] op_sel:[1,1] op_sel_hi:[0,1]
	s_delay_alu instid0(VALU_DEP_1) | instskip(SKIP_1) | instid1(VALU_DEP_2)
	v_pk_fma_f32 v[98:99], v[94:95], v[92:93], v[96:97] op_sel_hi:[1,0,1]
	v_pk_fma_f32 v[92:93], v[94:95], v[92:93], v[96:97] neg_lo:[0,0,1] neg_hi:[0,0,1]
	v_mov_b32_e32 v93, v99
	s_delay_alu instid0(VALU_DEP_1)
	v_pk_add_f32 v[88:89], v[88:89], v[92:93]
	s_and_not1_b32 exec_lo, exec_lo, s0
	s_cbranch_execnz .LBB41_322
; %bb.323:
	s_or_b32 exec_lo, exec_lo, s0
.LBB41_324:
	s_delay_alu instid0(SALU_CYCLE_1) | instskip(SKIP_4) | instid1(VALU_DEP_1)
	s_or_b32 exec_lo, exec_lo, s11
	v_mov_b32_e32 v90, 0
	ds_load_b64 v[90:91], v90 offset:72
	s_wait_dscnt 0x0
	v_pk_mul_f32 v[92:93], v[88:89], v[90:91] op_sel:[1,1] op_sel_hi:[0,1]
	v_pk_fma_f32 v[94:95], v[88:89], v[90:91], v[92:93] op_sel_hi:[1,0,1]
	v_pk_fma_f32 v[88:89], v[88:89], v[90:91], v[92:93] neg_lo:[0,0,1] neg_hi:[0,0,1]
	s_delay_alu instid0(VALU_DEP_2)
	v_mov_b32_e32 v89, v95
	scratch_store_b64 off, v[88:89], off offset:72
.LBB41_325:
	s_wait_xcnt 0x0
	s_or_b32 exec_lo, exec_lo, s10
	scratch_load_b64 v[88:89], off, off offset:64
	v_cmp_lt_u32_e64 s0, 8, v0
	s_wait_loadcnt 0x0
	ds_store_b64 v1, v[88:89]
	s_wait_storecnt_dscnt 0x0
	s_barrier_signal -1
	s_barrier_wait -1
	s_wait_xcnt 0x0
	s_and_saveexec_b32 s9, s0
	s_cbranch_execz .LBB41_335
; %bb.326:
	s_and_not1_b32 vcc_lo, exec_lo, s3
	s_cbranch_vccnz .LBB41_328
; %bb.327:
	scratch_load_b64 v[88:89], v39, off
	ds_load_b64 v[90:91], v1
	s_wait_loadcnt_dscnt 0x0
	v_pk_mul_f32 v[92:93], v[90:91], v[88:89] op_sel:[1,1] op_sel_hi:[0,1]
	s_delay_alu instid0(VALU_DEP_1) | instskip(SKIP_1) | instid1(VALU_DEP_2)
	v_pk_fma_f32 v[94:95], v[90:91], v[88:89], v[92:93] op_sel_hi:[1,0,1]
	v_pk_fma_f32 v[88:89], v[90:91], v[88:89], v[92:93] neg_lo:[0,0,1] neg_hi:[0,0,1]
	v_mov_b32_e32 v89, v95
	s_cbranch_execz .LBB41_329
	s_branch .LBB41_330
.LBB41_328:
                                        ; implicit-def: $vgpr88_vgpr89
.LBB41_329:
	ds_load_b64 v[88:89], v1
.LBB41_330:
	s_and_saveexec_b32 s10, s1
	s_cbranch_execz .LBB41_334
; %bb.331:
	v_add_nc_u32_e32 v90, -9, v0
	s_movk_i32 s1, 0x48
	s_movk_i32 s12, 0x198
	s_mov_b32 s11, 0
.LBB41_332:                             ; =>This Inner Loop Header: Depth=1
	scratch_load_b64 v[92:93], off, s1
	v_dual_mov_b32 v91, s12 :: v_dual_add_nc_u32 v90, -1, v90
	s_add_co_i32 s12, s12, 8
	s_wait_xcnt 0x0
	s_add_co_i32 s1, s1, 8
	ds_load_b64 v[94:95], v91
	v_cmp_eq_u32_e32 vcc_lo, 0, v90
	s_or_b32 s11, vcc_lo, s11
	s_wait_loadcnt_dscnt 0x0
	v_pk_mul_f32 v[96:97], v[94:95], v[92:93] op_sel:[1,1] op_sel_hi:[0,1]
	s_delay_alu instid0(VALU_DEP_1) | instskip(SKIP_1) | instid1(VALU_DEP_2)
	v_pk_fma_f32 v[98:99], v[94:95], v[92:93], v[96:97] op_sel_hi:[1,0,1]
	v_pk_fma_f32 v[92:93], v[94:95], v[92:93], v[96:97] neg_lo:[0,0,1] neg_hi:[0,0,1]
	v_mov_b32_e32 v93, v99
	s_delay_alu instid0(VALU_DEP_1)
	v_pk_add_f32 v[88:89], v[88:89], v[92:93]
	s_and_not1_b32 exec_lo, exec_lo, s11
	s_cbranch_execnz .LBB41_332
; %bb.333:
	s_or_b32 exec_lo, exec_lo, s11
.LBB41_334:
	s_delay_alu instid0(SALU_CYCLE_1) | instskip(SKIP_4) | instid1(VALU_DEP_1)
	s_or_b32 exec_lo, exec_lo, s10
	v_mov_b32_e32 v90, 0
	ds_load_b64 v[90:91], v90 offset:64
	s_wait_dscnt 0x0
	v_pk_mul_f32 v[92:93], v[88:89], v[90:91] op_sel:[1,1] op_sel_hi:[0,1]
	v_pk_fma_f32 v[94:95], v[88:89], v[90:91], v[92:93] op_sel_hi:[1,0,1]
	v_pk_fma_f32 v[88:89], v[88:89], v[90:91], v[92:93] neg_lo:[0,0,1] neg_hi:[0,0,1]
	s_delay_alu instid0(VALU_DEP_2)
	v_mov_b32_e32 v89, v95
	scratch_store_b64 off, v[88:89], off offset:64
.LBB41_335:
	s_wait_xcnt 0x0
	s_or_b32 exec_lo, exec_lo, s9
	scratch_load_b64 v[88:89], off, off offset:56
	v_cmp_lt_u32_e64 s1, 7, v0
	s_wait_loadcnt 0x0
	ds_store_b64 v1, v[88:89]
	s_wait_storecnt_dscnt 0x0
	s_barrier_signal -1
	s_barrier_wait -1
	s_wait_xcnt 0x0
	s_and_saveexec_b32 s9, s1
	s_cbranch_execz .LBB41_345
; %bb.336:
	s_and_not1_b32 vcc_lo, exec_lo, s3
	s_cbranch_vccnz .LBB41_338
; %bb.337:
	scratch_load_b64 v[88:89], v39, off
	ds_load_b64 v[90:91], v1
	s_wait_loadcnt_dscnt 0x0
	v_pk_mul_f32 v[92:93], v[90:91], v[88:89] op_sel:[1,1] op_sel_hi:[0,1]
	s_delay_alu instid0(VALU_DEP_1) | instskip(SKIP_1) | instid1(VALU_DEP_2)
	v_pk_fma_f32 v[94:95], v[90:91], v[88:89], v[92:93] op_sel_hi:[1,0,1]
	v_pk_fma_f32 v[88:89], v[90:91], v[88:89], v[92:93] neg_lo:[0,0,1] neg_hi:[0,0,1]
	v_mov_b32_e32 v89, v95
	s_cbranch_execz .LBB41_339
	s_branch .LBB41_340
.LBB41_338:
                                        ; implicit-def: $vgpr88_vgpr89
.LBB41_339:
	ds_load_b64 v[88:89], v1
.LBB41_340:
	s_and_saveexec_b32 s10, s0
	s_cbranch_execz .LBB41_344
; %bb.341:
	v_add_nc_u32_e32 v90, -8, v0
	s_movk_i32 s11, 0x190
	s_mov_b32 s0, 0
.LBB41_342:                             ; =>This Inner Loop Header: Depth=1
	scratch_load_b64 v[92:93], off, s8
	v_dual_mov_b32 v91, s11 :: v_dual_add_nc_u32 v90, -1, v90
	s_add_co_i32 s11, s11, 8
	s_wait_xcnt 0x0
	s_add_co_i32 s8, s8, 8
	ds_load_b64 v[94:95], v91
	v_cmp_eq_u32_e32 vcc_lo, 0, v90
	s_or_b32 s0, vcc_lo, s0
	s_wait_loadcnt_dscnt 0x0
	v_pk_mul_f32 v[96:97], v[94:95], v[92:93] op_sel:[1,1] op_sel_hi:[0,1]
	s_delay_alu instid0(VALU_DEP_1) | instskip(SKIP_1) | instid1(VALU_DEP_2)
	v_pk_fma_f32 v[98:99], v[94:95], v[92:93], v[96:97] op_sel_hi:[1,0,1]
	v_pk_fma_f32 v[92:93], v[94:95], v[92:93], v[96:97] neg_lo:[0,0,1] neg_hi:[0,0,1]
	v_mov_b32_e32 v93, v99
	s_delay_alu instid0(VALU_DEP_1)
	v_pk_add_f32 v[88:89], v[88:89], v[92:93]
	s_and_not1_b32 exec_lo, exec_lo, s0
	s_cbranch_execnz .LBB41_342
; %bb.343:
	s_or_b32 exec_lo, exec_lo, s0
.LBB41_344:
	s_delay_alu instid0(SALU_CYCLE_1) | instskip(SKIP_4) | instid1(VALU_DEP_1)
	s_or_b32 exec_lo, exec_lo, s10
	v_mov_b32_e32 v90, 0
	ds_load_b64 v[90:91], v90 offset:56
	s_wait_dscnt 0x0
	v_pk_mul_f32 v[92:93], v[88:89], v[90:91] op_sel:[1,1] op_sel_hi:[0,1]
	v_pk_fma_f32 v[94:95], v[88:89], v[90:91], v[92:93] op_sel_hi:[1,0,1]
	v_pk_fma_f32 v[88:89], v[88:89], v[90:91], v[92:93] neg_lo:[0,0,1] neg_hi:[0,0,1]
	s_delay_alu instid0(VALU_DEP_2)
	v_mov_b32_e32 v89, v95
	scratch_store_b64 off, v[88:89], off offset:56
.LBB41_345:
	s_wait_xcnt 0x0
	s_or_b32 exec_lo, exec_lo, s9
	scratch_load_b64 v[88:89], off, off offset:48
	v_cmp_lt_u32_e64 s0, 6, v0
	s_wait_loadcnt 0x0
	ds_store_b64 v1, v[88:89]
	s_wait_storecnt_dscnt 0x0
	s_barrier_signal -1
	s_barrier_wait -1
	s_wait_xcnt 0x0
	s_and_saveexec_b32 s8, s0
	s_cbranch_execz .LBB41_355
; %bb.346:
	s_and_not1_b32 vcc_lo, exec_lo, s3
	s_cbranch_vccnz .LBB41_348
; %bb.347:
	scratch_load_b64 v[88:89], v39, off
	ds_load_b64 v[90:91], v1
	s_wait_loadcnt_dscnt 0x0
	v_pk_mul_f32 v[92:93], v[90:91], v[88:89] op_sel:[1,1] op_sel_hi:[0,1]
	s_delay_alu instid0(VALU_DEP_1) | instskip(SKIP_1) | instid1(VALU_DEP_2)
	v_pk_fma_f32 v[94:95], v[90:91], v[88:89], v[92:93] op_sel_hi:[1,0,1]
	v_pk_fma_f32 v[88:89], v[90:91], v[88:89], v[92:93] neg_lo:[0,0,1] neg_hi:[0,0,1]
	v_mov_b32_e32 v89, v95
	s_cbranch_execz .LBB41_349
	s_branch .LBB41_350
.LBB41_348:
                                        ; implicit-def: $vgpr88_vgpr89
.LBB41_349:
	ds_load_b64 v[88:89], v1
.LBB41_350:
	s_and_saveexec_b32 s9, s1
	s_cbranch_execz .LBB41_354
; %bb.351:
	v_add_nc_u32_e32 v90, -7, v0
	s_mov_b32 s1, 56
	s_movk_i32 s11, 0x188
	s_mov_b32 s10, 0
.LBB41_352:                             ; =>This Inner Loop Header: Depth=1
	scratch_load_b64 v[92:93], off, s1
	v_dual_mov_b32 v91, s11 :: v_dual_add_nc_u32 v90, -1, v90
	s_add_co_i32 s11, s11, 8
	s_wait_xcnt 0x0
	s_add_co_i32 s1, s1, 8
	ds_load_b64 v[94:95], v91
	v_cmp_eq_u32_e32 vcc_lo, 0, v90
	s_or_b32 s10, vcc_lo, s10
	s_wait_loadcnt_dscnt 0x0
	v_pk_mul_f32 v[96:97], v[94:95], v[92:93] op_sel:[1,1] op_sel_hi:[0,1]
	s_delay_alu instid0(VALU_DEP_1) | instskip(SKIP_1) | instid1(VALU_DEP_2)
	v_pk_fma_f32 v[98:99], v[94:95], v[92:93], v[96:97] op_sel_hi:[1,0,1]
	v_pk_fma_f32 v[92:93], v[94:95], v[92:93], v[96:97] neg_lo:[0,0,1] neg_hi:[0,0,1]
	v_mov_b32_e32 v93, v99
	s_delay_alu instid0(VALU_DEP_1)
	v_pk_add_f32 v[88:89], v[88:89], v[92:93]
	s_and_not1_b32 exec_lo, exec_lo, s10
	s_cbranch_execnz .LBB41_352
; %bb.353:
	s_or_b32 exec_lo, exec_lo, s10
.LBB41_354:
	s_delay_alu instid0(SALU_CYCLE_1) | instskip(SKIP_4) | instid1(VALU_DEP_1)
	s_or_b32 exec_lo, exec_lo, s9
	v_mov_b32_e32 v90, 0
	ds_load_b64 v[90:91], v90 offset:48
	s_wait_dscnt 0x0
	v_pk_mul_f32 v[92:93], v[88:89], v[90:91] op_sel:[1,1] op_sel_hi:[0,1]
	v_pk_fma_f32 v[94:95], v[88:89], v[90:91], v[92:93] op_sel_hi:[1,0,1]
	v_pk_fma_f32 v[88:89], v[88:89], v[90:91], v[92:93] neg_lo:[0,0,1] neg_hi:[0,0,1]
	s_delay_alu instid0(VALU_DEP_2)
	v_mov_b32_e32 v89, v95
	scratch_store_b64 off, v[88:89], off offset:48
.LBB41_355:
	s_wait_xcnt 0x0
	s_or_b32 exec_lo, exec_lo, s8
	scratch_load_b64 v[88:89], off, off offset:40
	v_cmp_lt_u32_e64 s1, 5, v0
	s_wait_loadcnt 0x0
	ds_store_b64 v1, v[88:89]
	s_wait_storecnt_dscnt 0x0
	s_barrier_signal -1
	s_barrier_wait -1
	s_wait_xcnt 0x0
	s_and_saveexec_b32 s8, s1
	s_cbranch_execz .LBB41_365
; %bb.356:
	s_and_not1_b32 vcc_lo, exec_lo, s3
	s_cbranch_vccnz .LBB41_358
; %bb.357:
	scratch_load_b64 v[88:89], v39, off
	ds_load_b64 v[90:91], v1
	s_wait_loadcnt_dscnt 0x0
	v_pk_mul_f32 v[92:93], v[90:91], v[88:89] op_sel:[1,1] op_sel_hi:[0,1]
	s_delay_alu instid0(VALU_DEP_1) | instskip(SKIP_1) | instid1(VALU_DEP_2)
	v_pk_fma_f32 v[94:95], v[90:91], v[88:89], v[92:93] op_sel_hi:[1,0,1]
	v_pk_fma_f32 v[88:89], v[90:91], v[88:89], v[92:93] neg_lo:[0,0,1] neg_hi:[0,0,1]
	v_mov_b32_e32 v89, v95
	s_cbranch_execz .LBB41_359
	s_branch .LBB41_360
.LBB41_358:
                                        ; implicit-def: $vgpr88_vgpr89
.LBB41_359:
	ds_load_b64 v[88:89], v1
.LBB41_360:
	s_and_saveexec_b32 s9, s0
	s_cbranch_execz .LBB41_364
; %bb.361:
	v_add_nc_u32_e32 v90, -6, v0
	s_movk_i32 s10, 0x180
	s_mov_b32 s0, 0
.LBB41_362:                             ; =>This Inner Loop Header: Depth=1
	scratch_load_b64 v[92:93], off, s2
	v_dual_mov_b32 v91, s10 :: v_dual_add_nc_u32 v90, -1, v90
	s_add_co_i32 s10, s10, 8
	s_wait_xcnt 0x0
	s_add_co_i32 s2, s2, 8
	ds_load_b64 v[94:95], v91
	v_cmp_eq_u32_e32 vcc_lo, 0, v90
	s_or_b32 s0, vcc_lo, s0
	s_wait_loadcnt_dscnt 0x0
	v_pk_mul_f32 v[96:97], v[94:95], v[92:93] op_sel:[1,1] op_sel_hi:[0,1]
	s_delay_alu instid0(VALU_DEP_1) | instskip(SKIP_1) | instid1(VALU_DEP_2)
	v_pk_fma_f32 v[98:99], v[94:95], v[92:93], v[96:97] op_sel_hi:[1,0,1]
	v_pk_fma_f32 v[92:93], v[94:95], v[92:93], v[96:97] neg_lo:[0,0,1] neg_hi:[0,0,1]
	v_mov_b32_e32 v93, v99
	s_delay_alu instid0(VALU_DEP_1)
	v_pk_add_f32 v[88:89], v[88:89], v[92:93]
	s_and_not1_b32 exec_lo, exec_lo, s0
	s_cbranch_execnz .LBB41_362
; %bb.363:
	s_or_b32 exec_lo, exec_lo, s0
.LBB41_364:
	s_delay_alu instid0(SALU_CYCLE_1) | instskip(SKIP_4) | instid1(VALU_DEP_1)
	s_or_b32 exec_lo, exec_lo, s9
	v_mov_b32_e32 v90, 0
	ds_load_b64 v[90:91], v90 offset:40
	s_wait_dscnt 0x0
	v_pk_mul_f32 v[92:93], v[88:89], v[90:91] op_sel:[1,1] op_sel_hi:[0,1]
	v_pk_fma_f32 v[94:95], v[88:89], v[90:91], v[92:93] op_sel_hi:[1,0,1]
	v_pk_fma_f32 v[88:89], v[88:89], v[90:91], v[92:93] neg_lo:[0,0,1] neg_hi:[0,0,1]
	s_delay_alu instid0(VALU_DEP_2)
	v_mov_b32_e32 v89, v95
	scratch_store_b64 off, v[88:89], off offset:40
.LBB41_365:
	s_wait_xcnt 0x0
	s_or_b32 exec_lo, exec_lo, s8
	scratch_load_b64 v[88:89], off, off offset:32
	v_cmp_lt_u32_e64 s0, 4, v0
	s_wait_loadcnt 0x0
	ds_store_b64 v1, v[88:89]
	s_wait_storecnt_dscnt 0x0
	s_barrier_signal -1
	s_barrier_wait -1
	s_wait_xcnt 0x0
	s_and_saveexec_b32 s2, s0
	s_cbranch_execz .LBB41_375
; %bb.366:
	s_and_not1_b32 vcc_lo, exec_lo, s3
	s_cbranch_vccnz .LBB41_368
; %bb.367:
	scratch_load_b64 v[88:89], v39, off
	ds_load_b64 v[90:91], v1
	s_wait_loadcnt_dscnt 0x0
	v_pk_mul_f32 v[92:93], v[90:91], v[88:89] op_sel:[1,1] op_sel_hi:[0,1]
	s_delay_alu instid0(VALU_DEP_1) | instskip(SKIP_1) | instid1(VALU_DEP_2)
	v_pk_fma_f32 v[94:95], v[90:91], v[88:89], v[92:93] op_sel_hi:[1,0,1]
	v_pk_fma_f32 v[88:89], v[90:91], v[88:89], v[92:93] neg_lo:[0,0,1] neg_hi:[0,0,1]
	v_mov_b32_e32 v89, v95
	s_cbranch_execz .LBB41_369
	s_branch .LBB41_370
.LBB41_368:
                                        ; implicit-def: $vgpr88_vgpr89
.LBB41_369:
	ds_load_b64 v[88:89], v1
.LBB41_370:
	s_and_saveexec_b32 s8, s1
	s_cbranch_execz .LBB41_374
; %bb.371:
	v_add_nc_u32_e32 v90, -5, v0
	s_mov_b32 s1, 40
	s_movk_i32 s10, 0x178
	s_mov_b32 s9, 0
.LBB41_372:                             ; =>This Inner Loop Header: Depth=1
	scratch_load_b64 v[92:93], off, s1
	v_dual_mov_b32 v91, s10 :: v_dual_add_nc_u32 v90, -1, v90
	s_add_co_i32 s10, s10, 8
	s_wait_xcnt 0x0
	s_add_co_i32 s1, s1, 8
	ds_load_b64 v[94:95], v91
	v_cmp_eq_u32_e32 vcc_lo, 0, v90
	s_or_b32 s9, vcc_lo, s9
	s_wait_loadcnt_dscnt 0x0
	v_pk_mul_f32 v[96:97], v[94:95], v[92:93] op_sel:[1,1] op_sel_hi:[0,1]
	s_delay_alu instid0(VALU_DEP_1) | instskip(SKIP_1) | instid1(VALU_DEP_2)
	v_pk_fma_f32 v[98:99], v[94:95], v[92:93], v[96:97] op_sel_hi:[1,0,1]
	v_pk_fma_f32 v[92:93], v[94:95], v[92:93], v[96:97] neg_lo:[0,0,1] neg_hi:[0,0,1]
	v_mov_b32_e32 v93, v99
	s_delay_alu instid0(VALU_DEP_1)
	v_pk_add_f32 v[88:89], v[88:89], v[92:93]
	s_and_not1_b32 exec_lo, exec_lo, s9
	s_cbranch_execnz .LBB41_372
; %bb.373:
	s_or_b32 exec_lo, exec_lo, s9
.LBB41_374:
	s_delay_alu instid0(SALU_CYCLE_1) | instskip(SKIP_4) | instid1(VALU_DEP_1)
	s_or_b32 exec_lo, exec_lo, s8
	v_mov_b32_e32 v90, 0
	ds_load_b64 v[90:91], v90 offset:32
	s_wait_dscnt 0x0
	v_pk_mul_f32 v[92:93], v[88:89], v[90:91] op_sel:[1,1] op_sel_hi:[0,1]
	v_pk_fma_f32 v[94:95], v[88:89], v[90:91], v[92:93] op_sel_hi:[1,0,1]
	v_pk_fma_f32 v[88:89], v[88:89], v[90:91], v[92:93] neg_lo:[0,0,1] neg_hi:[0,0,1]
	s_delay_alu instid0(VALU_DEP_2)
	v_mov_b32_e32 v89, v95
	scratch_store_b64 off, v[88:89], off offset:32
.LBB41_375:
	s_wait_xcnt 0x0
	s_or_b32 exec_lo, exec_lo, s2
	scratch_load_b64 v[88:89], off, off offset:24
	v_cmp_lt_u32_e64 s2, 3, v0
	s_wait_loadcnt 0x0
	ds_store_b64 v1, v[88:89]
	s_wait_storecnt_dscnt 0x0
	s_barrier_signal -1
	s_barrier_wait -1
	s_wait_xcnt 0x0
	s_and_saveexec_b32 s1, s2
	s_cbranch_execz .LBB41_385
; %bb.376:
	s_and_not1_b32 vcc_lo, exec_lo, s3
	s_cbranch_vccnz .LBB41_378
; %bb.377:
	scratch_load_b64 v[88:89], v39, off
	ds_load_b64 v[90:91], v1
	s_wait_loadcnt_dscnt 0x0
	v_pk_mul_f32 v[92:93], v[90:91], v[88:89] op_sel:[1,1] op_sel_hi:[0,1]
	s_delay_alu instid0(VALU_DEP_1) | instskip(SKIP_1) | instid1(VALU_DEP_2)
	v_pk_fma_f32 v[94:95], v[90:91], v[88:89], v[92:93] op_sel_hi:[1,0,1]
	v_pk_fma_f32 v[88:89], v[90:91], v[88:89], v[92:93] neg_lo:[0,0,1] neg_hi:[0,0,1]
	v_mov_b32_e32 v89, v95
	s_cbranch_execz .LBB41_379
	s_branch .LBB41_380
.LBB41_378:
                                        ; implicit-def: $vgpr88_vgpr89
.LBB41_379:
	ds_load_b64 v[88:89], v1
.LBB41_380:
	s_and_saveexec_b32 s8, s0
	s_cbranch_execz .LBB41_384
; %bb.381:
	v_add_nc_u32_e32 v90, -4, v0
	s_movk_i32 s9, 0x170
	s_mov_b32 s0, 0
.LBB41_382:                             ; =>This Inner Loop Header: Depth=1
	scratch_load_b64 v[92:93], off, s5
	v_dual_mov_b32 v91, s9 :: v_dual_add_nc_u32 v90, -1, v90
	s_add_co_i32 s9, s9, 8
	s_wait_xcnt 0x0
	s_add_co_i32 s5, s5, 8
	ds_load_b64 v[94:95], v91
	v_cmp_eq_u32_e32 vcc_lo, 0, v90
	s_or_b32 s0, vcc_lo, s0
	s_wait_loadcnt_dscnt 0x0
	v_pk_mul_f32 v[96:97], v[94:95], v[92:93] op_sel:[1,1] op_sel_hi:[0,1]
	s_delay_alu instid0(VALU_DEP_1) | instskip(SKIP_1) | instid1(VALU_DEP_2)
	v_pk_fma_f32 v[98:99], v[94:95], v[92:93], v[96:97] op_sel_hi:[1,0,1]
	v_pk_fma_f32 v[92:93], v[94:95], v[92:93], v[96:97] neg_lo:[0,0,1] neg_hi:[0,0,1]
	v_mov_b32_e32 v93, v99
	s_delay_alu instid0(VALU_DEP_1)
	v_pk_add_f32 v[88:89], v[88:89], v[92:93]
	s_and_not1_b32 exec_lo, exec_lo, s0
	s_cbranch_execnz .LBB41_382
; %bb.383:
	s_or_b32 exec_lo, exec_lo, s0
.LBB41_384:
	s_delay_alu instid0(SALU_CYCLE_1) | instskip(SKIP_4) | instid1(VALU_DEP_1)
	s_or_b32 exec_lo, exec_lo, s8
	v_mov_b32_e32 v90, 0
	ds_load_b64 v[90:91], v90 offset:24
	s_wait_dscnt 0x0
	v_pk_mul_f32 v[92:93], v[88:89], v[90:91] op_sel:[1,1] op_sel_hi:[0,1]
	v_pk_fma_f32 v[94:95], v[88:89], v[90:91], v[92:93] op_sel_hi:[1,0,1]
	v_pk_fma_f32 v[88:89], v[88:89], v[90:91], v[92:93] neg_lo:[0,0,1] neg_hi:[0,0,1]
	s_delay_alu instid0(VALU_DEP_2)
	v_mov_b32_e32 v89, v95
	scratch_store_b64 off, v[88:89], off offset:24
.LBB41_385:
	s_wait_xcnt 0x0
	s_or_b32 exec_lo, exec_lo, s1
	scratch_load_b64 v[88:89], off, off offset:16
	v_cmp_lt_u32_e64 s1, 2, v0
	s_wait_loadcnt 0x0
	ds_store_b64 v1, v[88:89]
	s_wait_storecnt_dscnt 0x0
	s_barrier_signal -1
	s_barrier_wait -1
	s_wait_xcnt 0x0
	s_and_saveexec_b32 s0, s1
	s_cbranch_execz .LBB41_395
; %bb.386:
	s_and_not1_b32 vcc_lo, exec_lo, s3
	s_cbranch_vccnz .LBB41_388
; %bb.387:
	scratch_load_b64 v[88:89], v39, off
	ds_load_b64 v[90:91], v1
	s_wait_loadcnt_dscnt 0x0
	v_pk_mul_f32 v[92:93], v[90:91], v[88:89] op_sel:[1,1] op_sel_hi:[0,1]
	s_delay_alu instid0(VALU_DEP_1) | instskip(SKIP_1) | instid1(VALU_DEP_2)
	v_pk_fma_f32 v[94:95], v[90:91], v[88:89], v[92:93] op_sel_hi:[1,0,1]
	v_pk_fma_f32 v[88:89], v[90:91], v[88:89], v[92:93] neg_lo:[0,0,1] neg_hi:[0,0,1]
	v_mov_b32_e32 v89, v95
	s_cbranch_execz .LBB41_389
	s_branch .LBB41_390
.LBB41_388:
                                        ; implicit-def: $vgpr88_vgpr89
.LBB41_389:
	ds_load_b64 v[88:89], v1
.LBB41_390:
	s_and_saveexec_b32 s5, s2
	s_cbranch_execz .LBB41_394
; %bb.391:
	v_add_nc_u32_e32 v90, -3, v0
	s_mov_b32 s2, 24
	s_movk_i32 s9, 0x168
	s_mov_b32 s8, 0
.LBB41_392:                             ; =>This Inner Loop Header: Depth=1
	scratch_load_b64 v[92:93], off, s2
	v_dual_mov_b32 v91, s9 :: v_dual_add_nc_u32 v90, -1, v90
	s_add_co_i32 s9, s9, 8
	s_wait_xcnt 0x0
	s_add_co_i32 s2, s2, 8
	ds_load_b64 v[94:95], v91
	v_cmp_eq_u32_e32 vcc_lo, 0, v90
	s_or_b32 s8, vcc_lo, s8
	s_wait_loadcnt_dscnt 0x0
	v_pk_mul_f32 v[96:97], v[94:95], v[92:93] op_sel:[1,1] op_sel_hi:[0,1]
	s_delay_alu instid0(VALU_DEP_1) | instskip(SKIP_1) | instid1(VALU_DEP_2)
	v_pk_fma_f32 v[98:99], v[94:95], v[92:93], v[96:97] op_sel_hi:[1,0,1]
	v_pk_fma_f32 v[92:93], v[94:95], v[92:93], v[96:97] neg_lo:[0,0,1] neg_hi:[0,0,1]
	v_mov_b32_e32 v93, v99
	s_delay_alu instid0(VALU_DEP_1)
	v_pk_add_f32 v[88:89], v[88:89], v[92:93]
	s_and_not1_b32 exec_lo, exec_lo, s8
	s_cbranch_execnz .LBB41_392
; %bb.393:
	s_or_b32 exec_lo, exec_lo, s8
.LBB41_394:
	s_delay_alu instid0(SALU_CYCLE_1) | instskip(SKIP_4) | instid1(VALU_DEP_1)
	s_or_b32 exec_lo, exec_lo, s5
	v_mov_b32_e32 v90, 0
	ds_load_b64 v[90:91], v90 offset:16
	s_wait_dscnt 0x0
	v_pk_mul_f32 v[92:93], v[88:89], v[90:91] op_sel:[1,1] op_sel_hi:[0,1]
	v_pk_fma_f32 v[94:95], v[88:89], v[90:91], v[92:93] op_sel_hi:[1,0,1]
	v_pk_fma_f32 v[88:89], v[88:89], v[90:91], v[92:93] neg_lo:[0,0,1] neg_hi:[0,0,1]
	s_delay_alu instid0(VALU_DEP_2)
	v_mov_b32_e32 v89, v95
	scratch_store_b64 off, v[88:89], off offset:16
.LBB41_395:
	s_wait_xcnt 0x0
	s_or_b32 exec_lo, exec_lo, s0
	scratch_load_b64 v[88:89], off, off offset:8
	v_cmp_lt_u32_e64 s0, 1, v0
	s_wait_loadcnt 0x0
	ds_store_b64 v1, v[88:89]
	s_wait_storecnt_dscnt 0x0
	s_barrier_signal -1
	s_barrier_wait -1
	s_wait_xcnt 0x0
	s_and_saveexec_b32 s2, s0
	s_cbranch_execz .LBB41_405
; %bb.396:
	s_and_not1_b32 vcc_lo, exec_lo, s3
	s_cbranch_vccnz .LBB41_398
; %bb.397:
	scratch_load_b64 v[88:89], v39, off
	ds_load_b64 v[90:91], v1
	s_wait_loadcnt_dscnt 0x0
	v_pk_mul_f32 v[92:93], v[90:91], v[88:89] op_sel:[1,1] op_sel_hi:[0,1]
	s_delay_alu instid0(VALU_DEP_1) | instskip(SKIP_1) | instid1(VALU_DEP_2)
	v_pk_fma_f32 v[94:95], v[90:91], v[88:89], v[92:93] op_sel_hi:[1,0,1]
	v_pk_fma_f32 v[88:89], v[90:91], v[88:89], v[92:93] neg_lo:[0,0,1] neg_hi:[0,0,1]
	v_mov_b32_e32 v89, v95
	s_cbranch_execz .LBB41_399
	s_branch .LBB41_400
.LBB41_398:
                                        ; implicit-def: $vgpr88_vgpr89
.LBB41_399:
	ds_load_b64 v[88:89], v1
.LBB41_400:
	s_and_saveexec_b32 s5, s1
	s_cbranch_execz .LBB41_404
; %bb.401:
	v_add_nc_u32_e32 v90, -2, v0
	s_movk_i32 s8, 0x160
	s_mov_b32 s1, 0
.LBB41_402:                             ; =>This Inner Loop Header: Depth=1
	scratch_load_b64 v[92:93], off, s4
	v_dual_mov_b32 v91, s8 :: v_dual_add_nc_u32 v90, -1, v90
	s_add_co_i32 s8, s8, 8
	s_wait_xcnt 0x0
	s_add_co_i32 s4, s4, 8
	ds_load_b64 v[94:95], v91
	v_cmp_eq_u32_e32 vcc_lo, 0, v90
	s_or_b32 s1, vcc_lo, s1
	s_wait_loadcnt_dscnt 0x0
	v_pk_mul_f32 v[96:97], v[94:95], v[92:93] op_sel:[1,1] op_sel_hi:[0,1]
	s_delay_alu instid0(VALU_DEP_1) | instskip(SKIP_1) | instid1(VALU_DEP_2)
	v_pk_fma_f32 v[98:99], v[94:95], v[92:93], v[96:97] op_sel_hi:[1,0,1]
	v_pk_fma_f32 v[92:93], v[94:95], v[92:93], v[96:97] neg_lo:[0,0,1] neg_hi:[0,0,1]
	v_mov_b32_e32 v93, v99
	s_delay_alu instid0(VALU_DEP_1)
	v_pk_add_f32 v[88:89], v[88:89], v[92:93]
	s_and_not1_b32 exec_lo, exec_lo, s1
	s_cbranch_execnz .LBB41_402
; %bb.403:
	s_or_b32 exec_lo, exec_lo, s1
.LBB41_404:
	s_delay_alu instid0(SALU_CYCLE_1) | instskip(SKIP_4) | instid1(VALU_DEP_1)
	s_or_b32 exec_lo, exec_lo, s5
	v_mov_b32_e32 v90, 0
	ds_load_b64 v[90:91], v90 offset:8
	s_wait_dscnt 0x0
	v_pk_mul_f32 v[92:93], v[88:89], v[90:91] op_sel:[1,1] op_sel_hi:[0,1]
	v_pk_fma_f32 v[94:95], v[88:89], v[90:91], v[92:93] op_sel_hi:[1,0,1]
	v_pk_fma_f32 v[88:89], v[88:89], v[90:91], v[92:93] neg_lo:[0,0,1] neg_hi:[0,0,1]
	s_delay_alu instid0(VALU_DEP_2)
	v_mov_b32_e32 v89, v95
	scratch_store_b64 off, v[88:89], off offset:8
.LBB41_405:
	s_wait_xcnt 0x0
	s_or_b32 exec_lo, exec_lo, s2
	scratch_load_b64 v[88:89], off, off
	s_mov_b32 s2, 0
	s_mov_b32 s1, 0
	s_mov_b32 s5, exec_lo
                                        ; implicit-def: $vgpr116
                                        ; implicit-def: $sgpr4
	s_wait_loadcnt 0x0
	ds_store_b64 v1, v[88:89]
	s_wait_storecnt_dscnt 0x0
	s_barrier_signal -1
	s_barrier_wait -1
	s_wait_xcnt 0x0
	v_cmpx_ne_u32_e32 0, v0
	s_cbranch_execz .LBB41_415
; %bb.406:
	s_and_not1_b32 vcc_lo, exec_lo, s3
	s_cbranch_vccnz .LBB41_408
; %bb.407:
	scratch_load_b64 v[90:91], v39, off
	ds_load_b64 v[92:93], v1
	s_wait_loadcnt_dscnt 0x0
	v_dual_mul_f32 v88, v93, v91 :: v_dual_mul_f32 v89, v92, v91
	s_delay_alu instid0(VALU_DEP_1)
	v_dual_fma_f32 v88, v92, v90, -v88 :: v_dual_fmac_f32 v89, v93, v90
	s_and_not1_b32 vcc_lo, exec_lo, s1
	s_cbranch_vccz .LBB41_409
	s_branch .LBB41_410
.LBB41_408:
                                        ; implicit-def: $vgpr88
.LBB41_409:
	ds_load_b64 v[88:89], v1
.LBB41_410:
	s_and_saveexec_b32 s1, s0
	s_cbranch_execz .LBB41_414
; %bb.411:
	v_add_nc_u32_e32 v90, -1, v0
	s_or_b32 s0, 0, 8
	s_movk_i32 s8, 0x158
	s_mov_b32 s4, 0
.LBB41_412:                             ; =>This Inner Loop Header: Depth=1
	scratch_load_b64 v[92:93], off, s0
	v_mov_b32_e32 v91, s8
	s_add_co_i32 s8, s8, 8
	s_wait_xcnt 0x0
	s_add_co_i32 s0, s0, 8
	v_add_nc_u32_e32 v90, -1, v90
	ds_load_b64 v[94:95], v91
	v_cmp_eq_u32_e32 vcc_lo, 0, v90
	s_or_b32 s4, vcc_lo, s4
	s_wait_loadcnt_dscnt 0x0
	v_dual_mul_f32 v91, v95, v93 :: v_dual_mul_f32 v93, v94, v93
	s_delay_alu instid0(VALU_DEP_1) | instskip(NEXT) | instid1(VALU_DEP_1)
	v_dual_fma_f32 v91, v94, v92, -v91 :: v_dual_fmac_f32 v93, v95, v92
	v_dual_add_f32 v88, v88, v91 :: v_dual_add_f32 v89, v89, v93
	s_and_not1_b32 exec_lo, exec_lo, s4
	s_cbranch_execnz .LBB41_412
; %bb.413:
	s_or_b32 exec_lo, exec_lo, s4
.LBB41_414:
	s_delay_alu instid0(SALU_CYCLE_1)
	s_or_b32 exec_lo, exec_lo, s1
	v_mov_b32_e32 v90, 0
	s_mov_b32 s1, exec_lo
	s_or_b32 s4, 0, 4
	ds_load_b64 v[90:91], v90
	s_wait_dscnt 0x0
	v_dual_mul_f32 v92, v89, v91 :: v_dual_mul_f32 v116, v88, v91
	s_delay_alu instid0(VALU_DEP_1) | instskip(NEXT) | instid1(VALU_DEP_2)
	v_fma_f32 v88, v88, v90, -v92
	v_fmac_f32_e32 v116, v89, v90
	scratch_store_b32 off, v88, off
.LBB41_415:
	s_wait_xcnt 0x0
	s_or_b32 exec_lo, exec_lo, s5
	s_delay_alu instid0(SALU_CYCLE_1)
	s_and_b32 vcc_lo, exec_lo, s2
	s_cbranch_vccz .LBB41_821
.LBB41_416:
	scratch_load_b64 v[88:89], off, off offset:8
	v_cmp_eq_u32_e64 s0, 0, v0
	s_wait_loadcnt 0x0
	ds_store_b64 v1, v[88:89]
	s_wait_storecnt_dscnt 0x0
	s_barrier_signal -1
	s_barrier_wait -1
	s_wait_xcnt 0x0
	s_and_saveexec_b32 s2, s0
	s_cbranch_execz .LBB41_422
; %bb.417:
	s_and_b32 vcc_lo, exec_lo, s3
	s_cbranch_vccz .LBB41_419
; %bb.418:
	scratch_load_b64 v[88:89], v39, off
	ds_load_b64 v[90:91], v1
	s_wait_loadcnt_dscnt 0x0
	v_pk_mul_f32 v[92:93], v[90:91], v[88:89] op_sel:[1,1] op_sel_hi:[0,1]
	v_pk_mul_f32 v[94:95], v[90:91], v[88:89] op_sel_hi:[1,0]
	s_delay_alu instid0(VALU_DEP_2) | instskip(NEXT) | instid1(VALU_DEP_2)
	v_pk_fma_f32 v[88:89], v[90:91], v[88:89], v[92:93] op_sel_hi:[1,0,1]
	v_sub_f32_e32 v88, v94, v92
	s_cbranch_execz .LBB41_420
	s_branch .LBB41_421
.LBB41_419:
                                        ; implicit-def: $vgpr89
.LBB41_420:
	ds_load_b64 v[88:89], v1
.LBB41_421:
	s_wait_dscnt 0x0
	v_dual_mov_b32 v90, 0 :: v_dual_mov_b32 v92, v89
	v_mov_b32_e32 v93, v88
	ds_load_b64 v[90:91], v90 offset:8
	s_wait_dscnt 0x0
	v_pk_mul_f32 v[92:93], v[92:93], v[90:91] op_sel:[0,1]
	s_delay_alu instid0(VALU_DEP_1) | instskip(SKIP_1) | instid1(VALU_DEP_2)
	v_pk_fma_f32 v[94:95], v[88:89], v[90:91], v[92:93] op_sel_hi:[1,0,1]
	v_pk_fma_f32 v[88:89], v[88:89], v[90:91], v[92:93] neg_lo:[0,0,1] neg_hi:[0,0,1]
	v_mov_b32_e32 v89, v95
	scratch_store_b64 off, v[88:89], off offset:8
.LBB41_422:
	s_wait_xcnt 0x0
	s_or_b32 exec_lo, exec_lo, s2
	scratch_load_b64 v[88:89], off, off offset:16
	v_cndmask_b32_e64 v90, 0, 1, s3
	s_mov_b32 s2, exec_lo
	s_wait_loadcnt 0x0
	ds_store_b64 v1, v[88:89]
	s_wait_storecnt_dscnt 0x0
	s_barrier_signal -1
	s_barrier_wait -1
	s_wait_xcnt 0x0
	v_cmpx_gt_u32_e32 2, v0
	s_cbranch_execz .LBB41_430
; %bb.423:
	s_and_not1_b32 vcc_lo, exec_lo, s3
	s_cbranch_vccnz .LBB41_425
; %bb.424:
	scratch_load_b64 v[88:89], v39, off
	ds_load_b64 v[92:93], v1
	s_wait_loadcnt_dscnt 0x0
	v_pk_mul_f32 v[94:95], v[92:93], v[88:89] op_sel:[1,1] op_sel_hi:[0,1]
	s_delay_alu instid0(VALU_DEP_1) | instskip(SKIP_1) | instid1(VALU_DEP_2)
	v_pk_fma_f32 v[96:97], v[92:93], v[88:89], v[94:95] op_sel_hi:[1,0,1]
	v_pk_fma_f32 v[88:89], v[92:93], v[88:89], v[94:95] neg_lo:[0,0,1] neg_hi:[0,0,1]
	v_mov_b32_e32 v89, v97
	s_cbranch_execz .LBB41_426
	s_branch .LBB41_427
.LBB41_425:
                                        ; implicit-def: $vgpr88_vgpr89
.LBB41_426:
	ds_load_b64 v[88:89], v1
.LBB41_427:
	s_and_saveexec_b32 s3, s0
	s_cbranch_execz .LBB41_429
; %bb.428:
	scratch_load_b64 v[92:93], off, off offset:8
	v_mov_b32_e32 v91, 0
	ds_load_b64 v[94:95], v91 offset:344
	s_wait_loadcnt_dscnt 0x0
	v_pk_mul_f32 v[96:97], v[94:95], v[92:93] op_sel:[1,1] op_sel_hi:[0,1]
	s_delay_alu instid0(VALU_DEP_1) | instskip(SKIP_1) | instid1(VALU_DEP_2)
	v_pk_fma_f32 v[98:99], v[94:95], v[92:93], v[96:97] op_sel_hi:[1,0,1]
	v_pk_fma_f32 v[92:93], v[94:95], v[92:93], v[96:97] neg_lo:[0,0,1] neg_hi:[0,0,1]
	v_mov_b32_e32 v93, v99
	s_delay_alu instid0(VALU_DEP_1)
	v_pk_add_f32 v[88:89], v[88:89], v[92:93]
.LBB41_429:
	s_or_b32 exec_lo, exec_lo, s3
	v_mov_b32_e32 v91, 0
	ds_load_b64 v[92:93], v91 offset:16
	s_wait_dscnt 0x0
	v_pk_mul_f32 v[94:95], v[88:89], v[92:93] op_sel:[1,1] op_sel_hi:[0,1]
	s_delay_alu instid0(VALU_DEP_1) | instskip(SKIP_1) | instid1(VALU_DEP_2)
	v_pk_fma_f32 v[96:97], v[88:89], v[92:93], v[94:95] op_sel_hi:[1,0,1]
	v_pk_fma_f32 v[88:89], v[88:89], v[92:93], v[94:95] neg_lo:[0,0,1] neg_hi:[0,0,1]
	v_mov_b32_e32 v89, v97
	scratch_store_b64 off, v[88:89], off offset:16
.LBB41_430:
	s_wait_xcnt 0x0
	s_or_b32 exec_lo, exec_lo, s2
	scratch_load_b64 v[88:89], off, off offset:24
	s_mov_b32 s2, exec_lo
	s_wait_loadcnt 0x0
	ds_store_b64 v1, v[88:89]
	s_wait_storecnt_dscnt 0x0
	s_barrier_signal -1
	s_barrier_wait -1
	s_wait_xcnt 0x0
	v_cmpx_gt_u32_e32 3, v0
	s_cbranch_execz .LBB41_440
; %bb.431:
	v_cmp_ne_u32_e32 vcc_lo, 1, v90
	s_cbranch_vccnz .LBB41_433
; %bb.432:
	scratch_load_b64 v[88:89], v39, off
	ds_load_b64 v[92:93], v1
	s_wait_loadcnt_dscnt 0x0
	v_pk_mul_f32 v[94:95], v[92:93], v[88:89] op_sel:[1,1] op_sel_hi:[0,1]
	s_delay_alu instid0(VALU_DEP_1) | instskip(SKIP_1) | instid1(VALU_DEP_2)
	v_pk_fma_f32 v[96:97], v[92:93], v[88:89], v[94:95] op_sel_hi:[1,0,1]
	v_pk_fma_f32 v[88:89], v[92:93], v[88:89], v[94:95] neg_lo:[0,0,1] neg_hi:[0,0,1]
	v_mov_b32_e32 v89, v97
	s_cbranch_execz .LBB41_434
	s_branch .LBB41_435
.LBB41_433:
                                        ; implicit-def: $vgpr88_vgpr89
.LBB41_434:
	ds_load_b64 v[88:89], v1
.LBB41_435:
	s_mov_b32 s3, exec_lo
	v_cmpx_ne_u32_e32 2, v0
	s_cbranch_execz .LBB41_439
; %bb.436:
	scratch_load_b64 v[92:93], v39, off offset:8
	ds_load_b64 v[94:95], v1 offset:8
	s_wait_loadcnt_dscnt 0x0
	v_pk_mul_f32 v[96:97], v[94:95], v[92:93] op_sel:[1,1] op_sel_hi:[0,1]
	s_delay_alu instid0(VALU_DEP_1) | instskip(SKIP_1) | instid1(VALU_DEP_2)
	v_pk_fma_f32 v[98:99], v[94:95], v[92:93], v[96:97] op_sel_hi:[1,0,1]
	v_pk_fma_f32 v[92:93], v[94:95], v[92:93], v[96:97] neg_lo:[0,0,1] neg_hi:[0,0,1]
	v_mov_b32_e32 v93, v99
	s_delay_alu instid0(VALU_DEP_1)
	v_pk_add_f32 v[88:89], v[88:89], v[92:93]
	s_and_saveexec_b32 s4, s0
	s_cbranch_execz .LBB41_438
; %bb.437:
	scratch_load_b64 v[92:93], off, off offset:16
	v_mov_b32_e32 v91, 0
	ds_load_b64 v[94:95], v91 offset:352
	s_wait_loadcnt_dscnt 0x0
	v_pk_mul_f32 v[96:97], v[94:95], v[92:93] op_sel:[1,1] op_sel_hi:[0,1]
	s_delay_alu instid0(VALU_DEP_1) | instskip(SKIP_1) | instid1(VALU_DEP_2)
	v_pk_fma_f32 v[98:99], v[94:95], v[92:93], v[96:97] op_sel_hi:[1,0,1]
	v_pk_fma_f32 v[92:93], v[94:95], v[92:93], v[96:97] neg_lo:[0,0,1] neg_hi:[0,0,1]
	v_mov_b32_e32 v93, v99
	s_delay_alu instid0(VALU_DEP_1)
	v_pk_add_f32 v[88:89], v[88:89], v[92:93]
.LBB41_438:
	s_or_b32 exec_lo, exec_lo, s4
.LBB41_439:
	s_delay_alu instid0(SALU_CYCLE_1) | instskip(SKIP_4) | instid1(VALU_DEP_1)
	s_or_b32 exec_lo, exec_lo, s3
	v_mov_b32_e32 v91, 0
	ds_load_b64 v[92:93], v91 offset:24
	s_wait_dscnt 0x0
	v_pk_mul_f32 v[94:95], v[88:89], v[92:93] op_sel:[1,1] op_sel_hi:[0,1]
	v_pk_fma_f32 v[96:97], v[88:89], v[92:93], v[94:95] op_sel_hi:[1,0,1]
	v_pk_fma_f32 v[88:89], v[88:89], v[92:93], v[94:95] neg_lo:[0,0,1] neg_hi:[0,0,1]
	s_delay_alu instid0(VALU_DEP_2)
	v_mov_b32_e32 v89, v97
	scratch_store_b64 off, v[88:89], off offset:24
.LBB41_440:
	s_wait_xcnt 0x0
	s_or_b32 exec_lo, exec_lo, s2
	scratch_load_b64 v[88:89], off, off offset:32
	s_mov_b32 s0, exec_lo
	s_wait_loadcnt 0x0
	ds_store_b64 v1, v[88:89]
	s_wait_storecnt_dscnt 0x0
	s_barrier_signal -1
	s_barrier_wait -1
	s_wait_xcnt 0x0
	v_cmpx_gt_u32_e32 4, v0
	s_cbranch_execz .LBB41_450
; %bb.441:
	v_cmp_ne_u32_e32 vcc_lo, 1, v90
	s_cbranch_vccnz .LBB41_443
; %bb.442:
	scratch_load_b64 v[88:89], v39, off
	ds_load_b64 v[92:93], v1
	s_wait_loadcnt_dscnt 0x0
	v_pk_mul_f32 v[94:95], v[92:93], v[88:89] op_sel:[1,1] op_sel_hi:[0,1]
	s_delay_alu instid0(VALU_DEP_1) | instskip(SKIP_1) | instid1(VALU_DEP_2)
	v_pk_fma_f32 v[96:97], v[92:93], v[88:89], v[94:95] op_sel_hi:[1,0,1]
	v_pk_fma_f32 v[88:89], v[92:93], v[88:89], v[94:95] neg_lo:[0,0,1] neg_hi:[0,0,1]
	v_mov_b32_e32 v89, v97
	s_cbranch_execz .LBB41_444
	s_branch .LBB41_445
.LBB41_443:
                                        ; implicit-def: $vgpr88_vgpr89
.LBB41_444:
	ds_load_b64 v[88:89], v1
.LBB41_445:
	s_mov_b32 s2, exec_lo
	v_cmpx_ne_u32_e32 3, v0
	s_cbranch_execz .LBB41_449
; %bb.446:
	v_add_nc_u32_e32 v91, 0x158, v38
	v_add3_u32 v92, 0, v38, 8
	v_mov_b32_e32 v93, v0
	s_mov_b32 s3, 0
.LBB41_447:                             ; =>This Inner Loop Header: Depth=1
	scratch_load_b64 v[94:95], v92, off
	ds_load_b64 v[96:97], v91
	s_wait_xcnt 0x0
	v_dual_add_nc_u32 v91, 8, v91 :: v_dual_add_nc_u32 v92, 8, v92
	s_wait_loadcnt_dscnt 0x0
	v_pk_mul_f32 v[98:99], v[96:97], v[94:95] op_sel:[1,1] op_sel_hi:[0,1]
	s_delay_alu instid0(VALU_DEP_1) | instskip(SKIP_2) | instid1(VALU_DEP_3)
	v_pk_fma_f32 v[100:101], v[96:97], v[94:95], v[98:99] op_sel_hi:[1,0,1]
	v_add_nc_u32_e32 v93, 1, v93
	v_pk_fma_f32 v[94:95], v[96:97], v[94:95], v[98:99] neg_lo:[0,0,1] neg_hi:[0,0,1]
	v_mov_b32_e32 v95, v101
	s_delay_alu instid0(VALU_DEP_3) | instskip(NEXT) | instid1(VALU_DEP_2)
	v_cmp_lt_u32_e32 vcc_lo, 2, v93
	v_pk_add_f32 v[88:89], v[88:89], v[94:95]
	s_or_b32 s3, vcc_lo, s3
	s_delay_alu instid0(SALU_CYCLE_1)
	s_and_not1_b32 exec_lo, exec_lo, s3
	s_cbranch_execnz .LBB41_447
; %bb.448:
	s_or_b32 exec_lo, exec_lo, s3
.LBB41_449:
	s_delay_alu instid0(SALU_CYCLE_1) | instskip(SKIP_4) | instid1(VALU_DEP_1)
	s_or_b32 exec_lo, exec_lo, s2
	v_mov_b32_e32 v91, 0
	ds_load_b64 v[92:93], v91 offset:32
	s_wait_dscnt 0x0
	v_pk_mul_f32 v[94:95], v[88:89], v[92:93] op_sel:[1,1] op_sel_hi:[0,1]
	v_pk_fma_f32 v[96:97], v[88:89], v[92:93], v[94:95] op_sel_hi:[1,0,1]
	v_pk_fma_f32 v[88:89], v[88:89], v[92:93], v[94:95] neg_lo:[0,0,1] neg_hi:[0,0,1]
	s_delay_alu instid0(VALU_DEP_2)
	v_mov_b32_e32 v89, v97
	scratch_store_b64 off, v[88:89], off offset:32
.LBB41_450:
	s_wait_xcnt 0x0
	s_or_b32 exec_lo, exec_lo, s0
	scratch_load_b64 v[88:89], off, off offset:40
	s_mov_b32 s0, exec_lo
	s_wait_loadcnt 0x0
	ds_store_b64 v1, v[88:89]
	s_wait_storecnt_dscnt 0x0
	s_barrier_signal -1
	s_barrier_wait -1
	s_wait_xcnt 0x0
	v_cmpx_gt_u32_e32 5, v0
	s_cbranch_execz .LBB41_460
; %bb.451:
	v_cmp_ne_u32_e32 vcc_lo, 1, v90
	s_cbranch_vccnz .LBB41_453
; %bb.452:
	scratch_load_b64 v[88:89], v39, off
	ds_load_b64 v[92:93], v1
	s_wait_loadcnt_dscnt 0x0
	v_pk_mul_f32 v[94:95], v[92:93], v[88:89] op_sel:[1,1] op_sel_hi:[0,1]
	s_delay_alu instid0(VALU_DEP_1) | instskip(SKIP_1) | instid1(VALU_DEP_2)
	v_pk_fma_f32 v[96:97], v[92:93], v[88:89], v[94:95] op_sel_hi:[1,0,1]
	v_pk_fma_f32 v[88:89], v[92:93], v[88:89], v[94:95] neg_lo:[0,0,1] neg_hi:[0,0,1]
	v_mov_b32_e32 v89, v97
	s_cbranch_execz .LBB41_454
	s_branch .LBB41_455
.LBB41_453:
                                        ; implicit-def: $vgpr88_vgpr89
.LBB41_454:
	ds_load_b64 v[88:89], v1
.LBB41_455:
	s_mov_b32 s2, exec_lo
	v_cmpx_ne_u32_e32 4, v0
	s_cbranch_execz .LBB41_459
; %bb.456:
	v_add_nc_u32_e32 v91, 0x158, v38
	v_add3_u32 v92, 0, v38, 8
	v_mov_b32_e32 v93, v0
	s_mov_b32 s3, 0
.LBB41_457:                             ; =>This Inner Loop Header: Depth=1
	scratch_load_b64 v[94:95], v92, off
	ds_load_b64 v[96:97], v91
	s_wait_xcnt 0x0
	v_dual_add_nc_u32 v91, 8, v91 :: v_dual_add_nc_u32 v92, 8, v92
	s_wait_loadcnt_dscnt 0x0
	v_pk_mul_f32 v[98:99], v[96:97], v[94:95] op_sel:[1,1] op_sel_hi:[0,1]
	s_delay_alu instid0(VALU_DEP_1) | instskip(SKIP_2) | instid1(VALU_DEP_3)
	v_pk_fma_f32 v[100:101], v[96:97], v[94:95], v[98:99] op_sel_hi:[1,0,1]
	v_add_nc_u32_e32 v93, 1, v93
	v_pk_fma_f32 v[94:95], v[96:97], v[94:95], v[98:99] neg_lo:[0,0,1] neg_hi:[0,0,1]
	v_mov_b32_e32 v95, v101
	s_delay_alu instid0(VALU_DEP_3) | instskip(NEXT) | instid1(VALU_DEP_2)
	v_cmp_lt_u32_e32 vcc_lo, 3, v93
	v_pk_add_f32 v[88:89], v[88:89], v[94:95]
	s_or_b32 s3, vcc_lo, s3
	s_delay_alu instid0(SALU_CYCLE_1)
	s_and_not1_b32 exec_lo, exec_lo, s3
	s_cbranch_execnz .LBB41_457
; %bb.458:
	s_or_b32 exec_lo, exec_lo, s3
.LBB41_459:
	s_delay_alu instid0(SALU_CYCLE_1) | instskip(SKIP_4) | instid1(VALU_DEP_1)
	s_or_b32 exec_lo, exec_lo, s2
	v_mov_b32_e32 v91, 0
	ds_load_b64 v[92:93], v91 offset:40
	s_wait_dscnt 0x0
	v_pk_mul_f32 v[94:95], v[88:89], v[92:93] op_sel:[1,1] op_sel_hi:[0,1]
	v_pk_fma_f32 v[96:97], v[88:89], v[92:93], v[94:95] op_sel_hi:[1,0,1]
	v_pk_fma_f32 v[88:89], v[88:89], v[92:93], v[94:95] neg_lo:[0,0,1] neg_hi:[0,0,1]
	s_delay_alu instid0(VALU_DEP_2)
	v_mov_b32_e32 v89, v97
	scratch_store_b64 off, v[88:89], off offset:40
.LBB41_460:
	s_wait_xcnt 0x0
	s_or_b32 exec_lo, exec_lo, s0
	scratch_load_b64 v[88:89], off, off offset:48
	s_mov_b32 s0, exec_lo
	s_wait_loadcnt 0x0
	ds_store_b64 v1, v[88:89]
	s_wait_storecnt_dscnt 0x0
	s_barrier_signal -1
	s_barrier_wait -1
	s_wait_xcnt 0x0
	v_cmpx_gt_u32_e32 6, v0
	s_cbranch_execz .LBB41_470
; %bb.461:
	v_cmp_ne_u32_e32 vcc_lo, 1, v90
	s_cbranch_vccnz .LBB41_463
; %bb.462:
	scratch_load_b64 v[88:89], v39, off
	ds_load_b64 v[92:93], v1
	s_wait_loadcnt_dscnt 0x0
	v_pk_mul_f32 v[94:95], v[92:93], v[88:89] op_sel:[1,1] op_sel_hi:[0,1]
	s_delay_alu instid0(VALU_DEP_1) | instskip(SKIP_1) | instid1(VALU_DEP_2)
	v_pk_fma_f32 v[96:97], v[92:93], v[88:89], v[94:95] op_sel_hi:[1,0,1]
	v_pk_fma_f32 v[88:89], v[92:93], v[88:89], v[94:95] neg_lo:[0,0,1] neg_hi:[0,0,1]
	v_mov_b32_e32 v89, v97
	s_cbranch_execz .LBB41_464
	s_branch .LBB41_465
.LBB41_463:
                                        ; implicit-def: $vgpr88_vgpr89
.LBB41_464:
	ds_load_b64 v[88:89], v1
.LBB41_465:
	s_mov_b32 s2, exec_lo
	v_cmpx_ne_u32_e32 5, v0
	s_cbranch_execz .LBB41_469
; %bb.466:
	v_add_nc_u32_e32 v91, 0x158, v38
	v_add3_u32 v92, 0, v38, 8
	v_mov_b32_e32 v93, v0
	s_mov_b32 s3, 0
.LBB41_467:                             ; =>This Inner Loop Header: Depth=1
	scratch_load_b64 v[94:95], v92, off
	ds_load_b64 v[96:97], v91
	s_wait_xcnt 0x0
	v_dual_add_nc_u32 v91, 8, v91 :: v_dual_add_nc_u32 v92, 8, v92
	s_wait_loadcnt_dscnt 0x0
	v_pk_mul_f32 v[98:99], v[96:97], v[94:95] op_sel:[1,1] op_sel_hi:[0,1]
	s_delay_alu instid0(VALU_DEP_1) | instskip(SKIP_2) | instid1(VALU_DEP_3)
	v_pk_fma_f32 v[100:101], v[96:97], v[94:95], v[98:99] op_sel_hi:[1,0,1]
	v_add_nc_u32_e32 v93, 1, v93
	v_pk_fma_f32 v[94:95], v[96:97], v[94:95], v[98:99] neg_lo:[0,0,1] neg_hi:[0,0,1]
	v_mov_b32_e32 v95, v101
	s_delay_alu instid0(VALU_DEP_3) | instskip(NEXT) | instid1(VALU_DEP_2)
	v_cmp_lt_u32_e32 vcc_lo, 4, v93
	v_pk_add_f32 v[88:89], v[88:89], v[94:95]
	s_or_b32 s3, vcc_lo, s3
	s_delay_alu instid0(SALU_CYCLE_1)
	s_and_not1_b32 exec_lo, exec_lo, s3
	s_cbranch_execnz .LBB41_467
; %bb.468:
	s_or_b32 exec_lo, exec_lo, s3
.LBB41_469:
	s_delay_alu instid0(SALU_CYCLE_1) | instskip(SKIP_4) | instid1(VALU_DEP_1)
	s_or_b32 exec_lo, exec_lo, s2
	v_mov_b32_e32 v91, 0
	ds_load_b64 v[92:93], v91 offset:48
	s_wait_dscnt 0x0
	v_pk_mul_f32 v[94:95], v[88:89], v[92:93] op_sel:[1,1] op_sel_hi:[0,1]
	v_pk_fma_f32 v[96:97], v[88:89], v[92:93], v[94:95] op_sel_hi:[1,0,1]
	v_pk_fma_f32 v[88:89], v[88:89], v[92:93], v[94:95] neg_lo:[0,0,1] neg_hi:[0,0,1]
	s_delay_alu instid0(VALU_DEP_2)
	v_mov_b32_e32 v89, v97
	scratch_store_b64 off, v[88:89], off offset:48
.LBB41_470:
	s_wait_xcnt 0x0
	s_or_b32 exec_lo, exec_lo, s0
	scratch_load_b64 v[88:89], off, off offset:56
	s_mov_b32 s0, exec_lo
	s_wait_loadcnt 0x0
	ds_store_b64 v1, v[88:89]
	s_wait_storecnt_dscnt 0x0
	s_barrier_signal -1
	s_barrier_wait -1
	s_wait_xcnt 0x0
	v_cmpx_gt_u32_e32 7, v0
	s_cbranch_execz .LBB41_480
; %bb.471:
	v_cmp_ne_u32_e32 vcc_lo, 1, v90
	s_cbranch_vccnz .LBB41_473
; %bb.472:
	scratch_load_b64 v[88:89], v39, off
	ds_load_b64 v[92:93], v1
	s_wait_loadcnt_dscnt 0x0
	v_pk_mul_f32 v[94:95], v[92:93], v[88:89] op_sel:[1,1] op_sel_hi:[0,1]
	s_delay_alu instid0(VALU_DEP_1) | instskip(SKIP_1) | instid1(VALU_DEP_2)
	v_pk_fma_f32 v[96:97], v[92:93], v[88:89], v[94:95] op_sel_hi:[1,0,1]
	v_pk_fma_f32 v[88:89], v[92:93], v[88:89], v[94:95] neg_lo:[0,0,1] neg_hi:[0,0,1]
	v_mov_b32_e32 v89, v97
	s_cbranch_execz .LBB41_474
	s_branch .LBB41_475
.LBB41_473:
                                        ; implicit-def: $vgpr88_vgpr89
.LBB41_474:
	ds_load_b64 v[88:89], v1
.LBB41_475:
	s_mov_b32 s2, exec_lo
	v_cmpx_ne_u32_e32 6, v0
	s_cbranch_execz .LBB41_479
; %bb.476:
	v_add_nc_u32_e32 v91, 0x158, v38
	v_add3_u32 v92, 0, v38, 8
	v_mov_b32_e32 v93, v0
	s_mov_b32 s3, 0
.LBB41_477:                             ; =>This Inner Loop Header: Depth=1
	scratch_load_b64 v[94:95], v92, off
	ds_load_b64 v[96:97], v91
	s_wait_xcnt 0x0
	v_dual_add_nc_u32 v91, 8, v91 :: v_dual_add_nc_u32 v92, 8, v92
	s_wait_loadcnt_dscnt 0x0
	v_pk_mul_f32 v[98:99], v[96:97], v[94:95] op_sel:[1,1] op_sel_hi:[0,1]
	s_delay_alu instid0(VALU_DEP_1) | instskip(SKIP_2) | instid1(VALU_DEP_3)
	v_pk_fma_f32 v[100:101], v[96:97], v[94:95], v[98:99] op_sel_hi:[1,0,1]
	v_add_nc_u32_e32 v93, 1, v93
	v_pk_fma_f32 v[94:95], v[96:97], v[94:95], v[98:99] neg_lo:[0,0,1] neg_hi:[0,0,1]
	v_mov_b32_e32 v95, v101
	s_delay_alu instid0(VALU_DEP_3) | instskip(NEXT) | instid1(VALU_DEP_2)
	v_cmp_lt_u32_e32 vcc_lo, 5, v93
	v_pk_add_f32 v[88:89], v[88:89], v[94:95]
	s_or_b32 s3, vcc_lo, s3
	s_delay_alu instid0(SALU_CYCLE_1)
	s_and_not1_b32 exec_lo, exec_lo, s3
	s_cbranch_execnz .LBB41_477
; %bb.478:
	s_or_b32 exec_lo, exec_lo, s3
.LBB41_479:
	s_delay_alu instid0(SALU_CYCLE_1) | instskip(SKIP_4) | instid1(VALU_DEP_1)
	s_or_b32 exec_lo, exec_lo, s2
	v_mov_b32_e32 v91, 0
	ds_load_b64 v[92:93], v91 offset:56
	s_wait_dscnt 0x0
	v_pk_mul_f32 v[94:95], v[88:89], v[92:93] op_sel:[1,1] op_sel_hi:[0,1]
	v_pk_fma_f32 v[96:97], v[88:89], v[92:93], v[94:95] op_sel_hi:[1,0,1]
	v_pk_fma_f32 v[88:89], v[88:89], v[92:93], v[94:95] neg_lo:[0,0,1] neg_hi:[0,0,1]
	s_delay_alu instid0(VALU_DEP_2)
	v_mov_b32_e32 v89, v97
	scratch_store_b64 off, v[88:89], off offset:56
.LBB41_480:
	s_wait_xcnt 0x0
	s_or_b32 exec_lo, exec_lo, s0
	scratch_load_b64 v[88:89], off, off offset:64
	s_mov_b32 s0, exec_lo
	s_wait_loadcnt 0x0
	ds_store_b64 v1, v[88:89]
	s_wait_storecnt_dscnt 0x0
	s_barrier_signal -1
	s_barrier_wait -1
	s_wait_xcnt 0x0
	v_cmpx_gt_u32_e32 8, v0
	s_cbranch_execz .LBB41_490
; %bb.481:
	v_cmp_ne_u32_e32 vcc_lo, 1, v90
	s_cbranch_vccnz .LBB41_483
; %bb.482:
	scratch_load_b64 v[88:89], v39, off
	ds_load_b64 v[92:93], v1
	s_wait_loadcnt_dscnt 0x0
	v_pk_mul_f32 v[94:95], v[92:93], v[88:89] op_sel:[1,1] op_sel_hi:[0,1]
	s_delay_alu instid0(VALU_DEP_1) | instskip(SKIP_1) | instid1(VALU_DEP_2)
	v_pk_fma_f32 v[96:97], v[92:93], v[88:89], v[94:95] op_sel_hi:[1,0,1]
	v_pk_fma_f32 v[88:89], v[92:93], v[88:89], v[94:95] neg_lo:[0,0,1] neg_hi:[0,0,1]
	v_mov_b32_e32 v89, v97
	s_cbranch_execz .LBB41_484
	s_branch .LBB41_485
.LBB41_483:
                                        ; implicit-def: $vgpr88_vgpr89
.LBB41_484:
	ds_load_b64 v[88:89], v1
.LBB41_485:
	s_mov_b32 s2, exec_lo
	v_cmpx_ne_u32_e32 7, v0
	s_cbranch_execz .LBB41_489
; %bb.486:
	v_add_nc_u32_e32 v91, 0x158, v38
	v_add3_u32 v92, 0, v38, 8
	v_mov_b32_e32 v93, v0
	s_mov_b32 s3, 0
.LBB41_487:                             ; =>This Inner Loop Header: Depth=1
	scratch_load_b64 v[94:95], v92, off
	ds_load_b64 v[96:97], v91
	s_wait_xcnt 0x0
	v_dual_add_nc_u32 v91, 8, v91 :: v_dual_add_nc_u32 v92, 8, v92
	s_wait_loadcnt_dscnt 0x0
	v_pk_mul_f32 v[98:99], v[96:97], v[94:95] op_sel:[1,1] op_sel_hi:[0,1]
	s_delay_alu instid0(VALU_DEP_1) | instskip(SKIP_2) | instid1(VALU_DEP_3)
	v_pk_fma_f32 v[100:101], v[96:97], v[94:95], v[98:99] op_sel_hi:[1,0,1]
	v_add_nc_u32_e32 v93, 1, v93
	v_pk_fma_f32 v[94:95], v[96:97], v[94:95], v[98:99] neg_lo:[0,0,1] neg_hi:[0,0,1]
	v_mov_b32_e32 v95, v101
	s_delay_alu instid0(VALU_DEP_3) | instskip(NEXT) | instid1(VALU_DEP_2)
	v_cmp_lt_u32_e32 vcc_lo, 6, v93
	v_pk_add_f32 v[88:89], v[88:89], v[94:95]
	s_or_b32 s3, vcc_lo, s3
	s_delay_alu instid0(SALU_CYCLE_1)
	s_and_not1_b32 exec_lo, exec_lo, s3
	s_cbranch_execnz .LBB41_487
; %bb.488:
	s_or_b32 exec_lo, exec_lo, s3
.LBB41_489:
	s_delay_alu instid0(SALU_CYCLE_1) | instskip(SKIP_4) | instid1(VALU_DEP_1)
	s_or_b32 exec_lo, exec_lo, s2
	v_mov_b32_e32 v91, 0
	ds_load_b64 v[92:93], v91 offset:64
	s_wait_dscnt 0x0
	v_pk_mul_f32 v[94:95], v[88:89], v[92:93] op_sel:[1,1] op_sel_hi:[0,1]
	v_pk_fma_f32 v[96:97], v[88:89], v[92:93], v[94:95] op_sel_hi:[1,0,1]
	v_pk_fma_f32 v[88:89], v[88:89], v[92:93], v[94:95] neg_lo:[0,0,1] neg_hi:[0,0,1]
	s_delay_alu instid0(VALU_DEP_2)
	v_mov_b32_e32 v89, v97
	scratch_store_b64 off, v[88:89], off offset:64
.LBB41_490:
	s_wait_xcnt 0x0
	s_or_b32 exec_lo, exec_lo, s0
	scratch_load_b64 v[88:89], off, off offset:72
	s_mov_b32 s0, exec_lo
	s_wait_loadcnt 0x0
	ds_store_b64 v1, v[88:89]
	s_wait_storecnt_dscnt 0x0
	s_barrier_signal -1
	s_barrier_wait -1
	s_wait_xcnt 0x0
	v_cmpx_gt_u32_e32 9, v0
	s_cbranch_execz .LBB41_500
; %bb.491:
	v_cmp_ne_u32_e32 vcc_lo, 1, v90
	s_cbranch_vccnz .LBB41_493
; %bb.492:
	scratch_load_b64 v[88:89], v39, off
	ds_load_b64 v[92:93], v1
	s_wait_loadcnt_dscnt 0x0
	v_pk_mul_f32 v[94:95], v[92:93], v[88:89] op_sel:[1,1] op_sel_hi:[0,1]
	s_delay_alu instid0(VALU_DEP_1) | instskip(SKIP_1) | instid1(VALU_DEP_2)
	v_pk_fma_f32 v[96:97], v[92:93], v[88:89], v[94:95] op_sel_hi:[1,0,1]
	v_pk_fma_f32 v[88:89], v[92:93], v[88:89], v[94:95] neg_lo:[0,0,1] neg_hi:[0,0,1]
	v_mov_b32_e32 v89, v97
	s_cbranch_execz .LBB41_494
	s_branch .LBB41_495
.LBB41_493:
                                        ; implicit-def: $vgpr88_vgpr89
.LBB41_494:
	ds_load_b64 v[88:89], v1
.LBB41_495:
	s_mov_b32 s2, exec_lo
	v_cmpx_ne_u32_e32 8, v0
	s_cbranch_execz .LBB41_499
; %bb.496:
	v_add_nc_u32_e32 v91, 0x158, v38
	v_add3_u32 v92, 0, v38, 8
	v_mov_b32_e32 v93, v0
	s_mov_b32 s3, 0
.LBB41_497:                             ; =>This Inner Loop Header: Depth=1
	scratch_load_b64 v[94:95], v92, off
	ds_load_b64 v[96:97], v91
	s_wait_xcnt 0x0
	v_dual_add_nc_u32 v91, 8, v91 :: v_dual_add_nc_u32 v92, 8, v92
	s_wait_loadcnt_dscnt 0x0
	v_pk_mul_f32 v[98:99], v[96:97], v[94:95] op_sel:[1,1] op_sel_hi:[0,1]
	s_delay_alu instid0(VALU_DEP_1) | instskip(SKIP_2) | instid1(VALU_DEP_3)
	v_pk_fma_f32 v[100:101], v[96:97], v[94:95], v[98:99] op_sel_hi:[1,0,1]
	v_add_nc_u32_e32 v93, 1, v93
	v_pk_fma_f32 v[94:95], v[96:97], v[94:95], v[98:99] neg_lo:[0,0,1] neg_hi:[0,0,1]
	v_mov_b32_e32 v95, v101
	s_delay_alu instid0(VALU_DEP_3) | instskip(NEXT) | instid1(VALU_DEP_2)
	v_cmp_lt_u32_e32 vcc_lo, 7, v93
	v_pk_add_f32 v[88:89], v[88:89], v[94:95]
	s_or_b32 s3, vcc_lo, s3
	s_delay_alu instid0(SALU_CYCLE_1)
	s_and_not1_b32 exec_lo, exec_lo, s3
	s_cbranch_execnz .LBB41_497
; %bb.498:
	s_or_b32 exec_lo, exec_lo, s3
.LBB41_499:
	s_delay_alu instid0(SALU_CYCLE_1) | instskip(SKIP_4) | instid1(VALU_DEP_1)
	s_or_b32 exec_lo, exec_lo, s2
	v_mov_b32_e32 v91, 0
	ds_load_b64 v[92:93], v91 offset:72
	s_wait_dscnt 0x0
	v_pk_mul_f32 v[94:95], v[88:89], v[92:93] op_sel:[1,1] op_sel_hi:[0,1]
	v_pk_fma_f32 v[96:97], v[88:89], v[92:93], v[94:95] op_sel_hi:[1,0,1]
	v_pk_fma_f32 v[88:89], v[88:89], v[92:93], v[94:95] neg_lo:[0,0,1] neg_hi:[0,0,1]
	s_delay_alu instid0(VALU_DEP_2)
	v_mov_b32_e32 v89, v97
	scratch_store_b64 off, v[88:89], off offset:72
.LBB41_500:
	s_wait_xcnt 0x0
	s_or_b32 exec_lo, exec_lo, s0
	scratch_load_b64 v[88:89], off, off offset:80
	s_mov_b32 s0, exec_lo
	s_wait_loadcnt 0x0
	ds_store_b64 v1, v[88:89]
	s_wait_storecnt_dscnt 0x0
	s_barrier_signal -1
	s_barrier_wait -1
	s_wait_xcnt 0x0
	v_cmpx_gt_u32_e32 10, v0
	s_cbranch_execz .LBB41_510
; %bb.501:
	v_cmp_ne_u32_e32 vcc_lo, 1, v90
	s_cbranch_vccnz .LBB41_503
; %bb.502:
	scratch_load_b64 v[88:89], v39, off
	ds_load_b64 v[92:93], v1
	s_wait_loadcnt_dscnt 0x0
	v_pk_mul_f32 v[94:95], v[92:93], v[88:89] op_sel:[1,1] op_sel_hi:[0,1]
	s_delay_alu instid0(VALU_DEP_1) | instskip(SKIP_1) | instid1(VALU_DEP_2)
	v_pk_fma_f32 v[96:97], v[92:93], v[88:89], v[94:95] op_sel_hi:[1,0,1]
	v_pk_fma_f32 v[88:89], v[92:93], v[88:89], v[94:95] neg_lo:[0,0,1] neg_hi:[0,0,1]
	v_mov_b32_e32 v89, v97
	s_cbranch_execz .LBB41_504
	s_branch .LBB41_505
.LBB41_503:
                                        ; implicit-def: $vgpr88_vgpr89
.LBB41_504:
	ds_load_b64 v[88:89], v1
.LBB41_505:
	s_mov_b32 s2, exec_lo
	v_cmpx_ne_u32_e32 9, v0
	s_cbranch_execz .LBB41_509
; %bb.506:
	v_add_nc_u32_e32 v91, 0x158, v38
	v_add3_u32 v92, 0, v38, 8
	v_mov_b32_e32 v93, v0
	s_mov_b32 s3, 0
.LBB41_507:                             ; =>This Inner Loop Header: Depth=1
	scratch_load_b64 v[94:95], v92, off
	ds_load_b64 v[96:97], v91
	s_wait_xcnt 0x0
	v_dual_add_nc_u32 v91, 8, v91 :: v_dual_add_nc_u32 v92, 8, v92
	s_wait_loadcnt_dscnt 0x0
	v_pk_mul_f32 v[98:99], v[96:97], v[94:95] op_sel:[1,1] op_sel_hi:[0,1]
	s_delay_alu instid0(VALU_DEP_1) | instskip(SKIP_2) | instid1(VALU_DEP_3)
	v_pk_fma_f32 v[100:101], v[96:97], v[94:95], v[98:99] op_sel_hi:[1,0,1]
	v_add_nc_u32_e32 v93, 1, v93
	v_pk_fma_f32 v[94:95], v[96:97], v[94:95], v[98:99] neg_lo:[0,0,1] neg_hi:[0,0,1]
	v_mov_b32_e32 v95, v101
	s_delay_alu instid0(VALU_DEP_3) | instskip(NEXT) | instid1(VALU_DEP_2)
	v_cmp_lt_u32_e32 vcc_lo, 8, v93
	v_pk_add_f32 v[88:89], v[88:89], v[94:95]
	s_or_b32 s3, vcc_lo, s3
	s_delay_alu instid0(SALU_CYCLE_1)
	s_and_not1_b32 exec_lo, exec_lo, s3
	s_cbranch_execnz .LBB41_507
; %bb.508:
	s_or_b32 exec_lo, exec_lo, s3
.LBB41_509:
	s_delay_alu instid0(SALU_CYCLE_1) | instskip(SKIP_4) | instid1(VALU_DEP_1)
	s_or_b32 exec_lo, exec_lo, s2
	v_mov_b32_e32 v91, 0
	ds_load_b64 v[92:93], v91 offset:80
	s_wait_dscnt 0x0
	v_pk_mul_f32 v[94:95], v[88:89], v[92:93] op_sel:[1,1] op_sel_hi:[0,1]
	v_pk_fma_f32 v[96:97], v[88:89], v[92:93], v[94:95] op_sel_hi:[1,0,1]
	v_pk_fma_f32 v[88:89], v[88:89], v[92:93], v[94:95] neg_lo:[0,0,1] neg_hi:[0,0,1]
	s_delay_alu instid0(VALU_DEP_2)
	v_mov_b32_e32 v89, v97
	scratch_store_b64 off, v[88:89], off offset:80
.LBB41_510:
	s_wait_xcnt 0x0
	s_or_b32 exec_lo, exec_lo, s0
	scratch_load_b64 v[88:89], off, off offset:88
	s_mov_b32 s0, exec_lo
	s_wait_loadcnt 0x0
	ds_store_b64 v1, v[88:89]
	s_wait_storecnt_dscnt 0x0
	s_barrier_signal -1
	s_barrier_wait -1
	s_wait_xcnt 0x0
	v_cmpx_gt_u32_e32 11, v0
	s_cbranch_execz .LBB41_520
; %bb.511:
	v_cmp_ne_u32_e32 vcc_lo, 1, v90
	s_cbranch_vccnz .LBB41_513
; %bb.512:
	scratch_load_b64 v[88:89], v39, off
	ds_load_b64 v[92:93], v1
	s_wait_loadcnt_dscnt 0x0
	v_pk_mul_f32 v[94:95], v[92:93], v[88:89] op_sel:[1,1] op_sel_hi:[0,1]
	s_delay_alu instid0(VALU_DEP_1) | instskip(SKIP_1) | instid1(VALU_DEP_2)
	v_pk_fma_f32 v[96:97], v[92:93], v[88:89], v[94:95] op_sel_hi:[1,0,1]
	v_pk_fma_f32 v[88:89], v[92:93], v[88:89], v[94:95] neg_lo:[0,0,1] neg_hi:[0,0,1]
	v_mov_b32_e32 v89, v97
	s_cbranch_execz .LBB41_514
	s_branch .LBB41_515
.LBB41_513:
                                        ; implicit-def: $vgpr88_vgpr89
.LBB41_514:
	ds_load_b64 v[88:89], v1
.LBB41_515:
	s_mov_b32 s2, exec_lo
	v_cmpx_ne_u32_e32 10, v0
	s_cbranch_execz .LBB41_519
; %bb.516:
	v_add_nc_u32_e32 v91, 0x158, v38
	v_add3_u32 v92, 0, v38, 8
	v_mov_b32_e32 v93, v0
	s_mov_b32 s3, 0
.LBB41_517:                             ; =>This Inner Loop Header: Depth=1
	scratch_load_b64 v[94:95], v92, off
	ds_load_b64 v[96:97], v91
	s_wait_xcnt 0x0
	v_dual_add_nc_u32 v91, 8, v91 :: v_dual_add_nc_u32 v92, 8, v92
	s_wait_loadcnt_dscnt 0x0
	v_pk_mul_f32 v[98:99], v[96:97], v[94:95] op_sel:[1,1] op_sel_hi:[0,1]
	s_delay_alu instid0(VALU_DEP_1) | instskip(SKIP_2) | instid1(VALU_DEP_3)
	v_pk_fma_f32 v[100:101], v[96:97], v[94:95], v[98:99] op_sel_hi:[1,0,1]
	v_add_nc_u32_e32 v93, 1, v93
	v_pk_fma_f32 v[94:95], v[96:97], v[94:95], v[98:99] neg_lo:[0,0,1] neg_hi:[0,0,1]
	v_mov_b32_e32 v95, v101
	s_delay_alu instid0(VALU_DEP_3) | instskip(NEXT) | instid1(VALU_DEP_2)
	v_cmp_lt_u32_e32 vcc_lo, 9, v93
	v_pk_add_f32 v[88:89], v[88:89], v[94:95]
	s_or_b32 s3, vcc_lo, s3
	s_delay_alu instid0(SALU_CYCLE_1)
	s_and_not1_b32 exec_lo, exec_lo, s3
	s_cbranch_execnz .LBB41_517
; %bb.518:
	s_or_b32 exec_lo, exec_lo, s3
.LBB41_519:
	s_delay_alu instid0(SALU_CYCLE_1) | instskip(SKIP_4) | instid1(VALU_DEP_1)
	s_or_b32 exec_lo, exec_lo, s2
	v_mov_b32_e32 v91, 0
	ds_load_b64 v[92:93], v91 offset:88
	s_wait_dscnt 0x0
	v_pk_mul_f32 v[94:95], v[88:89], v[92:93] op_sel:[1,1] op_sel_hi:[0,1]
	v_pk_fma_f32 v[96:97], v[88:89], v[92:93], v[94:95] op_sel_hi:[1,0,1]
	v_pk_fma_f32 v[88:89], v[88:89], v[92:93], v[94:95] neg_lo:[0,0,1] neg_hi:[0,0,1]
	s_delay_alu instid0(VALU_DEP_2)
	v_mov_b32_e32 v89, v97
	scratch_store_b64 off, v[88:89], off offset:88
.LBB41_520:
	s_wait_xcnt 0x0
	s_or_b32 exec_lo, exec_lo, s0
	scratch_load_b64 v[88:89], off, off offset:96
	s_mov_b32 s0, exec_lo
	s_wait_loadcnt 0x0
	ds_store_b64 v1, v[88:89]
	s_wait_storecnt_dscnt 0x0
	s_barrier_signal -1
	s_barrier_wait -1
	s_wait_xcnt 0x0
	v_cmpx_gt_u32_e32 12, v0
	s_cbranch_execz .LBB41_530
; %bb.521:
	v_cmp_ne_u32_e32 vcc_lo, 1, v90
	s_cbranch_vccnz .LBB41_523
; %bb.522:
	scratch_load_b64 v[88:89], v39, off
	ds_load_b64 v[92:93], v1
	s_wait_loadcnt_dscnt 0x0
	v_pk_mul_f32 v[94:95], v[92:93], v[88:89] op_sel:[1,1] op_sel_hi:[0,1]
	s_delay_alu instid0(VALU_DEP_1) | instskip(SKIP_1) | instid1(VALU_DEP_2)
	v_pk_fma_f32 v[96:97], v[92:93], v[88:89], v[94:95] op_sel_hi:[1,0,1]
	v_pk_fma_f32 v[88:89], v[92:93], v[88:89], v[94:95] neg_lo:[0,0,1] neg_hi:[0,0,1]
	v_mov_b32_e32 v89, v97
	s_cbranch_execz .LBB41_524
	s_branch .LBB41_525
.LBB41_523:
                                        ; implicit-def: $vgpr88_vgpr89
.LBB41_524:
	ds_load_b64 v[88:89], v1
.LBB41_525:
	s_mov_b32 s2, exec_lo
	v_cmpx_ne_u32_e32 11, v0
	s_cbranch_execz .LBB41_529
; %bb.526:
	v_add_nc_u32_e32 v91, 0x158, v38
	v_add3_u32 v92, 0, v38, 8
	v_mov_b32_e32 v93, v0
	s_mov_b32 s3, 0
.LBB41_527:                             ; =>This Inner Loop Header: Depth=1
	scratch_load_b64 v[94:95], v92, off
	ds_load_b64 v[96:97], v91
	s_wait_xcnt 0x0
	v_dual_add_nc_u32 v91, 8, v91 :: v_dual_add_nc_u32 v92, 8, v92
	s_wait_loadcnt_dscnt 0x0
	v_pk_mul_f32 v[98:99], v[96:97], v[94:95] op_sel:[1,1] op_sel_hi:[0,1]
	s_delay_alu instid0(VALU_DEP_1) | instskip(SKIP_2) | instid1(VALU_DEP_3)
	v_pk_fma_f32 v[100:101], v[96:97], v[94:95], v[98:99] op_sel_hi:[1,0,1]
	v_add_nc_u32_e32 v93, 1, v93
	v_pk_fma_f32 v[94:95], v[96:97], v[94:95], v[98:99] neg_lo:[0,0,1] neg_hi:[0,0,1]
	v_mov_b32_e32 v95, v101
	s_delay_alu instid0(VALU_DEP_3) | instskip(NEXT) | instid1(VALU_DEP_2)
	v_cmp_lt_u32_e32 vcc_lo, 10, v93
	v_pk_add_f32 v[88:89], v[88:89], v[94:95]
	s_or_b32 s3, vcc_lo, s3
	s_delay_alu instid0(SALU_CYCLE_1)
	s_and_not1_b32 exec_lo, exec_lo, s3
	s_cbranch_execnz .LBB41_527
; %bb.528:
	s_or_b32 exec_lo, exec_lo, s3
.LBB41_529:
	s_delay_alu instid0(SALU_CYCLE_1) | instskip(SKIP_4) | instid1(VALU_DEP_1)
	s_or_b32 exec_lo, exec_lo, s2
	v_mov_b32_e32 v91, 0
	ds_load_b64 v[92:93], v91 offset:96
	s_wait_dscnt 0x0
	v_pk_mul_f32 v[94:95], v[88:89], v[92:93] op_sel:[1,1] op_sel_hi:[0,1]
	v_pk_fma_f32 v[96:97], v[88:89], v[92:93], v[94:95] op_sel_hi:[1,0,1]
	v_pk_fma_f32 v[88:89], v[88:89], v[92:93], v[94:95] neg_lo:[0,0,1] neg_hi:[0,0,1]
	s_delay_alu instid0(VALU_DEP_2)
	v_mov_b32_e32 v89, v97
	scratch_store_b64 off, v[88:89], off offset:96
.LBB41_530:
	s_wait_xcnt 0x0
	s_or_b32 exec_lo, exec_lo, s0
	scratch_load_b64 v[88:89], off, off offset:104
	s_mov_b32 s0, exec_lo
	s_wait_loadcnt 0x0
	ds_store_b64 v1, v[88:89]
	s_wait_storecnt_dscnt 0x0
	s_barrier_signal -1
	s_barrier_wait -1
	s_wait_xcnt 0x0
	v_cmpx_gt_u32_e32 13, v0
	s_cbranch_execz .LBB41_540
; %bb.531:
	v_cmp_ne_u32_e32 vcc_lo, 1, v90
	s_cbranch_vccnz .LBB41_533
; %bb.532:
	scratch_load_b64 v[88:89], v39, off
	ds_load_b64 v[92:93], v1
	s_wait_loadcnt_dscnt 0x0
	v_pk_mul_f32 v[94:95], v[92:93], v[88:89] op_sel:[1,1] op_sel_hi:[0,1]
	s_delay_alu instid0(VALU_DEP_1) | instskip(SKIP_1) | instid1(VALU_DEP_2)
	v_pk_fma_f32 v[96:97], v[92:93], v[88:89], v[94:95] op_sel_hi:[1,0,1]
	v_pk_fma_f32 v[88:89], v[92:93], v[88:89], v[94:95] neg_lo:[0,0,1] neg_hi:[0,0,1]
	v_mov_b32_e32 v89, v97
	s_cbranch_execz .LBB41_534
	s_branch .LBB41_535
.LBB41_533:
                                        ; implicit-def: $vgpr88_vgpr89
.LBB41_534:
	ds_load_b64 v[88:89], v1
.LBB41_535:
	s_mov_b32 s2, exec_lo
	v_cmpx_ne_u32_e32 12, v0
	s_cbranch_execz .LBB41_539
; %bb.536:
	v_add_nc_u32_e32 v91, 0x158, v38
	v_add3_u32 v92, 0, v38, 8
	v_mov_b32_e32 v93, v0
	s_mov_b32 s3, 0
.LBB41_537:                             ; =>This Inner Loop Header: Depth=1
	scratch_load_b64 v[94:95], v92, off
	ds_load_b64 v[96:97], v91
	s_wait_xcnt 0x0
	v_dual_add_nc_u32 v91, 8, v91 :: v_dual_add_nc_u32 v92, 8, v92
	s_wait_loadcnt_dscnt 0x0
	v_pk_mul_f32 v[98:99], v[96:97], v[94:95] op_sel:[1,1] op_sel_hi:[0,1]
	s_delay_alu instid0(VALU_DEP_1) | instskip(SKIP_2) | instid1(VALU_DEP_3)
	v_pk_fma_f32 v[100:101], v[96:97], v[94:95], v[98:99] op_sel_hi:[1,0,1]
	v_add_nc_u32_e32 v93, 1, v93
	v_pk_fma_f32 v[94:95], v[96:97], v[94:95], v[98:99] neg_lo:[0,0,1] neg_hi:[0,0,1]
	v_mov_b32_e32 v95, v101
	s_delay_alu instid0(VALU_DEP_3) | instskip(NEXT) | instid1(VALU_DEP_2)
	v_cmp_lt_u32_e32 vcc_lo, 11, v93
	v_pk_add_f32 v[88:89], v[88:89], v[94:95]
	s_or_b32 s3, vcc_lo, s3
	s_delay_alu instid0(SALU_CYCLE_1)
	s_and_not1_b32 exec_lo, exec_lo, s3
	s_cbranch_execnz .LBB41_537
; %bb.538:
	s_or_b32 exec_lo, exec_lo, s3
.LBB41_539:
	s_delay_alu instid0(SALU_CYCLE_1) | instskip(SKIP_4) | instid1(VALU_DEP_1)
	s_or_b32 exec_lo, exec_lo, s2
	v_mov_b32_e32 v91, 0
	ds_load_b64 v[92:93], v91 offset:104
	s_wait_dscnt 0x0
	v_pk_mul_f32 v[94:95], v[88:89], v[92:93] op_sel:[1,1] op_sel_hi:[0,1]
	v_pk_fma_f32 v[96:97], v[88:89], v[92:93], v[94:95] op_sel_hi:[1,0,1]
	v_pk_fma_f32 v[88:89], v[88:89], v[92:93], v[94:95] neg_lo:[0,0,1] neg_hi:[0,0,1]
	s_delay_alu instid0(VALU_DEP_2)
	v_mov_b32_e32 v89, v97
	scratch_store_b64 off, v[88:89], off offset:104
.LBB41_540:
	s_wait_xcnt 0x0
	s_or_b32 exec_lo, exec_lo, s0
	scratch_load_b64 v[88:89], off, off offset:112
	s_mov_b32 s0, exec_lo
	s_wait_loadcnt 0x0
	ds_store_b64 v1, v[88:89]
	s_wait_storecnt_dscnt 0x0
	s_barrier_signal -1
	s_barrier_wait -1
	s_wait_xcnt 0x0
	v_cmpx_gt_u32_e32 14, v0
	s_cbranch_execz .LBB41_550
; %bb.541:
	v_cmp_ne_u32_e32 vcc_lo, 1, v90
	s_cbranch_vccnz .LBB41_543
; %bb.542:
	scratch_load_b64 v[88:89], v39, off
	ds_load_b64 v[92:93], v1
	s_wait_loadcnt_dscnt 0x0
	v_pk_mul_f32 v[94:95], v[92:93], v[88:89] op_sel:[1,1] op_sel_hi:[0,1]
	s_delay_alu instid0(VALU_DEP_1) | instskip(SKIP_1) | instid1(VALU_DEP_2)
	v_pk_fma_f32 v[96:97], v[92:93], v[88:89], v[94:95] op_sel_hi:[1,0,1]
	v_pk_fma_f32 v[88:89], v[92:93], v[88:89], v[94:95] neg_lo:[0,0,1] neg_hi:[0,0,1]
	v_mov_b32_e32 v89, v97
	s_cbranch_execz .LBB41_544
	s_branch .LBB41_545
.LBB41_543:
                                        ; implicit-def: $vgpr88_vgpr89
.LBB41_544:
	ds_load_b64 v[88:89], v1
.LBB41_545:
	s_mov_b32 s2, exec_lo
	v_cmpx_ne_u32_e32 13, v0
	s_cbranch_execz .LBB41_549
; %bb.546:
	v_add_nc_u32_e32 v91, 0x158, v38
	v_add3_u32 v92, 0, v38, 8
	v_mov_b32_e32 v93, v0
	s_mov_b32 s3, 0
.LBB41_547:                             ; =>This Inner Loop Header: Depth=1
	scratch_load_b64 v[94:95], v92, off
	ds_load_b64 v[96:97], v91
	s_wait_xcnt 0x0
	v_dual_add_nc_u32 v91, 8, v91 :: v_dual_add_nc_u32 v92, 8, v92
	s_wait_loadcnt_dscnt 0x0
	v_pk_mul_f32 v[98:99], v[96:97], v[94:95] op_sel:[1,1] op_sel_hi:[0,1]
	s_delay_alu instid0(VALU_DEP_1) | instskip(SKIP_2) | instid1(VALU_DEP_3)
	v_pk_fma_f32 v[100:101], v[96:97], v[94:95], v[98:99] op_sel_hi:[1,0,1]
	v_add_nc_u32_e32 v93, 1, v93
	v_pk_fma_f32 v[94:95], v[96:97], v[94:95], v[98:99] neg_lo:[0,0,1] neg_hi:[0,0,1]
	v_mov_b32_e32 v95, v101
	s_delay_alu instid0(VALU_DEP_3) | instskip(NEXT) | instid1(VALU_DEP_2)
	v_cmp_lt_u32_e32 vcc_lo, 12, v93
	v_pk_add_f32 v[88:89], v[88:89], v[94:95]
	s_or_b32 s3, vcc_lo, s3
	s_delay_alu instid0(SALU_CYCLE_1)
	s_and_not1_b32 exec_lo, exec_lo, s3
	s_cbranch_execnz .LBB41_547
; %bb.548:
	s_or_b32 exec_lo, exec_lo, s3
.LBB41_549:
	s_delay_alu instid0(SALU_CYCLE_1) | instskip(SKIP_4) | instid1(VALU_DEP_1)
	s_or_b32 exec_lo, exec_lo, s2
	v_mov_b32_e32 v91, 0
	ds_load_b64 v[92:93], v91 offset:112
	s_wait_dscnt 0x0
	v_pk_mul_f32 v[94:95], v[88:89], v[92:93] op_sel:[1,1] op_sel_hi:[0,1]
	v_pk_fma_f32 v[96:97], v[88:89], v[92:93], v[94:95] op_sel_hi:[1,0,1]
	v_pk_fma_f32 v[88:89], v[88:89], v[92:93], v[94:95] neg_lo:[0,0,1] neg_hi:[0,0,1]
	s_delay_alu instid0(VALU_DEP_2)
	v_mov_b32_e32 v89, v97
	scratch_store_b64 off, v[88:89], off offset:112
.LBB41_550:
	s_wait_xcnt 0x0
	s_or_b32 exec_lo, exec_lo, s0
	scratch_load_b64 v[88:89], off, off offset:120
	s_mov_b32 s0, exec_lo
	s_wait_loadcnt 0x0
	ds_store_b64 v1, v[88:89]
	s_wait_storecnt_dscnt 0x0
	s_barrier_signal -1
	s_barrier_wait -1
	s_wait_xcnt 0x0
	v_cmpx_gt_u32_e32 15, v0
	s_cbranch_execz .LBB41_560
; %bb.551:
	v_cmp_ne_u32_e32 vcc_lo, 1, v90
	s_cbranch_vccnz .LBB41_553
; %bb.552:
	scratch_load_b64 v[88:89], v39, off
	ds_load_b64 v[92:93], v1
	s_wait_loadcnt_dscnt 0x0
	v_pk_mul_f32 v[94:95], v[92:93], v[88:89] op_sel:[1,1] op_sel_hi:[0,1]
	s_delay_alu instid0(VALU_DEP_1) | instskip(SKIP_1) | instid1(VALU_DEP_2)
	v_pk_fma_f32 v[96:97], v[92:93], v[88:89], v[94:95] op_sel_hi:[1,0,1]
	v_pk_fma_f32 v[88:89], v[92:93], v[88:89], v[94:95] neg_lo:[0,0,1] neg_hi:[0,0,1]
	v_mov_b32_e32 v89, v97
	s_cbranch_execz .LBB41_554
	s_branch .LBB41_555
.LBB41_553:
                                        ; implicit-def: $vgpr88_vgpr89
.LBB41_554:
	ds_load_b64 v[88:89], v1
.LBB41_555:
	s_mov_b32 s2, exec_lo
	v_cmpx_ne_u32_e32 14, v0
	s_cbranch_execz .LBB41_559
; %bb.556:
	v_add_nc_u32_e32 v91, 0x158, v38
	v_add3_u32 v92, 0, v38, 8
	v_mov_b32_e32 v93, v0
	s_mov_b32 s3, 0
.LBB41_557:                             ; =>This Inner Loop Header: Depth=1
	scratch_load_b64 v[94:95], v92, off
	ds_load_b64 v[96:97], v91
	s_wait_xcnt 0x0
	v_dual_add_nc_u32 v91, 8, v91 :: v_dual_add_nc_u32 v92, 8, v92
	s_wait_loadcnt_dscnt 0x0
	v_pk_mul_f32 v[98:99], v[96:97], v[94:95] op_sel:[1,1] op_sel_hi:[0,1]
	s_delay_alu instid0(VALU_DEP_1) | instskip(SKIP_2) | instid1(VALU_DEP_3)
	v_pk_fma_f32 v[100:101], v[96:97], v[94:95], v[98:99] op_sel_hi:[1,0,1]
	v_add_nc_u32_e32 v93, 1, v93
	v_pk_fma_f32 v[94:95], v[96:97], v[94:95], v[98:99] neg_lo:[0,0,1] neg_hi:[0,0,1]
	v_mov_b32_e32 v95, v101
	s_delay_alu instid0(VALU_DEP_3) | instskip(NEXT) | instid1(VALU_DEP_2)
	v_cmp_lt_u32_e32 vcc_lo, 13, v93
	v_pk_add_f32 v[88:89], v[88:89], v[94:95]
	s_or_b32 s3, vcc_lo, s3
	s_delay_alu instid0(SALU_CYCLE_1)
	s_and_not1_b32 exec_lo, exec_lo, s3
	s_cbranch_execnz .LBB41_557
; %bb.558:
	s_or_b32 exec_lo, exec_lo, s3
.LBB41_559:
	s_delay_alu instid0(SALU_CYCLE_1) | instskip(SKIP_4) | instid1(VALU_DEP_1)
	s_or_b32 exec_lo, exec_lo, s2
	v_mov_b32_e32 v91, 0
	ds_load_b64 v[92:93], v91 offset:120
	s_wait_dscnt 0x0
	v_pk_mul_f32 v[94:95], v[88:89], v[92:93] op_sel:[1,1] op_sel_hi:[0,1]
	v_pk_fma_f32 v[96:97], v[88:89], v[92:93], v[94:95] op_sel_hi:[1,0,1]
	v_pk_fma_f32 v[88:89], v[88:89], v[92:93], v[94:95] neg_lo:[0,0,1] neg_hi:[0,0,1]
	s_delay_alu instid0(VALU_DEP_2)
	v_mov_b32_e32 v89, v97
	scratch_store_b64 off, v[88:89], off offset:120
.LBB41_560:
	s_wait_xcnt 0x0
	s_or_b32 exec_lo, exec_lo, s0
	scratch_load_b64 v[88:89], off, off offset:128
	s_mov_b32 s0, exec_lo
	s_wait_loadcnt 0x0
	ds_store_b64 v1, v[88:89]
	s_wait_storecnt_dscnt 0x0
	s_barrier_signal -1
	s_barrier_wait -1
	s_wait_xcnt 0x0
	v_cmpx_gt_u32_e32 16, v0
	s_cbranch_execz .LBB41_570
; %bb.561:
	v_cmp_ne_u32_e32 vcc_lo, 1, v90
	s_cbranch_vccnz .LBB41_563
; %bb.562:
	scratch_load_b64 v[88:89], v39, off
	ds_load_b64 v[92:93], v1
	s_wait_loadcnt_dscnt 0x0
	v_pk_mul_f32 v[94:95], v[92:93], v[88:89] op_sel:[1,1] op_sel_hi:[0,1]
	s_delay_alu instid0(VALU_DEP_1) | instskip(SKIP_1) | instid1(VALU_DEP_2)
	v_pk_fma_f32 v[96:97], v[92:93], v[88:89], v[94:95] op_sel_hi:[1,0,1]
	v_pk_fma_f32 v[88:89], v[92:93], v[88:89], v[94:95] neg_lo:[0,0,1] neg_hi:[0,0,1]
	v_mov_b32_e32 v89, v97
	s_cbranch_execz .LBB41_564
	s_branch .LBB41_565
.LBB41_563:
                                        ; implicit-def: $vgpr88_vgpr89
.LBB41_564:
	ds_load_b64 v[88:89], v1
.LBB41_565:
	s_mov_b32 s2, exec_lo
	v_cmpx_ne_u32_e32 15, v0
	s_cbranch_execz .LBB41_569
; %bb.566:
	v_add_nc_u32_e32 v91, 0x158, v38
	v_add3_u32 v92, 0, v38, 8
	v_mov_b32_e32 v93, v0
	s_mov_b32 s3, 0
.LBB41_567:                             ; =>This Inner Loop Header: Depth=1
	scratch_load_b64 v[94:95], v92, off
	ds_load_b64 v[96:97], v91
	s_wait_xcnt 0x0
	v_dual_add_nc_u32 v91, 8, v91 :: v_dual_add_nc_u32 v92, 8, v92
	s_wait_loadcnt_dscnt 0x0
	v_pk_mul_f32 v[98:99], v[96:97], v[94:95] op_sel:[1,1] op_sel_hi:[0,1]
	s_delay_alu instid0(VALU_DEP_1) | instskip(SKIP_2) | instid1(VALU_DEP_3)
	v_pk_fma_f32 v[100:101], v[96:97], v[94:95], v[98:99] op_sel_hi:[1,0,1]
	v_add_nc_u32_e32 v93, 1, v93
	v_pk_fma_f32 v[94:95], v[96:97], v[94:95], v[98:99] neg_lo:[0,0,1] neg_hi:[0,0,1]
	v_mov_b32_e32 v95, v101
	s_delay_alu instid0(VALU_DEP_3) | instskip(NEXT) | instid1(VALU_DEP_2)
	v_cmp_lt_u32_e32 vcc_lo, 14, v93
	v_pk_add_f32 v[88:89], v[88:89], v[94:95]
	s_or_b32 s3, vcc_lo, s3
	s_delay_alu instid0(SALU_CYCLE_1)
	s_and_not1_b32 exec_lo, exec_lo, s3
	s_cbranch_execnz .LBB41_567
; %bb.568:
	s_or_b32 exec_lo, exec_lo, s3
.LBB41_569:
	s_delay_alu instid0(SALU_CYCLE_1) | instskip(SKIP_4) | instid1(VALU_DEP_1)
	s_or_b32 exec_lo, exec_lo, s2
	v_mov_b32_e32 v91, 0
	ds_load_b64 v[92:93], v91 offset:128
	s_wait_dscnt 0x0
	v_pk_mul_f32 v[94:95], v[88:89], v[92:93] op_sel:[1,1] op_sel_hi:[0,1]
	v_pk_fma_f32 v[96:97], v[88:89], v[92:93], v[94:95] op_sel_hi:[1,0,1]
	v_pk_fma_f32 v[88:89], v[88:89], v[92:93], v[94:95] neg_lo:[0,0,1] neg_hi:[0,0,1]
	s_delay_alu instid0(VALU_DEP_2)
	v_mov_b32_e32 v89, v97
	scratch_store_b64 off, v[88:89], off offset:128
.LBB41_570:
	s_wait_xcnt 0x0
	s_or_b32 exec_lo, exec_lo, s0
	scratch_load_b64 v[88:89], off, off offset:136
	s_mov_b32 s0, exec_lo
	s_wait_loadcnt 0x0
	ds_store_b64 v1, v[88:89]
	s_wait_storecnt_dscnt 0x0
	s_barrier_signal -1
	s_barrier_wait -1
	s_wait_xcnt 0x0
	v_cmpx_gt_u32_e32 17, v0
	s_cbranch_execz .LBB41_580
; %bb.571:
	v_cmp_ne_u32_e32 vcc_lo, 1, v90
	s_cbranch_vccnz .LBB41_573
; %bb.572:
	scratch_load_b64 v[88:89], v39, off
	ds_load_b64 v[92:93], v1
	s_wait_loadcnt_dscnt 0x0
	v_pk_mul_f32 v[94:95], v[92:93], v[88:89] op_sel:[1,1] op_sel_hi:[0,1]
	s_delay_alu instid0(VALU_DEP_1) | instskip(SKIP_1) | instid1(VALU_DEP_2)
	v_pk_fma_f32 v[96:97], v[92:93], v[88:89], v[94:95] op_sel_hi:[1,0,1]
	v_pk_fma_f32 v[88:89], v[92:93], v[88:89], v[94:95] neg_lo:[0,0,1] neg_hi:[0,0,1]
	v_mov_b32_e32 v89, v97
	s_cbranch_execz .LBB41_574
	s_branch .LBB41_575
.LBB41_573:
                                        ; implicit-def: $vgpr88_vgpr89
.LBB41_574:
	ds_load_b64 v[88:89], v1
.LBB41_575:
	s_mov_b32 s2, exec_lo
	v_cmpx_ne_u32_e32 16, v0
	s_cbranch_execz .LBB41_579
; %bb.576:
	v_add_nc_u32_e32 v91, 0x158, v38
	v_add3_u32 v92, 0, v38, 8
	v_mov_b32_e32 v93, v0
	s_mov_b32 s3, 0
.LBB41_577:                             ; =>This Inner Loop Header: Depth=1
	scratch_load_b64 v[94:95], v92, off
	ds_load_b64 v[96:97], v91
	s_wait_xcnt 0x0
	v_dual_add_nc_u32 v91, 8, v91 :: v_dual_add_nc_u32 v92, 8, v92
	s_wait_loadcnt_dscnt 0x0
	v_pk_mul_f32 v[98:99], v[96:97], v[94:95] op_sel:[1,1] op_sel_hi:[0,1]
	s_delay_alu instid0(VALU_DEP_1) | instskip(SKIP_2) | instid1(VALU_DEP_3)
	v_pk_fma_f32 v[100:101], v[96:97], v[94:95], v[98:99] op_sel_hi:[1,0,1]
	v_add_nc_u32_e32 v93, 1, v93
	v_pk_fma_f32 v[94:95], v[96:97], v[94:95], v[98:99] neg_lo:[0,0,1] neg_hi:[0,0,1]
	v_mov_b32_e32 v95, v101
	s_delay_alu instid0(VALU_DEP_3) | instskip(NEXT) | instid1(VALU_DEP_2)
	v_cmp_lt_u32_e32 vcc_lo, 15, v93
	v_pk_add_f32 v[88:89], v[88:89], v[94:95]
	s_or_b32 s3, vcc_lo, s3
	s_delay_alu instid0(SALU_CYCLE_1)
	s_and_not1_b32 exec_lo, exec_lo, s3
	s_cbranch_execnz .LBB41_577
; %bb.578:
	s_or_b32 exec_lo, exec_lo, s3
.LBB41_579:
	s_delay_alu instid0(SALU_CYCLE_1) | instskip(SKIP_4) | instid1(VALU_DEP_1)
	s_or_b32 exec_lo, exec_lo, s2
	v_mov_b32_e32 v91, 0
	ds_load_b64 v[92:93], v91 offset:136
	s_wait_dscnt 0x0
	v_pk_mul_f32 v[94:95], v[88:89], v[92:93] op_sel:[1,1] op_sel_hi:[0,1]
	v_pk_fma_f32 v[96:97], v[88:89], v[92:93], v[94:95] op_sel_hi:[1,0,1]
	v_pk_fma_f32 v[88:89], v[88:89], v[92:93], v[94:95] neg_lo:[0,0,1] neg_hi:[0,0,1]
	s_delay_alu instid0(VALU_DEP_2)
	v_mov_b32_e32 v89, v97
	scratch_store_b64 off, v[88:89], off offset:136
.LBB41_580:
	s_wait_xcnt 0x0
	s_or_b32 exec_lo, exec_lo, s0
	scratch_load_b64 v[88:89], off, off offset:144
	s_mov_b32 s0, exec_lo
	s_wait_loadcnt 0x0
	ds_store_b64 v1, v[88:89]
	s_wait_storecnt_dscnt 0x0
	s_barrier_signal -1
	s_barrier_wait -1
	s_wait_xcnt 0x0
	v_cmpx_gt_u32_e32 18, v0
	s_cbranch_execz .LBB41_590
; %bb.581:
	v_cmp_ne_u32_e32 vcc_lo, 1, v90
	s_cbranch_vccnz .LBB41_583
; %bb.582:
	scratch_load_b64 v[88:89], v39, off
	ds_load_b64 v[92:93], v1
	s_wait_loadcnt_dscnt 0x0
	v_pk_mul_f32 v[94:95], v[92:93], v[88:89] op_sel:[1,1] op_sel_hi:[0,1]
	s_delay_alu instid0(VALU_DEP_1) | instskip(SKIP_1) | instid1(VALU_DEP_2)
	v_pk_fma_f32 v[96:97], v[92:93], v[88:89], v[94:95] op_sel_hi:[1,0,1]
	v_pk_fma_f32 v[88:89], v[92:93], v[88:89], v[94:95] neg_lo:[0,0,1] neg_hi:[0,0,1]
	v_mov_b32_e32 v89, v97
	s_cbranch_execz .LBB41_584
	s_branch .LBB41_585
.LBB41_583:
                                        ; implicit-def: $vgpr88_vgpr89
.LBB41_584:
	ds_load_b64 v[88:89], v1
.LBB41_585:
	s_mov_b32 s2, exec_lo
	v_cmpx_ne_u32_e32 17, v0
	s_cbranch_execz .LBB41_589
; %bb.586:
	v_add_nc_u32_e32 v91, 0x158, v38
	v_add3_u32 v92, 0, v38, 8
	v_mov_b32_e32 v93, v0
	s_mov_b32 s3, 0
.LBB41_587:                             ; =>This Inner Loop Header: Depth=1
	scratch_load_b64 v[94:95], v92, off
	ds_load_b64 v[96:97], v91
	s_wait_xcnt 0x0
	v_dual_add_nc_u32 v91, 8, v91 :: v_dual_add_nc_u32 v92, 8, v92
	s_wait_loadcnt_dscnt 0x0
	v_pk_mul_f32 v[98:99], v[96:97], v[94:95] op_sel:[1,1] op_sel_hi:[0,1]
	s_delay_alu instid0(VALU_DEP_1) | instskip(SKIP_2) | instid1(VALU_DEP_3)
	v_pk_fma_f32 v[100:101], v[96:97], v[94:95], v[98:99] op_sel_hi:[1,0,1]
	v_add_nc_u32_e32 v93, 1, v93
	v_pk_fma_f32 v[94:95], v[96:97], v[94:95], v[98:99] neg_lo:[0,0,1] neg_hi:[0,0,1]
	v_mov_b32_e32 v95, v101
	s_delay_alu instid0(VALU_DEP_3) | instskip(NEXT) | instid1(VALU_DEP_2)
	v_cmp_lt_u32_e32 vcc_lo, 16, v93
	v_pk_add_f32 v[88:89], v[88:89], v[94:95]
	s_or_b32 s3, vcc_lo, s3
	s_delay_alu instid0(SALU_CYCLE_1)
	s_and_not1_b32 exec_lo, exec_lo, s3
	s_cbranch_execnz .LBB41_587
; %bb.588:
	s_or_b32 exec_lo, exec_lo, s3
.LBB41_589:
	s_delay_alu instid0(SALU_CYCLE_1) | instskip(SKIP_4) | instid1(VALU_DEP_1)
	s_or_b32 exec_lo, exec_lo, s2
	v_mov_b32_e32 v91, 0
	ds_load_b64 v[92:93], v91 offset:144
	s_wait_dscnt 0x0
	v_pk_mul_f32 v[94:95], v[88:89], v[92:93] op_sel:[1,1] op_sel_hi:[0,1]
	v_pk_fma_f32 v[96:97], v[88:89], v[92:93], v[94:95] op_sel_hi:[1,0,1]
	v_pk_fma_f32 v[88:89], v[88:89], v[92:93], v[94:95] neg_lo:[0,0,1] neg_hi:[0,0,1]
	s_delay_alu instid0(VALU_DEP_2)
	v_mov_b32_e32 v89, v97
	scratch_store_b64 off, v[88:89], off offset:144
.LBB41_590:
	s_wait_xcnt 0x0
	s_or_b32 exec_lo, exec_lo, s0
	scratch_load_b64 v[88:89], off, off offset:152
	s_mov_b32 s0, exec_lo
	s_wait_loadcnt 0x0
	ds_store_b64 v1, v[88:89]
	s_wait_storecnt_dscnt 0x0
	s_barrier_signal -1
	s_barrier_wait -1
	s_wait_xcnt 0x0
	v_cmpx_gt_u32_e32 19, v0
	s_cbranch_execz .LBB41_600
; %bb.591:
	v_cmp_ne_u32_e32 vcc_lo, 1, v90
	s_cbranch_vccnz .LBB41_593
; %bb.592:
	scratch_load_b64 v[88:89], v39, off
	ds_load_b64 v[92:93], v1
	s_wait_loadcnt_dscnt 0x0
	v_pk_mul_f32 v[94:95], v[92:93], v[88:89] op_sel:[1,1] op_sel_hi:[0,1]
	s_delay_alu instid0(VALU_DEP_1) | instskip(SKIP_1) | instid1(VALU_DEP_2)
	v_pk_fma_f32 v[96:97], v[92:93], v[88:89], v[94:95] op_sel_hi:[1,0,1]
	v_pk_fma_f32 v[88:89], v[92:93], v[88:89], v[94:95] neg_lo:[0,0,1] neg_hi:[0,0,1]
	v_mov_b32_e32 v89, v97
	s_cbranch_execz .LBB41_594
	s_branch .LBB41_595
.LBB41_593:
                                        ; implicit-def: $vgpr88_vgpr89
.LBB41_594:
	ds_load_b64 v[88:89], v1
.LBB41_595:
	s_mov_b32 s2, exec_lo
	v_cmpx_ne_u32_e32 18, v0
	s_cbranch_execz .LBB41_599
; %bb.596:
	v_add_nc_u32_e32 v91, 0x158, v38
	v_add3_u32 v92, 0, v38, 8
	v_mov_b32_e32 v93, v0
	s_mov_b32 s3, 0
.LBB41_597:                             ; =>This Inner Loop Header: Depth=1
	scratch_load_b64 v[94:95], v92, off
	ds_load_b64 v[96:97], v91
	s_wait_xcnt 0x0
	v_dual_add_nc_u32 v91, 8, v91 :: v_dual_add_nc_u32 v92, 8, v92
	s_wait_loadcnt_dscnt 0x0
	v_pk_mul_f32 v[98:99], v[96:97], v[94:95] op_sel:[1,1] op_sel_hi:[0,1]
	s_delay_alu instid0(VALU_DEP_1) | instskip(SKIP_2) | instid1(VALU_DEP_3)
	v_pk_fma_f32 v[100:101], v[96:97], v[94:95], v[98:99] op_sel_hi:[1,0,1]
	v_add_nc_u32_e32 v93, 1, v93
	v_pk_fma_f32 v[94:95], v[96:97], v[94:95], v[98:99] neg_lo:[0,0,1] neg_hi:[0,0,1]
	v_mov_b32_e32 v95, v101
	s_delay_alu instid0(VALU_DEP_3) | instskip(NEXT) | instid1(VALU_DEP_2)
	v_cmp_lt_u32_e32 vcc_lo, 17, v93
	v_pk_add_f32 v[88:89], v[88:89], v[94:95]
	s_or_b32 s3, vcc_lo, s3
	s_delay_alu instid0(SALU_CYCLE_1)
	s_and_not1_b32 exec_lo, exec_lo, s3
	s_cbranch_execnz .LBB41_597
; %bb.598:
	s_or_b32 exec_lo, exec_lo, s3
.LBB41_599:
	s_delay_alu instid0(SALU_CYCLE_1) | instskip(SKIP_4) | instid1(VALU_DEP_1)
	s_or_b32 exec_lo, exec_lo, s2
	v_mov_b32_e32 v91, 0
	ds_load_b64 v[92:93], v91 offset:152
	s_wait_dscnt 0x0
	v_pk_mul_f32 v[94:95], v[88:89], v[92:93] op_sel:[1,1] op_sel_hi:[0,1]
	v_pk_fma_f32 v[96:97], v[88:89], v[92:93], v[94:95] op_sel_hi:[1,0,1]
	v_pk_fma_f32 v[88:89], v[88:89], v[92:93], v[94:95] neg_lo:[0,0,1] neg_hi:[0,0,1]
	s_delay_alu instid0(VALU_DEP_2)
	v_mov_b32_e32 v89, v97
	scratch_store_b64 off, v[88:89], off offset:152
.LBB41_600:
	s_wait_xcnt 0x0
	s_or_b32 exec_lo, exec_lo, s0
	scratch_load_b64 v[88:89], off, off offset:160
	s_mov_b32 s0, exec_lo
	s_wait_loadcnt 0x0
	ds_store_b64 v1, v[88:89]
	s_wait_storecnt_dscnt 0x0
	s_barrier_signal -1
	s_barrier_wait -1
	s_wait_xcnt 0x0
	v_cmpx_gt_u32_e32 20, v0
	s_cbranch_execz .LBB41_610
; %bb.601:
	v_cmp_ne_u32_e32 vcc_lo, 1, v90
	s_cbranch_vccnz .LBB41_603
; %bb.602:
	scratch_load_b64 v[88:89], v39, off
	ds_load_b64 v[92:93], v1
	s_wait_loadcnt_dscnt 0x0
	v_pk_mul_f32 v[94:95], v[92:93], v[88:89] op_sel:[1,1] op_sel_hi:[0,1]
	s_delay_alu instid0(VALU_DEP_1) | instskip(SKIP_1) | instid1(VALU_DEP_2)
	v_pk_fma_f32 v[96:97], v[92:93], v[88:89], v[94:95] op_sel_hi:[1,0,1]
	v_pk_fma_f32 v[88:89], v[92:93], v[88:89], v[94:95] neg_lo:[0,0,1] neg_hi:[0,0,1]
	v_mov_b32_e32 v89, v97
	s_cbranch_execz .LBB41_604
	s_branch .LBB41_605
.LBB41_603:
                                        ; implicit-def: $vgpr88_vgpr89
.LBB41_604:
	ds_load_b64 v[88:89], v1
.LBB41_605:
	s_mov_b32 s2, exec_lo
	v_cmpx_ne_u32_e32 19, v0
	s_cbranch_execz .LBB41_609
; %bb.606:
	v_add_nc_u32_e32 v91, 0x158, v38
	v_add3_u32 v92, 0, v38, 8
	v_mov_b32_e32 v93, v0
	s_mov_b32 s3, 0
.LBB41_607:                             ; =>This Inner Loop Header: Depth=1
	scratch_load_b64 v[94:95], v92, off
	ds_load_b64 v[96:97], v91
	s_wait_xcnt 0x0
	v_dual_add_nc_u32 v91, 8, v91 :: v_dual_add_nc_u32 v92, 8, v92
	s_wait_loadcnt_dscnt 0x0
	v_pk_mul_f32 v[98:99], v[96:97], v[94:95] op_sel:[1,1] op_sel_hi:[0,1]
	s_delay_alu instid0(VALU_DEP_1) | instskip(SKIP_2) | instid1(VALU_DEP_3)
	v_pk_fma_f32 v[100:101], v[96:97], v[94:95], v[98:99] op_sel_hi:[1,0,1]
	v_add_nc_u32_e32 v93, 1, v93
	v_pk_fma_f32 v[94:95], v[96:97], v[94:95], v[98:99] neg_lo:[0,0,1] neg_hi:[0,0,1]
	v_mov_b32_e32 v95, v101
	s_delay_alu instid0(VALU_DEP_3) | instskip(NEXT) | instid1(VALU_DEP_2)
	v_cmp_lt_u32_e32 vcc_lo, 18, v93
	v_pk_add_f32 v[88:89], v[88:89], v[94:95]
	s_or_b32 s3, vcc_lo, s3
	s_delay_alu instid0(SALU_CYCLE_1)
	s_and_not1_b32 exec_lo, exec_lo, s3
	s_cbranch_execnz .LBB41_607
; %bb.608:
	s_or_b32 exec_lo, exec_lo, s3
.LBB41_609:
	s_delay_alu instid0(SALU_CYCLE_1) | instskip(SKIP_4) | instid1(VALU_DEP_1)
	s_or_b32 exec_lo, exec_lo, s2
	v_mov_b32_e32 v91, 0
	ds_load_b64 v[92:93], v91 offset:160
	s_wait_dscnt 0x0
	v_pk_mul_f32 v[94:95], v[88:89], v[92:93] op_sel:[1,1] op_sel_hi:[0,1]
	v_pk_fma_f32 v[96:97], v[88:89], v[92:93], v[94:95] op_sel_hi:[1,0,1]
	v_pk_fma_f32 v[88:89], v[88:89], v[92:93], v[94:95] neg_lo:[0,0,1] neg_hi:[0,0,1]
	s_delay_alu instid0(VALU_DEP_2)
	v_mov_b32_e32 v89, v97
	scratch_store_b64 off, v[88:89], off offset:160
.LBB41_610:
	s_wait_xcnt 0x0
	s_or_b32 exec_lo, exec_lo, s0
	scratch_load_b64 v[88:89], off, off offset:168
	s_mov_b32 s0, exec_lo
	s_wait_loadcnt 0x0
	ds_store_b64 v1, v[88:89]
	s_wait_storecnt_dscnt 0x0
	s_barrier_signal -1
	s_barrier_wait -1
	s_wait_xcnt 0x0
	v_cmpx_gt_u32_e32 21, v0
	s_cbranch_execz .LBB41_620
; %bb.611:
	v_cmp_ne_u32_e32 vcc_lo, 1, v90
	s_cbranch_vccnz .LBB41_613
; %bb.612:
	scratch_load_b64 v[88:89], v39, off
	ds_load_b64 v[92:93], v1
	s_wait_loadcnt_dscnt 0x0
	v_pk_mul_f32 v[94:95], v[92:93], v[88:89] op_sel:[1,1] op_sel_hi:[0,1]
	s_delay_alu instid0(VALU_DEP_1) | instskip(SKIP_1) | instid1(VALU_DEP_2)
	v_pk_fma_f32 v[96:97], v[92:93], v[88:89], v[94:95] op_sel_hi:[1,0,1]
	v_pk_fma_f32 v[88:89], v[92:93], v[88:89], v[94:95] neg_lo:[0,0,1] neg_hi:[0,0,1]
	v_mov_b32_e32 v89, v97
	s_cbranch_execz .LBB41_614
	s_branch .LBB41_615
.LBB41_613:
                                        ; implicit-def: $vgpr88_vgpr89
.LBB41_614:
	ds_load_b64 v[88:89], v1
.LBB41_615:
	s_mov_b32 s2, exec_lo
	v_cmpx_ne_u32_e32 20, v0
	s_cbranch_execz .LBB41_619
; %bb.616:
	v_add_nc_u32_e32 v91, 0x158, v38
	v_add3_u32 v92, 0, v38, 8
	v_mov_b32_e32 v93, v0
	s_mov_b32 s3, 0
.LBB41_617:                             ; =>This Inner Loop Header: Depth=1
	scratch_load_b64 v[94:95], v92, off
	ds_load_b64 v[96:97], v91
	s_wait_xcnt 0x0
	v_dual_add_nc_u32 v91, 8, v91 :: v_dual_add_nc_u32 v92, 8, v92
	s_wait_loadcnt_dscnt 0x0
	v_pk_mul_f32 v[98:99], v[96:97], v[94:95] op_sel:[1,1] op_sel_hi:[0,1]
	s_delay_alu instid0(VALU_DEP_1) | instskip(SKIP_2) | instid1(VALU_DEP_3)
	v_pk_fma_f32 v[100:101], v[96:97], v[94:95], v[98:99] op_sel_hi:[1,0,1]
	v_add_nc_u32_e32 v93, 1, v93
	v_pk_fma_f32 v[94:95], v[96:97], v[94:95], v[98:99] neg_lo:[0,0,1] neg_hi:[0,0,1]
	v_mov_b32_e32 v95, v101
	s_delay_alu instid0(VALU_DEP_3) | instskip(NEXT) | instid1(VALU_DEP_2)
	v_cmp_lt_u32_e32 vcc_lo, 19, v93
	v_pk_add_f32 v[88:89], v[88:89], v[94:95]
	s_or_b32 s3, vcc_lo, s3
	s_delay_alu instid0(SALU_CYCLE_1)
	s_and_not1_b32 exec_lo, exec_lo, s3
	s_cbranch_execnz .LBB41_617
; %bb.618:
	s_or_b32 exec_lo, exec_lo, s3
.LBB41_619:
	s_delay_alu instid0(SALU_CYCLE_1) | instskip(SKIP_4) | instid1(VALU_DEP_1)
	s_or_b32 exec_lo, exec_lo, s2
	v_mov_b32_e32 v91, 0
	ds_load_b64 v[92:93], v91 offset:168
	s_wait_dscnt 0x0
	v_pk_mul_f32 v[94:95], v[88:89], v[92:93] op_sel:[1,1] op_sel_hi:[0,1]
	v_pk_fma_f32 v[96:97], v[88:89], v[92:93], v[94:95] op_sel_hi:[1,0,1]
	v_pk_fma_f32 v[88:89], v[88:89], v[92:93], v[94:95] neg_lo:[0,0,1] neg_hi:[0,0,1]
	s_delay_alu instid0(VALU_DEP_2)
	v_mov_b32_e32 v89, v97
	scratch_store_b64 off, v[88:89], off offset:168
.LBB41_620:
	s_wait_xcnt 0x0
	s_or_b32 exec_lo, exec_lo, s0
	scratch_load_b64 v[88:89], off, off offset:176
	s_mov_b32 s0, exec_lo
	s_wait_loadcnt 0x0
	ds_store_b64 v1, v[88:89]
	s_wait_storecnt_dscnt 0x0
	s_barrier_signal -1
	s_barrier_wait -1
	s_wait_xcnt 0x0
	v_cmpx_gt_u32_e32 22, v0
	s_cbranch_execz .LBB41_630
; %bb.621:
	v_cmp_ne_u32_e32 vcc_lo, 1, v90
	s_cbranch_vccnz .LBB41_623
; %bb.622:
	scratch_load_b64 v[88:89], v39, off
	ds_load_b64 v[92:93], v1
	s_wait_loadcnt_dscnt 0x0
	v_pk_mul_f32 v[94:95], v[92:93], v[88:89] op_sel:[1,1] op_sel_hi:[0,1]
	s_delay_alu instid0(VALU_DEP_1) | instskip(SKIP_1) | instid1(VALU_DEP_2)
	v_pk_fma_f32 v[96:97], v[92:93], v[88:89], v[94:95] op_sel_hi:[1,0,1]
	v_pk_fma_f32 v[88:89], v[92:93], v[88:89], v[94:95] neg_lo:[0,0,1] neg_hi:[0,0,1]
	v_mov_b32_e32 v89, v97
	s_cbranch_execz .LBB41_624
	s_branch .LBB41_625
.LBB41_623:
                                        ; implicit-def: $vgpr88_vgpr89
.LBB41_624:
	ds_load_b64 v[88:89], v1
.LBB41_625:
	s_mov_b32 s2, exec_lo
	v_cmpx_ne_u32_e32 21, v0
	s_cbranch_execz .LBB41_629
; %bb.626:
	v_add_nc_u32_e32 v91, 0x158, v38
	v_add3_u32 v92, 0, v38, 8
	v_mov_b32_e32 v93, v0
	s_mov_b32 s3, 0
.LBB41_627:                             ; =>This Inner Loop Header: Depth=1
	scratch_load_b64 v[94:95], v92, off
	ds_load_b64 v[96:97], v91
	s_wait_xcnt 0x0
	v_dual_add_nc_u32 v91, 8, v91 :: v_dual_add_nc_u32 v92, 8, v92
	s_wait_loadcnt_dscnt 0x0
	v_pk_mul_f32 v[98:99], v[96:97], v[94:95] op_sel:[1,1] op_sel_hi:[0,1]
	s_delay_alu instid0(VALU_DEP_1) | instskip(SKIP_2) | instid1(VALU_DEP_3)
	v_pk_fma_f32 v[100:101], v[96:97], v[94:95], v[98:99] op_sel_hi:[1,0,1]
	v_add_nc_u32_e32 v93, 1, v93
	v_pk_fma_f32 v[94:95], v[96:97], v[94:95], v[98:99] neg_lo:[0,0,1] neg_hi:[0,0,1]
	v_mov_b32_e32 v95, v101
	s_delay_alu instid0(VALU_DEP_3) | instskip(NEXT) | instid1(VALU_DEP_2)
	v_cmp_lt_u32_e32 vcc_lo, 20, v93
	v_pk_add_f32 v[88:89], v[88:89], v[94:95]
	s_or_b32 s3, vcc_lo, s3
	s_delay_alu instid0(SALU_CYCLE_1)
	s_and_not1_b32 exec_lo, exec_lo, s3
	s_cbranch_execnz .LBB41_627
; %bb.628:
	s_or_b32 exec_lo, exec_lo, s3
.LBB41_629:
	s_delay_alu instid0(SALU_CYCLE_1) | instskip(SKIP_4) | instid1(VALU_DEP_1)
	s_or_b32 exec_lo, exec_lo, s2
	v_mov_b32_e32 v91, 0
	ds_load_b64 v[92:93], v91 offset:176
	s_wait_dscnt 0x0
	v_pk_mul_f32 v[94:95], v[88:89], v[92:93] op_sel:[1,1] op_sel_hi:[0,1]
	v_pk_fma_f32 v[96:97], v[88:89], v[92:93], v[94:95] op_sel_hi:[1,0,1]
	v_pk_fma_f32 v[88:89], v[88:89], v[92:93], v[94:95] neg_lo:[0,0,1] neg_hi:[0,0,1]
	s_delay_alu instid0(VALU_DEP_2)
	v_mov_b32_e32 v89, v97
	scratch_store_b64 off, v[88:89], off offset:176
.LBB41_630:
	s_wait_xcnt 0x0
	s_or_b32 exec_lo, exec_lo, s0
	scratch_load_b64 v[88:89], off, off offset:184
	s_mov_b32 s0, exec_lo
	s_wait_loadcnt 0x0
	ds_store_b64 v1, v[88:89]
	s_wait_storecnt_dscnt 0x0
	s_barrier_signal -1
	s_barrier_wait -1
	s_wait_xcnt 0x0
	v_cmpx_gt_u32_e32 23, v0
	s_cbranch_execz .LBB41_640
; %bb.631:
	v_cmp_ne_u32_e32 vcc_lo, 1, v90
	s_cbranch_vccnz .LBB41_633
; %bb.632:
	scratch_load_b64 v[88:89], v39, off
	ds_load_b64 v[92:93], v1
	s_wait_loadcnt_dscnt 0x0
	v_pk_mul_f32 v[94:95], v[92:93], v[88:89] op_sel:[1,1] op_sel_hi:[0,1]
	s_delay_alu instid0(VALU_DEP_1) | instskip(SKIP_1) | instid1(VALU_DEP_2)
	v_pk_fma_f32 v[96:97], v[92:93], v[88:89], v[94:95] op_sel_hi:[1,0,1]
	v_pk_fma_f32 v[88:89], v[92:93], v[88:89], v[94:95] neg_lo:[0,0,1] neg_hi:[0,0,1]
	v_mov_b32_e32 v89, v97
	s_cbranch_execz .LBB41_634
	s_branch .LBB41_635
.LBB41_633:
                                        ; implicit-def: $vgpr88_vgpr89
.LBB41_634:
	ds_load_b64 v[88:89], v1
.LBB41_635:
	s_mov_b32 s2, exec_lo
	v_cmpx_ne_u32_e32 22, v0
	s_cbranch_execz .LBB41_639
; %bb.636:
	v_add_nc_u32_e32 v91, 0x158, v38
	v_add3_u32 v92, 0, v38, 8
	v_mov_b32_e32 v93, v0
	s_mov_b32 s3, 0
.LBB41_637:                             ; =>This Inner Loop Header: Depth=1
	scratch_load_b64 v[94:95], v92, off
	ds_load_b64 v[96:97], v91
	s_wait_xcnt 0x0
	v_dual_add_nc_u32 v91, 8, v91 :: v_dual_add_nc_u32 v92, 8, v92
	s_wait_loadcnt_dscnt 0x0
	v_pk_mul_f32 v[98:99], v[96:97], v[94:95] op_sel:[1,1] op_sel_hi:[0,1]
	s_delay_alu instid0(VALU_DEP_1) | instskip(SKIP_2) | instid1(VALU_DEP_3)
	v_pk_fma_f32 v[100:101], v[96:97], v[94:95], v[98:99] op_sel_hi:[1,0,1]
	v_add_nc_u32_e32 v93, 1, v93
	v_pk_fma_f32 v[94:95], v[96:97], v[94:95], v[98:99] neg_lo:[0,0,1] neg_hi:[0,0,1]
	v_mov_b32_e32 v95, v101
	s_delay_alu instid0(VALU_DEP_3) | instskip(NEXT) | instid1(VALU_DEP_2)
	v_cmp_lt_u32_e32 vcc_lo, 21, v93
	v_pk_add_f32 v[88:89], v[88:89], v[94:95]
	s_or_b32 s3, vcc_lo, s3
	s_delay_alu instid0(SALU_CYCLE_1)
	s_and_not1_b32 exec_lo, exec_lo, s3
	s_cbranch_execnz .LBB41_637
; %bb.638:
	s_or_b32 exec_lo, exec_lo, s3
.LBB41_639:
	s_delay_alu instid0(SALU_CYCLE_1) | instskip(SKIP_4) | instid1(VALU_DEP_1)
	s_or_b32 exec_lo, exec_lo, s2
	v_mov_b32_e32 v91, 0
	ds_load_b64 v[92:93], v91 offset:184
	s_wait_dscnt 0x0
	v_pk_mul_f32 v[94:95], v[88:89], v[92:93] op_sel:[1,1] op_sel_hi:[0,1]
	v_pk_fma_f32 v[96:97], v[88:89], v[92:93], v[94:95] op_sel_hi:[1,0,1]
	v_pk_fma_f32 v[88:89], v[88:89], v[92:93], v[94:95] neg_lo:[0,0,1] neg_hi:[0,0,1]
	s_delay_alu instid0(VALU_DEP_2)
	v_mov_b32_e32 v89, v97
	scratch_store_b64 off, v[88:89], off offset:184
.LBB41_640:
	s_wait_xcnt 0x0
	s_or_b32 exec_lo, exec_lo, s0
	scratch_load_b64 v[88:89], off, off offset:192
	s_mov_b32 s0, exec_lo
	s_wait_loadcnt 0x0
	ds_store_b64 v1, v[88:89]
	s_wait_storecnt_dscnt 0x0
	s_barrier_signal -1
	s_barrier_wait -1
	s_wait_xcnt 0x0
	v_cmpx_gt_u32_e32 24, v0
	s_cbranch_execz .LBB41_650
; %bb.641:
	v_cmp_ne_u32_e32 vcc_lo, 1, v90
	s_cbranch_vccnz .LBB41_643
; %bb.642:
	scratch_load_b64 v[88:89], v39, off
	ds_load_b64 v[92:93], v1
	s_wait_loadcnt_dscnt 0x0
	v_pk_mul_f32 v[94:95], v[92:93], v[88:89] op_sel:[1,1] op_sel_hi:[0,1]
	s_delay_alu instid0(VALU_DEP_1) | instskip(SKIP_1) | instid1(VALU_DEP_2)
	v_pk_fma_f32 v[96:97], v[92:93], v[88:89], v[94:95] op_sel_hi:[1,0,1]
	v_pk_fma_f32 v[88:89], v[92:93], v[88:89], v[94:95] neg_lo:[0,0,1] neg_hi:[0,0,1]
	v_mov_b32_e32 v89, v97
	s_cbranch_execz .LBB41_644
	s_branch .LBB41_645
.LBB41_643:
                                        ; implicit-def: $vgpr88_vgpr89
.LBB41_644:
	ds_load_b64 v[88:89], v1
.LBB41_645:
	s_mov_b32 s2, exec_lo
	v_cmpx_ne_u32_e32 23, v0
	s_cbranch_execz .LBB41_649
; %bb.646:
	v_add_nc_u32_e32 v91, 0x158, v38
	v_add3_u32 v92, 0, v38, 8
	v_mov_b32_e32 v93, v0
	s_mov_b32 s3, 0
.LBB41_647:                             ; =>This Inner Loop Header: Depth=1
	scratch_load_b64 v[94:95], v92, off
	ds_load_b64 v[96:97], v91
	s_wait_xcnt 0x0
	v_dual_add_nc_u32 v91, 8, v91 :: v_dual_add_nc_u32 v92, 8, v92
	s_wait_loadcnt_dscnt 0x0
	v_pk_mul_f32 v[98:99], v[96:97], v[94:95] op_sel:[1,1] op_sel_hi:[0,1]
	s_delay_alu instid0(VALU_DEP_1) | instskip(SKIP_2) | instid1(VALU_DEP_3)
	v_pk_fma_f32 v[100:101], v[96:97], v[94:95], v[98:99] op_sel_hi:[1,0,1]
	v_add_nc_u32_e32 v93, 1, v93
	v_pk_fma_f32 v[94:95], v[96:97], v[94:95], v[98:99] neg_lo:[0,0,1] neg_hi:[0,0,1]
	v_mov_b32_e32 v95, v101
	s_delay_alu instid0(VALU_DEP_3) | instskip(NEXT) | instid1(VALU_DEP_2)
	v_cmp_lt_u32_e32 vcc_lo, 22, v93
	v_pk_add_f32 v[88:89], v[88:89], v[94:95]
	s_or_b32 s3, vcc_lo, s3
	s_delay_alu instid0(SALU_CYCLE_1)
	s_and_not1_b32 exec_lo, exec_lo, s3
	s_cbranch_execnz .LBB41_647
; %bb.648:
	s_or_b32 exec_lo, exec_lo, s3
.LBB41_649:
	s_delay_alu instid0(SALU_CYCLE_1) | instskip(SKIP_4) | instid1(VALU_DEP_1)
	s_or_b32 exec_lo, exec_lo, s2
	v_mov_b32_e32 v91, 0
	ds_load_b64 v[92:93], v91 offset:192
	s_wait_dscnt 0x0
	v_pk_mul_f32 v[94:95], v[88:89], v[92:93] op_sel:[1,1] op_sel_hi:[0,1]
	v_pk_fma_f32 v[96:97], v[88:89], v[92:93], v[94:95] op_sel_hi:[1,0,1]
	v_pk_fma_f32 v[88:89], v[88:89], v[92:93], v[94:95] neg_lo:[0,0,1] neg_hi:[0,0,1]
	s_delay_alu instid0(VALU_DEP_2)
	v_mov_b32_e32 v89, v97
	scratch_store_b64 off, v[88:89], off offset:192
.LBB41_650:
	s_wait_xcnt 0x0
	s_or_b32 exec_lo, exec_lo, s0
	scratch_load_b64 v[88:89], off, off offset:200
	s_mov_b32 s0, exec_lo
	s_wait_loadcnt 0x0
	ds_store_b64 v1, v[88:89]
	s_wait_storecnt_dscnt 0x0
	s_barrier_signal -1
	s_barrier_wait -1
	s_wait_xcnt 0x0
	v_cmpx_gt_u32_e32 25, v0
	s_cbranch_execz .LBB41_660
; %bb.651:
	v_cmp_ne_u32_e32 vcc_lo, 1, v90
	s_cbranch_vccnz .LBB41_653
; %bb.652:
	scratch_load_b64 v[88:89], v39, off
	ds_load_b64 v[92:93], v1
	s_wait_loadcnt_dscnt 0x0
	v_pk_mul_f32 v[94:95], v[92:93], v[88:89] op_sel:[1,1] op_sel_hi:[0,1]
	s_delay_alu instid0(VALU_DEP_1) | instskip(SKIP_1) | instid1(VALU_DEP_2)
	v_pk_fma_f32 v[96:97], v[92:93], v[88:89], v[94:95] op_sel_hi:[1,0,1]
	v_pk_fma_f32 v[88:89], v[92:93], v[88:89], v[94:95] neg_lo:[0,0,1] neg_hi:[0,0,1]
	v_mov_b32_e32 v89, v97
	s_cbranch_execz .LBB41_654
	s_branch .LBB41_655
.LBB41_653:
                                        ; implicit-def: $vgpr88_vgpr89
.LBB41_654:
	ds_load_b64 v[88:89], v1
.LBB41_655:
	s_mov_b32 s2, exec_lo
	v_cmpx_ne_u32_e32 24, v0
	s_cbranch_execz .LBB41_659
; %bb.656:
	v_add_nc_u32_e32 v91, 0x158, v38
	v_add3_u32 v92, 0, v38, 8
	v_mov_b32_e32 v93, v0
	s_mov_b32 s3, 0
.LBB41_657:                             ; =>This Inner Loop Header: Depth=1
	scratch_load_b64 v[94:95], v92, off
	ds_load_b64 v[96:97], v91
	s_wait_xcnt 0x0
	v_dual_add_nc_u32 v91, 8, v91 :: v_dual_add_nc_u32 v92, 8, v92
	s_wait_loadcnt_dscnt 0x0
	v_pk_mul_f32 v[98:99], v[96:97], v[94:95] op_sel:[1,1] op_sel_hi:[0,1]
	s_delay_alu instid0(VALU_DEP_1) | instskip(SKIP_2) | instid1(VALU_DEP_3)
	v_pk_fma_f32 v[100:101], v[96:97], v[94:95], v[98:99] op_sel_hi:[1,0,1]
	v_add_nc_u32_e32 v93, 1, v93
	v_pk_fma_f32 v[94:95], v[96:97], v[94:95], v[98:99] neg_lo:[0,0,1] neg_hi:[0,0,1]
	v_mov_b32_e32 v95, v101
	s_delay_alu instid0(VALU_DEP_3) | instskip(NEXT) | instid1(VALU_DEP_2)
	v_cmp_lt_u32_e32 vcc_lo, 23, v93
	v_pk_add_f32 v[88:89], v[88:89], v[94:95]
	s_or_b32 s3, vcc_lo, s3
	s_delay_alu instid0(SALU_CYCLE_1)
	s_and_not1_b32 exec_lo, exec_lo, s3
	s_cbranch_execnz .LBB41_657
; %bb.658:
	s_or_b32 exec_lo, exec_lo, s3
.LBB41_659:
	s_delay_alu instid0(SALU_CYCLE_1) | instskip(SKIP_4) | instid1(VALU_DEP_1)
	s_or_b32 exec_lo, exec_lo, s2
	v_mov_b32_e32 v91, 0
	ds_load_b64 v[92:93], v91 offset:200
	s_wait_dscnt 0x0
	v_pk_mul_f32 v[94:95], v[88:89], v[92:93] op_sel:[1,1] op_sel_hi:[0,1]
	v_pk_fma_f32 v[96:97], v[88:89], v[92:93], v[94:95] op_sel_hi:[1,0,1]
	v_pk_fma_f32 v[88:89], v[88:89], v[92:93], v[94:95] neg_lo:[0,0,1] neg_hi:[0,0,1]
	s_delay_alu instid0(VALU_DEP_2)
	v_mov_b32_e32 v89, v97
	scratch_store_b64 off, v[88:89], off offset:200
.LBB41_660:
	s_wait_xcnt 0x0
	s_or_b32 exec_lo, exec_lo, s0
	scratch_load_b64 v[88:89], off, off offset:208
	s_mov_b32 s0, exec_lo
	s_wait_loadcnt 0x0
	ds_store_b64 v1, v[88:89]
	s_wait_storecnt_dscnt 0x0
	s_barrier_signal -1
	s_barrier_wait -1
	s_wait_xcnt 0x0
	v_cmpx_gt_u32_e32 26, v0
	s_cbranch_execz .LBB41_670
; %bb.661:
	v_cmp_ne_u32_e32 vcc_lo, 1, v90
	s_cbranch_vccnz .LBB41_663
; %bb.662:
	scratch_load_b64 v[88:89], v39, off
	ds_load_b64 v[92:93], v1
	s_wait_loadcnt_dscnt 0x0
	v_pk_mul_f32 v[94:95], v[92:93], v[88:89] op_sel:[1,1] op_sel_hi:[0,1]
	s_delay_alu instid0(VALU_DEP_1) | instskip(SKIP_1) | instid1(VALU_DEP_2)
	v_pk_fma_f32 v[96:97], v[92:93], v[88:89], v[94:95] op_sel_hi:[1,0,1]
	v_pk_fma_f32 v[88:89], v[92:93], v[88:89], v[94:95] neg_lo:[0,0,1] neg_hi:[0,0,1]
	v_mov_b32_e32 v89, v97
	s_cbranch_execz .LBB41_664
	s_branch .LBB41_665
.LBB41_663:
                                        ; implicit-def: $vgpr88_vgpr89
.LBB41_664:
	ds_load_b64 v[88:89], v1
.LBB41_665:
	s_mov_b32 s2, exec_lo
	v_cmpx_ne_u32_e32 25, v0
	s_cbranch_execz .LBB41_669
; %bb.666:
	v_add_nc_u32_e32 v91, 0x158, v38
	v_add3_u32 v92, 0, v38, 8
	v_mov_b32_e32 v93, v0
	s_mov_b32 s3, 0
.LBB41_667:                             ; =>This Inner Loop Header: Depth=1
	scratch_load_b64 v[94:95], v92, off
	ds_load_b64 v[96:97], v91
	s_wait_xcnt 0x0
	v_dual_add_nc_u32 v91, 8, v91 :: v_dual_add_nc_u32 v92, 8, v92
	s_wait_loadcnt_dscnt 0x0
	v_pk_mul_f32 v[98:99], v[96:97], v[94:95] op_sel:[1,1] op_sel_hi:[0,1]
	s_delay_alu instid0(VALU_DEP_1) | instskip(SKIP_2) | instid1(VALU_DEP_3)
	v_pk_fma_f32 v[100:101], v[96:97], v[94:95], v[98:99] op_sel_hi:[1,0,1]
	v_add_nc_u32_e32 v93, 1, v93
	v_pk_fma_f32 v[94:95], v[96:97], v[94:95], v[98:99] neg_lo:[0,0,1] neg_hi:[0,0,1]
	v_mov_b32_e32 v95, v101
	s_delay_alu instid0(VALU_DEP_3) | instskip(NEXT) | instid1(VALU_DEP_2)
	v_cmp_lt_u32_e32 vcc_lo, 24, v93
	v_pk_add_f32 v[88:89], v[88:89], v[94:95]
	s_or_b32 s3, vcc_lo, s3
	s_delay_alu instid0(SALU_CYCLE_1)
	s_and_not1_b32 exec_lo, exec_lo, s3
	s_cbranch_execnz .LBB41_667
; %bb.668:
	s_or_b32 exec_lo, exec_lo, s3
.LBB41_669:
	s_delay_alu instid0(SALU_CYCLE_1) | instskip(SKIP_4) | instid1(VALU_DEP_1)
	s_or_b32 exec_lo, exec_lo, s2
	v_mov_b32_e32 v91, 0
	ds_load_b64 v[92:93], v91 offset:208
	s_wait_dscnt 0x0
	v_pk_mul_f32 v[94:95], v[88:89], v[92:93] op_sel:[1,1] op_sel_hi:[0,1]
	v_pk_fma_f32 v[96:97], v[88:89], v[92:93], v[94:95] op_sel_hi:[1,0,1]
	v_pk_fma_f32 v[88:89], v[88:89], v[92:93], v[94:95] neg_lo:[0,0,1] neg_hi:[0,0,1]
	s_delay_alu instid0(VALU_DEP_2)
	v_mov_b32_e32 v89, v97
	scratch_store_b64 off, v[88:89], off offset:208
.LBB41_670:
	s_wait_xcnt 0x0
	s_or_b32 exec_lo, exec_lo, s0
	scratch_load_b64 v[88:89], off, off offset:216
	s_mov_b32 s0, exec_lo
	s_wait_loadcnt 0x0
	ds_store_b64 v1, v[88:89]
	s_wait_storecnt_dscnt 0x0
	s_barrier_signal -1
	s_barrier_wait -1
	s_wait_xcnt 0x0
	v_cmpx_gt_u32_e32 27, v0
	s_cbranch_execz .LBB41_680
; %bb.671:
	v_cmp_ne_u32_e32 vcc_lo, 1, v90
	s_cbranch_vccnz .LBB41_673
; %bb.672:
	scratch_load_b64 v[88:89], v39, off
	ds_load_b64 v[92:93], v1
	s_wait_loadcnt_dscnt 0x0
	v_pk_mul_f32 v[94:95], v[92:93], v[88:89] op_sel:[1,1] op_sel_hi:[0,1]
	s_delay_alu instid0(VALU_DEP_1) | instskip(SKIP_1) | instid1(VALU_DEP_2)
	v_pk_fma_f32 v[96:97], v[92:93], v[88:89], v[94:95] op_sel_hi:[1,0,1]
	v_pk_fma_f32 v[88:89], v[92:93], v[88:89], v[94:95] neg_lo:[0,0,1] neg_hi:[0,0,1]
	v_mov_b32_e32 v89, v97
	s_cbranch_execz .LBB41_674
	s_branch .LBB41_675
.LBB41_673:
                                        ; implicit-def: $vgpr88_vgpr89
.LBB41_674:
	ds_load_b64 v[88:89], v1
.LBB41_675:
	s_mov_b32 s2, exec_lo
	v_cmpx_ne_u32_e32 26, v0
	s_cbranch_execz .LBB41_679
; %bb.676:
	v_add_nc_u32_e32 v91, 0x158, v38
	v_add3_u32 v92, 0, v38, 8
	v_mov_b32_e32 v93, v0
	s_mov_b32 s3, 0
.LBB41_677:                             ; =>This Inner Loop Header: Depth=1
	scratch_load_b64 v[94:95], v92, off
	ds_load_b64 v[96:97], v91
	s_wait_xcnt 0x0
	v_dual_add_nc_u32 v91, 8, v91 :: v_dual_add_nc_u32 v92, 8, v92
	s_wait_loadcnt_dscnt 0x0
	v_pk_mul_f32 v[98:99], v[96:97], v[94:95] op_sel:[1,1] op_sel_hi:[0,1]
	s_delay_alu instid0(VALU_DEP_1) | instskip(SKIP_2) | instid1(VALU_DEP_3)
	v_pk_fma_f32 v[100:101], v[96:97], v[94:95], v[98:99] op_sel_hi:[1,0,1]
	v_add_nc_u32_e32 v93, 1, v93
	v_pk_fma_f32 v[94:95], v[96:97], v[94:95], v[98:99] neg_lo:[0,0,1] neg_hi:[0,0,1]
	v_mov_b32_e32 v95, v101
	s_delay_alu instid0(VALU_DEP_3) | instskip(NEXT) | instid1(VALU_DEP_2)
	v_cmp_lt_u32_e32 vcc_lo, 25, v93
	v_pk_add_f32 v[88:89], v[88:89], v[94:95]
	s_or_b32 s3, vcc_lo, s3
	s_delay_alu instid0(SALU_CYCLE_1)
	s_and_not1_b32 exec_lo, exec_lo, s3
	s_cbranch_execnz .LBB41_677
; %bb.678:
	s_or_b32 exec_lo, exec_lo, s3
.LBB41_679:
	s_delay_alu instid0(SALU_CYCLE_1) | instskip(SKIP_4) | instid1(VALU_DEP_1)
	s_or_b32 exec_lo, exec_lo, s2
	v_mov_b32_e32 v91, 0
	ds_load_b64 v[92:93], v91 offset:216
	s_wait_dscnt 0x0
	v_pk_mul_f32 v[94:95], v[88:89], v[92:93] op_sel:[1,1] op_sel_hi:[0,1]
	v_pk_fma_f32 v[96:97], v[88:89], v[92:93], v[94:95] op_sel_hi:[1,0,1]
	v_pk_fma_f32 v[88:89], v[88:89], v[92:93], v[94:95] neg_lo:[0,0,1] neg_hi:[0,0,1]
	s_delay_alu instid0(VALU_DEP_2)
	v_mov_b32_e32 v89, v97
	scratch_store_b64 off, v[88:89], off offset:216
.LBB41_680:
	s_wait_xcnt 0x0
	s_or_b32 exec_lo, exec_lo, s0
	scratch_load_b64 v[88:89], off, off offset:224
	s_mov_b32 s0, exec_lo
	s_wait_loadcnt 0x0
	ds_store_b64 v1, v[88:89]
	s_wait_storecnt_dscnt 0x0
	s_barrier_signal -1
	s_barrier_wait -1
	s_wait_xcnt 0x0
	v_cmpx_gt_u32_e32 28, v0
	s_cbranch_execz .LBB41_690
; %bb.681:
	v_cmp_ne_u32_e32 vcc_lo, 1, v90
	s_cbranch_vccnz .LBB41_683
; %bb.682:
	scratch_load_b64 v[88:89], v39, off
	ds_load_b64 v[92:93], v1
	s_wait_loadcnt_dscnt 0x0
	v_pk_mul_f32 v[94:95], v[92:93], v[88:89] op_sel:[1,1] op_sel_hi:[0,1]
	s_delay_alu instid0(VALU_DEP_1) | instskip(SKIP_1) | instid1(VALU_DEP_2)
	v_pk_fma_f32 v[96:97], v[92:93], v[88:89], v[94:95] op_sel_hi:[1,0,1]
	v_pk_fma_f32 v[88:89], v[92:93], v[88:89], v[94:95] neg_lo:[0,0,1] neg_hi:[0,0,1]
	v_mov_b32_e32 v89, v97
	s_cbranch_execz .LBB41_684
	s_branch .LBB41_685
.LBB41_683:
                                        ; implicit-def: $vgpr88_vgpr89
.LBB41_684:
	ds_load_b64 v[88:89], v1
.LBB41_685:
	s_mov_b32 s2, exec_lo
	v_cmpx_ne_u32_e32 27, v0
	s_cbranch_execz .LBB41_689
; %bb.686:
	v_add_nc_u32_e32 v91, 0x158, v38
	v_add3_u32 v92, 0, v38, 8
	v_mov_b32_e32 v93, v0
	s_mov_b32 s3, 0
.LBB41_687:                             ; =>This Inner Loop Header: Depth=1
	scratch_load_b64 v[94:95], v92, off
	ds_load_b64 v[96:97], v91
	s_wait_xcnt 0x0
	v_dual_add_nc_u32 v91, 8, v91 :: v_dual_add_nc_u32 v92, 8, v92
	s_wait_loadcnt_dscnt 0x0
	v_pk_mul_f32 v[98:99], v[96:97], v[94:95] op_sel:[1,1] op_sel_hi:[0,1]
	s_delay_alu instid0(VALU_DEP_1) | instskip(SKIP_2) | instid1(VALU_DEP_3)
	v_pk_fma_f32 v[100:101], v[96:97], v[94:95], v[98:99] op_sel_hi:[1,0,1]
	v_add_nc_u32_e32 v93, 1, v93
	v_pk_fma_f32 v[94:95], v[96:97], v[94:95], v[98:99] neg_lo:[0,0,1] neg_hi:[0,0,1]
	v_mov_b32_e32 v95, v101
	s_delay_alu instid0(VALU_DEP_3) | instskip(NEXT) | instid1(VALU_DEP_2)
	v_cmp_lt_u32_e32 vcc_lo, 26, v93
	v_pk_add_f32 v[88:89], v[88:89], v[94:95]
	s_or_b32 s3, vcc_lo, s3
	s_delay_alu instid0(SALU_CYCLE_1)
	s_and_not1_b32 exec_lo, exec_lo, s3
	s_cbranch_execnz .LBB41_687
; %bb.688:
	s_or_b32 exec_lo, exec_lo, s3
.LBB41_689:
	s_delay_alu instid0(SALU_CYCLE_1) | instskip(SKIP_4) | instid1(VALU_DEP_1)
	s_or_b32 exec_lo, exec_lo, s2
	v_mov_b32_e32 v91, 0
	ds_load_b64 v[92:93], v91 offset:224
	s_wait_dscnt 0x0
	v_pk_mul_f32 v[94:95], v[88:89], v[92:93] op_sel:[1,1] op_sel_hi:[0,1]
	v_pk_fma_f32 v[96:97], v[88:89], v[92:93], v[94:95] op_sel_hi:[1,0,1]
	v_pk_fma_f32 v[88:89], v[88:89], v[92:93], v[94:95] neg_lo:[0,0,1] neg_hi:[0,0,1]
	s_delay_alu instid0(VALU_DEP_2)
	v_mov_b32_e32 v89, v97
	scratch_store_b64 off, v[88:89], off offset:224
.LBB41_690:
	s_wait_xcnt 0x0
	s_or_b32 exec_lo, exec_lo, s0
	scratch_load_b64 v[88:89], off, off offset:232
	s_mov_b32 s0, exec_lo
	s_wait_loadcnt 0x0
	ds_store_b64 v1, v[88:89]
	s_wait_storecnt_dscnt 0x0
	s_barrier_signal -1
	s_barrier_wait -1
	s_wait_xcnt 0x0
	v_cmpx_gt_u32_e32 29, v0
	s_cbranch_execz .LBB41_700
; %bb.691:
	v_cmp_ne_u32_e32 vcc_lo, 1, v90
	s_cbranch_vccnz .LBB41_693
; %bb.692:
	scratch_load_b64 v[88:89], v39, off
	ds_load_b64 v[92:93], v1
	s_wait_loadcnt_dscnt 0x0
	v_pk_mul_f32 v[94:95], v[92:93], v[88:89] op_sel:[1,1] op_sel_hi:[0,1]
	s_delay_alu instid0(VALU_DEP_1) | instskip(SKIP_1) | instid1(VALU_DEP_2)
	v_pk_fma_f32 v[96:97], v[92:93], v[88:89], v[94:95] op_sel_hi:[1,0,1]
	v_pk_fma_f32 v[88:89], v[92:93], v[88:89], v[94:95] neg_lo:[0,0,1] neg_hi:[0,0,1]
	v_mov_b32_e32 v89, v97
	s_cbranch_execz .LBB41_694
	s_branch .LBB41_695
.LBB41_693:
                                        ; implicit-def: $vgpr88_vgpr89
.LBB41_694:
	ds_load_b64 v[88:89], v1
.LBB41_695:
	s_mov_b32 s2, exec_lo
	v_cmpx_ne_u32_e32 28, v0
	s_cbranch_execz .LBB41_699
; %bb.696:
	v_add_nc_u32_e32 v91, 0x158, v38
	v_add3_u32 v92, 0, v38, 8
	v_mov_b32_e32 v93, v0
	s_mov_b32 s3, 0
.LBB41_697:                             ; =>This Inner Loop Header: Depth=1
	scratch_load_b64 v[94:95], v92, off
	ds_load_b64 v[96:97], v91
	s_wait_xcnt 0x0
	v_dual_add_nc_u32 v91, 8, v91 :: v_dual_add_nc_u32 v92, 8, v92
	s_wait_loadcnt_dscnt 0x0
	v_pk_mul_f32 v[98:99], v[96:97], v[94:95] op_sel:[1,1] op_sel_hi:[0,1]
	s_delay_alu instid0(VALU_DEP_1) | instskip(SKIP_2) | instid1(VALU_DEP_3)
	v_pk_fma_f32 v[100:101], v[96:97], v[94:95], v[98:99] op_sel_hi:[1,0,1]
	v_add_nc_u32_e32 v93, 1, v93
	v_pk_fma_f32 v[94:95], v[96:97], v[94:95], v[98:99] neg_lo:[0,0,1] neg_hi:[0,0,1]
	v_mov_b32_e32 v95, v101
	s_delay_alu instid0(VALU_DEP_3) | instskip(NEXT) | instid1(VALU_DEP_2)
	v_cmp_lt_u32_e32 vcc_lo, 27, v93
	v_pk_add_f32 v[88:89], v[88:89], v[94:95]
	s_or_b32 s3, vcc_lo, s3
	s_delay_alu instid0(SALU_CYCLE_1)
	s_and_not1_b32 exec_lo, exec_lo, s3
	s_cbranch_execnz .LBB41_697
; %bb.698:
	s_or_b32 exec_lo, exec_lo, s3
.LBB41_699:
	s_delay_alu instid0(SALU_CYCLE_1) | instskip(SKIP_4) | instid1(VALU_DEP_1)
	s_or_b32 exec_lo, exec_lo, s2
	v_mov_b32_e32 v91, 0
	ds_load_b64 v[92:93], v91 offset:232
	s_wait_dscnt 0x0
	v_pk_mul_f32 v[94:95], v[88:89], v[92:93] op_sel:[1,1] op_sel_hi:[0,1]
	v_pk_fma_f32 v[96:97], v[88:89], v[92:93], v[94:95] op_sel_hi:[1,0,1]
	v_pk_fma_f32 v[88:89], v[88:89], v[92:93], v[94:95] neg_lo:[0,0,1] neg_hi:[0,0,1]
	s_delay_alu instid0(VALU_DEP_2)
	v_mov_b32_e32 v89, v97
	scratch_store_b64 off, v[88:89], off offset:232
.LBB41_700:
	s_wait_xcnt 0x0
	s_or_b32 exec_lo, exec_lo, s0
	scratch_load_b64 v[88:89], off, off offset:240
	s_mov_b32 s0, exec_lo
	s_wait_loadcnt 0x0
	ds_store_b64 v1, v[88:89]
	s_wait_storecnt_dscnt 0x0
	s_barrier_signal -1
	s_barrier_wait -1
	s_wait_xcnt 0x0
	v_cmpx_gt_u32_e32 30, v0
	s_cbranch_execz .LBB41_710
; %bb.701:
	v_cmp_ne_u32_e32 vcc_lo, 1, v90
	s_cbranch_vccnz .LBB41_703
; %bb.702:
	scratch_load_b64 v[88:89], v39, off
	ds_load_b64 v[92:93], v1
	s_wait_loadcnt_dscnt 0x0
	v_pk_mul_f32 v[94:95], v[92:93], v[88:89] op_sel:[1,1] op_sel_hi:[0,1]
	s_delay_alu instid0(VALU_DEP_1) | instskip(SKIP_1) | instid1(VALU_DEP_2)
	v_pk_fma_f32 v[96:97], v[92:93], v[88:89], v[94:95] op_sel_hi:[1,0,1]
	v_pk_fma_f32 v[88:89], v[92:93], v[88:89], v[94:95] neg_lo:[0,0,1] neg_hi:[0,0,1]
	v_mov_b32_e32 v89, v97
	s_cbranch_execz .LBB41_704
	s_branch .LBB41_705
.LBB41_703:
                                        ; implicit-def: $vgpr88_vgpr89
.LBB41_704:
	ds_load_b64 v[88:89], v1
.LBB41_705:
	s_mov_b32 s2, exec_lo
	v_cmpx_ne_u32_e32 29, v0
	s_cbranch_execz .LBB41_709
; %bb.706:
	v_add_nc_u32_e32 v91, 0x158, v38
	v_add3_u32 v92, 0, v38, 8
	v_mov_b32_e32 v93, v0
	s_mov_b32 s3, 0
.LBB41_707:                             ; =>This Inner Loop Header: Depth=1
	scratch_load_b64 v[94:95], v92, off
	ds_load_b64 v[96:97], v91
	s_wait_xcnt 0x0
	v_dual_add_nc_u32 v91, 8, v91 :: v_dual_add_nc_u32 v92, 8, v92
	s_wait_loadcnt_dscnt 0x0
	v_pk_mul_f32 v[98:99], v[96:97], v[94:95] op_sel:[1,1] op_sel_hi:[0,1]
	s_delay_alu instid0(VALU_DEP_1) | instskip(SKIP_2) | instid1(VALU_DEP_3)
	v_pk_fma_f32 v[100:101], v[96:97], v[94:95], v[98:99] op_sel_hi:[1,0,1]
	v_add_nc_u32_e32 v93, 1, v93
	v_pk_fma_f32 v[94:95], v[96:97], v[94:95], v[98:99] neg_lo:[0,0,1] neg_hi:[0,0,1]
	v_mov_b32_e32 v95, v101
	s_delay_alu instid0(VALU_DEP_3) | instskip(NEXT) | instid1(VALU_DEP_2)
	v_cmp_lt_u32_e32 vcc_lo, 28, v93
	v_pk_add_f32 v[88:89], v[88:89], v[94:95]
	s_or_b32 s3, vcc_lo, s3
	s_delay_alu instid0(SALU_CYCLE_1)
	s_and_not1_b32 exec_lo, exec_lo, s3
	s_cbranch_execnz .LBB41_707
; %bb.708:
	s_or_b32 exec_lo, exec_lo, s3
.LBB41_709:
	s_delay_alu instid0(SALU_CYCLE_1) | instskip(SKIP_4) | instid1(VALU_DEP_1)
	s_or_b32 exec_lo, exec_lo, s2
	v_mov_b32_e32 v91, 0
	ds_load_b64 v[92:93], v91 offset:240
	s_wait_dscnt 0x0
	v_pk_mul_f32 v[94:95], v[88:89], v[92:93] op_sel:[1,1] op_sel_hi:[0,1]
	v_pk_fma_f32 v[96:97], v[88:89], v[92:93], v[94:95] op_sel_hi:[1,0,1]
	v_pk_fma_f32 v[88:89], v[88:89], v[92:93], v[94:95] neg_lo:[0,0,1] neg_hi:[0,0,1]
	s_delay_alu instid0(VALU_DEP_2)
	v_mov_b32_e32 v89, v97
	scratch_store_b64 off, v[88:89], off offset:240
.LBB41_710:
	s_wait_xcnt 0x0
	s_or_b32 exec_lo, exec_lo, s0
	scratch_load_b64 v[88:89], off, off offset:248
	s_mov_b32 s0, exec_lo
	s_wait_loadcnt 0x0
	ds_store_b64 v1, v[88:89]
	s_wait_storecnt_dscnt 0x0
	s_barrier_signal -1
	s_barrier_wait -1
	s_wait_xcnt 0x0
	v_cmpx_gt_u32_e32 31, v0
	s_cbranch_execz .LBB41_720
; %bb.711:
	v_cmp_ne_u32_e32 vcc_lo, 1, v90
	s_cbranch_vccnz .LBB41_713
; %bb.712:
	scratch_load_b64 v[88:89], v39, off
	ds_load_b64 v[92:93], v1
	s_wait_loadcnt_dscnt 0x0
	v_pk_mul_f32 v[94:95], v[92:93], v[88:89] op_sel:[1,1] op_sel_hi:[0,1]
	s_delay_alu instid0(VALU_DEP_1) | instskip(SKIP_1) | instid1(VALU_DEP_2)
	v_pk_fma_f32 v[96:97], v[92:93], v[88:89], v[94:95] op_sel_hi:[1,0,1]
	v_pk_fma_f32 v[88:89], v[92:93], v[88:89], v[94:95] neg_lo:[0,0,1] neg_hi:[0,0,1]
	v_mov_b32_e32 v89, v97
	s_cbranch_execz .LBB41_714
	s_branch .LBB41_715
.LBB41_713:
                                        ; implicit-def: $vgpr88_vgpr89
.LBB41_714:
	ds_load_b64 v[88:89], v1
.LBB41_715:
	s_mov_b32 s2, exec_lo
	v_cmpx_ne_u32_e32 30, v0
	s_cbranch_execz .LBB41_719
; %bb.716:
	v_add_nc_u32_e32 v91, 0x158, v38
	v_add3_u32 v92, 0, v38, 8
	v_mov_b32_e32 v93, v0
	s_mov_b32 s3, 0
.LBB41_717:                             ; =>This Inner Loop Header: Depth=1
	scratch_load_b64 v[94:95], v92, off
	ds_load_b64 v[96:97], v91
	s_wait_xcnt 0x0
	v_dual_add_nc_u32 v91, 8, v91 :: v_dual_add_nc_u32 v92, 8, v92
	s_wait_loadcnt_dscnt 0x0
	v_pk_mul_f32 v[98:99], v[96:97], v[94:95] op_sel:[1,1] op_sel_hi:[0,1]
	s_delay_alu instid0(VALU_DEP_1) | instskip(SKIP_2) | instid1(VALU_DEP_3)
	v_pk_fma_f32 v[100:101], v[96:97], v[94:95], v[98:99] op_sel_hi:[1,0,1]
	v_add_nc_u32_e32 v93, 1, v93
	v_pk_fma_f32 v[94:95], v[96:97], v[94:95], v[98:99] neg_lo:[0,0,1] neg_hi:[0,0,1]
	v_mov_b32_e32 v95, v101
	s_delay_alu instid0(VALU_DEP_3) | instskip(NEXT) | instid1(VALU_DEP_2)
	v_cmp_lt_u32_e32 vcc_lo, 29, v93
	v_pk_add_f32 v[88:89], v[88:89], v[94:95]
	s_or_b32 s3, vcc_lo, s3
	s_delay_alu instid0(SALU_CYCLE_1)
	s_and_not1_b32 exec_lo, exec_lo, s3
	s_cbranch_execnz .LBB41_717
; %bb.718:
	s_or_b32 exec_lo, exec_lo, s3
.LBB41_719:
	s_delay_alu instid0(SALU_CYCLE_1) | instskip(SKIP_4) | instid1(VALU_DEP_1)
	s_or_b32 exec_lo, exec_lo, s2
	v_mov_b32_e32 v91, 0
	ds_load_b64 v[92:93], v91 offset:248
	s_wait_dscnt 0x0
	v_pk_mul_f32 v[94:95], v[88:89], v[92:93] op_sel:[1,1] op_sel_hi:[0,1]
	v_pk_fma_f32 v[96:97], v[88:89], v[92:93], v[94:95] op_sel_hi:[1,0,1]
	v_pk_fma_f32 v[88:89], v[88:89], v[92:93], v[94:95] neg_lo:[0,0,1] neg_hi:[0,0,1]
	s_delay_alu instid0(VALU_DEP_2)
	v_mov_b32_e32 v89, v97
	scratch_store_b64 off, v[88:89], off offset:248
.LBB41_720:
	s_wait_xcnt 0x0
	s_or_b32 exec_lo, exec_lo, s0
	scratch_load_b64 v[88:89], off, off offset:256
	s_mov_b32 s0, exec_lo
	s_wait_loadcnt 0x0
	ds_store_b64 v1, v[88:89]
	s_wait_storecnt_dscnt 0x0
	s_barrier_signal -1
	s_barrier_wait -1
	s_wait_xcnt 0x0
	v_cmpx_gt_u32_e32 32, v0
	s_cbranch_execz .LBB41_730
; %bb.721:
	v_cmp_ne_u32_e32 vcc_lo, 1, v90
	s_cbranch_vccnz .LBB41_723
; %bb.722:
	scratch_load_b64 v[88:89], v39, off
	ds_load_b64 v[92:93], v1
	s_wait_loadcnt_dscnt 0x0
	v_pk_mul_f32 v[94:95], v[92:93], v[88:89] op_sel:[1,1] op_sel_hi:[0,1]
	s_delay_alu instid0(VALU_DEP_1) | instskip(SKIP_1) | instid1(VALU_DEP_2)
	v_pk_fma_f32 v[96:97], v[92:93], v[88:89], v[94:95] op_sel_hi:[1,0,1]
	v_pk_fma_f32 v[88:89], v[92:93], v[88:89], v[94:95] neg_lo:[0,0,1] neg_hi:[0,0,1]
	v_mov_b32_e32 v89, v97
	s_cbranch_execz .LBB41_724
	s_branch .LBB41_725
.LBB41_723:
                                        ; implicit-def: $vgpr88_vgpr89
.LBB41_724:
	ds_load_b64 v[88:89], v1
.LBB41_725:
	s_mov_b32 s2, exec_lo
	v_cmpx_ne_u32_e32 31, v0
	s_cbranch_execz .LBB41_729
; %bb.726:
	v_add_nc_u32_e32 v91, 0x158, v38
	v_add3_u32 v92, 0, v38, 8
	v_mov_b32_e32 v93, v0
	s_mov_b32 s3, 0
.LBB41_727:                             ; =>This Inner Loop Header: Depth=1
	scratch_load_b64 v[94:95], v92, off
	ds_load_b64 v[96:97], v91
	s_wait_xcnt 0x0
	v_dual_add_nc_u32 v91, 8, v91 :: v_dual_add_nc_u32 v92, 8, v92
	s_wait_loadcnt_dscnt 0x0
	v_pk_mul_f32 v[98:99], v[96:97], v[94:95] op_sel:[1,1] op_sel_hi:[0,1]
	s_delay_alu instid0(VALU_DEP_1) | instskip(SKIP_2) | instid1(VALU_DEP_3)
	v_pk_fma_f32 v[100:101], v[96:97], v[94:95], v[98:99] op_sel_hi:[1,0,1]
	v_add_nc_u32_e32 v93, 1, v93
	v_pk_fma_f32 v[94:95], v[96:97], v[94:95], v[98:99] neg_lo:[0,0,1] neg_hi:[0,0,1]
	v_mov_b32_e32 v95, v101
	s_delay_alu instid0(VALU_DEP_3) | instskip(NEXT) | instid1(VALU_DEP_2)
	v_cmp_lt_u32_e32 vcc_lo, 30, v93
	v_pk_add_f32 v[88:89], v[88:89], v[94:95]
	s_or_b32 s3, vcc_lo, s3
	s_delay_alu instid0(SALU_CYCLE_1)
	s_and_not1_b32 exec_lo, exec_lo, s3
	s_cbranch_execnz .LBB41_727
; %bb.728:
	s_or_b32 exec_lo, exec_lo, s3
.LBB41_729:
	s_delay_alu instid0(SALU_CYCLE_1) | instskip(SKIP_4) | instid1(VALU_DEP_1)
	s_or_b32 exec_lo, exec_lo, s2
	v_mov_b32_e32 v91, 0
	ds_load_b64 v[92:93], v91 offset:256
	s_wait_dscnt 0x0
	v_pk_mul_f32 v[94:95], v[88:89], v[92:93] op_sel:[1,1] op_sel_hi:[0,1]
	v_pk_fma_f32 v[96:97], v[88:89], v[92:93], v[94:95] op_sel_hi:[1,0,1]
	v_pk_fma_f32 v[88:89], v[88:89], v[92:93], v[94:95] neg_lo:[0,0,1] neg_hi:[0,0,1]
	s_delay_alu instid0(VALU_DEP_2)
	v_mov_b32_e32 v89, v97
	scratch_store_b64 off, v[88:89], off offset:256
.LBB41_730:
	s_wait_xcnt 0x0
	s_or_b32 exec_lo, exec_lo, s0
	scratch_load_b64 v[88:89], off, off offset:264
	s_mov_b32 s0, exec_lo
	s_wait_loadcnt 0x0
	ds_store_b64 v1, v[88:89]
	s_wait_storecnt_dscnt 0x0
	s_barrier_signal -1
	s_barrier_wait -1
	s_wait_xcnt 0x0
	v_cmpx_gt_u32_e32 33, v0
	s_cbranch_execz .LBB41_740
; %bb.731:
	v_cmp_ne_u32_e32 vcc_lo, 1, v90
	s_cbranch_vccnz .LBB41_733
; %bb.732:
	scratch_load_b64 v[88:89], v39, off
	ds_load_b64 v[92:93], v1
	s_wait_loadcnt_dscnt 0x0
	v_pk_mul_f32 v[94:95], v[92:93], v[88:89] op_sel:[1,1] op_sel_hi:[0,1]
	s_delay_alu instid0(VALU_DEP_1) | instskip(SKIP_1) | instid1(VALU_DEP_2)
	v_pk_fma_f32 v[96:97], v[92:93], v[88:89], v[94:95] op_sel_hi:[1,0,1]
	v_pk_fma_f32 v[88:89], v[92:93], v[88:89], v[94:95] neg_lo:[0,0,1] neg_hi:[0,0,1]
	v_mov_b32_e32 v89, v97
	s_cbranch_execz .LBB41_734
	s_branch .LBB41_735
.LBB41_733:
                                        ; implicit-def: $vgpr88_vgpr89
.LBB41_734:
	ds_load_b64 v[88:89], v1
.LBB41_735:
	s_mov_b32 s2, exec_lo
	v_cmpx_ne_u32_e32 32, v0
	s_cbranch_execz .LBB41_739
; %bb.736:
	v_add_nc_u32_e32 v91, 0x158, v38
	v_add3_u32 v92, 0, v38, 8
	v_mov_b32_e32 v93, v0
	s_mov_b32 s3, 0
.LBB41_737:                             ; =>This Inner Loop Header: Depth=1
	scratch_load_b64 v[94:95], v92, off
	ds_load_b64 v[96:97], v91
	s_wait_xcnt 0x0
	v_dual_add_nc_u32 v91, 8, v91 :: v_dual_add_nc_u32 v92, 8, v92
	s_wait_loadcnt_dscnt 0x0
	v_pk_mul_f32 v[98:99], v[96:97], v[94:95] op_sel:[1,1] op_sel_hi:[0,1]
	s_delay_alu instid0(VALU_DEP_1) | instskip(SKIP_2) | instid1(VALU_DEP_3)
	v_pk_fma_f32 v[100:101], v[96:97], v[94:95], v[98:99] op_sel_hi:[1,0,1]
	v_add_nc_u32_e32 v93, 1, v93
	v_pk_fma_f32 v[94:95], v[96:97], v[94:95], v[98:99] neg_lo:[0,0,1] neg_hi:[0,0,1]
	v_mov_b32_e32 v95, v101
	s_delay_alu instid0(VALU_DEP_3) | instskip(NEXT) | instid1(VALU_DEP_2)
	v_cmp_lt_u32_e32 vcc_lo, 31, v93
	v_pk_add_f32 v[88:89], v[88:89], v[94:95]
	s_or_b32 s3, vcc_lo, s3
	s_delay_alu instid0(SALU_CYCLE_1)
	s_and_not1_b32 exec_lo, exec_lo, s3
	s_cbranch_execnz .LBB41_737
; %bb.738:
	s_or_b32 exec_lo, exec_lo, s3
.LBB41_739:
	s_delay_alu instid0(SALU_CYCLE_1) | instskip(SKIP_4) | instid1(VALU_DEP_1)
	s_or_b32 exec_lo, exec_lo, s2
	v_mov_b32_e32 v91, 0
	ds_load_b64 v[92:93], v91 offset:264
	s_wait_dscnt 0x0
	v_pk_mul_f32 v[94:95], v[88:89], v[92:93] op_sel:[1,1] op_sel_hi:[0,1]
	v_pk_fma_f32 v[96:97], v[88:89], v[92:93], v[94:95] op_sel_hi:[1,0,1]
	v_pk_fma_f32 v[88:89], v[88:89], v[92:93], v[94:95] neg_lo:[0,0,1] neg_hi:[0,0,1]
	s_delay_alu instid0(VALU_DEP_2)
	v_mov_b32_e32 v89, v97
	scratch_store_b64 off, v[88:89], off offset:264
.LBB41_740:
	s_wait_xcnt 0x0
	s_or_b32 exec_lo, exec_lo, s0
	scratch_load_b64 v[88:89], off, off offset:272
	s_mov_b32 s0, exec_lo
	s_wait_loadcnt 0x0
	ds_store_b64 v1, v[88:89]
	s_wait_storecnt_dscnt 0x0
	s_barrier_signal -1
	s_barrier_wait -1
	s_wait_xcnt 0x0
	v_cmpx_gt_u32_e32 34, v0
	s_cbranch_execz .LBB41_750
; %bb.741:
	v_cmp_ne_u32_e32 vcc_lo, 1, v90
	s_cbranch_vccnz .LBB41_743
; %bb.742:
	scratch_load_b64 v[88:89], v39, off
	ds_load_b64 v[92:93], v1
	s_wait_loadcnt_dscnt 0x0
	v_pk_mul_f32 v[94:95], v[92:93], v[88:89] op_sel:[1,1] op_sel_hi:[0,1]
	s_delay_alu instid0(VALU_DEP_1) | instskip(SKIP_1) | instid1(VALU_DEP_2)
	v_pk_fma_f32 v[96:97], v[92:93], v[88:89], v[94:95] op_sel_hi:[1,0,1]
	v_pk_fma_f32 v[88:89], v[92:93], v[88:89], v[94:95] neg_lo:[0,0,1] neg_hi:[0,0,1]
	v_mov_b32_e32 v89, v97
	s_cbranch_execz .LBB41_744
	s_branch .LBB41_745
.LBB41_743:
                                        ; implicit-def: $vgpr88_vgpr89
.LBB41_744:
	ds_load_b64 v[88:89], v1
.LBB41_745:
	s_mov_b32 s2, exec_lo
	v_cmpx_ne_u32_e32 33, v0
	s_cbranch_execz .LBB41_749
; %bb.746:
	v_add_nc_u32_e32 v91, 0x158, v38
	v_add3_u32 v92, 0, v38, 8
	v_mov_b32_e32 v93, v0
	s_mov_b32 s3, 0
.LBB41_747:                             ; =>This Inner Loop Header: Depth=1
	scratch_load_b64 v[94:95], v92, off
	ds_load_b64 v[96:97], v91
	s_wait_xcnt 0x0
	v_dual_add_nc_u32 v91, 8, v91 :: v_dual_add_nc_u32 v92, 8, v92
	s_wait_loadcnt_dscnt 0x0
	v_pk_mul_f32 v[98:99], v[96:97], v[94:95] op_sel:[1,1] op_sel_hi:[0,1]
	s_delay_alu instid0(VALU_DEP_1) | instskip(SKIP_2) | instid1(VALU_DEP_3)
	v_pk_fma_f32 v[100:101], v[96:97], v[94:95], v[98:99] op_sel_hi:[1,0,1]
	v_add_nc_u32_e32 v93, 1, v93
	v_pk_fma_f32 v[94:95], v[96:97], v[94:95], v[98:99] neg_lo:[0,0,1] neg_hi:[0,0,1]
	v_mov_b32_e32 v95, v101
	s_delay_alu instid0(VALU_DEP_3) | instskip(NEXT) | instid1(VALU_DEP_2)
	v_cmp_lt_u32_e32 vcc_lo, 32, v93
	v_pk_add_f32 v[88:89], v[88:89], v[94:95]
	s_or_b32 s3, vcc_lo, s3
	s_delay_alu instid0(SALU_CYCLE_1)
	s_and_not1_b32 exec_lo, exec_lo, s3
	s_cbranch_execnz .LBB41_747
; %bb.748:
	s_or_b32 exec_lo, exec_lo, s3
.LBB41_749:
	s_delay_alu instid0(SALU_CYCLE_1) | instskip(SKIP_4) | instid1(VALU_DEP_1)
	s_or_b32 exec_lo, exec_lo, s2
	v_mov_b32_e32 v91, 0
	ds_load_b64 v[92:93], v91 offset:272
	s_wait_dscnt 0x0
	v_pk_mul_f32 v[94:95], v[88:89], v[92:93] op_sel:[1,1] op_sel_hi:[0,1]
	v_pk_fma_f32 v[96:97], v[88:89], v[92:93], v[94:95] op_sel_hi:[1,0,1]
	v_pk_fma_f32 v[88:89], v[88:89], v[92:93], v[94:95] neg_lo:[0,0,1] neg_hi:[0,0,1]
	s_delay_alu instid0(VALU_DEP_2)
	v_mov_b32_e32 v89, v97
	scratch_store_b64 off, v[88:89], off offset:272
.LBB41_750:
	s_wait_xcnt 0x0
	s_or_b32 exec_lo, exec_lo, s0
	scratch_load_b64 v[88:89], off, off offset:280
	s_mov_b32 s0, exec_lo
	s_wait_loadcnt 0x0
	ds_store_b64 v1, v[88:89]
	s_wait_storecnt_dscnt 0x0
	s_barrier_signal -1
	s_barrier_wait -1
	s_wait_xcnt 0x0
	v_cmpx_gt_u32_e32 35, v0
	s_cbranch_execz .LBB41_760
; %bb.751:
	v_cmp_ne_u32_e32 vcc_lo, 1, v90
	s_cbranch_vccnz .LBB41_753
; %bb.752:
	scratch_load_b64 v[88:89], v39, off
	ds_load_b64 v[92:93], v1
	s_wait_loadcnt_dscnt 0x0
	v_pk_mul_f32 v[94:95], v[92:93], v[88:89] op_sel:[1,1] op_sel_hi:[0,1]
	s_delay_alu instid0(VALU_DEP_1) | instskip(SKIP_1) | instid1(VALU_DEP_2)
	v_pk_fma_f32 v[96:97], v[92:93], v[88:89], v[94:95] op_sel_hi:[1,0,1]
	v_pk_fma_f32 v[88:89], v[92:93], v[88:89], v[94:95] neg_lo:[0,0,1] neg_hi:[0,0,1]
	v_mov_b32_e32 v89, v97
	s_cbranch_execz .LBB41_754
	s_branch .LBB41_755
.LBB41_753:
                                        ; implicit-def: $vgpr88_vgpr89
.LBB41_754:
	ds_load_b64 v[88:89], v1
.LBB41_755:
	s_mov_b32 s2, exec_lo
	v_cmpx_ne_u32_e32 34, v0
	s_cbranch_execz .LBB41_759
; %bb.756:
	v_add_nc_u32_e32 v91, 0x158, v38
	v_add3_u32 v92, 0, v38, 8
	v_mov_b32_e32 v93, v0
	s_mov_b32 s3, 0
.LBB41_757:                             ; =>This Inner Loop Header: Depth=1
	scratch_load_b64 v[94:95], v92, off
	ds_load_b64 v[96:97], v91
	s_wait_xcnt 0x0
	v_dual_add_nc_u32 v91, 8, v91 :: v_dual_add_nc_u32 v92, 8, v92
	s_wait_loadcnt_dscnt 0x0
	v_pk_mul_f32 v[98:99], v[96:97], v[94:95] op_sel:[1,1] op_sel_hi:[0,1]
	s_delay_alu instid0(VALU_DEP_1) | instskip(SKIP_2) | instid1(VALU_DEP_3)
	v_pk_fma_f32 v[100:101], v[96:97], v[94:95], v[98:99] op_sel_hi:[1,0,1]
	v_add_nc_u32_e32 v93, 1, v93
	v_pk_fma_f32 v[94:95], v[96:97], v[94:95], v[98:99] neg_lo:[0,0,1] neg_hi:[0,0,1]
	v_mov_b32_e32 v95, v101
	s_delay_alu instid0(VALU_DEP_3) | instskip(NEXT) | instid1(VALU_DEP_2)
	v_cmp_lt_u32_e32 vcc_lo, 33, v93
	v_pk_add_f32 v[88:89], v[88:89], v[94:95]
	s_or_b32 s3, vcc_lo, s3
	s_delay_alu instid0(SALU_CYCLE_1)
	s_and_not1_b32 exec_lo, exec_lo, s3
	s_cbranch_execnz .LBB41_757
; %bb.758:
	s_or_b32 exec_lo, exec_lo, s3
.LBB41_759:
	s_delay_alu instid0(SALU_CYCLE_1) | instskip(SKIP_4) | instid1(VALU_DEP_1)
	s_or_b32 exec_lo, exec_lo, s2
	v_mov_b32_e32 v91, 0
	ds_load_b64 v[92:93], v91 offset:280
	s_wait_dscnt 0x0
	v_pk_mul_f32 v[94:95], v[88:89], v[92:93] op_sel:[1,1] op_sel_hi:[0,1]
	v_pk_fma_f32 v[96:97], v[88:89], v[92:93], v[94:95] op_sel_hi:[1,0,1]
	v_pk_fma_f32 v[88:89], v[88:89], v[92:93], v[94:95] neg_lo:[0,0,1] neg_hi:[0,0,1]
	s_delay_alu instid0(VALU_DEP_2)
	v_mov_b32_e32 v89, v97
	scratch_store_b64 off, v[88:89], off offset:280
.LBB41_760:
	s_wait_xcnt 0x0
	s_or_b32 exec_lo, exec_lo, s0
	scratch_load_b64 v[88:89], off, off offset:288
	s_mov_b32 s0, exec_lo
	s_wait_loadcnt 0x0
	ds_store_b64 v1, v[88:89]
	s_wait_storecnt_dscnt 0x0
	s_barrier_signal -1
	s_barrier_wait -1
	s_wait_xcnt 0x0
	v_cmpx_gt_u32_e32 36, v0
	s_cbranch_execz .LBB41_770
; %bb.761:
	v_cmp_ne_u32_e32 vcc_lo, 1, v90
	s_cbranch_vccnz .LBB41_763
; %bb.762:
	scratch_load_b64 v[88:89], v39, off
	ds_load_b64 v[92:93], v1
	s_wait_loadcnt_dscnt 0x0
	v_pk_mul_f32 v[94:95], v[92:93], v[88:89] op_sel:[1,1] op_sel_hi:[0,1]
	s_delay_alu instid0(VALU_DEP_1) | instskip(SKIP_1) | instid1(VALU_DEP_2)
	v_pk_fma_f32 v[96:97], v[92:93], v[88:89], v[94:95] op_sel_hi:[1,0,1]
	v_pk_fma_f32 v[88:89], v[92:93], v[88:89], v[94:95] neg_lo:[0,0,1] neg_hi:[0,0,1]
	v_mov_b32_e32 v89, v97
	s_cbranch_execz .LBB41_764
	s_branch .LBB41_765
.LBB41_763:
                                        ; implicit-def: $vgpr88_vgpr89
.LBB41_764:
	ds_load_b64 v[88:89], v1
.LBB41_765:
	s_mov_b32 s2, exec_lo
	v_cmpx_ne_u32_e32 35, v0
	s_cbranch_execz .LBB41_769
; %bb.766:
	v_add_nc_u32_e32 v91, 0x158, v38
	v_add3_u32 v92, 0, v38, 8
	v_mov_b32_e32 v93, v0
	s_mov_b32 s3, 0
.LBB41_767:                             ; =>This Inner Loop Header: Depth=1
	scratch_load_b64 v[94:95], v92, off
	ds_load_b64 v[96:97], v91
	s_wait_xcnt 0x0
	v_dual_add_nc_u32 v91, 8, v91 :: v_dual_add_nc_u32 v92, 8, v92
	s_wait_loadcnt_dscnt 0x0
	v_pk_mul_f32 v[98:99], v[96:97], v[94:95] op_sel:[1,1] op_sel_hi:[0,1]
	s_delay_alu instid0(VALU_DEP_1) | instskip(SKIP_2) | instid1(VALU_DEP_3)
	v_pk_fma_f32 v[100:101], v[96:97], v[94:95], v[98:99] op_sel_hi:[1,0,1]
	v_add_nc_u32_e32 v93, 1, v93
	v_pk_fma_f32 v[94:95], v[96:97], v[94:95], v[98:99] neg_lo:[0,0,1] neg_hi:[0,0,1]
	v_mov_b32_e32 v95, v101
	s_delay_alu instid0(VALU_DEP_3) | instskip(NEXT) | instid1(VALU_DEP_2)
	v_cmp_lt_u32_e32 vcc_lo, 34, v93
	v_pk_add_f32 v[88:89], v[88:89], v[94:95]
	s_or_b32 s3, vcc_lo, s3
	s_delay_alu instid0(SALU_CYCLE_1)
	s_and_not1_b32 exec_lo, exec_lo, s3
	s_cbranch_execnz .LBB41_767
; %bb.768:
	s_or_b32 exec_lo, exec_lo, s3
.LBB41_769:
	s_delay_alu instid0(SALU_CYCLE_1) | instskip(SKIP_4) | instid1(VALU_DEP_1)
	s_or_b32 exec_lo, exec_lo, s2
	v_mov_b32_e32 v91, 0
	ds_load_b64 v[92:93], v91 offset:288
	s_wait_dscnt 0x0
	v_pk_mul_f32 v[94:95], v[88:89], v[92:93] op_sel:[1,1] op_sel_hi:[0,1]
	v_pk_fma_f32 v[96:97], v[88:89], v[92:93], v[94:95] op_sel_hi:[1,0,1]
	v_pk_fma_f32 v[88:89], v[88:89], v[92:93], v[94:95] neg_lo:[0,0,1] neg_hi:[0,0,1]
	s_delay_alu instid0(VALU_DEP_2)
	v_mov_b32_e32 v89, v97
	scratch_store_b64 off, v[88:89], off offset:288
.LBB41_770:
	s_wait_xcnt 0x0
	s_or_b32 exec_lo, exec_lo, s0
	scratch_load_b64 v[88:89], off, off offset:296
	s_mov_b32 s0, exec_lo
	s_wait_loadcnt 0x0
	ds_store_b64 v1, v[88:89]
	s_wait_storecnt_dscnt 0x0
	s_barrier_signal -1
	s_barrier_wait -1
	s_wait_xcnt 0x0
	v_cmpx_gt_u32_e32 37, v0
	s_cbranch_execz .LBB41_780
; %bb.771:
	v_cmp_ne_u32_e32 vcc_lo, 1, v90
	s_cbranch_vccnz .LBB41_773
; %bb.772:
	scratch_load_b64 v[88:89], v39, off
	ds_load_b64 v[92:93], v1
	s_wait_loadcnt_dscnt 0x0
	v_pk_mul_f32 v[94:95], v[92:93], v[88:89] op_sel:[1,1] op_sel_hi:[0,1]
	s_delay_alu instid0(VALU_DEP_1) | instskip(SKIP_1) | instid1(VALU_DEP_2)
	v_pk_fma_f32 v[96:97], v[92:93], v[88:89], v[94:95] op_sel_hi:[1,0,1]
	v_pk_fma_f32 v[88:89], v[92:93], v[88:89], v[94:95] neg_lo:[0,0,1] neg_hi:[0,0,1]
	v_mov_b32_e32 v89, v97
	s_cbranch_execz .LBB41_774
	s_branch .LBB41_775
.LBB41_773:
                                        ; implicit-def: $vgpr88_vgpr89
.LBB41_774:
	ds_load_b64 v[88:89], v1
.LBB41_775:
	s_mov_b32 s2, exec_lo
	v_cmpx_ne_u32_e32 36, v0
	s_cbranch_execz .LBB41_779
; %bb.776:
	v_add_nc_u32_e32 v91, 0x158, v38
	v_add3_u32 v92, 0, v38, 8
	v_mov_b32_e32 v93, v0
	s_mov_b32 s3, 0
.LBB41_777:                             ; =>This Inner Loop Header: Depth=1
	scratch_load_b64 v[94:95], v92, off
	ds_load_b64 v[96:97], v91
	s_wait_xcnt 0x0
	v_dual_add_nc_u32 v91, 8, v91 :: v_dual_add_nc_u32 v92, 8, v92
	s_wait_loadcnt_dscnt 0x0
	v_pk_mul_f32 v[98:99], v[96:97], v[94:95] op_sel:[1,1] op_sel_hi:[0,1]
	s_delay_alu instid0(VALU_DEP_1) | instskip(SKIP_2) | instid1(VALU_DEP_3)
	v_pk_fma_f32 v[100:101], v[96:97], v[94:95], v[98:99] op_sel_hi:[1,0,1]
	v_add_nc_u32_e32 v93, 1, v93
	v_pk_fma_f32 v[94:95], v[96:97], v[94:95], v[98:99] neg_lo:[0,0,1] neg_hi:[0,0,1]
	v_mov_b32_e32 v95, v101
	s_delay_alu instid0(VALU_DEP_3) | instskip(NEXT) | instid1(VALU_DEP_2)
	v_cmp_lt_u32_e32 vcc_lo, 35, v93
	v_pk_add_f32 v[88:89], v[88:89], v[94:95]
	s_or_b32 s3, vcc_lo, s3
	s_delay_alu instid0(SALU_CYCLE_1)
	s_and_not1_b32 exec_lo, exec_lo, s3
	s_cbranch_execnz .LBB41_777
; %bb.778:
	s_or_b32 exec_lo, exec_lo, s3
.LBB41_779:
	s_delay_alu instid0(SALU_CYCLE_1) | instskip(SKIP_4) | instid1(VALU_DEP_1)
	s_or_b32 exec_lo, exec_lo, s2
	v_mov_b32_e32 v91, 0
	ds_load_b64 v[92:93], v91 offset:296
	s_wait_dscnt 0x0
	v_pk_mul_f32 v[94:95], v[88:89], v[92:93] op_sel:[1,1] op_sel_hi:[0,1]
	v_pk_fma_f32 v[96:97], v[88:89], v[92:93], v[94:95] op_sel_hi:[1,0,1]
	v_pk_fma_f32 v[88:89], v[88:89], v[92:93], v[94:95] neg_lo:[0,0,1] neg_hi:[0,0,1]
	s_delay_alu instid0(VALU_DEP_2)
	v_mov_b32_e32 v89, v97
	scratch_store_b64 off, v[88:89], off offset:296
.LBB41_780:
	s_wait_xcnt 0x0
	s_or_b32 exec_lo, exec_lo, s0
	scratch_load_b64 v[88:89], off, off offset:304
	s_mov_b32 s0, exec_lo
	s_wait_loadcnt 0x0
	ds_store_b64 v1, v[88:89]
	s_wait_storecnt_dscnt 0x0
	s_barrier_signal -1
	s_barrier_wait -1
	s_wait_xcnt 0x0
	v_cmpx_gt_u32_e32 38, v0
	s_cbranch_execz .LBB41_790
; %bb.781:
	v_cmp_ne_u32_e32 vcc_lo, 1, v90
	s_cbranch_vccnz .LBB41_783
; %bb.782:
	scratch_load_b64 v[88:89], v39, off
	ds_load_b64 v[92:93], v1
	s_wait_loadcnt_dscnt 0x0
	v_pk_mul_f32 v[94:95], v[92:93], v[88:89] op_sel:[1,1] op_sel_hi:[0,1]
	s_delay_alu instid0(VALU_DEP_1) | instskip(SKIP_1) | instid1(VALU_DEP_2)
	v_pk_fma_f32 v[96:97], v[92:93], v[88:89], v[94:95] op_sel_hi:[1,0,1]
	v_pk_fma_f32 v[88:89], v[92:93], v[88:89], v[94:95] neg_lo:[0,0,1] neg_hi:[0,0,1]
	v_mov_b32_e32 v89, v97
	s_cbranch_execz .LBB41_784
	s_branch .LBB41_785
.LBB41_783:
                                        ; implicit-def: $vgpr88_vgpr89
.LBB41_784:
	ds_load_b64 v[88:89], v1
.LBB41_785:
	s_mov_b32 s2, exec_lo
	v_cmpx_ne_u32_e32 37, v0
	s_cbranch_execz .LBB41_789
; %bb.786:
	v_add_nc_u32_e32 v91, 0x158, v38
	v_add3_u32 v92, 0, v38, 8
	v_mov_b32_e32 v93, v0
	s_mov_b32 s3, 0
.LBB41_787:                             ; =>This Inner Loop Header: Depth=1
	scratch_load_b64 v[94:95], v92, off
	ds_load_b64 v[96:97], v91
	s_wait_xcnt 0x0
	v_dual_add_nc_u32 v91, 8, v91 :: v_dual_add_nc_u32 v92, 8, v92
	s_wait_loadcnt_dscnt 0x0
	v_pk_mul_f32 v[98:99], v[96:97], v[94:95] op_sel:[1,1] op_sel_hi:[0,1]
	s_delay_alu instid0(VALU_DEP_1) | instskip(SKIP_2) | instid1(VALU_DEP_3)
	v_pk_fma_f32 v[100:101], v[96:97], v[94:95], v[98:99] op_sel_hi:[1,0,1]
	v_add_nc_u32_e32 v93, 1, v93
	v_pk_fma_f32 v[94:95], v[96:97], v[94:95], v[98:99] neg_lo:[0,0,1] neg_hi:[0,0,1]
	v_mov_b32_e32 v95, v101
	s_delay_alu instid0(VALU_DEP_3) | instskip(NEXT) | instid1(VALU_DEP_2)
	v_cmp_lt_u32_e32 vcc_lo, 36, v93
	v_pk_add_f32 v[88:89], v[88:89], v[94:95]
	s_or_b32 s3, vcc_lo, s3
	s_delay_alu instid0(SALU_CYCLE_1)
	s_and_not1_b32 exec_lo, exec_lo, s3
	s_cbranch_execnz .LBB41_787
; %bb.788:
	s_or_b32 exec_lo, exec_lo, s3
.LBB41_789:
	s_delay_alu instid0(SALU_CYCLE_1) | instskip(SKIP_4) | instid1(VALU_DEP_1)
	s_or_b32 exec_lo, exec_lo, s2
	v_mov_b32_e32 v91, 0
	ds_load_b64 v[92:93], v91 offset:304
	s_wait_dscnt 0x0
	v_pk_mul_f32 v[94:95], v[88:89], v[92:93] op_sel:[1,1] op_sel_hi:[0,1]
	v_pk_fma_f32 v[96:97], v[88:89], v[92:93], v[94:95] op_sel_hi:[1,0,1]
	v_pk_fma_f32 v[88:89], v[88:89], v[92:93], v[94:95] neg_lo:[0,0,1] neg_hi:[0,0,1]
	s_delay_alu instid0(VALU_DEP_2)
	v_mov_b32_e32 v89, v97
	scratch_store_b64 off, v[88:89], off offset:304
.LBB41_790:
	s_wait_xcnt 0x0
	s_or_b32 exec_lo, exec_lo, s0
	scratch_load_b64 v[88:89], off, off offset:312
	s_mov_b32 s0, exec_lo
	s_wait_loadcnt 0x0
	ds_store_b64 v1, v[88:89]
	s_wait_storecnt_dscnt 0x0
	s_barrier_signal -1
	s_barrier_wait -1
	s_wait_xcnt 0x0
	v_cmpx_gt_u32_e32 39, v0
	s_cbranch_execz .LBB41_800
; %bb.791:
	v_cmp_ne_u32_e32 vcc_lo, 1, v90
	s_cbranch_vccnz .LBB41_793
; %bb.792:
	scratch_load_b64 v[88:89], v39, off
	ds_load_b64 v[92:93], v1
	s_wait_loadcnt_dscnt 0x0
	v_pk_mul_f32 v[94:95], v[92:93], v[88:89] op_sel:[1,1] op_sel_hi:[0,1]
	s_delay_alu instid0(VALU_DEP_1) | instskip(SKIP_1) | instid1(VALU_DEP_2)
	v_pk_fma_f32 v[96:97], v[92:93], v[88:89], v[94:95] op_sel_hi:[1,0,1]
	v_pk_fma_f32 v[88:89], v[92:93], v[88:89], v[94:95] neg_lo:[0,0,1] neg_hi:[0,0,1]
	v_mov_b32_e32 v89, v97
	s_cbranch_execz .LBB41_794
	s_branch .LBB41_795
.LBB41_793:
                                        ; implicit-def: $vgpr88_vgpr89
.LBB41_794:
	ds_load_b64 v[88:89], v1
.LBB41_795:
	s_mov_b32 s2, exec_lo
	v_cmpx_ne_u32_e32 38, v0
	s_cbranch_execz .LBB41_799
; %bb.796:
	v_add_nc_u32_e32 v91, 0x158, v38
	v_add3_u32 v92, 0, v38, 8
	v_mov_b32_e32 v93, v0
	s_mov_b32 s3, 0
.LBB41_797:                             ; =>This Inner Loop Header: Depth=1
	scratch_load_b64 v[94:95], v92, off
	ds_load_b64 v[96:97], v91
	s_wait_xcnt 0x0
	v_dual_add_nc_u32 v91, 8, v91 :: v_dual_add_nc_u32 v92, 8, v92
	s_wait_loadcnt_dscnt 0x0
	v_pk_mul_f32 v[98:99], v[96:97], v[94:95] op_sel:[1,1] op_sel_hi:[0,1]
	s_delay_alu instid0(VALU_DEP_1) | instskip(SKIP_2) | instid1(VALU_DEP_3)
	v_pk_fma_f32 v[100:101], v[96:97], v[94:95], v[98:99] op_sel_hi:[1,0,1]
	v_add_nc_u32_e32 v93, 1, v93
	v_pk_fma_f32 v[94:95], v[96:97], v[94:95], v[98:99] neg_lo:[0,0,1] neg_hi:[0,0,1]
	v_mov_b32_e32 v95, v101
	s_delay_alu instid0(VALU_DEP_3) | instskip(NEXT) | instid1(VALU_DEP_2)
	v_cmp_lt_u32_e32 vcc_lo, 37, v93
	v_pk_add_f32 v[88:89], v[88:89], v[94:95]
	s_or_b32 s3, vcc_lo, s3
	s_delay_alu instid0(SALU_CYCLE_1)
	s_and_not1_b32 exec_lo, exec_lo, s3
	s_cbranch_execnz .LBB41_797
; %bb.798:
	s_or_b32 exec_lo, exec_lo, s3
.LBB41_799:
	s_delay_alu instid0(SALU_CYCLE_1) | instskip(SKIP_4) | instid1(VALU_DEP_1)
	s_or_b32 exec_lo, exec_lo, s2
	v_mov_b32_e32 v91, 0
	ds_load_b64 v[92:93], v91 offset:312
	s_wait_dscnt 0x0
	v_pk_mul_f32 v[94:95], v[88:89], v[92:93] op_sel:[1,1] op_sel_hi:[0,1]
	v_pk_fma_f32 v[96:97], v[88:89], v[92:93], v[94:95] op_sel_hi:[1,0,1]
	v_pk_fma_f32 v[88:89], v[88:89], v[92:93], v[94:95] neg_lo:[0,0,1] neg_hi:[0,0,1]
	s_delay_alu instid0(VALU_DEP_2)
	v_mov_b32_e32 v89, v97
	scratch_store_b64 off, v[88:89], off offset:312
.LBB41_800:
	s_wait_xcnt 0x0
	s_or_b32 exec_lo, exec_lo, s0
	scratch_load_b64 v[88:89], off, off offset:320
	v_cmp_gt_u32_e64 s0, 40, v0
	s_wait_loadcnt 0x0
	ds_store_b64 v1, v[88:89]
	s_wait_storecnt_dscnt 0x0
	s_barrier_signal -1
	s_barrier_wait -1
	s_wait_xcnt 0x0
	s_and_saveexec_b32 s2, s0
	s_cbranch_execz .LBB41_810
; %bb.801:
	v_cmp_ne_u32_e32 vcc_lo, 1, v90
	s_cbranch_vccnz .LBB41_803
; %bb.802:
	scratch_load_b64 v[88:89], v39, off
	ds_load_b64 v[92:93], v1
	s_wait_loadcnt_dscnt 0x0
	v_pk_mul_f32 v[94:95], v[92:93], v[88:89] op_sel:[1,1] op_sel_hi:[0,1]
	s_delay_alu instid0(VALU_DEP_1) | instskip(SKIP_1) | instid1(VALU_DEP_2)
	v_pk_fma_f32 v[96:97], v[92:93], v[88:89], v[94:95] op_sel_hi:[1,0,1]
	v_pk_fma_f32 v[88:89], v[92:93], v[88:89], v[94:95] neg_lo:[0,0,1] neg_hi:[0,0,1]
	v_mov_b32_e32 v89, v97
	s_cbranch_execz .LBB41_804
	s_branch .LBB41_805
.LBB41_803:
                                        ; implicit-def: $vgpr88_vgpr89
.LBB41_804:
	ds_load_b64 v[88:89], v1
.LBB41_805:
	s_mov_b32 s3, exec_lo
	v_cmpx_ne_u32_e32 39, v0
	s_cbranch_execz .LBB41_809
; %bb.806:
	v_add_nc_u32_e32 v91, 0x158, v38
	v_add3_u32 v92, 0, v38, 8
	v_mov_b32_e32 v93, v0
	s_mov_b32 s4, 0
.LBB41_807:                             ; =>This Inner Loop Header: Depth=1
	scratch_load_b64 v[94:95], v92, off
	ds_load_b64 v[96:97], v91
	s_wait_xcnt 0x0
	v_dual_add_nc_u32 v91, 8, v91 :: v_dual_add_nc_u32 v92, 8, v92
	s_wait_loadcnt_dscnt 0x0
	v_pk_mul_f32 v[98:99], v[96:97], v[94:95] op_sel:[1,1] op_sel_hi:[0,1]
	s_delay_alu instid0(VALU_DEP_1) | instskip(SKIP_2) | instid1(VALU_DEP_3)
	v_pk_fma_f32 v[100:101], v[96:97], v[94:95], v[98:99] op_sel_hi:[1,0,1]
	v_add_nc_u32_e32 v93, 1, v93
	v_pk_fma_f32 v[94:95], v[96:97], v[94:95], v[98:99] neg_lo:[0,0,1] neg_hi:[0,0,1]
	v_mov_b32_e32 v95, v101
	s_delay_alu instid0(VALU_DEP_3) | instskip(NEXT) | instid1(VALU_DEP_2)
	v_cmp_lt_u32_e32 vcc_lo, 38, v93
	v_pk_add_f32 v[88:89], v[88:89], v[94:95]
	s_or_b32 s4, vcc_lo, s4
	s_delay_alu instid0(SALU_CYCLE_1)
	s_and_not1_b32 exec_lo, exec_lo, s4
	s_cbranch_execnz .LBB41_807
; %bb.808:
	s_or_b32 exec_lo, exec_lo, s4
.LBB41_809:
	s_delay_alu instid0(SALU_CYCLE_1) | instskip(SKIP_4) | instid1(VALU_DEP_1)
	s_or_b32 exec_lo, exec_lo, s3
	v_mov_b32_e32 v91, 0
	ds_load_b64 v[92:93], v91 offset:320
	s_wait_dscnt 0x0
	v_pk_mul_f32 v[94:95], v[88:89], v[92:93] op_sel:[1,1] op_sel_hi:[0,1]
	v_pk_fma_f32 v[96:97], v[88:89], v[92:93], v[94:95] op_sel_hi:[1,0,1]
	v_pk_fma_f32 v[88:89], v[88:89], v[92:93], v[94:95] neg_lo:[0,0,1] neg_hi:[0,0,1]
	s_delay_alu instid0(VALU_DEP_2)
	v_mov_b32_e32 v89, v97
	scratch_store_b64 off, v[88:89], off offset:320
.LBB41_810:
	s_wait_xcnt 0x0
	s_or_b32 exec_lo, exec_lo, s2
	scratch_load_b64 v[88:89], off, off offset:328
	s_mov_b32 s2, exec_lo
                                        ; implicit-def: $vgpr116
                                        ; implicit-def: $sgpr4
	s_wait_loadcnt 0x0
	ds_store_b64 v1, v[88:89]
	s_wait_storecnt_dscnt 0x0
	s_barrier_signal -1
	s_barrier_wait -1
	s_wait_xcnt 0x0
	v_cmpx_ne_u32_e32 41, v0
	s_cbranch_execz .LBB41_820
; %bb.811:
	v_cmp_ne_u32_e32 vcc_lo, 1, v90
	s_cbranch_vccnz .LBB41_813
; %bb.812:
	scratch_load_b64 v[90:91], v39, off
	ds_load_b64 v[92:93], v1
	s_wait_loadcnt_dscnt 0x0
	v_dual_mul_f32 v39, v93, v91 :: v_dual_mul_f32 v89, v92, v91
	s_delay_alu instid0(VALU_DEP_1)
	v_dual_fma_f32 v88, v92, v90, -v39 :: v_dual_fmac_f32 v89, v93, v90
	s_cbranch_execz .LBB41_814
	s_branch .LBB41_815
.LBB41_813:
                                        ; implicit-def: $vgpr89
.LBB41_814:
	ds_load_b64 v[88:89], v1
.LBB41_815:
	s_and_saveexec_b32 s3, s0
	s_cbranch_execz .LBB41_819
; %bb.816:
	v_add_nc_u32_e32 v1, 0x158, v38
	v_add3_u32 v38, 0, v38, 8
	s_mov_b32 s0, 0
.LBB41_817:                             ; =>This Inner Loop Header: Depth=1
	scratch_load_b64 v[90:91], v38, off
	ds_load_b64 v[92:93], v1
	s_wait_loadcnt_dscnt 0x0
	v_dual_add_nc_u32 v1, 8, v1 :: v_dual_mul_f32 v39, v93, v91
	v_dual_mul_f32 v91, v92, v91 :: v_dual_add_nc_u32 v0, 1, v0
	s_delay_alu instid0(VALU_DEP_2) | instskip(NEXT) | instid1(VALU_DEP_2)
	v_fma_f32 v39, v92, v90, -v39
	v_fmac_f32_e32 v91, v93, v90
	s_delay_alu instid0(VALU_DEP_3) | instskip(NEXT) | instid1(VALU_DEP_3)
	v_cmp_lt_u32_e32 vcc_lo, 39, v0
	v_dual_add_nc_u32 v38, 8, v38 :: v_dual_add_f32 v88, v88, v39
	s_delay_alu instid0(VALU_DEP_3) | instskip(SKIP_1) | instid1(SALU_CYCLE_1)
	v_add_f32_e32 v89, v89, v91
	s_or_b32 s0, vcc_lo, s0
	s_and_not1_b32 exec_lo, exec_lo, s0
	s_cbranch_execnz .LBB41_817
; %bb.818:
	s_or_b32 exec_lo, exec_lo, s0
.LBB41_819:
	s_delay_alu instid0(SALU_CYCLE_1)
	s_or_b32 exec_lo, exec_lo, s3
	v_mov_b32_e32 v0, 0
	s_movk_i32 s4, 0x14c
	s_or_b32 s1, s1, exec_lo
	ds_load_b64 v[0:1], v0 offset:328
	s_wait_dscnt 0x0
	v_dual_mul_f32 v38, v89, v1 :: v_dual_mul_f32 v116, v88, v1
	s_delay_alu instid0(VALU_DEP_1)
	v_dual_fma_f32 v1, v88, v0, -v38 :: v_dual_fmac_f32 v116, v89, v0
	scratch_store_b32 off, v1, off offset:328
.LBB41_820:
	s_wait_xcnt 0x0
	s_or_b32 exec_lo, exec_lo, s2
.LBB41_821:
	v_lshl_add_u64 v[112:113], v[6:7], 3, s[6:7]
	v_lshl_add_u64 v[114:115], v[8:9], 3, s[6:7]
	;; [unrolled: 1-line block ×40, first 2 shown]
	s_and_saveexec_b32 s0, s1
	s_cbranch_execz .LBB41_823
; %bb.822:
	scratch_store_b32 off, v116, s4
.LBB41_823:
	s_wait_xcnt 0x0
	s_or_b32 exec_lo, exec_lo, s0
	s_clause 0x5
	scratch_load_b128 v[56:59], off, off
	scratch_load_b128 v[60:63], off, off offset:16
	scratch_load_b128 v[64:67], off, off offset:32
	;; [unrolled: 1-line block ×5, first 2 shown]
	s_wait_loadcnt 0x5
	s_clause 0x1
	global_store_b64 v[2:3], v[56:57], off
	global_store_b64 v[4:5], v[58:59], off
	s_clause 0x1
	scratch_load_b128 v[2:5], off, off offset:96
	scratch_load_b128 v[56:59], off, off offset:112
	s_wait_loadcnt 0x6
	s_clause 0x1
	global_store_b64 v[112:113], v[60:61], off
	global_store_b64 v[114:115], v[62:63], off
	s_clause 0x1
	scratch_load_b128 v[60:63], off, off offset:128
	scratch_load_b128 v[80:83], off, off offset:144
	;; [unrolled: 7-line block ×7, first 2 shown]
	s_wait_loadcnt 0xc
	s_clause 0x1
	global_store_b64 v[88:89], v[56:57], off
	global_store_b64 v[90:91], v[58:59], off
	scratch_load_b128 v[56:59], off, off offset:320
	s_wait_loadcnt 0xc
	s_clause 0x1
	global_store_b64 v[8:9], v[60:61], off
	global_store_b64 v[10:11], v[62:63], off
	s_wait_loadcnt 0xb
	s_clause 0x1
	global_store_b64 v[12:13], v[80:81], off
	global_store_b64 v[14:15], v[82:83], off
	;; [unrolled: 4-line block ×13, first 2 shown]
.LBB41_824:
	s_sendmsg sendmsg(MSG_DEALLOC_VGPRS)
	s_endpgm
	.section	.rodata,"a",@progbits
	.p2align	6, 0x0
	.amdhsa_kernel _ZN9rocsolver6v33100L18trti2_kernel_smallILi42E19rocblas_complex_numIfEPS3_EEv13rocblas_fill_17rocblas_diagonal_T1_iil
		.amdhsa_group_segment_fixed_size 672
		.amdhsa_private_segment_fixed_size 352
		.amdhsa_kernarg_size 32
		.amdhsa_user_sgpr_count 2
		.amdhsa_user_sgpr_dispatch_ptr 0
		.amdhsa_user_sgpr_queue_ptr 0
		.amdhsa_user_sgpr_kernarg_segment_ptr 1
		.amdhsa_user_sgpr_dispatch_id 0
		.amdhsa_user_sgpr_kernarg_preload_length 0
		.amdhsa_user_sgpr_kernarg_preload_offset 0
		.amdhsa_user_sgpr_private_segment_size 0
		.amdhsa_wavefront_size32 1
		.amdhsa_uses_dynamic_stack 0
		.amdhsa_enable_private_segment 1
		.amdhsa_system_sgpr_workgroup_id_x 1
		.amdhsa_system_sgpr_workgroup_id_y 0
		.amdhsa_system_sgpr_workgroup_id_z 0
		.amdhsa_system_sgpr_workgroup_info 0
		.amdhsa_system_vgpr_workitem_id 0
		.amdhsa_next_free_vgpr 126
		.amdhsa_next_free_sgpr 28
		.amdhsa_named_barrier_count 0
		.amdhsa_reserve_vcc 1
		.amdhsa_float_round_mode_32 0
		.amdhsa_float_round_mode_16_64 0
		.amdhsa_float_denorm_mode_32 3
		.amdhsa_float_denorm_mode_16_64 3
		.amdhsa_fp16_overflow 0
		.amdhsa_memory_ordered 1
		.amdhsa_forward_progress 1
		.amdhsa_inst_pref_size 249
		.amdhsa_round_robin_scheduling 0
		.amdhsa_exception_fp_ieee_invalid_op 0
		.amdhsa_exception_fp_denorm_src 0
		.amdhsa_exception_fp_ieee_div_zero 0
		.amdhsa_exception_fp_ieee_overflow 0
		.amdhsa_exception_fp_ieee_underflow 0
		.amdhsa_exception_fp_ieee_inexact 0
		.amdhsa_exception_int_div_zero 0
	.end_amdhsa_kernel
	.section	.text._ZN9rocsolver6v33100L18trti2_kernel_smallILi42E19rocblas_complex_numIfEPS3_EEv13rocblas_fill_17rocblas_diagonal_T1_iil,"axG",@progbits,_ZN9rocsolver6v33100L18trti2_kernel_smallILi42E19rocblas_complex_numIfEPS3_EEv13rocblas_fill_17rocblas_diagonal_T1_iil,comdat
.Lfunc_end41:
	.size	_ZN9rocsolver6v33100L18trti2_kernel_smallILi42E19rocblas_complex_numIfEPS3_EEv13rocblas_fill_17rocblas_diagonal_T1_iil, .Lfunc_end41-_ZN9rocsolver6v33100L18trti2_kernel_smallILi42E19rocblas_complex_numIfEPS3_EEv13rocblas_fill_17rocblas_diagonal_T1_iil
                                        ; -- End function
	.set _ZN9rocsolver6v33100L18trti2_kernel_smallILi42E19rocblas_complex_numIfEPS3_EEv13rocblas_fill_17rocblas_diagonal_T1_iil.num_vgpr, 126
	.set _ZN9rocsolver6v33100L18trti2_kernel_smallILi42E19rocblas_complex_numIfEPS3_EEv13rocblas_fill_17rocblas_diagonal_T1_iil.num_agpr, 0
	.set _ZN9rocsolver6v33100L18trti2_kernel_smallILi42E19rocblas_complex_numIfEPS3_EEv13rocblas_fill_17rocblas_diagonal_T1_iil.numbered_sgpr, 28
	.set _ZN9rocsolver6v33100L18trti2_kernel_smallILi42E19rocblas_complex_numIfEPS3_EEv13rocblas_fill_17rocblas_diagonal_T1_iil.num_named_barrier, 0
	.set _ZN9rocsolver6v33100L18trti2_kernel_smallILi42E19rocblas_complex_numIfEPS3_EEv13rocblas_fill_17rocblas_diagonal_T1_iil.private_seg_size, 352
	.set _ZN9rocsolver6v33100L18trti2_kernel_smallILi42E19rocblas_complex_numIfEPS3_EEv13rocblas_fill_17rocblas_diagonal_T1_iil.uses_vcc, 1
	.set _ZN9rocsolver6v33100L18trti2_kernel_smallILi42E19rocblas_complex_numIfEPS3_EEv13rocblas_fill_17rocblas_diagonal_T1_iil.uses_flat_scratch, 1
	.set _ZN9rocsolver6v33100L18trti2_kernel_smallILi42E19rocblas_complex_numIfEPS3_EEv13rocblas_fill_17rocblas_diagonal_T1_iil.has_dyn_sized_stack, 0
	.set _ZN9rocsolver6v33100L18trti2_kernel_smallILi42E19rocblas_complex_numIfEPS3_EEv13rocblas_fill_17rocblas_diagonal_T1_iil.has_recursion, 0
	.set _ZN9rocsolver6v33100L18trti2_kernel_smallILi42E19rocblas_complex_numIfEPS3_EEv13rocblas_fill_17rocblas_diagonal_T1_iil.has_indirect_call, 0
	.section	.AMDGPU.csdata,"",@progbits
; Kernel info:
; codeLenInByte = 31796
; TotalNumSgprs: 30
; NumVgprs: 126
; ScratchSize: 352
; MemoryBound: 0
; FloatMode: 240
; IeeeMode: 1
; LDSByteSize: 672 bytes/workgroup (compile time only)
; SGPRBlocks: 0
; VGPRBlocks: 7
; NumSGPRsForWavesPerEU: 30
; NumVGPRsForWavesPerEU: 126
; NamedBarCnt: 0
; Occupancy: 8
; WaveLimiterHint : 0
; COMPUTE_PGM_RSRC2:SCRATCH_EN: 1
; COMPUTE_PGM_RSRC2:USER_SGPR: 2
; COMPUTE_PGM_RSRC2:TRAP_HANDLER: 0
; COMPUTE_PGM_RSRC2:TGID_X_EN: 1
; COMPUTE_PGM_RSRC2:TGID_Y_EN: 0
; COMPUTE_PGM_RSRC2:TGID_Z_EN: 0
; COMPUTE_PGM_RSRC2:TIDIG_COMP_CNT: 0
	.section	.text._ZN9rocsolver6v33100L18trti2_kernel_smallILi43E19rocblas_complex_numIfEPS3_EEv13rocblas_fill_17rocblas_diagonal_T1_iil,"axG",@progbits,_ZN9rocsolver6v33100L18trti2_kernel_smallILi43E19rocblas_complex_numIfEPS3_EEv13rocblas_fill_17rocblas_diagonal_T1_iil,comdat
	.globl	_ZN9rocsolver6v33100L18trti2_kernel_smallILi43E19rocblas_complex_numIfEPS3_EEv13rocblas_fill_17rocblas_diagonal_T1_iil ; -- Begin function _ZN9rocsolver6v33100L18trti2_kernel_smallILi43E19rocblas_complex_numIfEPS3_EEv13rocblas_fill_17rocblas_diagonal_T1_iil
	.p2align	8
	.type	_ZN9rocsolver6v33100L18trti2_kernel_smallILi43E19rocblas_complex_numIfEPS3_EEv13rocblas_fill_17rocblas_diagonal_T1_iil,@function
_ZN9rocsolver6v33100L18trti2_kernel_smallILi43E19rocblas_complex_numIfEPS3_EEv13rocblas_fill_17rocblas_diagonal_T1_iil: ; @_ZN9rocsolver6v33100L18trti2_kernel_smallILi43E19rocblas_complex_numIfEPS3_EEv13rocblas_fill_17rocblas_diagonal_T1_iil
; %bb.0:
	s_mov_b32 s2, exec_lo
	v_cmpx_gt_u32_e32 43, v0
	s_cbranch_execz .LBB42_844
; %bb.1:
	s_load_b256 s[4:11], s[0:1], 0x0
	s_wait_xcnt 0x0
	s_bfe_u32 s0, ttmp6, 0x4000c
	s_and_b32 s1, ttmp6, 15
	s_add_co_i32 s0, s0, 1
	s_getreg_b32 s2, hwreg(HW_REG_IB_STS2, 6, 4)
	s_mul_i32 s0, ttmp9, s0
	v_mov_b32_e32 v41, 0
	s_add_co_i32 s0, s1, s0
	v_lshlrev_b32_e32 v40, 3, v0
	s_wait_kmcnt 0x0
	v_add3_u32 v6, s9, s9, v0
	s_ashr_i32 s1, s8, 31
	s_cmp_eq_u32 s2, 0
	s_cselect_b32 s2, ttmp9, s0
	s_delay_alu instid0(VALU_DEP_1)
	v_add_nc_u32_e32 v8, s9, v6
	s_ashr_i32 s3, s2, 31
	s_mov_b32 s0, s8
	s_mul_u64 s[2:3], s[10:11], s[2:3]
	s_lshl_b64 s[0:1], s[0:1], 3
	v_add_nc_u32_e32 v10, s9, v8
	s_lshl_b64 s[2:3], s[2:3], 3
	s_delay_alu instid0(SALU_CYCLE_1) | instskip(NEXT) | instid1(VALU_DEP_1)
	s_add_nc_u64 s[2:3], s[6:7], s[2:3]
	v_add_nc_u32_e32 v12, s9, v10
	s_add_nc_u64 s[6:7], s[2:3], s[0:1]
	s_mov_b32 s0, s9
	s_ashr_i32 s1, s9, 31
	s_cmp_lg_u32 s5, 0x84
	v_add_nc_u32_e32 v14, s9, v12
	v_add_nc_u64_e32 v[2:3], s[6:7], v[40:41]
	s_cselect_b32 s3, -1, 0
	s_delay_alu instid0(SALU_CYCLE_1) | instskip(NEXT) | instid1(VALU_DEP_2)
	s_and_b32 vcc_lo, exec_lo, s3
	v_add_nc_u32_e32 v16, s9, v14
	s_delay_alu instid0(VALU_DEP_2) | instskip(SKIP_1) | instid1(VALU_DEP_2)
	v_lshl_add_u64 v[4:5], s[0:1], 3, v[2:3]
	s_mov_b32 s0, -1
	v_add_nc_u32_e32 v18, s9, v16
	s_clause 0x3
	global_load_b64 v[64:65], v0, s[6:7] scale_offset
	global_load_b64 v[66:67], v[4:5], off
	global_load_b64 v[68:69], v6, s[6:7] scale_offset
	global_load_b64 v[70:71], v8, s[6:7] scale_offset
	v_add_nc_u32_e32 v20, s9, v18
	s_delay_alu instid0(VALU_DEP_1)
	v_add_nc_u32_e32 v22, s9, v20
	s_clause 0x3
	global_load_b64 v[72:73], v10, s[6:7] scale_offset
	global_load_b64 v[74:75], v12, s[6:7] scale_offset
	;; [unrolled: 1-line block ×4, first 2 shown]
	v_add_nc_u32_e32 v24, s9, v22
	s_delay_alu instid0(VALU_DEP_1)
	v_add_nc_u32_e32 v26, s9, v24
	s_clause 0x3
	global_load_b64 v[80:81], v18, s[6:7] scale_offset
	global_load_b64 v[82:83], v20, s[6:7] scale_offset
	;; [unrolled: 1-line block ×4, first 2 shown]
	v_add_nc_u32_e32 v28, s9, v26
	s_delay_alu instid0(VALU_DEP_1) | instskip(NEXT) | instid1(VALU_DEP_1)
	v_add_nc_u32_e32 v30, s9, v28
	v_add_nc_u32_e32 v32, s9, v30
	s_delay_alu instid0(VALU_DEP_1) | instskip(SKIP_4) | instid1(VALU_DEP_1)
	v_add_nc_u32_e32 v34, s9, v32
	s_clause 0x1
	global_load_b64 v[88:89], v26, s[6:7] scale_offset
	global_load_b64 v[90:91], v28, s[6:7] scale_offset
	v_add_nc_u32_e32 v36, s9, v34
	v_add_nc_u32_e32 v38, s9, v36
	s_clause 0x3
	global_load_b64 v[92:93], v30, s[6:7] scale_offset
	global_load_b64 v[94:95], v32, s[6:7] scale_offset
	;; [unrolled: 1-line block ×4, first 2 shown]
	v_add_nc_u32_e32 v42, s9, v38
	s_delay_alu instid0(VALU_DEP_1) | instskip(NEXT) | instid1(VALU_DEP_1)
	v_add_nc_u32_e32 v44, s9, v42
	v_add_nc_u32_e32 v46, s9, v44
	s_clause 0x1
	global_load_b64 v[100:101], v38, s[6:7] scale_offset
	global_load_b64 v[102:103], v42, s[6:7] scale_offset
	v_add_nc_u32_e32 v48, s9, v46
	s_delay_alu instid0(VALU_DEP_1) | instskip(SKIP_4) | instid1(VALU_DEP_1)
	v_add_nc_u32_e32 v50, s9, v48
	s_clause 0x1
	global_load_b64 v[104:105], v44, s[6:7] scale_offset
	global_load_b64 v[106:107], v46, s[6:7] scale_offset
	v_add_nc_u32_e32 v52, s9, v50
	v_add_nc_u32_e32 v54, s9, v52
	s_delay_alu instid0(VALU_DEP_1) | instskip(NEXT) | instid1(VALU_DEP_1)
	v_add_nc_u32_e32 v56, s9, v54
	v_add_nc_u32_e32 v58, s9, v56
	s_delay_alu instid0(VALU_DEP_1) | instskip(NEXT) | instid1(VALU_DEP_1)
	v_add_nc_u32_e32 v60, s9, v58
	v_add_nc_u32_e32 v62, s9, v60
	s_wait_loadcnt 0x14
	scratch_store_b128 off, v[64:67], off
	s_wait_xcnt 0x0
	v_add_nc_u32_e32 v64, s9, v62
	s_wait_loadcnt 0x12
	scratch_store_b128 off, v[68:71], off offset:16
	s_clause 0x1
	global_load_b64 v[108:109], v48, s[6:7] scale_offset
	global_load_b64 v[110:111], v50, s[6:7] scale_offset
	s_wait_loadcnt 0x12
	scratch_store_b128 off, v[72:75], off offset:32
	s_wait_loadcnt 0x10
	scratch_store_b128 off, v[76:79], off offset:48
	v_add_nc_u32_e32 v66, s9, v64
	s_clause 0x3
	global_load_b64 v[112:113], v52, s[6:7] scale_offset
	global_load_b64 v[114:115], v54, s[6:7] scale_offset
	;; [unrolled: 1-line block ×4, first 2 shown]
	s_wait_xcnt 0x8
	v_add_nc_u32_e32 v68, s9, v66
	s_wait_loadcnt 0x12
	scratch_store_b128 off, v[80:83], off offset:64
	s_wait_loadcnt 0x10
	scratch_store_b128 off, v[84:87], off offset:80
	;; [unrolled: 2-line block ×3, first 2 shown]
	v_add_nc_u32_e32 v70, s9, v68
	s_clause 0x3
	global_load_b64 v[120:121], v60, s[6:7] scale_offset
	global_load_b64 v[122:123], v62, s[6:7] scale_offset
	;; [unrolled: 1-line block ×4, first 2 shown]
	s_wait_xcnt 0xc
	v_add_nc_u32_e32 v72, s9, v70
	s_wait_loadcnt 0x10
	scratch_store_b128 off, v[92:95], off offset:112
	v_add_nc_u32_e32 v74, s9, v72
	s_clause 0x1
	global_load_b64 v[90:91], v68, s[6:7] scale_offset
	global_load_b64 v[92:93], v70, s[6:7] scale_offset
	s_wait_loadcnt 0x10
	scratch_store_b128 off, v[96:99], off offset:128
	v_add_nc_u32_e32 v76, s9, v74
	s_delay_alu instid0(VALU_DEP_1) | instskip(SKIP_3) | instid1(VALU_DEP_1)
	v_add_nc_u32_e32 v78, s9, v76
	s_wait_loadcnt 0xe
	scratch_store_b128 off, v[100:103], off offset:144
	v_add_nc_u32_e32 v80, s9, v78
	v_add_nc_u32_e32 v82, s9, v80
	s_wait_loadcnt 0xc
	scratch_store_b128 off, v[104:107], off offset:160
	v_add_nc_u32_e32 v84, s9, v82
	s_delay_alu instid0(VALU_DEP_1) | instskip(NEXT) | instid1(VALU_DEP_1)
	v_add_nc_u32_e32 v86, s9, v84
	v_add_nc_u32_e32 v88, s9, v86
	s_wait_loadcnt 0xa
	scratch_store_b128 off, v[108:111], off offset:176
	s_wait_loadcnt 0x8
	scratch_store_b128 off, v[112:115], off offset:192
	s_clause 0x1
	global_load_b64 v[94:95], v72, s[6:7] scale_offset
	global_load_b64 v[96:97], v74, s[6:7] scale_offset
	s_wait_loadcnt 0x8
	scratch_store_b128 off, v[116:119], off offset:208
	s_wait_loadcnt 0x6
	scratch_store_b128 off, v[120:123], off offset:224
	;; [unrolled: 2-line block ×3, first 2 shown]
	s_clause 0x3
	global_load_b64 v[98:99], v76, s[6:7] scale_offset
	global_load_b64 v[100:101], v78, s[6:7] scale_offset
	global_load_b64 v[102:103], v80, s[6:7] scale_offset
	global_load_b64 v[104:105], v82, s[6:7] scale_offset
	s_wait_loadcnt 0x6
	scratch_store_b128 off, v[90:93], off offset:256
	s_clause 0x2
	global_load_b64 v[90:91], v84, s[6:7] scale_offset
	global_load_b64 v[92:93], v86, s[6:7] scale_offset
	;; [unrolled: 1-line block ×3, first 2 shown]
	s_wait_loadcnt 0x7
	scratch_store_b128 off, v[94:97], off offset:272
	s_wait_loadcnt 0x5
	scratch_store_b128 off, v[98:101], off offset:288
	;; [unrolled: 2-line block ×4, first 2 shown]
	s_wait_loadcnt 0x0
	scratch_store_b64 off, v[106:107], off offset:336
	s_cbranch_vccz .LBB42_7
; %bb.2:
	scratch_load_b64 v[90:91], v0, off scale_offset
                                        ; implicit-def: $vgpr95
                                        ; implicit-def: $vgpr92
	s_wait_loadcnt 0x0
	v_cmp_ngt_f32_e64 s0, |v90|, |v91|
	s_wait_xcnt 0x0
	s_and_saveexec_b32 s1, s0
	s_delay_alu instid0(SALU_CYCLE_1)
	s_xor_b32 s0, exec_lo, s1
	s_cbranch_execz .LBB42_4
; %bb.3:
	v_div_scale_f32 v1, null, v91, v91, v90
	v_div_scale_f32 v11, vcc_lo, v90, v91, v90
	s_delay_alu instid0(VALU_DEP_2) | instskip(SKIP_1) | instid1(TRANS32_DEP_1)
	v_rcp_f32_e32 v7, v1
	v_nop
	v_fma_f32 v9, -v1, v7, 1.0
	s_delay_alu instid0(VALU_DEP_1) | instskip(NEXT) | instid1(VALU_DEP_1)
	v_fmac_f32_e32 v7, v9, v7
	v_mul_f32_e32 v9, v11, v7
	s_delay_alu instid0(VALU_DEP_1) | instskip(NEXT) | instid1(VALU_DEP_1)
	v_fma_f32 v13, -v1, v9, v11
	v_fmac_f32_e32 v9, v13, v7
	s_delay_alu instid0(VALU_DEP_1) | instskip(NEXT) | instid1(VALU_DEP_1)
	v_fma_f32 v1, -v1, v9, v11
	v_div_fmas_f32 v1, v1, v7, v9
	s_delay_alu instid0(VALU_DEP_1) | instskip(NEXT) | instid1(VALU_DEP_1)
	v_div_fixup_f32 v1, v1, v91, v90
	v_fmac_f32_e32 v91, v90, v1
	s_delay_alu instid0(VALU_DEP_1) | instskip(NEXT) | instid1(VALU_DEP_1)
	v_div_scale_f32 v7, null, v91, v91, -1.0
	v_rcp_f32_e32 v9, v7
	v_nop
	s_delay_alu instid0(TRANS32_DEP_1) | instskip(NEXT) | instid1(VALU_DEP_1)
	v_fma_f32 v11, -v7, v9, 1.0
	v_fmac_f32_e32 v9, v11, v9
	v_div_scale_f32 v11, vcc_lo, -1.0, v91, -1.0
	s_delay_alu instid0(VALU_DEP_1) | instskip(NEXT) | instid1(VALU_DEP_1)
	v_mul_f32_e32 v13, v11, v9
	v_fma_f32 v15, -v7, v13, v11
	s_delay_alu instid0(VALU_DEP_1) | instskip(NEXT) | instid1(VALU_DEP_1)
	v_fmac_f32_e32 v13, v15, v9
	v_fma_f32 v7, -v7, v13, v11
	s_delay_alu instid0(VALU_DEP_1) | instskip(NEXT) | instid1(VALU_DEP_1)
	v_div_fmas_f32 v7, v7, v9, v13
	v_div_fixup_f32 v95, v7, v91, -1.0
                                        ; implicit-def: $vgpr90_vgpr91
	s_delay_alu instid0(VALU_DEP_1) | instskip(NEXT) | instid1(VALU_DEP_1)
	v_mul_f32_e32 v92, v1, v95
	v_xor_b32_e32 v94, 0x80000000, v92
.LBB42_4:
	s_or_saveexec_b32 s0, s0
	v_lshl_add_u32 v1, v0, 3, 0
	s_xor_b32 exec_lo, exec_lo, s0
	s_cbranch_execz .LBB42_6
; %bb.5:
	v_div_scale_f32 v7, null, v90, v90, v91
	v_div_scale_f32 v13, vcc_lo, v91, v90, v91
	s_delay_alu instid0(VALU_DEP_2) | instskip(SKIP_1) | instid1(TRANS32_DEP_1)
	v_rcp_f32_e32 v9, v7
	v_nop
	v_fma_f32 v11, -v7, v9, 1.0
	s_delay_alu instid0(VALU_DEP_1) | instskip(NEXT) | instid1(VALU_DEP_1)
	v_fmac_f32_e32 v9, v11, v9
	v_mul_f32_e32 v11, v13, v9
	s_delay_alu instid0(VALU_DEP_1) | instskip(NEXT) | instid1(VALU_DEP_1)
	v_fma_f32 v15, -v7, v11, v13
	v_fmac_f32_e32 v11, v15, v9
	s_delay_alu instid0(VALU_DEP_1) | instskip(NEXT) | instid1(VALU_DEP_1)
	v_fma_f32 v7, -v7, v11, v13
	v_div_fmas_f32 v7, v7, v9, v11
	s_delay_alu instid0(VALU_DEP_1) | instskip(NEXT) | instid1(VALU_DEP_1)
	v_div_fixup_f32 v7, v7, v90, v91
	v_fmac_f32_e32 v90, v91, v7
	s_delay_alu instid0(VALU_DEP_1) | instskip(SKIP_1) | instid1(VALU_DEP_2)
	v_div_scale_f32 v9, null, v90, v90, 1.0
	v_div_scale_f32 v15, vcc_lo, 1.0, v90, 1.0
	v_rcp_f32_e32 v11, v9
	v_nop
	s_delay_alu instid0(TRANS32_DEP_1) | instskip(NEXT) | instid1(VALU_DEP_1)
	v_fma_f32 v13, -v9, v11, 1.0
	v_fmac_f32_e32 v11, v13, v11
	s_delay_alu instid0(VALU_DEP_1) | instskip(NEXT) | instid1(VALU_DEP_1)
	v_mul_f32_e32 v13, v15, v11
	v_fma_f32 v17, -v9, v13, v15
	s_delay_alu instid0(VALU_DEP_1) | instskip(NEXT) | instid1(VALU_DEP_1)
	v_fmac_f32_e32 v13, v17, v11
	v_fma_f32 v9, -v9, v13, v15
	s_delay_alu instid0(VALU_DEP_1) | instskip(NEXT) | instid1(VALU_DEP_1)
	v_div_fmas_f32 v9, v9, v11, v13
	v_div_fixup_f32 v94, v9, v90, 1.0
	s_delay_alu instid0(VALU_DEP_1)
	v_xor_b32_e32 v92, 0x80000000, v94
	v_mul_f32_e64 v95, v7, -v94
.LBB42_6:
	s_or_b32 exec_lo, exec_lo, s0
	s_delay_alu instid0(VALU_DEP_1)
	v_xor_b32_e32 v93, 0x80000000, v95
	s_mov_b32 s0, 0
	scratch_store_b64 v1, v[94:95], off
	ds_store_b64 v40, v[92:93]
.LBB42_7:
	s_and_b32 vcc_lo, exec_lo, s0
	s_cbranch_vccz .LBB42_9
; %bb.8:
	s_mov_b64 s[0:1], 0xbf800000
	s_wait_xcnt 0x1
	v_mov_b64_e32 v[90:91], s[0:1]
	ds_store_b64 v40, v[90:91]
.LBB42_9:
	v_dual_ashrrev_i32 v7, 31, v6 :: v_dual_ashrrev_i32 v9, 31, v8
	v_dual_ashrrev_i32 v11, 31, v10 :: v_dual_ashrrev_i32 v13, 31, v12
	v_dual_ashrrev_i32 v15, 31, v14 :: v_dual_ashrrev_i32 v17, 31, v16
	v_dual_ashrrev_i32 v19, 31, v18 :: v_dual_ashrrev_i32 v21, 31, v20
	v_dual_ashrrev_i32 v23, 31, v22 :: v_dual_ashrrev_i32 v25, 31, v24
	v_dual_ashrrev_i32 v27, 31, v26 :: v_dual_ashrrev_i32 v29, 31, v28
	v_dual_ashrrev_i32 v31, 31, v30 :: v_dual_ashrrev_i32 v33, 31, v32
	v_dual_ashrrev_i32 v35, 31, v34 :: v_dual_ashrrev_i32 v37, 31, v36
	v_dual_ashrrev_i32 v39, 31, v38 :: v_dual_ashrrev_i32 v45, 31, v44
	v_dual_ashrrev_i32 v43, 31, v42 :: v_dual_ashrrev_i32 v49, 31, v48
	v_dual_ashrrev_i32 v47, 31, v46 :: v_dual_ashrrev_i32 v53, 31, v52
	v_dual_ashrrev_i32 v51, 31, v50 :: v_dual_ashrrev_i32 v57, 31, v56
	v_dual_ashrrev_i32 v55, 31, v54 :: v_dual_ashrrev_i32 v61, 31, v60
	v_dual_ashrrev_i32 v59, 31, v58 :: v_dual_ashrrev_i32 v65, 31, v64
	v_dual_ashrrev_i32 v63, 31, v62 :: v_dual_ashrrev_i32 v69, 31, v68
	v_dual_ashrrev_i32 v67, 31, v66 :: v_dual_ashrrev_i32 v73, 31, v72
	v_dual_ashrrev_i32 v71, 31, v70 :: v_dual_ashrrev_i32 v77, 31, v76
	v_dual_ashrrev_i32 v75, 31, v74 :: v_dual_ashrrev_i32 v81, 31, v80
	v_dual_ashrrev_i32 v79, 31, v78 :: v_dual_ashrrev_i32 v85, 31, v84
	v_dual_ashrrev_i32 v83, 31, v82 :: v_dual_ashrrev_i32 v89, 31, v88
	v_dual_ashrrev_i32 v87, 31, v86 :: v_dual_mov_b32 v41, v40
	s_wait_xcnt 0x0
	v_add_nc_u32_e32 v1, 0x160, v40
	s_cmp_eq_u32 s4, 0x79
	s_cbranch_scc1 .LBB42_13
; %bb.10:
	scratch_load_b64 v[90:91], off, off offset:328
	v_cmp_eq_u32_e64 s0, 42, v0
	s_movk_i32 s1, 0x50
	s_movk_i32 s2, 0x60
	;; [unrolled: 1-line block ×16, first 2 shown]
	s_wait_loadcnt 0x0
	ds_store_b64 v1, v[90:91]
	s_wait_storecnt_dscnt 0x0
	s_barrier_signal -1
	s_barrier_wait -1
	s_wait_xcnt 0x0
	s_and_saveexec_b32 s4, s0
	s_cbranch_execz .LBB42_17
; %bb.11:
	s_and_b32 vcc_lo, exec_lo, s3
	s_cbranch_vccz .LBB42_14
; %bb.12:
	scratch_load_b64 v[90:91], v41, off
	ds_load_b64 v[92:93], v1
	s_wait_loadcnt_dscnt 0x0
	v_pk_mul_f32 v[94:95], v[92:93], v[90:91] op_sel:[1,1] op_sel_hi:[0,1]
	v_pk_mul_f32 v[96:97], v[92:93], v[90:91] op_sel_hi:[1,0]
	s_delay_alu instid0(VALU_DEP_2) | instskip(NEXT) | instid1(VALU_DEP_2)
	v_pk_fma_f32 v[90:91], v[92:93], v[90:91], v[94:95] op_sel_hi:[1,0,1]
	v_sub_f32_e32 v90, v96, v94
	s_cbranch_execz .LBB42_15
	s_branch .LBB42_16
.LBB42_13:
	s_mov_b32 s1, 0
                                        ; implicit-def: $vgpr118
                                        ; implicit-def: $sgpr4
	s_cbranch_execnz .LBB42_426
	s_branch .LBB42_841
.LBB42_14:
                                        ; implicit-def: $vgpr91
.LBB42_15:
	ds_load_b64 v[90:91], v1
.LBB42_16:
	s_wait_dscnt 0x0
	v_dual_mov_b32 v92, 0 :: v_dual_mov_b32 v94, v91
	v_mov_b32_e32 v95, v90
	ds_load_b64 v[92:93], v92 offset:328
	s_wait_dscnt 0x0
	v_pk_mul_f32 v[94:95], v[94:95], v[92:93] op_sel:[0,1]
	s_delay_alu instid0(VALU_DEP_1) | instskip(SKIP_1) | instid1(VALU_DEP_2)
	v_pk_fma_f32 v[96:97], v[90:91], v[92:93], v[94:95] op_sel_hi:[1,0,1]
	v_pk_fma_f32 v[90:91], v[90:91], v[92:93], v[94:95] neg_lo:[0,0,1] neg_hi:[0,0,1]
	v_mov_b32_e32 v91, v97
	scratch_store_b64 off, v[90:91], off offset:328
.LBB42_17:
	s_wait_xcnt 0x0
	s_or_b32 exec_lo, exec_lo, s4
	scratch_load_b64 v[90:91], off, off offset:320
	s_mov_b32 s11, s2
	v_cmp_lt_u32_e64 s2, 40, v0
	s_mov_b32 s4, 16
	s_mov_b32 s5, 32
	s_mov_b32 s8, 48
	s_mov_b32 s9, 64
	s_mov_b32 s10, s1
	s_wait_loadcnt 0x0
	ds_store_b64 v1, v[90:91]
	s_wait_storecnt_dscnt 0x0
	s_barrier_signal -1
	s_barrier_wait -1
	s_wait_xcnt 0x0
	s_and_saveexec_b32 s1, s2
	s_cbranch_execz .LBB42_25
; %bb.18:
	s_and_not1_b32 vcc_lo, exec_lo, s3
	s_cbranch_vccnz .LBB42_20
; %bb.19:
	scratch_load_b64 v[90:91], v41, off
	ds_load_b64 v[92:93], v1
	s_wait_loadcnt_dscnt 0x0
	v_pk_mul_f32 v[94:95], v[92:93], v[90:91] op_sel:[1,1] op_sel_hi:[0,1]
	s_delay_alu instid0(VALU_DEP_1) | instskip(SKIP_1) | instid1(VALU_DEP_2)
	v_pk_fma_f32 v[96:97], v[92:93], v[90:91], v[94:95] op_sel_hi:[1,0,1]
	v_pk_fma_f32 v[90:91], v[92:93], v[90:91], v[94:95] neg_lo:[0,0,1] neg_hi:[0,0,1]
	v_mov_b32_e32 v91, v97
	s_cbranch_execz .LBB42_21
	s_branch .LBB42_22
.LBB42_20:
                                        ; implicit-def: $vgpr90_vgpr91
.LBB42_21:
	ds_load_b64 v[90:91], v1
.LBB42_22:
	s_and_saveexec_b32 s26, s0
	s_cbranch_execz .LBB42_24
; %bb.23:
	scratch_load_b64 v[92:93], off, off offset:328
	v_mov_b32_e32 v94, 0
	ds_load_b64 v[94:95], v94 offset:680
	s_wait_loadcnt_dscnt 0x0
	v_pk_mul_f32 v[96:97], v[94:95], v[92:93] op_sel:[1,1] op_sel_hi:[0,1]
	s_delay_alu instid0(VALU_DEP_1) | instskip(SKIP_1) | instid1(VALU_DEP_2)
	v_pk_fma_f32 v[98:99], v[94:95], v[92:93], v[96:97] op_sel_hi:[1,0,1]
	v_pk_fma_f32 v[92:93], v[94:95], v[92:93], v[96:97] neg_lo:[0,0,1] neg_hi:[0,0,1]
	v_mov_b32_e32 v93, v99
	s_delay_alu instid0(VALU_DEP_1)
	v_pk_add_f32 v[90:91], v[90:91], v[92:93]
.LBB42_24:
	s_or_b32 exec_lo, exec_lo, s26
	v_mov_b32_e32 v92, 0
	ds_load_b64 v[92:93], v92 offset:320
	s_wait_dscnt 0x0
	v_pk_mul_f32 v[94:95], v[90:91], v[92:93] op_sel:[1,1] op_sel_hi:[0,1]
	s_delay_alu instid0(VALU_DEP_1) | instskip(SKIP_1) | instid1(VALU_DEP_2)
	v_pk_fma_f32 v[96:97], v[90:91], v[92:93], v[94:95] op_sel_hi:[1,0,1]
	v_pk_fma_f32 v[90:91], v[90:91], v[92:93], v[94:95] neg_lo:[0,0,1] neg_hi:[0,0,1]
	v_mov_b32_e32 v91, v97
	scratch_store_b64 off, v[90:91], off offset:320
.LBB42_25:
	s_wait_xcnt 0x0
	s_or_b32 exec_lo, exec_lo, s1
	scratch_load_b64 v[90:91], off, off offset:312
	v_cmp_lt_u32_e64 s1, 39, v0
	s_wait_loadcnt 0x0
	ds_store_b64 v1, v[90:91]
	s_wait_storecnt_dscnt 0x0
	s_barrier_signal -1
	s_barrier_wait -1
	s_wait_xcnt 0x0
	s_and_saveexec_b32 s0, s1
	s_cbranch_execz .LBB42_35
; %bb.26:
	s_and_not1_b32 vcc_lo, exec_lo, s3
	s_cbranch_vccnz .LBB42_28
; %bb.27:
	scratch_load_b64 v[90:91], v41, off
	ds_load_b64 v[92:93], v1
	s_wait_loadcnt_dscnt 0x0
	v_pk_mul_f32 v[94:95], v[92:93], v[90:91] op_sel:[1,1] op_sel_hi:[0,1]
	s_delay_alu instid0(VALU_DEP_1) | instskip(SKIP_1) | instid1(VALU_DEP_2)
	v_pk_fma_f32 v[96:97], v[92:93], v[90:91], v[94:95] op_sel_hi:[1,0,1]
	v_pk_fma_f32 v[90:91], v[92:93], v[90:91], v[94:95] neg_lo:[0,0,1] neg_hi:[0,0,1]
	v_mov_b32_e32 v91, v97
	s_cbranch_execz .LBB42_29
	s_branch .LBB42_30
.LBB42_28:
                                        ; implicit-def: $vgpr90_vgpr91
.LBB42_29:
	ds_load_b64 v[90:91], v1
.LBB42_30:
	s_and_saveexec_b32 s26, s2
	s_cbranch_execz .LBB42_34
; %bb.31:
	v_subrev_nc_u32_e32 v92, 40, v0
	s_movk_i32 s27, 0x2a0
	s_mov_b32 s2, 0
.LBB42_32:                              ; =>This Inner Loop Header: Depth=1
	scratch_load_b64 v[94:95], off, s25
	v_dual_mov_b32 v93, s27 :: v_dual_add_nc_u32 v92, -1, v92
	s_add_co_i32 s27, s27, 8
	s_wait_xcnt 0x0
	s_add_co_i32 s25, s25, 8
	ds_load_b64 v[96:97], v93
	v_cmp_eq_u32_e32 vcc_lo, 0, v92
	s_or_b32 s2, vcc_lo, s2
	s_wait_loadcnt_dscnt 0x0
	v_pk_mul_f32 v[98:99], v[96:97], v[94:95] op_sel:[1,1] op_sel_hi:[0,1]
	s_delay_alu instid0(VALU_DEP_1) | instskip(SKIP_1) | instid1(VALU_DEP_2)
	v_pk_fma_f32 v[100:101], v[96:97], v[94:95], v[98:99] op_sel_hi:[1,0,1]
	v_pk_fma_f32 v[94:95], v[96:97], v[94:95], v[98:99] neg_lo:[0,0,1] neg_hi:[0,0,1]
	v_mov_b32_e32 v95, v101
	s_delay_alu instid0(VALU_DEP_1)
	v_pk_add_f32 v[90:91], v[90:91], v[94:95]
	s_and_not1_b32 exec_lo, exec_lo, s2
	s_cbranch_execnz .LBB42_32
; %bb.33:
	s_or_b32 exec_lo, exec_lo, s2
.LBB42_34:
	s_delay_alu instid0(SALU_CYCLE_1) | instskip(SKIP_4) | instid1(VALU_DEP_1)
	s_or_b32 exec_lo, exec_lo, s26
	v_mov_b32_e32 v92, 0
	ds_load_b64 v[92:93], v92 offset:312
	s_wait_dscnt 0x0
	v_pk_mul_f32 v[94:95], v[90:91], v[92:93] op_sel:[1,1] op_sel_hi:[0,1]
	v_pk_fma_f32 v[96:97], v[90:91], v[92:93], v[94:95] op_sel_hi:[1,0,1]
	v_pk_fma_f32 v[90:91], v[90:91], v[92:93], v[94:95] neg_lo:[0,0,1] neg_hi:[0,0,1]
	s_delay_alu instid0(VALU_DEP_2)
	v_mov_b32_e32 v91, v97
	scratch_store_b64 off, v[90:91], off offset:312
.LBB42_35:
	s_wait_xcnt 0x0
	s_or_b32 exec_lo, exec_lo, s0
	scratch_load_b64 v[90:91], off, off offset:304
	v_cmp_lt_u32_e64 s0, 38, v0
	s_wait_loadcnt 0x0
	ds_store_b64 v1, v[90:91]
	s_wait_storecnt_dscnt 0x0
	s_barrier_signal -1
	s_barrier_wait -1
	s_wait_xcnt 0x0
	s_and_saveexec_b32 s2, s0
	s_cbranch_execz .LBB42_45
; %bb.36:
	s_and_not1_b32 vcc_lo, exec_lo, s3
	s_cbranch_vccnz .LBB42_38
; %bb.37:
	scratch_load_b64 v[90:91], v41, off
	ds_load_b64 v[92:93], v1
	s_wait_loadcnt_dscnt 0x0
	v_pk_mul_f32 v[94:95], v[92:93], v[90:91] op_sel:[1,1] op_sel_hi:[0,1]
	s_delay_alu instid0(VALU_DEP_1) | instskip(SKIP_1) | instid1(VALU_DEP_2)
	v_pk_fma_f32 v[96:97], v[92:93], v[90:91], v[94:95] op_sel_hi:[1,0,1]
	v_pk_fma_f32 v[90:91], v[92:93], v[90:91], v[94:95] neg_lo:[0,0,1] neg_hi:[0,0,1]
	v_mov_b32_e32 v91, v97
	s_cbranch_execz .LBB42_39
	s_branch .LBB42_40
.LBB42_38:
                                        ; implicit-def: $vgpr90_vgpr91
.LBB42_39:
	ds_load_b64 v[90:91], v1
.LBB42_40:
	s_and_saveexec_b32 s25, s1
	s_cbranch_execz .LBB42_44
; %bb.41:
	v_subrev_nc_u32_e32 v92, 39, v0
	s_movk_i32 s1, 0x138
	s_movk_i32 s27, 0x298
	s_mov_b32 s26, 0
.LBB42_42:                              ; =>This Inner Loop Header: Depth=1
	scratch_load_b64 v[94:95], off, s1
	v_dual_mov_b32 v93, s27 :: v_dual_add_nc_u32 v92, -1, v92
	s_add_co_i32 s27, s27, 8
	s_wait_xcnt 0x0
	s_add_co_i32 s1, s1, 8
	ds_load_b64 v[96:97], v93
	v_cmp_eq_u32_e32 vcc_lo, 0, v92
	s_or_b32 s26, vcc_lo, s26
	s_wait_loadcnt_dscnt 0x0
	v_pk_mul_f32 v[98:99], v[96:97], v[94:95] op_sel:[1,1] op_sel_hi:[0,1]
	s_delay_alu instid0(VALU_DEP_1) | instskip(SKIP_1) | instid1(VALU_DEP_2)
	v_pk_fma_f32 v[100:101], v[96:97], v[94:95], v[98:99] op_sel_hi:[1,0,1]
	v_pk_fma_f32 v[94:95], v[96:97], v[94:95], v[98:99] neg_lo:[0,0,1] neg_hi:[0,0,1]
	v_mov_b32_e32 v95, v101
	s_delay_alu instid0(VALU_DEP_1)
	v_pk_add_f32 v[90:91], v[90:91], v[94:95]
	s_and_not1_b32 exec_lo, exec_lo, s26
	s_cbranch_execnz .LBB42_42
; %bb.43:
	s_or_b32 exec_lo, exec_lo, s26
.LBB42_44:
	s_delay_alu instid0(SALU_CYCLE_1) | instskip(SKIP_4) | instid1(VALU_DEP_1)
	s_or_b32 exec_lo, exec_lo, s25
	v_mov_b32_e32 v92, 0
	ds_load_b64 v[92:93], v92 offset:304
	s_wait_dscnt 0x0
	v_pk_mul_f32 v[94:95], v[90:91], v[92:93] op_sel:[1,1] op_sel_hi:[0,1]
	v_pk_fma_f32 v[96:97], v[90:91], v[92:93], v[94:95] op_sel_hi:[1,0,1]
	v_pk_fma_f32 v[90:91], v[90:91], v[92:93], v[94:95] neg_lo:[0,0,1] neg_hi:[0,0,1]
	s_delay_alu instid0(VALU_DEP_2)
	v_mov_b32_e32 v91, v97
	scratch_store_b64 off, v[90:91], off offset:304
.LBB42_45:
	s_wait_xcnt 0x0
	s_or_b32 exec_lo, exec_lo, s2
	scratch_load_b64 v[90:91], off, off offset:296
	v_cmp_lt_u32_e64 s1, 37, v0
	s_wait_loadcnt 0x0
	ds_store_b64 v1, v[90:91]
	s_wait_storecnt_dscnt 0x0
	s_barrier_signal -1
	s_barrier_wait -1
	s_wait_xcnt 0x0
	s_and_saveexec_b32 s2, s1
	s_cbranch_execz .LBB42_55
; %bb.46:
	s_and_not1_b32 vcc_lo, exec_lo, s3
	s_cbranch_vccnz .LBB42_48
; %bb.47:
	scratch_load_b64 v[90:91], v41, off
	ds_load_b64 v[92:93], v1
	s_wait_loadcnt_dscnt 0x0
	v_pk_mul_f32 v[94:95], v[92:93], v[90:91] op_sel:[1,1] op_sel_hi:[0,1]
	s_delay_alu instid0(VALU_DEP_1) | instskip(SKIP_1) | instid1(VALU_DEP_2)
	v_pk_fma_f32 v[96:97], v[92:93], v[90:91], v[94:95] op_sel_hi:[1,0,1]
	v_pk_fma_f32 v[90:91], v[92:93], v[90:91], v[94:95] neg_lo:[0,0,1] neg_hi:[0,0,1]
	v_mov_b32_e32 v91, v97
	s_cbranch_execz .LBB42_49
	s_branch .LBB42_50
.LBB42_48:
                                        ; implicit-def: $vgpr90_vgpr91
.LBB42_49:
	ds_load_b64 v[90:91], v1
.LBB42_50:
	s_and_saveexec_b32 s25, s0
	s_cbranch_execz .LBB42_54
; %bb.51:
	v_subrev_nc_u32_e32 v92, 38, v0
	s_movk_i32 s26, 0x290
	s_mov_b32 s0, 0
.LBB42_52:                              ; =>This Inner Loop Header: Depth=1
	scratch_load_b64 v[94:95], off, s24
	v_dual_mov_b32 v93, s26 :: v_dual_add_nc_u32 v92, -1, v92
	s_add_co_i32 s26, s26, 8
	s_wait_xcnt 0x0
	s_add_co_i32 s24, s24, 8
	ds_load_b64 v[96:97], v93
	v_cmp_eq_u32_e32 vcc_lo, 0, v92
	s_or_b32 s0, vcc_lo, s0
	s_wait_loadcnt_dscnt 0x0
	v_pk_mul_f32 v[98:99], v[96:97], v[94:95] op_sel:[1,1] op_sel_hi:[0,1]
	s_delay_alu instid0(VALU_DEP_1) | instskip(SKIP_1) | instid1(VALU_DEP_2)
	v_pk_fma_f32 v[100:101], v[96:97], v[94:95], v[98:99] op_sel_hi:[1,0,1]
	v_pk_fma_f32 v[94:95], v[96:97], v[94:95], v[98:99] neg_lo:[0,0,1] neg_hi:[0,0,1]
	v_mov_b32_e32 v95, v101
	s_delay_alu instid0(VALU_DEP_1)
	v_pk_add_f32 v[90:91], v[90:91], v[94:95]
	s_and_not1_b32 exec_lo, exec_lo, s0
	s_cbranch_execnz .LBB42_52
; %bb.53:
	s_or_b32 exec_lo, exec_lo, s0
.LBB42_54:
	s_delay_alu instid0(SALU_CYCLE_1) | instskip(SKIP_4) | instid1(VALU_DEP_1)
	s_or_b32 exec_lo, exec_lo, s25
	v_mov_b32_e32 v92, 0
	ds_load_b64 v[92:93], v92 offset:296
	s_wait_dscnt 0x0
	v_pk_mul_f32 v[94:95], v[90:91], v[92:93] op_sel:[1,1] op_sel_hi:[0,1]
	v_pk_fma_f32 v[96:97], v[90:91], v[92:93], v[94:95] op_sel_hi:[1,0,1]
	v_pk_fma_f32 v[90:91], v[90:91], v[92:93], v[94:95] neg_lo:[0,0,1] neg_hi:[0,0,1]
	s_delay_alu instid0(VALU_DEP_2)
	v_mov_b32_e32 v91, v97
	scratch_store_b64 off, v[90:91], off offset:296
.LBB42_55:
	s_wait_xcnt 0x0
	s_or_b32 exec_lo, exec_lo, s2
	scratch_load_b64 v[90:91], off, off offset:288
	v_cmp_lt_u32_e64 s0, 36, v0
	s_wait_loadcnt 0x0
	ds_store_b64 v1, v[90:91]
	s_wait_storecnt_dscnt 0x0
	s_barrier_signal -1
	s_barrier_wait -1
	s_wait_xcnt 0x0
	s_and_saveexec_b32 s2, s0
	s_cbranch_execz .LBB42_65
; %bb.56:
	s_and_not1_b32 vcc_lo, exec_lo, s3
	s_cbranch_vccnz .LBB42_58
; %bb.57:
	scratch_load_b64 v[90:91], v41, off
	ds_load_b64 v[92:93], v1
	s_wait_loadcnt_dscnt 0x0
	v_pk_mul_f32 v[94:95], v[92:93], v[90:91] op_sel:[1,1] op_sel_hi:[0,1]
	s_delay_alu instid0(VALU_DEP_1) | instskip(SKIP_1) | instid1(VALU_DEP_2)
	v_pk_fma_f32 v[96:97], v[92:93], v[90:91], v[94:95] op_sel_hi:[1,0,1]
	v_pk_fma_f32 v[90:91], v[92:93], v[90:91], v[94:95] neg_lo:[0,0,1] neg_hi:[0,0,1]
	v_mov_b32_e32 v91, v97
	s_cbranch_execz .LBB42_59
	s_branch .LBB42_60
.LBB42_58:
                                        ; implicit-def: $vgpr90_vgpr91
.LBB42_59:
	ds_load_b64 v[90:91], v1
.LBB42_60:
	s_and_saveexec_b32 s24, s1
	s_cbranch_execz .LBB42_64
; %bb.61:
	v_subrev_nc_u32_e32 v92, 37, v0
	s_movk_i32 s1, 0x128
	s_movk_i32 s26, 0x288
	s_mov_b32 s25, 0
.LBB42_62:                              ; =>This Inner Loop Header: Depth=1
	scratch_load_b64 v[94:95], off, s1
	v_dual_mov_b32 v93, s26 :: v_dual_add_nc_u32 v92, -1, v92
	s_add_co_i32 s26, s26, 8
	s_wait_xcnt 0x0
	s_add_co_i32 s1, s1, 8
	ds_load_b64 v[96:97], v93
	v_cmp_eq_u32_e32 vcc_lo, 0, v92
	s_or_b32 s25, vcc_lo, s25
	s_wait_loadcnt_dscnt 0x0
	v_pk_mul_f32 v[98:99], v[96:97], v[94:95] op_sel:[1,1] op_sel_hi:[0,1]
	s_delay_alu instid0(VALU_DEP_1) | instskip(SKIP_1) | instid1(VALU_DEP_2)
	v_pk_fma_f32 v[100:101], v[96:97], v[94:95], v[98:99] op_sel_hi:[1,0,1]
	v_pk_fma_f32 v[94:95], v[96:97], v[94:95], v[98:99] neg_lo:[0,0,1] neg_hi:[0,0,1]
	v_mov_b32_e32 v95, v101
	s_delay_alu instid0(VALU_DEP_1)
	v_pk_add_f32 v[90:91], v[90:91], v[94:95]
	s_and_not1_b32 exec_lo, exec_lo, s25
	s_cbranch_execnz .LBB42_62
; %bb.63:
	s_or_b32 exec_lo, exec_lo, s25
.LBB42_64:
	s_delay_alu instid0(SALU_CYCLE_1) | instskip(SKIP_4) | instid1(VALU_DEP_1)
	s_or_b32 exec_lo, exec_lo, s24
	v_mov_b32_e32 v92, 0
	ds_load_b64 v[92:93], v92 offset:288
	s_wait_dscnt 0x0
	v_pk_mul_f32 v[94:95], v[90:91], v[92:93] op_sel:[1,1] op_sel_hi:[0,1]
	v_pk_fma_f32 v[96:97], v[90:91], v[92:93], v[94:95] op_sel_hi:[1,0,1]
	v_pk_fma_f32 v[90:91], v[90:91], v[92:93], v[94:95] neg_lo:[0,0,1] neg_hi:[0,0,1]
	s_delay_alu instid0(VALU_DEP_2)
	v_mov_b32_e32 v91, v97
	scratch_store_b64 off, v[90:91], off offset:288
.LBB42_65:
	s_wait_xcnt 0x0
	s_or_b32 exec_lo, exec_lo, s2
	scratch_load_b64 v[90:91], off, off offset:280
	v_cmp_lt_u32_e64 s1, 35, v0
	s_wait_loadcnt 0x0
	ds_store_b64 v1, v[90:91]
	s_wait_storecnt_dscnt 0x0
	s_barrier_signal -1
	s_barrier_wait -1
	s_wait_xcnt 0x0
	s_and_saveexec_b32 s2, s1
	s_cbranch_execz .LBB42_75
; %bb.66:
	s_and_not1_b32 vcc_lo, exec_lo, s3
	s_cbranch_vccnz .LBB42_68
; %bb.67:
	scratch_load_b64 v[90:91], v41, off
	ds_load_b64 v[92:93], v1
	s_wait_loadcnt_dscnt 0x0
	v_pk_mul_f32 v[94:95], v[92:93], v[90:91] op_sel:[1,1] op_sel_hi:[0,1]
	s_delay_alu instid0(VALU_DEP_1) | instskip(SKIP_1) | instid1(VALU_DEP_2)
	v_pk_fma_f32 v[96:97], v[92:93], v[90:91], v[94:95] op_sel_hi:[1,0,1]
	v_pk_fma_f32 v[90:91], v[92:93], v[90:91], v[94:95] neg_lo:[0,0,1] neg_hi:[0,0,1]
	v_mov_b32_e32 v91, v97
	s_cbranch_execz .LBB42_69
	s_branch .LBB42_70
.LBB42_68:
                                        ; implicit-def: $vgpr90_vgpr91
.LBB42_69:
	ds_load_b64 v[90:91], v1
.LBB42_70:
	s_and_saveexec_b32 s24, s0
	s_cbranch_execz .LBB42_74
; %bb.71:
	v_subrev_nc_u32_e32 v92, 36, v0
	s_movk_i32 s25, 0x280
	s_mov_b32 s0, 0
.LBB42_72:                              ; =>This Inner Loop Header: Depth=1
	scratch_load_b64 v[94:95], off, s23
	v_dual_mov_b32 v93, s25 :: v_dual_add_nc_u32 v92, -1, v92
	s_add_co_i32 s25, s25, 8
	s_wait_xcnt 0x0
	s_add_co_i32 s23, s23, 8
	ds_load_b64 v[96:97], v93
	v_cmp_eq_u32_e32 vcc_lo, 0, v92
	s_or_b32 s0, vcc_lo, s0
	s_wait_loadcnt_dscnt 0x0
	v_pk_mul_f32 v[98:99], v[96:97], v[94:95] op_sel:[1,1] op_sel_hi:[0,1]
	s_delay_alu instid0(VALU_DEP_1) | instskip(SKIP_1) | instid1(VALU_DEP_2)
	v_pk_fma_f32 v[100:101], v[96:97], v[94:95], v[98:99] op_sel_hi:[1,0,1]
	v_pk_fma_f32 v[94:95], v[96:97], v[94:95], v[98:99] neg_lo:[0,0,1] neg_hi:[0,0,1]
	v_mov_b32_e32 v95, v101
	s_delay_alu instid0(VALU_DEP_1)
	v_pk_add_f32 v[90:91], v[90:91], v[94:95]
	s_and_not1_b32 exec_lo, exec_lo, s0
	s_cbranch_execnz .LBB42_72
; %bb.73:
	s_or_b32 exec_lo, exec_lo, s0
.LBB42_74:
	s_delay_alu instid0(SALU_CYCLE_1) | instskip(SKIP_4) | instid1(VALU_DEP_1)
	s_or_b32 exec_lo, exec_lo, s24
	v_mov_b32_e32 v92, 0
	ds_load_b64 v[92:93], v92 offset:280
	s_wait_dscnt 0x0
	v_pk_mul_f32 v[94:95], v[90:91], v[92:93] op_sel:[1,1] op_sel_hi:[0,1]
	v_pk_fma_f32 v[96:97], v[90:91], v[92:93], v[94:95] op_sel_hi:[1,0,1]
	v_pk_fma_f32 v[90:91], v[90:91], v[92:93], v[94:95] neg_lo:[0,0,1] neg_hi:[0,0,1]
	s_delay_alu instid0(VALU_DEP_2)
	v_mov_b32_e32 v91, v97
	scratch_store_b64 off, v[90:91], off offset:280
.LBB42_75:
	s_wait_xcnt 0x0
	s_or_b32 exec_lo, exec_lo, s2
	scratch_load_b64 v[90:91], off, off offset:272
	v_cmp_lt_u32_e64 s0, 34, v0
	s_wait_loadcnt 0x0
	ds_store_b64 v1, v[90:91]
	s_wait_storecnt_dscnt 0x0
	s_barrier_signal -1
	s_barrier_wait -1
	s_wait_xcnt 0x0
	s_and_saveexec_b32 s2, s0
	s_cbranch_execz .LBB42_85
; %bb.76:
	s_and_not1_b32 vcc_lo, exec_lo, s3
	s_cbranch_vccnz .LBB42_78
; %bb.77:
	scratch_load_b64 v[90:91], v41, off
	ds_load_b64 v[92:93], v1
	s_wait_loadcnt_dscnt 0x0
	v_pk_mul_f32 v[94:95], v[92:93], v[90:91] op_sel:[1,1] op_sel_hi:[0,1]
	s_delay_alu instid0(VALU_DEP_1) | instskip(SKIP_1) | instid1(VALU_DEP_2)
	v_pk_fma_f32 v[96:97], v[92:93], v[90:91], v[94:95] op_sel_hi:[1,0,1]
	v_pk_fma_f32 v[90:91], v[92:93], v[90:91], v[94:95] neg_lo:[0,0,1] neg_hi:[0,0,1]
	v_mov_b32_e32 v91, v97
	s_cbranch_execz .LBB42_79
	s_branch .LBB42_80
.LBB42_78:
                                        ; implicit-def: $vgpr90_vgpr91
.LBB42_79:
	ds_load_b64 v[90:91], v1
.LBB42_80:
	s_and_saveexec_b32 s23, s1
	s_cbranch_execz .LBB42_84
; %bb.81:
	v_subrev_nc_u32_e32 v92, 35, v0
	s_movk_i32 s1, 0x118
	s_movk_i32 s25, 0x278
	s_mov_b32 s24, 0
.LBB42_82:                              ; =>This Inner Loop Header: Depth=1
	scratch_load_b64 v[94:95], off, s1
	v_dual_mov_b32 v93, s25 :: v_dual_add_nc_u32 v92, -1, v92
	s_add_co_i32 s25, s25, 8
	s_wait_xcnt 0x0
	s_add_co_i32 s1, s1, 8
	ds_load_b64 v[96:97], v93
	v_cmp_eq_u32_e32 vcc_lo, 0, v92
	s_or_b32 s24, vcc_lo, s24
	s_wait_loadcnt_dscnt 0x0
	v_pk_mul_f32 v[98:99], v[96:97], v[94:95] op_sel:[1,1] op_sel_hi:[0,1]
	s_delay_alu instid0(VALU_DEP_1) | instskip(SKIP_1) | instid1(VALU_DEP_2)
	v_pk_fma_f32 v[100:101], v[96:97], v[94:95], v[98:99] op_sel_hi:[1,0,1]
	v_pk_fma_f32 v[94:95], v[96:97], v[94:95], v[98:99] neg_lo:[0,0,1] neg_hi:[0,0,1]
	v_mov_b32_e32 v95, v101
	s_delay_alu instid0(VALU_DEP_1)
	v_pk_add_f32 v[90:91], v[90:91], v[94:95]
	s_and_not1_b32 exec_lo, exec_lo, s24
	s_cbranch_execnz .LBB42_82
; %bb.83:
	s_or_b32 exec_lo, exec_lo, s24
.LBB42_84:
	s_delay_alu instid0(SALU_CYCLE_1) | instskip(SKIP_4) | instid1(VALU_DEP_1)
	s_or_b32 exec_lo, exec_lo, s23
	v_mov_b32_e32 v92, 0
	ds_load_b64 v[92:93], v92 offset:272
	s_wait_dscnt 0x0
	v_pk_mul_f32 v[94:95], v[90:91], v[92:93] op_sel:[1,1] op_sel_hi:[0,1]
	v_pk_fma_f32 v[96:97], v[90:91], v[92:93], v[94:95] op_sel_hi:[1,0,1]
	v_pk_fma_f32 v[90:91], v[90:91], v[92:93], v[94:95] neg_lo:[0,0,1] neg_hi:[0,0,1]
	s_delay_alu instid0(VALU_DEP_2)
	v_mov_b32_e32 v91, v97
	scratch_store_b64 off, v[90:91], off offset:272
.LBB42_85:
	s_wait_xcnt 0x0
	s_or_b32 exec_lo, exec_lo, s2
	scratch_load_b64 v[90:91], off, off offset:264
	v_cmp_lt_u32_e64 s1, 33, v0
	s_wait_loadcnt 0x0
	ds_store_b64 v1, v[90:91]
	s_wait_storecnt_dscnt 0x0
	s_barrier_signal -1
	s_barrier_wait -1
	s_wait_xcnt 0x0
	s_and_saveexec_b32 s2, s1
	s_cbranch_execz .LBB42_95
; %bb.86:
	s_and_not1_b32 vcc_lo, exec_lo, s3
	s_cbranch_vccnz .LBB42_88
; %bb.87:
	scratch_load_b64 v[90:91], v41, off
	ds_load_b64 v[92:93], v1
	s_wait_loadcnt_dscnt 0x0
	v_pk_mul_f32 v[94:95], v[92:93], v[90:91] op_sel:[1,1] op_sel_hi:[0,1]
	s_delay_alu instid0(VALU_DEP_1) | instskip(SKIP_1) | instid1(VALU_DEP_2)
	v_pk_fma_f32 v[96:97], v[92:93], v[90:91], v[94:95] op_sel_hi:[1,0,1]
	v_pk_fma_f32 v[90:91], v[92:93], v[90:91], v[94:95] neg_lo:[0,0,1] neg_hi:[0,0,1]
	v_mov_b32_e32 v91, v97
	s_cbranch_execz .LBB42_89
	s_branch .LBB42_90
.LBB42_88:
                                        ; implicit-def: $vgpr90_vgpr91
.LBB42_89:
	ds_load_b64 v[90:91], v1
.LBB42_90:
	s_and_saveexec_b32 s23, s0
	s_cbranch_execz .LBB42_94
; %bb.91:
	v_subrev_nc_u32_e32 v92, 34, v0
	s_movk_i32 s24, 0x270
	s_mov_b32 s0, 0
.LBB42_92:                              ; =>This Inner Loop Header: Depth=1
	scratch_load_b64 v[94:95], off, s22
	v_dual_mov_b32 v93, s24 :: v_dual_add_nc_u32 v92, -1, v92
	s_add_co_i32 s24, s24, 8
	s_wait_xcnt 0x0
	s_add_co_i32 s22, s22, 8
	ds_load_b64 v[96:97], v93
	v_cmp_eq_u32_e32 vcc_lo, 0, v92
	s_or_b32 s0, vcc_lo, s0
	s_wait_loadcnt_dscnt 0x0
	v_pk_mul_f32 v[98:99], v[96:97], v[94:95] op_sel:[1,1] op_sel_hi:[0,1]
	s_delay_alu instid0(VALU_DEP_1) | instskip(SKIP_1) | instid1(VALU_DEP_2)
	v_pk_fma_f32 v[100:101], v[96:97], v[94:95], v[98:99] op_sel_hi:[1,0,1]
	v_pk_fma_f32 v[94:95], v[96:97], v[94:95], v[98:99] neg_lo:[0,0,1] neg_hi:[0,0,1]
	v_mov_b32_e32 v95, v101
	s_delay_alu instid0(VALU_DEP_1)
	v_pk_add_f32 v[90:91], v[90:91], v[94:95]
	s_and_not1_b32 exec_lo, exec_lo, s0
	s_cbranch_execnz .LBB42_92
; %bb.93:
	s_or_b32 exec_lo, exec_lo, s0
.LBB42_94:
	s_delay_alu instid0(SALU_CYCLE_1) | instskip(SKIP_4) | instid1(VALU_DEP_1)
	s_or_b32 exec_lo, exec_lo, s23
	v_mov_b32_e32 v92, 0
	ds_load_b64 v[92:93], v92 offset:264
	s_wait_dscnt 0x0
	v_pk_mul_f32 v[94:95], v[90:91], v[92:93] op_sel:[1,1] op_sel_hi:[0,1]
	v_pk_fma_f32 v[96:97], v[90:91], v[92:93], v[94:95] op_sel_hi:[1,0,1]
	v_pk_fma_f32 v[90:91], v[90:91], v[92:93], v[94:95] neg_lo:[0,0,1] neg_hi:[0,0,1]
	s_delay_alu instid0(VALU_DEP_2)
	v_mov_b32_e32 v91, v97
	scratch_store_b64 off, v[90:91], off offset:264
.LBB42_95:
	s_wait_xcnt 0x0
	s_or_b32 exec_lo, exec_lo, s2
	scratch_load_b64 v[90:91], off, off offset:256
	v_cmp_lt_u32_e64 s0, 32, v0
	s_wait_loadcnt 0x0
	ds_store_b64 v1, v[90:91]
	s_wait_storecnt_dscnt 0x0
	s_barrier_signal -1
	s_barrier_wait -1
	s_wait_xcnt 0x0
	s_and_saveexec_b32 s2, s0
	s_cbranch_execz .LBB42_105
; %bb.96:
	s_and_not1_b32 vcc_lo, exec_lo, s3
	s_cbranch_vccnz .LBB42_98
; %bb.97:
	scratch_load_b64 v[90:91], v41, off
	ds_load_b64 v[92:93], v1
	s_wait_loadcnt_dscnt 0x0
	v_pk_mul_f32 v[94:95], v[92:93], v[90:91] op_sel:[1,1] op_sel_hi:[0,1]
	s_delay_alu instid0(VALU_DEP_1) | instskip(SKIP_1) | instid1(VALU_DEP_2)
	v_pk_fma_f32 v[96:97], v[92:93], v[90:91], v[94:95] op_sel_hi:[1,0,1]
	v_pk_fma_f32 v[90:91], v[92:93], v[90:91], v[94:95] neg_lo:[0,0,1] neg_hi:[0,0,1]
	v_mov_b32_e32 v91, v97
	s_cbranch_execz .LBB42_99
	s_branch .LBB42_100
.LBB42_98:
                                        ; implicit-def: $vgpr90_vgpr91
.LBB42_99:
	ds_load_b64 v[90:91], v1
.LBB42_100:
	s_and_saveexec_b32 s22, s1
	s_cbranch_execz .LBB42_104
; %bb.101:
	v_subrev_nc_u32_e32 v92, 33, v0
	s_movk_i32 s1, 0x108
	s_movk_i32 s24, 0x268
	s_mov_b32 s23, 0
.LBB42_102:                             ; =>This Inner Loop Header: Depth=1
	scratch_load_b64 v[94:95], off, s1
	v_dual_mov_b32 v93, s24 :: v_dual_add_nc_u32 v92, -1, v92
	s_add_co_i32 s24, s24, 8
	s_wait_xcnt 0x0
	s_add_co_i32 s1, s1, 8
	ds_load_b64 v[96:97], v93
	v_cmp_eq_u32_e32 vcc_lo, 0, v92
	s_or_b32 s23, vcc_lo, s23
	s_wait_loadcnt_dscnt 0x0
	v_pk_mul_f32 v[98:99], v[96:97], v[94:95] op_sel:[1,1] op_sel_hi:[0,1]
	s_delay_alu instid0(VALU_DEP_1) | instskip(SKIP_1) | instid1(VALU_DEP_2)
	v_pk_fma_f32 v[100:101], v[96:97], v[94:95], v[98:99] op_sel_hi:[1,0,1]
	v_pk_fma_f32 v[94:95], v[96:97], v[94:95], v[98:99] neg_lo:[0,0,1] neg_hi:[0,0,1]
	v_mov_b32_e32 v95, v101
	s_delay_alu instid0(VALU_DEP_1)
	v_pk_add_f32 v[90:91], v[90:91], v[94:95]
	s_and_not1_b32 exec_lo, exec_lo, s23
	s_cbranch_execnz .LBB42_102
; %bb.103:
	s_or_b32 exec_lo, exec_lo, s23
.LBB42_104:
	s_delay_alu instid0(SALU_CYCLE_1) | instskip(SKIP_4) | instid1(VALU_DEP_1)
	s_or_b32 exec_lo, exec_lo, s22
	v_mov_b32_e32 v92, 0
	ds_load_b64 v[92:93], v92 offset:256
	s_wait_dscnt 0x0
	v_pk_mul_f32 v[94:95], v[90:91], v[92:93] op_sel:[1,1] op_sel_hi:[0,1]
	v_pk_fma_f32 v[96:97], v[90:91], v[92:93], v[94:95] op_sel_hi:[1,0,1]
	v_pk_fma_f32 v[90:91], v[90:91], v[92:93], v[94:95] neg_lo:[0,0,1] neg_hi:[0,0,1]
	s_delay_alu instid0(VALU_DEP_2)
	v_mov_b32_e32 v91, v97
	scratch_store_b64 off, v[90:91], off offset:256
.LBB42_105:
	s_wait_xcnt 0x0
	s_or_b32 exec_lo, exec_lo, s2
	scratch_load_b64 v[90:91], off, off offset:248
	v_cmp_lt_u32_e64 s1, 31, v0
	s_wait_loadcnt 0x0
	ds_store_b64 v1, v[90:91]
	s_wait_storecnt_dscnt 0x0
	s_barrier_signal -1
	s_barrier_wait -1
	s_wait_xcnt 0x0
	s_and_saveexec_b32 s2, s1
	s_cbranch_execz .LBB42_115
; %bb.106:
	s_and_not1_b32 vcc_lo, exec_lo, s3
	s_cbranch_vccnz .LBB42_108
; %bb.107:
	scratch_load_b64 v[90:91], v41, off
	ds_load_b64 v[92:93], v1
	s_wait_loadcnt_dscnt 0x0
	v_pk_mul_f32 v[94:95], v[92:93], v[90:91] op_sel:[1,1] op_sel_hi:[0,1]
	s_delay_alu instid0(VALU_DEP_1) | instskip(SKIP_1) | instid1(VALU_DEP_2)
	v_pk_fma_f32 v[96:97], v[92:93], v[90:91], v[94:95] op_sel_hi:[1,0,1]
	v_pk_fma_f32 v[90:91], v[92:93], v[90:91], v[94:95] neg_lo:[0,0,1] neg_hi:[0,0,1]
	v_mov_b32_e32 v91, v97
	s_cbranch_execz .LBB42_109
	s_branch .LBB42_110
.LBB42_108:
                                        ; implicit-def: $vgpr90_vgpr91
.LBB42_109:
	ds_load_b64 v[90:91], v1
.LBB42_110:
	s_and_saveexec_b32 s22, s0
	s_cbranch_execz .LBB42_114
; %bb.111:
	v_subrev_nc_u32_e32 v92, 32, v0
	s_movk_i32 s23, 0x260
	s_mov_b32 s0, 0
.LBB42_112:                             ; =>This Inner Loop Header: Depth=1
	scratch_load_b64 v[94:95], off, s21
	v_dual_mov_b32 v93, s23 :: v_dual_add_nc_u32 v92, -1, v92
	s_add_co_i32 s23, s23, 8
	s_wait_xcnt 0x0
	s_add_co_i32 s21, s21, 8
	ds_load_b64 v[96:97], v93
	v_cmp_eq_u32_e32 vcc_lo, 0, v92
	s_or_b32 s0, vcc_lo, s0
	s_wait_loadcnt_dscnt 0x0
	v_pk_mul_f32 v[98:99], v[96:97], v[94:95] op_sel:[1,1] op_sel_hi:[0,1]
	s_delay_alu instid0(VALU_DEP_1) | instskip(SKIP_1) | instid1(VALU_DEP_2)
	v_pk_fma_f32 v[100:101], v[96:97], v[94:95], v[98:99] op_sel_hi:[1,0,1]
	v_pk_fma_f32 v[94:95], v[96:97], v[94:95], v[98:99] neg_lo:[0,0,1] neg_hi:[0,0,1]
	v_mov_b32_e32 v95, v101
	s_delay_alu instid0(VALU_DEP_1)
	v_pk_add_f32 v[90:91], v[90:91], v[94:95]
	s_and_not1_b32 exec_lo, exec_lo, s0
	s_cbranch_execnz .LBB42_112
; %bb.113:
	s_or_b32 exec_lo, exec_lo, s0
.LBB42_114:
	s_delay_alu instid0(SALU_CYCLE_1) | instskip(SKIP_4) | instid1(VALU_DEP_1)
	s_or_b32 exec_lo, exec_lo, s22
	v_mov_b32_e32 v92, 0
	ds_load_b64 v[92:93], v92 offset:248
	s_wait_dscnt 0x0
	v_pk_mul_f32 v[94:95], v[90:91], v[92:93] op_sel:[1,1] op_sel_hi:[0,1]
	v_pk_fma_f32 v[96:97], v[90:91], v[92:93], v[94:95] op_sel_hi:[1,0,1]
	v_pk_fma_f32 v[90:91], v[90:91], v[92:93], v[94:95] neg_lo:[0,0,1] neg_hi:[0,0,1]
	s_delay_alu instid0(VALU_DEP_2)
	v_mov_b32_e32 v91, v97
	scratch_store_b64 off, v[90:91], off offset:248
.LBB42_115:
	s_wait_xcnt 0x0
	s_or_b32 exec_lo, exec_lo, s2
	scratch_load_b64 v[90:91], off, off offset:240
	v_cmp_lt_u32_e64 s0, 30, v0
	s_wait_loadcnt 0x0
	ds_store_b64 v1, v[90:91]
	s_wait_storecnt_dscnt 0x0
	s_barrier_signal -1
	s_barrier_wait -1
	s_wait_xcnt 0x0
	s_and_saveexec_b32 s2, s0
	s_cbranch_execz .LBB42_125
; %bb.116:
	s_and_not1_b32 vcc_lo, exec_lo, s3
	s_cbranch_vccnz .LBB42_118
; %bb.117:
	scratch_load_b64 v[90:91], v41, off
	ds_load_b64 v[92:93], v1
	s_wait_loadcnt_dscnt 0x0
	v_pk_mul_f32 v[94:95], v[92:93], v[90:91] op_sel:[1,1] op_sel_hi:[0,1]
	s_delay_alu instid0(VALU_DEP_1) | instskip(SKIP_1) | instid1(VALU_DEP_2)
	v_pk_fma_f32 v[96:97], v[92:93], v[90:91], v[94:95] op_sel_hi:[1,0,1]
	v_pk_fma_f32 v[90:91], v[92:93], v[90:91], v[94:95] neg_lo:[0,0,1] neg_hi:[0,0,1]
	v_mov_b32_e32 v91, v97
	s_cbranch_execz .LBB42_119
	s_branch .LBB42_120
.LBB42_118:
                                        ; implicit-def: $vgpr90_vgpr91
.LBB42_119:
	ds_load_b64 v[90:91], v1
.LBB42_120:
	s_and_saveexec_b32 s21, s1
	s_cbranch_execz .LBB42_124
; %bb.121:
	v_subrev_nc_u32_e32 v92, 31, v0
	s_movk_i32 s1, 0xf8
	s_movk_i32 s23, 0x258
	s_mov_b32 s22, 0
.LBB42_122:                             ; =>This Inner Loop Header: Depth=1
	scratch_load_b64 v[94:95], off, s1
	v_dual_mov_b32 v93, s23 :: v_dual_add_nc_u32 v92, -1, v92
	s_add_co_i32 s23, s23, 8
	s_wait_xcnt 0x0
	s_add_co_i32 s1, s1, 8
	ds_load_b64 v[96:97], v93
	v_cmp_eq_u32_e32 vcc_lo, 0, v92
	s_or_b32 s22, vcc_lo, s22
	s_wait_loadcnt_dscnt 0x0
	v_pk_mul_f32 v[98:99], v[96:97], v[94:95] op_sel:[1,1] op_sel_hi:[0,1]
	s_delay_alu instid0(VALU_DEP_1) | instskip(SKIP_1) | instid1(VALU_DEP_2)
	v_pk_fma_f32 v[100:101], v[96:97], v[94:95], v[98:99] op_sel_hi:[1,0,1]
	v_pk_fma_f32 v[94:95], v[96:97], v[94:95], v[98:99] neg_lo:[0,0,1] neg_hi:[0,0,1]
	v_mov_b32_e32 v95, v101
	s_delay_alu instid0(VALU_DEP_1)
	v_pk_add_f32 v[90:91], v[90:91], v[94:95]
	s_and_not1_b32 exec_lo, exec_lo, s22
	s_cbranch_execnz .LBB42_122
; %bb.123:
	s_or_b32 exec_lo, exec_lo, s22
.LBB42_124:
	s_delay_alu instid0(SALU_CYCLE_1) | instskip(SKIP_4) | instid1(VALU_DEP_1)
	s_or_b32 exec_lo, exec_lo, s21
	v_mov_b32_e32 v92, 0
	ds_load_b64 v[92:93], v92 offset:240
	s_wait_dscnt 0x0
	v_pk_mul_f32 v[94:95], v[90:91], v[92:93] op_sel:[1,1] op_sel_hi:[0,1]
	v_pk_fma_f32 v[96:97], v[90:91], v[92:93], v[94:95] op_sel_hi:[1,0,1]
	v_pk_fma_f32 v[90:91], v[90:91], v[92:93], v[94:95] neg_lo:[0,0,1] neg_hi:[0,0,1]
	s_delay_alu instid0(VALU_DEP_2)
	v_mov_b32_e32 v91, v97
	scratch_store_b64 off, v[90:91], off offset:240
.LBB42_125:
	s_wait_xcnt 0x0
	s_or_b32 exec_lo, exec_lo, s2
	scratch_load_b64 v[90:91], off, off offset:232
	v_cmp_lt_u32_e64 s1, 29, v0
	s_wait_loadcnt 0x0
	ds_store_b64 v1, v[90:91]
	s_wait_storecnt_dscnt 0x0
	s_barrier_signal -1
	s_barrier_wait -1
	s_wait_xcnt 0x0
	s_and_saveexec_b32 s2, s1
	s_cbranch_execz .LBB42_135
; %bb.126:
	s_and_not1_b32 vcc_lo, exec_lo, s3
	s_cbranch_vccnz .LBB42_128
; %bb.127:
	scratch_load_b64 v[90:91], v41, off
	ds_load_b64 v[92:93], v1
	s_wait_loadcnt_dscnt 0x0
	v_pk_mul_f32 v[94:95], v[92:93], v[90:91] op_sel:[1,1] op_sel_hi:[0,1]
	s_delay_alu instid0(VALU_DEP_1) | instskip(SKIP_1) | instid1(VALU_DEP_2)
	v_pk_fma_f32 v[96:97], v[92:93], v[90:91], v[94:95] op_sel_hi:[1,0,1]
	v_pk_fma_f32 v[90:91], v[92:93], v[90:91], v[94:95] neg_lo:[0,0,1] neg_hi:[0,0,1]
	v_mov_b32_e32 v91, v97
	s_cbranch_execz .LBB42_129
	s_branch .LBB42_130
.LBB42_128:
                                        ; implicit-def: $vgpr90_vgpr91
.LBB42_129:
	ds_load_b64 v[90:91], v1
.LBB42_130:
	s_and_saveexec_b32 s21, s0
	s_cbranch_execz .LBB42_134
; %bb.131:
	v_subrev_nc_u32_e32 v92, 30, v0
	s_movk_i32 s22, 0x250
	s_mov_b32 s0, 0
.LBB42_132:                             ; =>This Inner Loop Header: Depth=1
	scratch_load_b64 v[94:95], off, s20
	v_dual_mov_b32 v93, s22 :: v_dual_add_nc_u32 v92, -1, v92
	s_add_co_i32 s22, s22, 8
	s_wait_xcnt 0x0
	s_add_co_i32 s20, s20, 8
	ds_load_b64 v[96:97], v93
	v_cmp_eq_u32_e32 vcc_lo, 0, v92
	s_or_b32 s0, vcc_lo, s0
	s_wait_loadcnt_dscnt 0x0
	v_pk_mul_f32 v[98:99], v[96:97], v[94:95] op_sel:[1,1] op_sel_hi:[0,1]
	s_delay_alu instid0(VALU_DEP_1) | instskip(SKIP_1) | instid1(VALU_DEP_2)
	v_pk_fma_f32 v[100:101], v[96:97], v[94:95], v[98:99] op_sel_hi:[1,0,1]
	v_pk_fma_f32 v[94:95], v[96:97], v[94:95], v[98:99] neg_lo:[0,0,1] neg_hi:[0,0,1]
	v_mov_b32_e32 v95, v101
	s_delay_alu instid0(VALU_DEP_1)
	v_pk_add_f32 v[90:91], v[90:91], v[94:95]
	s_and_not1_b32 exec_lo, exec_lo, s0
	s_cbranch_execnz .LBB42_132
; %bb.133:
	s_or_b32 exec_lo, exec_lo, s0
.LBB42_134:
	s_delay_alu instid0(SALU_CYCLE_1) | instskip(SKIP_4) | instid1(VALU_DEP_1)
	s_or_b32 exec_lo, exec_lo, s21
	v_mov_b32_e32 v92, 0
	ds_load_b64 v[92:93], v92 offset:232
	s_wait_dscnt 0x0
	v_pk_mul_f32 v[94:95], v[90:91], v[92:93] op_sel:[1,1] op_sel_hi:[0,1]
	v_pk_fma_f32 v[96:97], v[90:91], v[92:93], v[94:95] op_sel_hi:[1,0,1]
	v_pk_fma_f32 v[90:91], v[90:91], v[92:93], v[94:95] neg_lo:[0,0,1] neg_hi:[0,0,1]
	s_delay_alu instid0(VALU_DEP_2)
	v_mov_b32_e32 v91, v97
	scratch_store_b64 off, v[90:91], off offset:232
.LBB42_135:
	s_wait_xcnt 0x0
	s_or_b32 exec_lo, exec_lo, s2
	scratch_load_b64 v[90:91], off, off offset:224
	v_cmp_lt_u32_e64 s0, 28, v0
	s_wait_loadcnt 0x0
	ds_store_b64 v1, v[90:91]
	s_wait_storecnt_dscnt 0x0
	s_barrier_signal -1
	s_barrier_wait -1
	s_wait_xcnt 0x0
	s_and_saveexec_b32 s2, s0
	s_cbranch_execz .LBB42_145
; %bb.136:
	s_and_not1_b32 vcc_lo, exec_lo, s3
	s_cbranch_vccnz .LBB42_138
; %bb.137:
	scratch_load_b64 v[90:91], v41, off
	ds_load_b64 v[92:93], v1
	s_wait_loadcnt_dscnt 0x0
	v_pk_mul_f32 v[94:95], v[92:93], v[90:91] op_sel:[1,1] op_sel_hi:[0,1]
	s_delay_alu instid0(VALU_DEP_1) | instskip(SKIP_1) | instid1(VALU_DEP_2)
	v_pk_fma_f32 v[96:97], v[92:93], v[90:91], v[94:95] op_sel_hi:[1,0,1]
	v_pk_fma_f32 v[90:91], v[92:93], v[90:91], v[94:95] neg_lo:[0,0,1] neg_hi:[0,0,1]
	v_mov_b32_e32 v91, v97
	s_cbranch_execz .LBB42_139
	s_branch .LBB42_140
.LBB42_138:
                                        ; implicit-def: $vgpr90_vgpr91
.LBB42_139:
	ds_load_b64 v[90:91], v1
.LBB42_140:
	s_and_saveexec_b32 s20, s1
	s_cbranch_execz .LBB42_144
; %bb.141:
	v_subrev_nc_u32_e32 v92, 29, v0
	s_movk_i32 s1, 0xe8
	s_movk_i32 s22, 0x248
	s_mov_b32 s21, 0
.LBB42_142:                             ; =>This Inner Loop Header: Depth=1
	scratch_load_b64 v[94:95], off, s1
	v_dual_mov_b32 v93, s22 :: v_dual_add_nc_u32 v92, -1, v92
	s_add_co_i32 s22, s22, 8
	s_wait_xcnt 0x0
	s_add_co_i32 s1, s1, 8
	ds_load_b64 v[96:97], v93
	v_cmp_eq_u32_e32 vcc_lo, 0, v92
	s_or_b32 s21, vcc_lo, s21
	s_wait_loadcnt_dscnt 0x0
	v_pk_mul_f32 v[98:99], v[96:97], v[94:95] op_sel:[1,1] op_sel_hi:[0,1]
	s_delay_alu instid0(VALU_DEP_1) | instskip(SKIP_1) | instid1(VALU_DEP_2)
	v_pk_fma_f32 v[100:101], v[96:97], v[94:95], v[98:99] op_sel_hi:[1,0,1]
	v_pk_fma_f32 v[94:95], v[96:97], v[94:95], v[98:99] neg_lo:[0,0,1] neg_hi:[0,0,1]
	v_mov_b32_e32 v95, v101
	s_delay_alu instid0(VALU_DEP_1)
	v_pk_add_f32 v[90:91], v[90:91], v[94:95]
	s_and_not1_b32 exec_lo, exec_lo, s21
	s_cbranch_execnz .LBB42_142
; %bb.143:
	s_or_b32 exec_lo, exec_lo, s21
.LBB42_144:
	s_delay_alu instid0(SALU_CYCLE_1) | instskip(SKIP_4) | instid1(VALU_DEP_1)
	s_or_b32 exec_lo, exec_lo, s20
	v_mov_b32_e32 v92, 0
	ds_load_b64 v[92:93], v92 offset:224
	s_wait_dscnt 0x0
	v_pk_mul_f32 v[94:95], v[90:91], v[92:93] op_sel:[1,1] op_sel_hi:[0,1]
	v_pk_fma_f32 v[96:97], v[90:91], v[92:93], v[94:95] op_sel_hi:[1,0,1]
	v_pk_fma_f32 v[90:91], v[90:91], v[92:93], v[94:95] neg_lo:[0,0,1] neg_hi:[0,0,1]
	s_delay_alu instid0(VALU_DEP_2)
	v_mov_b32_e32 v91, v97
	scratch_store_b64 off, v[90:91], off offset:224
.LBB42_145:
	s_wait_xcnt 0x0
	s_or_b32 exec_lo, exec_lo, s2
	scratch_load_b64 v[90:91], off, off offset:216
	v_cmp_lt_u32_e64 s1, 27, v0
	s_wait_loadcnt 0x0
	ds_store_b64 v1, v[90:91]
	s_wait_storecnt_dscnt 0x0
	s_barrier_signal -1
	s_barrier_wait -1
	s_wait_xcnt 0x0
	s_and_saveexec_b32 s2, s1
	s_cbranch_execz .LBB42_155
; %bb.146:
	s_and_not1_b32 vcc_lo, exec_lo, s3
	s_cbranch_vccnz .LBB42_148
; %bb.147:
	scratch_load_b64 v[90:91], v41, off
	ds_load_b64 v[92:93], v1
	s_wait_loadcnt_dscnt 0x0
	v_pk_mul_f32 v[94:95], v[92:93], v[90:91] op_sel:[1,1] op_sel_hi:[0,1]
	s_delay_alu instid0(VALU_DEP_1) | instskip(SKIP_1) | instid1(VALU_DEP_2)
	v_pk_fma_f32 v[96:97], v[92:93], v[90:91], v[94:95] op_sel_hi:[1,0,1]
	v_pk_fma_f32 v[90:91], v[92:93], v[90:91], v[94:95] neg_lo:[0,0,1] neg_hi:[0,0,1]
	v_mov_b32_e32 v91, v97
	s_cbranch_execz .LBB42_149
	s_branch .LBB42_150
.LBB42_148:
                                        ; implicit-def: $vgpr90_vgpr91
.LBB42_149:
	ds_load_b64 v[90:91], v1
.LBB42_150:
	s_and_saveexec_b32 s20, s0
	s_cbranch_execz .LBB42_154
; %bb.151:
	v_subrev_nc_u32_e32 v92, 28, v0
	s_movk_i32 s21, 0x240
	s_mov_b32 s0, 0
.LBB42_152:                             ; =>This Inner Loop Header: Depth=1
	scratch_load_b64 v[94:95], off, s19
	v_dual_mov_b32 v93, s21 :: v_dual_add_nc_u32 v92, -1, v92
	s_add_co_i32 s21, s21, 8
	s_wait_xcnt 0x0
	s_add_co_i32 s19, s19, 8
	ds_load_b64 v[96:97], v93
	v_cmp_eq_u32_e32 vcc_lo, 0, v92
	s_or_b32 s0, vcc_lo, s0
	s_wait_loadcnt_dscnt 0x0
	v_pk_mul_f32 v[98:99], v[96:97], v[94:95] op_sel:[1,1] op_sel_hi:[0,1]
	s_delay_alu instid0(VALU_DEP_1) | instskip(SKIP_1) | instid1(VALU_DEP_2)
	v_pk_fma_f32 v[100:101], v[96:97], v[94:95], v[98:99] op_sel_hi:[1,0,1]
	v_pk_fma_f32 v[94:95], v[96:97], v[94:95], v[98:99] neg_lo:[0,0,1] neg_hi:[0,0,1]
	v_mov_b32_e32 v95, v101
	s_delay_alu instid0(VALU_DEP_1)
	v_pk_add_f32 v[90:91], v[90:91], v[94:95]
	s_and_not1_b32 exec_lo, exec_lo, s0
	s_cbranch_execnz .LBB42_152
; %bb.153:
	s_or_b32 exec_lo, exec_lo, s0
.LBB42_154:
	s_delay_alu instid0(SALU_CYCLE_1) | instskip(SKIP_4) | instid1(VALU_DEP_1)
	s_or_b32 exec_lo, exec_lo, s20
	v_mov_b32_e32 v92, 0
	ds_load_b64 v[92:93], v92 offset:216
	s_wait_dscnt 0x0
	v_pk_mul_f32 v[94:95], v[90:91], v[92:93] op_sel:[1,1] op_sel_hi:[0,1]
	v_pk_fma_f32 v[96:97], v[90:91], v[92:93], v[94:95] op_sel_hi:[1,0,1]
	v_pk_fma_f32 v[90:91], v[90:91], v[92:93], v[94:95] neg_lo:[0,0,1] neg_hi:[0,0,1]
	s_delay_alu instid0(VALU_DEP_2)
	v_mov_b32_e32 v91, v97
	scratch_store_b64 off, v[90:91], off offset:216
.LBB42_155:
	s_wait_xcnt 0x0
	s_or_b32 exec_lo, exec_lo, s2
	scratch_load_b64 v[90:91], off, off offset:208
	v_cmp_lt_u32_e64 s0, 26, v0
	s_wait_loadcnt 0x0
	ds_store_b64 v1, v[90:91]
	s_wait_storecnt_dscnt 0x0
	s_barrier_signal -1
	s_barrier_wait -1
	s_wait_xcnt 0x0
	s_and_saveexec_b32 s2, s0
	s_cbranch_execz .LBB42_165
; %bb.156:
	s_and_not1_b32 vcc_lo, exec_lo, s3
	s_cbranch_vccnz .LBB42_158
; %bb.157:
	scratch_load_b64 v[90:91], v41, off
	ds_load_b64 v[92:93], v1
	s_wait_loadcnt_dscnt 0x0
	v_pk_mul_f32 v[94:95], v[92:93], v[90:91] op_sel:[1,1] op_sel_hi:[0,1]
	s_delay_alu instid0(VALU_DEP_1) | instskip(SKIP_1) | instid1(VALU_DEP_2)
	v_pk_fma_f32 v[96:97], v[92:93], v[90:91], v[94:95] op_sel_hi:[1,0,1]
	v_pk_fma_f32 v[90:91], v[92:93], v[90:91], v[94:95] neg_lo:[0,0,1] neg_hi:[0,0,1]
	v_mov_b32_e32 v91, v97
	s_cbranch_execz .LBB42_159
	s_branch .LBB42_160
.LBB42_158:
                                        ; implicit-def: $vgpr90_vgpr91
.LBB42_159:
	ds_load_b64 v[90:91], v1
.LBB42_160:
	s_and_saveexec_b32 s19, s1
	s_cbranch_execz .LBB42_164
; %bb.161:
	v_subrev_nc_u32_e32 v92, 27, v0
	s_movk_i32 s1, 0xd8
	s_movk_i32 s21, 0x238
	s_mov_b32 s20, 0
.LBB42_162:                             ; =>This Inner Loop Header: Depth=1
	scratch_load_b64 v[94:95], off, s1
	v_dual_mov_b32 v93, s21 :: v_dual_add_nc_u32 v92, -1, v92
	s_add_co_i32 s21, s21, 8
	s_wait_xcnt 0x0
	s_add_co_i32 s1, s1, 8
	ds_load_b64 v[96:97], v93
	v_cmp_eq_u32_e32 vcc_lo, 0, v92
	s_or_b32 s20, vcc_lo, s20
	s_wait_loadcnt_dscnt 0x0
	v_pk_mul_f32 v[98:99], v[96:97], v[94:95] op_sel:[1,1] op_sel_hi:[0,1]
	s_delay_alu instid0(VALU_DEP_1) | instskip(SKIP_1) | instid1(VALU_DEP_2)
	v_pk_fma_f32 v[100:101], v[96:97], v[94:95], v[98:99] op_sel_hi:[1,0,1]
	v_pk_fma_f32 v[94:95], v[96:97], v[94:95], v[98:99] neg_lo:[0,0,1] neg_hi:[0,0,1]
	v_mov_b32_e32 v95, v101
	s_delay_alu instid0(VALU_DEP_1)
	v_pk_add_f32 v[90:91], v[90:91], v[94:95]
	s_and_not1_b32 exec_lo, exec_lo, s20
	s_cbranch_execnz .LBB42_162
; %bb.163:
	s_or_b32 exec_lo, exec_lo, s20
.LBB42_164:
	s_delay_alu instid0(SALU_CYCLE_1) | instskip(SKIP_4) | instid1(VALU_DEP_1)
	s_or_b32 exec_lo, exec_lo, s19
	v_mov_b32_e32 v92, 0
	ds_load_b64 v[92:93], v92 offset:208
	s_wait_dscnt 0x0
	v_pk_mul_f32 v[94:95], v[90:91], v[92:93] op_sel:[1,1] op_sel_hi:[0,1]
	v_pk_fma_f32 v[96:97], v[90:91], v[92:93], v[94:95] op_sel_hi:[1,0,1]
	v_pk_fma_f32 v[90:91], v[90:91], v[92:93], v[94:95] neg_lo:[0,0,1] neg_hi:[0,0,1]
	s_delay_alu instid0(VALU_DEP_2)
	v_mov_b32_e32 v91, v97
	scratch_store_b64 off, v[90:91], off offset:208
.LBB42_165:
	s_wait_xcnt 0x0
	s_or_b32 exec_lo, exec_lo, s2
	scratch_load_b64 v[90:91], off, off offset:200
	v_cmp_lt_u32_e64 s1, 25, v0
	s_wait_loadcnt 0x0
	ds_store_b64 v1, v[90:91]
	s_wait_storecnt_dscnt 0x0
	s_barrier_signal -1
	s_barrier_wait -1
	s_wait_xcnt 0x0
	s_and_saveexec_b32 s2, s1
	s_cbranch_execz .LBB42_175
; %bb.166:
	s_and_not1_b32 vcc_lo, exec_lo, s3
	s_cbranch_vccnz .LBB42_168
; %bb.167:
	scratch_load_b64 v[90:91], v41, off
	ds_load_b64 v[92:93], v1
	s_wait_loadcnt_dscnt 0x0
	v_pk_mul_f32 v[94:95], v[92:93], v[90:91] op_sel:[1,1] op_sel_hi:[0,1]
	s_delay_alu instid0(VALU_DEP_1) | instskip(SKIP_1) | instid1(VALU_DEP_2)
	v_pk_fma_f32 v[96:97], v[92:93], v[90:91], v[94:95] op_sel_hi:[1,0,1]
	v_pk_fma_f32 v[90:91], v[92:93], v[90:91], v[94:95] neg_lo:[0,0,1] neg_hi:[0,0,1]
	v_mov_b32_e32 v91, v97
	s_cbranch_execz .LBB42_169
	s_branch .LBB42_170
.LBB42_168:
                                        ; implicit-def: $vgpr90_vgpr91
.LBB42_169:
	ds_load_b64 v[90:91], v1
.LBB42_170:
	s_and_saveexec_b32 s19, s0
	s_cbranch_execz .LBB42_174
; %bb.171:
	v_subrev_nc_u32_e32 v92, 26, v0
	s_movk_i32 s20, 0x230
	s_mov_b32 s0, 0
.LBB42_172:                             ; =>This Inner Loop Header: Depth=1
	scratch_load_b64 v[94:95], off, s18
	v_dual_mov_b32 v93, s20 :: v_dual_add_nc_u32 v92, -1, v92
	s_add_co_i32 s20, s20, 8
	s_wait_xcnt 0x0
	s_add_co_i32 s18, s18, 8
	ds_load_b64 v[96:97], v93
	v_cmp_eq_u32_e32 vcc_lo, 0, v92
	s_or_b32 s0, vcc_lo, s0
	s_wait_loadcnt_dscnt 0x0
	v_pk_mul_f32 v[98:99], v[96:97], v[94:95] op_sel:[1,1] op_sel_hi:[0,1]
	s_delay_alu instid0(VALU_DEP_1) | instskip(SKIP_1) | instid1(VALU_DEP_2)
	v_pk_fma_f32 v[100:101], v[96:97], v[94:95], v[98:99] op_sel_hi:[1,0,1]
	v_pk_fma_f32 v[94:95], v[96:97], v[94:95], v[98:99] neg_lo:[0,0,1] neg_hi:[0,0,1]
	v_mov_b32_e32 v95, v101
	s_delay_alu instid0(VALU_DEP_1)
	v_pk_add_f32 v[90:91], v[90:91], v[94:95]
	s_and_not1_b32 exec_lo, exec_lo, s0
	s_cbranch_execnz .LBB42_172
; %bb.173:
	s_or_b32 exec_lo, exec_lo, s0
.LBB42_174:
	s_delay_alu instid0(SALU_CYCLE_1) | instskip(SKIP_4) | instid1(VALU_DEP_1)
	s_or_b32 exec_lo, exec_lo, s19
	v_mov_b32_e32 v92, 0
	ds_load_b64 v[92:93], v92 offset:200
	s_wait_dscnt 0x0
	v_pk_mul_f32 v[94:95], v[90:91], v[92:93] op_sel:[1,1] op_sel_hi:[0,1]
	v_pk_fma_f32 v[96:97], v[90:91], v[92:93], v[94:95] op_sel_hi:[1,0,1]
	v_pk_fma_f32 v[90:91], v[90:91], v[92:93], v[94:95] neg_lo:[0,0,1] neg_hi:[0,0,1]
	s_delay_alu instid0(VALU_DEP_2)
	v_mov_b32_e32 v91, v97
	scratch_store_b64 off, v[90:91], off offset:200
.LBB42_175:
	s_wait_xcnt 0x0
	s_or_b32 exec_lo, exec_lo, s2
	scratch_load_b64 v[90:91], off, off offset:192
	v_cmp_lt_u32_e64 s0, 24, v0
	s_wait_loadcnt 0x0
	ds_store_b64 v1, v[90:91]
	s_wait_storecnt_dscnt 0x0
	s_barrier_signal -1
	s_barrier_wait -1
	s_wait_xcnt 0x0
	s_and_saveexec_b32 s2, s0
	s_cbranch_execz .LBB42_185
; %bb.176:
	s_and_not1_b32 vcc_lo, exec_lo, s3
	s_cbranch_vccnz .LBB42_178
; %bb.177:
	scratch_load_b64 v[90:91], v41, off
	ds_load_b64 v[92:93], v1
	s_wait_loadcnt_dscnt 0x0
	v_pk_mul_f32 v[94:95], v[92:93], v[90:91] op_sel:[1,1] op_sel_hi:[0,1]
	s_delay_alu instid0(VALU_DEP_1) | instskip(SKIP_1) | instid1(VALU_DEP_2)
	v_pk_fma_f32 v[96:97], v[92:93], v[90:91], v[94:95] op_sel_hi:[1,0,1]
	v_pk_fma_f32 v[90:91], v[92:93], v[90:91], v[94:95] neg_lo:[0,0,1] neg_hi:[0,0,1]
	v_mov_b32_e32 v91, v97
	s_cbranch_execz .LBB42_179
	s_branch .LBB42_180
.LBB42_178:
                                        ; implicit-def: $vgpr90_vgpr91
.LBB42_179:
	ds_load_b64 v[90:91], v1
.LBB42_180:
	s_and_saveexec_b32 s18, s1
	s_cbranch_execz .LBB42_184
; %bb.181:
	v_subrev_nc_u32_e32 v92, 25, v0
	s_movk_i32 s1, 0xc8
	s_movk_i32 s20, 0x228
	s_mov_b32 s19, 0
.LBB42_182:                             ; =>This Inner Loop Header: Depth=1
	scratch_load_b64 v[94:95], off, s1
	v_dual_mov_b32 v93, s20 :: v_dual_add_nc_u32 v92, -1, v92
	s_add_co_i32 s20, s20, 8
	s_wait_xcnt 0x0
	s_add_co_i32 s1, s1, 8
	ds_load_b64 v[96:97], v93
	v_cmp_eq_u32_e32 vcc_lo, 0, v92
	s_or_b32 s19, vcc_lo, s19
	s_wait_loadcnt_dscnt 0x0
	v_pk_mul_f32 v[98:99], v[96:97], v[94:95] op_sel:[1,1] op_sel_hi:[0,1]
	s_delay_alu instid0(VALU_DEP_1) | instskip(SKIP_1) | instid1(VALU_DEP_2)
	v_pk_fma_f32 v[100:101], v[96:97], v[94:95], v[98:99] op_sel_hi:[1,0,1]
	v_pk_fma_f32 v[94:95], v[96:97], v[94:95], v[98:99] neg_lo:[0,0,1] neg_hi:[0,0,1]
	v_mov_b32_e32 v95, v101
	s_delay_alu instid0(VALU_DEP_1)
	v_pk_add_f32 v[90:91], v[90:91], v[94:95]
	s_and_not1_b32 exec_lo, exec_lo, s19
	s_cbranch_execnz .LBB42_182
; %bb.183:
	s_or_b32 exec_lo, exec_lo, s19
.LBB42_184:
	s_delay_alu instid0(SALU_CYCLE_1) | instskip(SKIP_4) | instid1(VALU_DEP_1)
	s_or_b32 exec_lo, exec_lo, s18
	v_mov_b32_e32 v92, 0
	ds_load_b64 v[92:93], v92 offset:192
	s_wait_dscnt 0x0
	v_pk_mul_f32 v[94:95], v[90:91], v[92:93] op_sel:[1,1] op_sel_hi:[0,1]
	v_pk_fma_f32 v[96:97], v[90:91], v[92:93], v[94:95] op_sel_hi:[1,0,1]
	v_pk_fma_f32 v[90:91], v[90:91], v[92:93], v[94:95] neg_lo:[0,0,1] neg_hi:[0,0,1]
	s_delay_alu instid0(VALU_DEP_2)
	v_mov_b32_e32 v91, v97
	scratch_store_b64 off, v[90:91], off offset:192
.LBB42_185:
	s_wait_xcnt 0x0
	s_or_b32 exec_lo, exec_lo, s2
	scratch_load_b64 v[90:91], off, off offset:184
	v_cmp_lt_u32_e64 s1, 23, v0
	s_wait_loadcnt 0x0
	ds_store_b64 v1, v[90:91]
	s_wait_storecnt_dscnt 0x0
	s_barrier_signal -1
	s_barrier_wait -1
	s_wait_xcnt 0x0
	s_and_saveexec_b32 s2, s1
	s_cbranch_execz .LBB42_195
; %bb.186:
	s_and_not1_b32 vcc_lo, exec_lo, s3
	s_cbranch_vccnz .LBB42_188
; %bb.187:
	scratch_load_b64 v[90:91], v41, off
	ds_load_b64 v[92:93], v1
	s_wait_loadcnt_dscnt 0x0
	v_pk_mul_f32 v[94:95], v[92:93], v[90:91] op_sel:[1,1] op_sel_hi:[0,1]
	s_delay_alu instid0(VALU_DEP_1) | instskip(SKIP_1) | instid1(VALU_DEP_2)
	v_pk_fma_f32 v[96:97], v[92:93], v[90:91], v[94:95] op_sel_hi:[1,0,1]
	v_pk_fma_f32 v[90:91], v[92:93], v[90:91], v[94:95] neg_lo:[0,0,1] neg_hi:[0,0,1]
	v_mov_b32_e32 v91, v97
	s_cbranch_execz .LBB42_189
	s_branch .LBB42_190
.LBB42_188:
                                        ; implicit-def: $vgpr90_vgpr91
.LBB42_189:
	ds_load_b64 v[90:91], v1
.LBB42_190:
	s_and_saveexec_b32 s18, s0
	s_cbranch_execz .LBB42_194
; %bb.191:
	v_subrev_nc_u32_e32 v92, 24, v0
	s_movk_i32 s19, 0x220
	s_mov_b32 s0, 0
.LBB42_192:                             ; =>This Inner Loop Header: Depth=1
	scratch_load_b64 v[94:95], off, s17
	v_dual_mov_b32 v93, s19 :: v_dual_add_nc_u32 v92, -1, v92
	s_add_co_i32 s19, s19, 8
	s_wait_xcnt 0x0
	s_add_co_i32 s17, s17, 8
	ds_load_b64 v[96:97], v93
	v_cmp_eq_u32_e32 vcc_lo, 0, v92
	s_or_b32 s0, vcc_lo, s0
	s_wait_loadcnt_dscnt 0x0
	v_pk_mul_f32 v[98:99], v[96:97], v[94:95] op_sel:[1,1] op_sel_hi:[0,1]
	s_delay_alu instid0(VALU_DEP_1) | instskip(SKIP_1) | instid1(VALU_DEP_2)
	v_pk_fma_f32 v[100:101], v[96:97], v[94:95], v[98:99] op_sel_hi:[1,0,1]
	v_pk_fma_f32 v[94:95], v[96:97], v[94:95], v[98:99] neg_lo:[0,0,1] neg_hi:[0,0,1]
	v_mov_b32_e32 v95, v101
	s_delay_alu instid0(VALU_DEP_1)
	v_pk_add_f32 v[90:91], v[90:91], v[94:95]
	s_and_not1_b32 exec_lo, exec_lo, s0
	s_cbranch_execnz .LBB42_192
; %bb.193:
	s_or_b32 exec_lo, exec_lo, s0
.LBB42_194:
	s_delay_alu instid0(SALU_CYCLE_1) | instskip(SKIP_4) | instid1(VALU_DEP_1)
	s_or_b32 exec_lo, exec_lo, s18
	v_mov_b32_e32 v92, 0
	ds_load_b64 v[92:93], v92 offset:184
	s_wait_dscnt 0x0
	v_pk_mul_f32 v[94:95], v[90:91], v[92:93] op_sel:[1,1] op_sel_hi:[0,1]
	v_pk_fma_f32 v[96:97], v[90:91], v[92:93], v[94:95] op_sel_hi:[1,0,1]
	v_pk_fma_f32 v[90:91], v[90:91], v[92:93], v[94:95] neg_lo:[0,0,1] neg_hi:[0,0,1]
	s_delay_alu instid0(VALU_DEP_2)
	v_mov_b32_e32 v91, v97
	scratch_store_b64 off, v[90:91], off offset:184
.LBB42_195:
	s_wait_xcnt 0x0
	s_or_b32 exec_lo, exec_lo, s2
	scratch_load_b64 v[90:91], off, off offset:176
	v_cmp_lt_u32_e64 s0, 22, v0
	s_wait_loadcnt 0x0
	ds_store_b64 v1, v[90:91]
	s_wait_storecnt_dscnt 0x0
	s_barrier_signal -1
	s_barrier_wait -1
	s_wait_xcnt 0x0
	s_and_saveexec_b32 s2, s0
	s_cbranch_execz .LBB42_205
; %bb.196:
	s_and_not1_b32 vcc_lo, exec_lo, s3
	s_cbranch_vccnz .LBB42_198
; %bb.197:
	scratch_load_b64 v[90:91], v41, off
	ds_load_b64 v[92:93], v1
	s_wait_loadcnt_dscnt 0x0
	v_pk_mul_f32 v[94:95], v[92:93], v[90:91] op_sel:[1,1] op_sel_hi:[0,1]
	s_delay_alu instid0(VALU_DEP_1) | instskip(SKIP_1) | instid1(VALU_DEP_2)
	v_pk_fma_f32 v[96:97], v[92:93], v[90:91], v[94:95] op_sel_hi:[1,0,1]
	v_pk_fma_f32 v[90:91], v[92:93], v[90:91], v[94:95] neg_lo:[0,0,1] neg_hi:[0,0,1]
	v_mov_b32_e32 v91, v97
	s_cbranch_execz .LBB42_199
	s_branch .LBB42_200
.LBB42_198:
                                        ; implicit-def: $vgpr90_vgpr91
.LBB42_199:
	ds_load_b64 v[90:91], v1
.LBB42_200:
	s_and_saveexec_b32 s17, s1
	s_cbranch_execz .LBB42_204
; %bb.201:
	v_subrev_nc_u32_e32 v92, 23, v0
	s_movk_i32 s1, 0xb8
	s_movk_i32 s19, 0x218
	s_mov_b32 s18, 0
.LBB42_202:                             ; =>This Inner Loop Header: Depth=1
	scratch_load_b64 v[94:95], off, s1
	v_dual_mov_b32 v93, s19 :: v_dual_add_nc_u32 v92, -1, v92
	s_add_co_i32 s19, s19, 8
	s_wait_xcnt 0x0
	s_add_co_i32 s1, s1, 8
	ds_load_b64 v[96:97], v93
	v_cmp_eq_u32_e32 vcc_lo, 0, v92
	s_or_b32 s18, vcc_lo, s18
	s_wait_loadcnt_dscnt 0x0
	v_pk_mul_f32 v[98:99], v[96:97], v[94:95] op_sel:[1,1] op_sel_hi:[0,1]
	s_delay_alu instid0(VALU_DEP_1) | instskip(SKIP_1) | instid1(VALU_DEP_2)
	v_pk_fma_f32 v[100:101], v[96:97], v[94:95], v[98:99] op_sel_hi:[1,0,1]
	v_pk_fma_f32 v[94:95], v[96:97], v[94:95], v[98:99] neg_lo:[0,0,1] neg_hi:[0,0,1]
	v_mov_b32_e32 v95, v101
	s_delay_alu instid0(VALU_DEP_1)
	v_pk_add_f32 v[90:91], v[90:91], v[94:95]
	s_and_not1_b32 exec_lo, exec_lo, s18
	s_cbranch_execnz .LBB42_202
; %bb.203:
	s_or_b32 exec_lo, exec_lo, s18
.LBB42_204:
	s_delay_alu instid0(SALU_CYCLE_1) | instskip(SKIP_4) | instid1(VALU_DEP_1)
	s_or_b32 exec_lo, exec_lo, s17
	v_mov_b32_e32 v92, 0
	ds_load_b64 v[92:93], v92 offset:176
	s_wait_dscnt 0x0
	v_pk_mul_f32 v[94:95], v[90:91], v[92:93] op_sel:[1,1] op_sel_hi:[0,1]
	v_pk_fma_f32 v[96:97], v[90:91], v[92:93], v[94:95] op_sel_hi:[1,0,1]
	v_pk_fma_f32 v[90:91], v[90:91], v[92:93], v[94:95] neg_lo:[0,0,1] neg_hi:[0,0,1]
	s_delay_alu instid0(VALU_DEP_2)
	v_mov_b32_e32 v91, v97
	scratch_store_b64 off, v[90:91], off offset:176
.LBB42_205:
	s_wait_xcnt 0x0
	s_or_b32 exec_lo, exec_lo, s2
	scratch_load_b64 v[90:91], off, off offset:168
	v_cmp_lt_u32_e64 s1, 21, v0
	s_wait_loadcnt 0x0
	ds_store_b64 v1, v[90:91]
	s_wait_storecnt_dscnt 0x0
	s_barrier_signal -1
	s_barrier_wait -1
	s_wait_xcnt 0x0
	s_and_saveexec_b32 s2, s1
	s_cbranch_execz .LBB42_215
; %bb.206:
	s_and_not1_b32 vcc_lo, exec_lo, s3
	s_cbranch_vccnz .LBB42_208
; %bb.207:
	scratch_load_b64 v[90:91], v41, off
	ds_load_b64 v[92:93], v1
	s_wait_loadcnt_dscnt 0x0
	v_pk_mul_f32 v[94:95], v[92:93], v[90:91] op_sel:[1,1] op_sel_hi:[0,1]
	s_delay_alu instid0(VALU_DEP_1) | instskip(SKIP_1) | instid1(VALU_DEP_2)
	v_pk_fma_f32 v[96:97], v[92:93], v[90:91], v[94:95] op_sel_hi:[1,0,1]
	v_pk_fma_f32 v[90:91], v[92:93], v[90:91], v[94:95] neg_lo:[0,0,1] neg_hi:[0,0,1]
	v_mov_b32_e32 v91, v97
	s_cbranch_execz .LBB42_209
	s_branch .LBB42_210
.LBB42_208:
                                        ; implicit-def: $vgpr90_vgpr91
.LBB42_209:
	ds_load_b64 v[90:91], v1
.LBB42_210:
	s_and_saveexec_b32 s17, s0
	s_cbranch_execz .LBB42_214
; %bb.211:
	v_subrev_nc_u32_e32 v92, 22, v0
	s_movk_i32 s18, 0x210
	s_mov_b32 s0, 0
.LBB42_212:                             ; =>This Inner Loop Header: Depth=1
	scratch_load_b64 v[94:95], off, s16
	v_dual_mov_b32 v93, s18 :: v_dual_add_nc_u32 v92, -1, v92
	s_add_co_i32 s18, s18, 8
	s_wait_xcnt 0x0
	s_add_co_i32 s16, s16, 8
	ds_load_b64 v[96:97], v93
	v_cmp_eq_u32_e32 vcc_lo, 0, v92
	s_or_b32 s0, vcc_lo, s0
	s_wait_loadcnt_dscnt 0x0
	v_pk_mul_f32 v[98:99], v[96:97], v[94:95] op_sel:[1,1] op_sel_hi:[0,1]
	s_delay_alu instid0(VALU_DEP_1) | instskip(SKIP_1) | instid1(VALU_DEP_2)
	v_pk_fma_f32 v[100:101], v[96:97], v[94:95], v[98:99] op_sel_hi:[1,0,1]
	v_pk_fma_f32 v[94:95], v[96:97], v[94:95], v[98:99] neg_lo:[0,0,1] neg_hi:[0,0,1]
	v_mov_b32_e32 v95, v101
	s_delay_alu instid0(VALU_DEP_1)
	v_pk_add_f32 v[90:91], v[90:91], v[94:95]
	s_and_not1_b32 exec_lo, exec_lo, s0
	s_cbranch_execnz .LBB42_212
; %bb.213:
	s_or_b32 exec_lo, exec_lo, s0
.LBB42_214:
	s_delay_alu instid0(SALU_CYCLE_1) | instskip(SKIP_4) | instid1(VALU_DEP_1)
	s_or_b32 exec_lo, exec_lo, s17
	v_mov_b32_e32 v92, 0
	ds_load_b64 v[92:93], v92 offset:168
	s_wait_dscnt 0x0
	v_pk_mul_f32 v[94:95], v[90:91], v[92:93] op_sel:[1,1] op_sel_hi:[0,1]
	v_pk_fma_f32 v[96:97], v[90:91], v[92:93], v[94:95] op_sel_hi:[1,0,1]
	v_pk_fma_f32 v[90:91], v[90:91], v[92:93], v[94:95] neg_lo:[0,0,1] neg_hi:[0,0,1]
	s_delay_alu instid0(VALU_DEP_2)
	v_mov_b32_e32 v91, v97
	scratch_store_b64 off, v[90:91], off offset:168
.LBB42_215:
	s_wait_xcnt 0x0
	s_or_b32 exec_lo, exec_lo, s2
	scratch_load_b64 v[90:91], off, off offset:160
	v_cmp_lt_u32_e64 s0, 20, v0
	s_wait_loadcnt 0x0
	ds_store_b64 v1, v[90:91]
	s_wait_storecnt_dscnt 0x0
	s_barrier_signal -1
	s_barrier_wait -1
	s_wait_xcnt 0x0
	s_and_saveexec_b32 s2, s0
	s_cbranch_execz .LBB42_225
; %bb.216:
	s_and_not1_b32 vcc_lo, exec_lo, s3
	s_cbranch_vccnz .LBB42_218
; %bb.217:
	scratch_load_b64 v[90:91], v41, off
	ds_load_b64 v[92:93], v1
	s_wait_loadcnt_dscnt 0x0
	v_pk_mul_f32 v[94:95], v[92:93], v[90:91] op_sel:[1,1] op_sel_hi:[0,1]
	s_delay_alu instid0(VALU_DEP_1) | instskip(SKIP_1) | instid1(VALU_DEP_2)
	v_pk_fma_f32 v[96:97], v[92:93], v[90:91], v[94:95] op_sel_hi:[1,0,1]
	v_pk_fma_f32 v[90:91], v[92:93], v[90:91], v[94:95] neg_lo:[0,0,1] neg_hi:[0,0,1]
	v_mov_b32_e32 v91, v97
	s_cbranch_execz .LBB42_219
	s_branch .LBB42_220
.LBB42_218:
                                        ; implicit-def: $vgpr90_vgpr91
.LBB42_219:
	ds_load_b64 v[90:91], v1
.LBB42_220:
	s_and_saveexec_b32 s16, s1
	s_cbranch_execz .LBB42_224
; %bb.221:
	v_subrev_nc_u32_e32 v92, 21, v0
	s_movk_i32 s1, 0xa8
	s_movk_i32 s18, 0x208
	s_mov_b32 s17, 0
.LBB42_222:                             ; =>This Inner Loop Header: Depth=1
	scratch_load_b64 v[94:95], off, s1
	v_dual_mov_b32 v93, s18 :: v_dual_add_nc_u32 v92, -1, v92
	s_add_co_i32 s18, s18, 8
	s_wait_xcnt 0x0
	s_add_co_i32 s1, s1, 8
	ds_load_b64 v[96:97], v93
	v_cmp_eq_u32_e32 vcc_lo, 0, v92
	s_or_b32 s17, vcc_lo, s17
	s_wait_loadcnt_dscnt 0x0
	v_pk_mul_f32 v[98:99], v[96:97], v[94:95] op_sel:[1,1] op_sel_hi:[0,1]
	s_delay_alu instid0(VALU_DEP_1) | instskip(SKIP_1) | instid1(VALU_DEP_2)
	v_pk_fma_f32 v[100:101], v[96:97], v[94:95], v[98:99] op_sel_hi:[1,0,1]
	v_pk_fma_f32 v[94:95], v[96:97], v[94:95], v[98:99] neg_lo:[0,0,1] neg_hi:[0,0,1]
	v_mov_b32_e32 v95, v101
	s_delay_alu instid0(VALU_DEP_1)
	v_pk_add_f32 v[90:91], v[90:91], v[94:95]
	s_and_not1_b32 exec_lo, exec_lo, s17
	s_cbranch_execnz .LBB42_222
; %bb.223:
	s_or_b32 exec_lo, exec_lo, s17
.LBB42_224:
	s_delay_alu instid0(SALU_CYCLE_1) | instskip(SKIP_4) | instid1(VALU_DEP_1)
	s_or_b32 exec_lo, exec_lo, s16
	v_mov_b32_e32 v92, 0
	ds_load_b64 v[92:93], v92 offset:160
	s_wait_dscnt 0x0
	v_pk_mul_f32 v[94:95], v[90:91], v[92:93] op_sel:[1,1] op_sel_hi:[0,1]
	v_pk_fma_f32 v[96:97], v[90:91], v[92:93], v[94:95] op_sel_hi:[1,0,1]
	v_pk_fma_f32 v[90:91], v[90:91], v[92:93], v[94:95] neg_lo:[0,0,1] neg_hi:[0,0,1]
	s_delay_alu instid0(VALU_DEP_2)
	v_mov_b32_e32 v91, v97
	scratch_store_b64 off, v[90:91], off offset:160
.LBB42_225:
	s_wait_xcnt 0x0
	s_or_b32 exec_lo, exec_lo, s2
	scratch_load_b64 v[90:91], off, off offset:152
	v_cmp_lt_u32_e64 s1, 19, v0
	s_wait_loadcnt 0x0
	ds_store_b64 v1, v[90:91]
	s_wait_storecnt_dscnt 0x0
	s_barrier_signal -1
	s_barrier_wait -1
	s_wait_xcnt 0x0
	s_and_saveexec_b32 s2, s1
	s_cbranch_execz .LBB42_235
; %bb.226:
	s_and_not1_b32 vcc_lo, exec_lo, s3
	s_cbranch_vccnz .LBB42_228
; %bb.227:
	scratch_load_b64 v[90:91], v41, off
	ds_load_b64 v[92:93], v1
	s_wait_loadcnt_dscnt 0x0
	v_pk_mul_f32 v[94:95], v[92:93], v[90:91] op_sel:[1,1] op_sel_hi:[0,1]
	s_delay_alu instid0(VALU_DEP_1) | instskip(SKIP_1) | instid1(VALU_DEP_2)
	v_pk_fma_f32 v[96:97], v[92:93], v[90:91], v[94:95] op_sel_hi:[1,0,1]
	v_pk_fma_f32 v[90:91], v[92:93], v[90:91], v[94:95] neg_lo:[0,0,1] neg_hi:[0,0,1]
	v_mov_b32_e32 v91, v97
	s_cbranch_execz .LBB42_229
	s_branch .LBB42_230
.LBB42_228:
                                        ; implicit-def: $vgpr90_vgpr91
.LBB42_229:
	ds_load_b64 v[90:91], v1
.LBB42_230:
	s_and_saveexec_b32 s16, s0
	s_cbranch_execz .LBB42_234
; %bb.231:
	v_subrev_nc_u32_e32 v92, 20, v0
	s_movk_i32 s17, 0x200
	s_mov_b32 s0, 0
.LBB42_232:                             ; =>This Inner Loop Header: Depth=1
	scratch_load_b64 v[94:95], off, s15
	v_dual_mov_b32 v93, s17 :: v_dual_add_nc_u32 v92, -1, v92
	s_add_co_i32 s17, s17, 8
	s_wait_xcnt 0x0
	s_add_co_i32 s15, s15, 8
	ds_load_b64 v[96:97], v93
	v_cmp_eq_u32_e32 vcc_lo, 0, v92
	s_or_b32 s0, vcc_lo, s0
	s_wait_loadcnt_dscnt 0x0
	v_pk_mul_f32 v[98:99], v[96:97], v[94:95] op_sel:[1,1] op_sel_hi:[0,1]
	s_delay_alu instid0(VALU_DEP_1) | instskip(SKIP_1) | instid1(VALU_DEP_2)
	v_pk_fma_f32 v[100:101], v[96:97], v[94:95], v[98:99] op_sel_hi:[1,0,1]
	v_pk_fma_f32 v[94:95], v[96:97], v[94:95], v[98:99] neg_lo:[0,0,1] neg_hi:[0,0,1]
	v_mov_b32_e32 v95, v101
	s_delay_alu instid0(VALU_DEP_1)
	v_pk_add_f32 v[90:91], v[90:91], v[94:95]
	s_and_not1_b32 exec_lo, exec_lo, s0
	s_cbranch_execnz .LBB42_232
; %bb.233:
	s_or_b32 exec_lo, exec_lo, s0
.LBB42_234:
	s_delay_alu instid0(SALU_CYCLE_1) | instskip(SKIP_4) | instid1(VALU_DEP_1)
	s_or_b32 exec_lo, exec_lo, s16
	v_mov_b32_e32 v92, 0
	ds_load_b64 v[92:93], v92 offset:152
	s_wait_dscnt 0x0
	v_pk_mul_f32 v[94:95], v[90:91], v[92:93] op_sel:[1,1] op_sel_hi:[0,1]
	v_pk_fma_f32 v[96:97], v[90:91], v[92:93], v[94:95] op_sel_hi:[1,0,1]
	v_pk_fma_f32 v[90:91], v[90:91], v[92:93], v[94:95] neg_lo:[0,0,1] neg_hi:[0,0,1]
	s_delay_alu instid0(VALU_DEP_2)
	v_mov_b32_e32 v91, v97
	scratch_store_b64 off, v[90:91], off offset:152
.LBB42_235:
	s_wait_xcnt 0x0
	s_or_b32 exec_lo, exec_lo, s2
	scratch_load_b64 v[90:91], off, off offset:144
	v_cmp_lt_u32_e64 s0, 18, v0
	s_wait_loadcnt 0x0
	ds_store_b64 v1, v[90:91]
	s_wait_storecnt_dscnt 0x0
	s_barrier_signal -1
	s_barrier_wait -1
	s_wait_xcnt 0x0
	s_and_saveexec_b32 s2, s0
	s_cbranch_execz .LBB42_245
; %bb.236:
	s_and_not1_b32 vcc_lo, exec_lo, s3
	s_cbranch_vccnz .LBB42_238
; %bb.237:
	scratch_load_b64 v[90:91], v41, off
	ds_load_b64 v[92:93], v1
	s_wait_loadcnt_dscnt 0x0
	v_pk_mul_f32 v[94:95], v[92:93], v[90:91] op_sel:[1,1] op_sel_hi:[0,1]
	s_delay_alu instid0(VALU_DEP_1) | instskip(SKIP_1) | instid1(VALU_DEP_2)
	v_pk_fma_f32 v[96:97], v[92:93], v[90:91], v[94:95] op_sel_hi:[1,0,1]
	v_pk_fma_f32 v[90:91], v[92:93], v[90:91], v[94:95] neg_lo:[0,0,1] neg_hi:[0,0,1]
	v_mov_b32_e32 v91, v97
	s_cbranch_execz .LBB42_239
	s_branch .LBB42_240
.LBB42_238:
                                        ; implicit-def: $vgpr90_vgpr91
.LBB42_239:
	ds_load_b64 v[90:91], v1
.LBB42_240:
	s_and_saveexec_b32 s15, s1
	s_cbranch_execz .LBB42_244
; %bb.241:
	v_subrev_nc_u32_e32 v92, 19, v0
	s_movk_i32 s1, 0x98
	s_movk_i32 s17, 0x1f8
	s_mov_b32 s16, 0
.LBB42_242:                             ; =>This Inner Loop Header: Depth=1
	scratch_load_b64 v[94:95], off, s1
	v_dual_mov_b32 v93, s17 :: v_dual_add_nc_u32 v92, -1, v92
	s_add_co_i32 s17, s17, 8
	s_wait_xcnt 0x0
	s_add_co_i32 s1, s1, 8
	ds_load_b64 v[96:97], v93
	v_cmp_eq_u32_e32 vcc_lo, 0, v92
	s_or_b32 s16, vcc_lo, s16
	s_wait_loadcnt_dscnt 0x0
	v_pk_mul_f32 v[98:99], v[96:97], v[94:95] op_sel:[1,1] op_sel_hi:[0,1]
	s_delay_alu instid0(VALU_DEP_1) | instskip(SKIP_1) | instid1(VALU_DEP_2)
	v_pk_fma_f32 v[100:101], v[96:97], v[94:95], v[98:99] op_sel_hi:[1,0,1]
	v_pk_fma_f32 v[94:95], v[96:97], v[94:95], v[98:99] neg_lo:[0,0,1] neg_hi:[0,0,1]
	v_mov_b32_e32 v95, v101
	s_delay_alu instid0(VALU_DEP_1)
	v_pk_add_f32 v[90:91], v[90:91], v[94:95]
	s_and_not1_b32 exec_lo, exec_lo, s16
	s_cbranch_execnz .LBB42_242
; %bb.243:
	s_or_b32 exec_lo, exec_lo, s16
.LBB42_244:
	s_delay_alu instid0(SALU_CYCLE_1) | instskip(SKIP_4) | instid1(VALU_DEP_1)
	s_or_b32 exec_lo, exec_lo, s15
	v_mov_b32_e32 v92, 0
	ds_load_b64 v[92:93], v92 offset:144
	s_wait_dscnt 0x0
	v_pk_mul_f32 v[94:95], v[90:91], v[92:93] op_sel:[1,1] op_sel_hi:[0,1]
	v_pk_fma_f32 v[96:97], v[90:91], v[92:93], v[94:95] op_sel_hi:[1,0,1]
	v_pk_fma_f32 v[90:91], v[90:91], v[92:93], v[94:95] neg_lo:[0,0,1] neg_hi:[0,0,1]
	s_delay_alu instid0(VALU_DEP_2)
	v_mov_b32_e32 v91, v97
	scratch_store_b64 off, v[90:91], off offset:144
.LBB42_245:
	s_wait_xcnt 0x0
	s_or_b32 exec_lo, exec_lo, s2
	scratch_load_b64 v[90:91], off, off offset:136
	v_cmp_lt_u32_e64 s1, 17, v0
	s_wait_loadcnt 0x0
	ds_store_b64 v1, v[90:91]
	s_wait_storecnt_dscnt 0x0
	s_barrier_signal -1
	s_barrier_wait -1
	s_wait_xcnt 0x0
	s_and_saveexec_b32 s2, s1
	s_cbranch_execz .LBB42_255
; %bb.246:
	s_and_not1_b32 vcc_lo, exec_lo, s3
	s_cbranch_vccnz .LBB42_248
; %bb.247:
	scratch_load_b64 v[90:91], v41, off
	ds_load_b64 v[92:93], v1
	s_wait_loadcnt_dscnt 0x0
	v_pk_mul_f32 v[94:95], v[92:93], v[90:91] op_sel:[1,1] op_sel_hi:[0,1]
	s_delay_alu instid0(VALU_DEP_1) | instskip(SKIP_1) | instid1(VALU_DEP_2)
	v_pk_fma_f32 v[96:97], v[92:93], v[90:91], v[94:95] op_sel_hi:[1,0,1]
	v_pk_fma_f32 v[90:91], v[92:93], v[90:91], v[94:95] neg_lo:[0,0,1] neg_hi:[0,0,1]
	v_mov_b32_e32 v91, v97
	s_cbranch_execz .LBB42_249
	s_branch .LBB42_250
.LBB42_248:
                                        ; implicit-def: $vgpr90_vgpr91
.LBB42_249:
	ds_load_b64 v[90:91], v1
.LBB42_250:
	s_and_saveexec_b32 s15, s0
	s_cbranch_execz .LBB42_254
; %bb.251:
	v_subrev_nc_u32_e32 v92, 18, v0
	s_movk_i32 s16, 0x1f0
	s_mov_b32 s0, 0
.LBB42_252:                             ; =>This Inner Loop Header: Depth=1
	scratch_load_b64 v[94:95], off, s14
	v_dual_mov_b32 v93, s16 :: v_dual_add_nc_u32 v92, -1, v92
	s_add_co_i32 s16, s16, 8
	s_wait_xcnt 0x0
	s_add_co_i32 s14, s14, 8
	ds_load_b64 v[96:97], v93
	v_cmp_eq_u32_e32 vcc_lo, 0, v92
	s_or_b32 s0, vcc_lo, s0
	s_wait_loadcnt_dscnt 0x0
	v_pk_mul_f32 v[98:99], v[96:97], v[94:95] op_sel:[1,1] op_sel_hi:[0,1]
	s_delay_alu instid0(VALU_DEP_1) | instskip(SKIP_1) | instid1(VALU_DEP_2)
	v_pk_fma_f32 v[100:101], v[96:97], v[94:95], v[98:99] op_sel_hi:[1,0,1]
	v_pk_fma_f32 v[94:95], v[96:97], v[94:95], v[98:99] neg_lo:[0,0,1] neg_hi:[0,0,1]
	v_mov_b32_e32 v95, v101
	s_delay_alu instid0(VALU_DEP_1)
	v_pk_add_f32 v[90:91], v[90:91], v[94:95]
	s_and_not1_b32 exec_lo, exec_lo, s0
	s_cbranch_execnz .LBB42_252
; %bb.253:
	s_or_b32 exec_lo, exec_lo, s0
.LBB42_254:
	s_delay_alu instid0(SALU_CYCLE_1) | instskip(SKIP_4) | instid1(VALU_DEP_1)
	s_or_b32 exec_lo, exec_lo, s15
	v_mov_b32_e32 v92, 0
	ds_load_b64 v[92:93], v92 offset:136
	s_wait_dscnt 0x0
	v_pk_mul_f32 v[94:95], v[90:91], v[92:93] op_sel:[1,1] op_sel_hi:[0,1]
	v_pk_fma_f32 v[96:97], v[90:91], v[92:93], v[94:95] op_sel_hi:[1,0,1]
	v_pk_fma_f32 v[90:91], v[90:91], v[92:93], v[94:95] neg_lo:[0,0,1] neg_hi:[0,0,1]
	s_delay_alu instid0(VALU_DEP_2)
	v_mov_b32_e32 v91, v97
	scratch_store_b64 off, v[90:91], off offset:136
.LBB42_255:
	s_wait_xcnt 0x0
	s_or_b32 exec_lo, exec_lo, s2
	scratch_load_b64 v[90:91], off, off offset:128
	v_cmp_lt_u32_e64 s0, 16, v0
	s_wait_loadcnt 0x0
	ds_store_b64 v1, v[90:91]
	s_wait_storecnt_dscnt 0x0
	s_barrier_signal -1
	s_barrier_wait -1
	s_wait_xcnt 0x0
	s_and_saveexec_b32 s2, s0
	s_cbranch_execz .LBB42_265
; %bb.256:
	s_and_not1_b32 vcc_lo, exec_lo, s3
	s_cbranch_vccnz .LBB42_258
; %bb.257:
	scratch_load_b64 v[90:91], v41, off
	ds_load_b64 v[92:93], v1
	s_wait_loadcnt_dscnt 0x0
	v_pk_mul_f32 v[94:95], v[92:93], v[90:91] op_sel:[1,1] op_sel_hi:[0,1]
	s_delay_alu instid0(VALU_DEP_1) | instskip(SKIP_1) | instid1(VALU_DEP_2)
	v_pk_fma_f32 v[96:97], v[92:93], v[90:91], v[94:95] op_sel_hi:[1,0,1]
	v_pk_fma_f32 v[90:91], v[92:93], v[90:91], v[94:95] neg_lo:[0,0,1] neg_hi:[0,0,1]
	v_mov_b32_e32 v91, v97
	s_cbranch_execz .LBB42_259
	s_branch .LBB42_260
.LBB42_258:
                                        ; implicit-def: $vgpr90_vgpr91
.LBB42_259:
	ds_load_b64 v[90:91], v1
.LBB42_260:
	s_and_saveexec_b32 s14, s1
	s_cbranch_execz .LBB42_264
; %bb.261:
	v_subrev_nc_u32_e32 v92, 17, v0
	s_movk_i32 s1, 0x88
	s_movk_i32 s16, 0x1e8
	s_mov_b32 s15, 0
.LBB42_262:                             ; =>This Inner Loop Header: Depth=1
	scratch_load_b64 v[94:95], off, s1
	v_dual_mov_b32 v93, s16 :: v_dual_add_nc_u32 v92, -1, v92
	s_add_co_i32 s16, s16, 8
	s_wait_xcnt 0x0
	s_add_co_i32 s1, s1, 8
	ds_load_b64 v[96:97], v93
	v_cmp_eq_u32_e32 vcc_lo, 0, v92
	s_or_b32 s15, vcc_lo, s15
	s_wait_loadcnt_dscnt 0x0
	v_pk_mul_f32 v[98:99], v[96:97], v[94:95] op_sel:[1,1] op_sel_hi:[0,1]
	s_delay_alu instid0(VALU_DEP_1) | instskip(SKIP_1) | instid1(VALU_DEP_2)
	v_pk_fma_f32 v[100:101], v[96:97], v[94:95], v[98:99] op_sel_hi:[1,0,1]
	v_pk_fma_f32 v[94:95], v[96:97], v[94:95], v[98:99] neg_lo:[0,0,1] neg_hi:[0,0,1]
	v_mov_b32_e32 v95, v101
	s_delay_alu instid0(VALU_DEP_1)
	v_pk_add_f32 v[90:91], v[90:91], v[94:95]
	s_and_not1_b32 exec_lo, exec_lo, s15
	s_cbranch_execnz .LBB42_262
; %bb.263:
	s_or_b32 exec_lo, exec_lo, s15
.LBB42_264:
	s_delay_alu instid0(SALU_CYCLE_1) | instskip(SKIP_4) | instid1(VALU_DEP_1)
	s_or_b32 exec_lo, exec_lo, s14
	v_mov_b32_e32 v92, 0
	ds_load_b64 v[92:93], v92 offset:128
	s_wait_dscnt 0x0
	v_pk_mul_f32 v[94:95], v[90:91], v[92:93] op_sel:[1,1] op_sel_hi:[0,1]
	v_pk_fma_f32 v[96:97], v[90:91], v[92:93], v[94:95] op_sel_hi:[1,0,1]
	v_pk_fma_f32 v[90:91], v[90:91], v[92:93], v[94:95] neg_lo:[0,0,1] neg_hi:[0,0,1]
	s_delay_alu instid0(VALU_DEP_2)
	v_mov_b32_e32 v91, v97
	scratch_store_b64 off, v[90:91], off offset:128
.LBB42_265:
	s_wait_xcnt 0x0
	s_or_b32 exec_lo, exec_lo, s2
	scratch_load_b64 v[90:91], off, off offset:120
	v_cmp_lt_u32_e64 s1, 15, v0
	s_wait_loadcnt 0x0
	ds_store_b64 v1, v[90:91]
	s_wait_storecnt_dscnt 0x0
	s_barrier_signal -1
	s_barrier_wait -1
	s_wait_xcnt 0x0
	s_and_saveexec_b32 s2, s1
	s_cbranch_execz .LBB42_275
; %bb.266:
	s_and_not1_b32 vcc_lo, exec_lo, s3
	s_cbranch_vccnz .LBB42_268
; %bb.267:
	scratch_load_b64 v[90:91], v41, off
	ds_load_b64 v[92:93], v1
	s_wait_loadcnt_dscnt 0x0
	v_pk_mul_f32 v[94:95], v[92:93], v[90:91] op_sel:[1,1] op_sel_hi:[0,1]
	s_delay_alu instid0(VALU_DEP_1) | instskip(SKIP_1) | instid1(VALU_DEP_2)
	v_pk_fma_f32 v[96:97], v[92:93], v[90:91], v[94:95] op_sel_hi:[1,0,1]
	v_pk_fma_f32 v[90:91], v[92:93], v[90:91], v[94:95] neg_lo:[0,0,1] neg_hi:[0,0,1]
	v_mov_b32_e32 v91, v97
	s_cbranch_execz .LBB42_269
	s_branch .LBB42_270
.LBB42_268:
                                        ; implicit-def: $vgpr90_vgpr91
.LBB42_269:
	ds_load_b64 v[90:91], v1
.LBB42_270:
	s_and_saveexec_b32 s14, s0
	s_cbranch_execz .LBB42_274
; %bb.271:
	v_add_nc_u32_e32 v92, -16, v0
	s_movk_i32 s15, 0x1e0
	s_mov_b32 s0, 0
.LBB42_272:                             ; =>This Inner Loop Header: Depth=1
	scratch_load_b64 v[94:95], off, s13
	v_dual_mov_b32 v93, s15 :: v_dual_add_nc_u32 v92, -1, v92
	s_add_co_i32 s15, s15, 8
	s_wait_xcnt 0x0
	s_add_co_i32 s13, s13, 8
	ds_load_b64 v[96:97], v93
	v_cmp_eq_u32_e32 vcc_lo, 0, v92
	s_or_b32 s0, vcc_lo, s0
	s_wait_loadcnt_dscnt 0x0
	v_pk_mul_f32 v[98:99], v[96:97], v[94:95] op_sel:[1,1] op_sel_hi:[0,1]
	s_delay_alu instid0(VALU_DEP_1) | instskip(SKIP_1) | instid1(VALU_DEP_2)
	v_pk_fma_f32 v[100:101], v[96:97], v[94:95], v[98:99] op_sel_hi:[1,0,1]
	v_pk_fma_f32 v[94:95], v[96:97], v[94:95], v[98:99] neg_lo:[0,0,1] neg_hi:[0,0,1]
	v_mov_b32_e32 v95, v101
	s_delay_alu instid0(VALU_DEP_1)
	v_pk_add_f32 v[90:91], v[90:91], v[94:95]
	s_and_not1_b32 exec_lo, exec_lo, s0
	s_cbranch_execnz .LBB42_272
; %bb.273:
	s_or_b32 exec_lo, exec_lo, s0
.LBB42_274:
	s_delay_alu instid0(SALU_CYCLE_1) | instskip(SKIP_4) | instid1(VALU_DEP_1)
	s_or_b32 exec_lo, exec_lo, s14
	v_mov_b32_e32 v92, 0
	ds_load_b64 v[92:93], v92 offset:120
	s_wait_dscnt 0x0
	v_pk_mul_f32 v[94:95], v[90:91], v[92:93] op_sel:[1,1] op_sel_hi:[0,1]
	v_pk_fma_f32 v[96:97], v[90:91], v[92:93], v[94:95] op_sel_hi:[1,0,1]
	v_pk_fma_f32 v[90:91], v[90:91], v[92:93], v[94:95] neg_lo:[0,0,1] neg_hi:[0,0,1]
	s_delay_alu instid0(VALU_DEP_2)
	v_mov_b32_e32 v91, v97
	scratch_store_b64 off, v[90:91], off offset:120
.LBB42_275:
	s_wait_xcnt 0x0
	s_or_b32 exec_lo, exec_lo, s2
	scratch_load_b64 v[90:91], off, off offset:112
	v_cmp_lt_u32_e64 s0, 14, v0
	s_wait_loadcnt 0x0
	ds_store_b64 v1, v[90:91]
	s_wait_storecnt_dscnt 0x0
	s_barrier_signal -1
	s_barrier_wait -1
	s_wait_xcnt 0x0
	s_and_saveexec_b32 s2, s0
	s_cbranch_execz .LBB42_285
; %bb.276:
	s_and_not1_b32 vcc_lo, exec_lo, s3
	s_cbranch_vccnz .LBB42_278
; %bb.277:
	scratch_load_b64 v[90:91], v41, off
	ds_load_b64 v[92:93], v1
	s_wait_loadcnt_dscnt 0x0
	v_pk_mul_f32 v[94:95], v[92:93], v[90:91] op_sel:[1,1] op_sel_hi:[0,1]
	s_delay_alu instid0(VALU_DEP_1) | instskip(SKIP_1) | instid1(VALU_DEP_2)
	v_pk_fma_f32 v[96:97], v[92:93], v[90:91], v[94:95] op_sel_hi:[1,0,1]
	v_pk_fma_f32 v[90:91], v[92:93], v[90:91], v[94:95] neg_lo:[0,0,1] neg_hi:[0,0,1]
	v_mov_b32_e32 v91, v97
	s_cbranch_execz .LBB42_279
	s_branch .LBB42_280
.LBB42_278:
                                        ; implicit-def: $vgpr90_vgpr91
.LBB42_279:
	ds_load_b64 v[90:91], v1
.LBB42_280:
	s_and_saveexec_b32 s13, s1
	s_cbranch_execz .LBB42_284
; %bb.281:
	v_add_nc_u32_e32 v92, -15, v0
	s_movk_i32 s1, 0x78
	s_movk_i32 s15, 0x1d8
	s_mov_b32 s14, 0
.LBB42_282:                             ; =>This Inner Loop Header: Depth=1
	scratch_load_b64 v[94:95], off, s1
	v_dual_mov_b32 v93, s15 :: v_dual_add_nc_u32 v92, -1, v92
	s_add_co_i32 s15, s15, 8
	s_wait_xcnt 0x0
	s_add_co_i32 s1, s1, 8
	ds_load_b64 v[96:97], v93
	v_cmp_eq_u32_e32 vcc_lo, 0, v92
	s_or_b32 s14, vcc_lo, s14
	s_wait_loadcnt_dscnt 0x0
	v_pk_mul_f32 v[98:99], v[96:97], v[94:95] op_sel:[1,1] op_sel_hi:[0,1]
	s_delay_alu instid0(VALU_DEP_1) | instskip(SKIP_1) | instid1(VALU_DEP_2)
	v_pk_fma_f32 v[100:101], v[96:97], v[94:95], v[98:99] op_sel_hi:[1,0,1]
	v_pk_fma_f32 v[94:95], v[96:97], v[94:95], v[98:99] neg_lo:[0,0,1] neg_hi:[0,0,1]
	v_mov_b32_e32 v95, v101
	s_delay_alu instid0(VALU_DEP_1)
	v_pk_add_f32 v[90:91], v[90:91], v[94:95]
	s_and_not1_b32 exec_lo, exec_lo, s14
	s_cbranch_execnz .LBB42_282
; %bb.283:
	s_or_b32 exec_lo, exec_lo, s14
.LBB42_284:
	s_delay_alu instid0(SALU_CYCLE_1) | instskip(SKIP_4) | instid1(VALU_DEP_1)
	s_or_b32 exec_lo, exec_lo, s13
	v_mov_b32_e32 v92, 0
	ds_load_b64 v[92:93], v92 offset:112
	s_wait_dscnt 0x0
	v_pk_mul_f32 v[94:95], v[90:91], v[92:93] op_sel:[1,1] op_sel_hi:[0,1]
	v_pk_fma_f32 v[96:97], v[90:91], v[92:93], v[94:95] op_sel_hi:[1,0,1]
	v_pk_fma_f32 v[90:91], v[90:91], v[92:93], v[94:95] neg_lo:[0,0,1] neg_hi:[0,0,1]
	s_delay_alu instid0(VALU_DEP_2)
	v_mov_b32_e32 v91, v97
	scratch_store_b64 off, v[90:91], off offset:112
.LBB42_285:
	s_wait_xcnt 0x0
	s_or_b32 exec_lo, exec_lo, s2
	scratch_load_b64 v[90:91], off, off offset:104
	v_cmp_lt_u32_e64 s1, 13, v0
	s_wait_loadcnt 0x0
	ds_store_b64 v1, v[90:91]
	s_wait_storecnt_dscnt 0x0
	s_barrier_signal -1
	s_barrier_wait -1
	s_wait_xcnt 0x0
	s_and_saveexec_b32 s2, s1
	s_cbranch_execz .LBB42_295
; %bb.286:
	s_and_not1_b32 vcc_lo, exec_lo, s3
	s_cbranch_vccnz .LBB42_288
; %bb.287:
	scratch_load_b64 v[90:91], v41, off
	ds_load_b64 v[92:93], v1
	s_wait_loadcnt_dscnt 0x0
	v_pk_mul_f32 v[94:95], v[92:93], v[90:91] op_sel:[1,1] op_sel_hi:[0,1]
	s_delay_alu instid0(VALU_DEP_1) | instskip(SKIP_1) | instid1(VALU_DEP_2)
	v_pk_fma_f32 v[96:97], v[92:93], v[90:91], v[94:95] op_sel_hi:[1,0,1]
	v_pk_fma_f32 v[90:91], v[92:93], v[90:91], v[94:95] neg_lo:[0,0,1] neg_hi:[0,0,1]
	v_mov_b32_e32 v91, v97
	s_cbranch_execz .LBB42_289
	s_branch .LBB42_290
.LBB42_288:
                                        ; implicit-def: $vgpr90_vgpr91
.LBB42_289:
	ds_load_b64 v[90:91], v1
.LBB42_290:
	s_and_saveexec_b32 s13, s0
	s_cbranch_execz .LBB42_294
; %bb.291:
	v_add_nc_u32_e32 v92, -14, v0
	s_movk_i32 s14, 0x1d0
	s_mov_b32 s0, 0
.LBB42_292:                             ; =>This Inner Loop Header: Depth=1
	scratch_load_b64 v[94:95], off, s12
	v_dual_mov_b32 v93, s14 :: v_dual_add_nc_u32 v92, -1, v92
	s_add_co_i32 s14, s14, 8
	s_wait_xcnt 0x0
	s_add_co_i32 s12, s12, 8
	ds_load_b64 v[96:97], v93
	v_cmp_eq_u32_e32 vcc_lo, 0, v92
	s_or_b32 s0, vcc_lo, s0
	s_wait_loadcnt_dscnt 0x0
	v_pk_mul_f32 v[98:99], v[96:97], v[94:95] op_sel:[1,1] op_sel_hi:[0,1]
	s_delay_alu instid0(VALU_DEP_1) | instskip(SKIP_1) | instid1(VALU_DEP_2)
	v_pk_fma_f32 v[100:101], v[96:97], v[94:95], v[98:99] op_sel_hi:[1,0,1]
	v_pk_fma_f32 v[94:95], v[96:97], v[94:95], v[98:99] neg_lo:[0,0,1] neg_hi:[0,0,1]
	v_mov_b32_e32 v95, v101
	s_delay_alu instid0(VALU_DEP_1)
	v_pk_add_f32 v[90:91], v[90:91], v[94:95]
	s_and_not1_b32 exec_lo, exec_lo, s0
	s_cbranch_execnz .LBB42_292
; %bb.293:
	s_or_b32 exec_lo, exec_lo, s0
.LBB42_294:
	s_delay_alu instid0(SALU_CYCLE_1) | instskip(SKIP_4) | instid1(VALU_DEP_1)
	s_or_b32 exec_lo, exec_lo, s13
	v_mov_b32_e32 v92, 0
	ds_load_b64 v[92:93], v92 offset:104
	s_wait_dscnt 0x0
	v_pk_mul_f32 v[94:95], v[90:91], v[92:93] op_sel:[1,1] op_sel_hi:[0,1]
	v_pk_fma_f32 v[96:97], v[90:91], v[92:93], v[94:95] op_sel_hi:[1,0,1]
	v_pk_fma_f32 v[90:91], v[90:91], v[92:93], v[94:95] neg_lo:[0,0,1] neg_hi:[0,0,1]
	s_delay_alu instid0(VALU_DEP_2)
	v_mov_b32_e32 v91, v97
	scratch_store_b64 off, v[90:91], off offset:104
.LBB42_295:
	s_wait_xcnt 0x0
	s_or_b32 exec_lo, exec_lo, s2
	scratch_load_b64 v[90:91], off, off offset:96
	v_cmp_lt_u32_e64 s0, 12, v0
	s_wait_loadcnt 0x0
	ds_store_b64 v1, v[90:91]
	s_wait_storecnt_dscnt 0x0
	s_barrier_signal -1
	s_barrier_wait -1
	s_wait_xcnt 0x0
	s_and_saveexec_b32 s2, s0
	s_cbranch_execz .LBB42_305
; %bb.296:
	s_and_not1_b32 vcc_lo, exec_lo, s3
	s_cbranch_vccnz .LBB42_298
; %bb.297:
	scratch_load_b64 v[90:91], v41, off
	ds_load_b64 v[92:93], v1
	s_wait_loadcnt_dscnt 0x0
	v_pk_mul_f32 v[94:95], v[92:93], v[90:91] op_sel:[1,1] op_sel_hi:[0,1]
	s_delay_alu instid0(VALU_DEP_1) | instskip(SKIP_1) | instid1(VALU_DEP_2)
	v_pk_fma_f32 v[96:97], v[92:93], v[90:91], v[94:95] op_sel_hi:[1,0,1]
	v_pk_fma_f32 v[90:91], v[92:93], v[90:91], v[94:95] neg_lo:[0,0,1] neg_hi:[0,0,1]
	v_mov_b32_e32 v91, v97
	s_cbranch_execz .LBB42_299
	s_branch .LBB42_300
.LBB42_298:
                                        ; implicit-def: $vgpr90_vgpr91
.LBB42_299:
	ds_load_b64 v[90:91], v1
.LBB42_300:
	s_and_saveexec_b32 s12, s1
	s_cbranch_execz .LBB42_304
; %bb.301:
	v_add_nc_u32_e32 v92, -13, v0
	s_movk_i32 s1, 0x68
	s_movk_i32 s14, 0x1c8
	s_mov_b32 s13, 0
.LBB42_302:                             ; =>This Inner Loop Header: Depth=1
	scratch_load_b64 v[94:95], off, s1
	v_dual_mov_b32 v93, s14 :: v_dual_add_nc_u32 v92, -1, v92
	s_add_co_i32 s14, s14, 8
	s_wait_xcnt 0x0
	s_add_co_i32 s1, s1, 8
	ds_load_b64 v[96:97], v93
	v_cmp_eq_u32_e32 vcc_lo, 0, v92
	s_or_b32 s13, vcc_lo, s13
	s_wait_loadcnt_dscnt 0x0
	v_pk_mul_f32 v[98:99], v[96:97], v[94:95] op_sel:[1,1] op_sel_hi:[0,1]
	s_delay_alu instid0(VALU_DEP_1) | instskip(SKIP_1) | instid1(VALU_DEP_2)
	v_pk_fma_f32 v[100:101], v[96:97], v[94:95], v[98:99] op_sel_hi:[1,0,1]
	v_pk_fma_f32 v[94:95], v[96:97], v[94:95], v[98:99] neg_lo:[0,0,1] neg_hi:[0,0,1]
	v_mov_b32_e32 v95, v101
	s_delay_alu instid0(VALU_DEP_1)
	v_pk_add_f32 v[90:91], v[90:91], v[94:95]
	s_and_not1_b32 exec_lo, exec_lo, s13
	s_cbranch_execnz .LBB42_302
; %bb.303:
	s_or_b32 exec_lo, exec_lo, s13
.LBB42_304:
	s_delay_alu instid0(SALU_CYCLE_1) | instskip(SKIP_4) | instid1(VALU_DEP_1)
	s_or_b32 exec_lo, exec_lo, s12
	v_mov_b32_e32 v92, 0
	ds_load_b64 v[92:93], v92 offset:96
	s_wait_dscnt 0x0
	v_pk_mul_f32 v[94:95], v[90:91], v[92:93] op_sel:[1,1] op_sel_hi:[0,1]
	v_pk_fma_f32 v[96:97], v[90:91], v[92:93], v[94:95] op_sel_hi:[1,0,1]
	v_pk_fma_f32 v[90:91], v[90:91], v[92:93], v[94:95] neg_lo:[0,0,1] neg_hi:[0,0,1]
	s_delay_alu instid0(VALU_DEP_2)
	v_mov_b32_e32 v91, v97
	scratch_store_b64 off, v[90:91], off offset:96
.LBB42_305:
	s_wait_xcnt 0x0
	s_or_b32 exec_lo, exec_lo, s2
	scratch_load_b64 v[90:91], off, off offset:88
	v_cmp_lt_u32_e64 s1, 11, v0
	s_wait_loadcnt 0x0
	ds_store_b64 v1, v[90:91]
	s_wait_storecnt_dscnt 0x0
	s_barrier_signal -1
	s_barrier_wait -1
	s_wait_xcnt 0x0
	s_and_saveexec_b32 s2, s1
	s_cbranch_execz .LBB42_315
; %bb.306:
	s_and_not1_b32 vcc_lo, exec_lo, s3
	s_cbranch_vccnz .LBB42_308
; %bb.307:
	scratch_load_b64 v[90:91], v41, off
	ds_load_b64 v[92:93], v1
	s_wait_loadcnt_dscnt 0x0
	v_pk_mul_f32 v[94:95], v[92:93], v[90:91] op_sel:[1,1] op_sel_hi:[0,1]
	s_delay_alu instid0(VALU_DEP_1) | instskip(SKIP_1) | instid1(VALU_DEP_2)
	v_pk_fma_f32 v[96:97], v[92:93], v[90:91], v[94:95] op_sel_hi:[1,0,1]
	v_pk_fma_f32 v[90:91], v[92:93], v[90:91], v[94:95] neg_lo:[0,0,1] neg_hi:[0,0,1]
	v_mov_b32_e32 v91, v97
	s_cbranch_execz .LBB42_309
	s_branch .LBB42_310
.LBB42_308:
                                        ; implicit-def: $vgpr90_vgpr91
.LBB42_309:
	ds_load_b64 v[90:91], v1
.LBB42_310:
	s_and_saveexec_b32 s12, s0
	s_cbranch_execz .LBB42_314
; %bb.311:
	v_add_nc_u32_e32 v92, -12, v0
	s_movk_i32 s13, 0x1c0
	s_mov_b32 s0, 0
.LBB42_312:                             ; =>This Inner Loop Header: Depth=1
	scratch_load_b64 v[94:95], off, s11
	v_dual_mov_b32 v93, s13 :: v_dual_add_nc_u32 v92, -1, v92
	s_add_co_i32 s13, s13, 8
	s_wait_xcnt 0x0
	s_add_co_i32 s11, s11, 8
	ds_load_b64 v[96:97], v93
	v_cmp_eq_u32_e32 vcc_lo, 0, v92
	s_or_b32 s0, vcc_lo, s0
	s_wait_loadcnt_dscnt 0x0
	v_pk_mul_f32 v[98:99], v[96:97], v[94:95] op_sel:[1,1] op_sel_hi:[0,1]
	s_delay_alu instid0(VALU_DEP_1) | instskip(SKIP_1) | instid1(VALU_DEP_2)
	v_pk_fma_f32 v[100:101], v[96:97], v[94:95], v[98:99] op_sel_hi:[1,0,1]
	v_pk_fma_f32 v[94:95], v[96:97], v[94:95], v[98:99] neg_lo:[0,0,1] neg_hi:[0,0,1]
	v_mov_b32_e32 v95, v101
	s_delay_alu instid0(VALU_DEP_1)
	v_pk_add_f32 v[90:91], v[90:91], v[94:95]
	s_and_not1_b32 exec_lo, exec_lo, s0
	s_cbranch_execnz .LBB42_312
; %bb.313:
	s_or_b32 exec_lo, exec_lo, s0
.LBB42_314:
	s_delay_alu instid0(SALU_CYCLE_1) | instskip(SKIP_4) | instid1(VALU_DEP_1)
	s_or_b32 exec_lo, exec_lo, s12
	v_mov_b32_e32 v92, 0
	ds_load_b64 v[92:93], v92 offset:88
	s_wait_dscnt 0x0
	v_pk_mul_f32 v[94:95], v[90:91], v[92:93] op_sel:[1,1] op_sel_hi:[0,1]
	v_pk_fma_f32 v[96:97], v[90:91], v[92:93], v[94:95] op_sel_hi:[1,0,1]
	v_pk_fma_f32 v[90:91], v[90:91], v[92:93], v[94:95] neg_lo:[0,0,1] neg_hi:[0,0,1]
	s_delay_alu instid0(VALU_DEP_2)
	v_mov_b32_e32 v91, v97
	scratch_store_b64 off, v[90:91], off offset:88
.LBB42_315:
	s_wait_xcnt 0x0
	s_or_b32 exec_lo, exec_lo, s2
	scratch_load_b64 v[90:91], off, off offset:80
	v_cmp_lt_u32_e64 s0, 10, v0
	s_wait_loadcnt 0x0
	ds_store_b64 v1, v[90:91]
	s_wait_storecnt_dscnt 0x0
	s_barrier_signal -1
	s_barrier_wait -1
	s_wait_xcnt 0x0
	s_and_saveexec_b32 s2, s0
	s_cbranch_execz .LBB42_325
; %bb.316:
	s_and_not1_b32 vcc_lo, exec_lo, s3
	s_cbranch_vccnz .LBB42_318
; %bb.317:
	scratch_load_b64 v[90:91], v41, off
	ds_load_b64 v[92:93], v1
	s_wait_loadcnt_dscnt 0x0
	v_pk_mul_f32 v[94:95], v[92:93], v[90:91] op_sel:[1,1] op_sel_hi:[0,1]
	s_delay_alu instid0(VALU_DEP_1) | instskip(SKIP_1) | instid1(VALU_DEP_2)
	v_pk_fma_f32 v[96:97], v[92:93], v[90:91], v[94:95] op_sel_hi:[1,0,1]
	v_pk_fma_f32 v[90:91], v[92:93], v[90:91], v[94:95] neg_lo:[0,0,1] neg_hi:[0,0,1]
	v_mov_b32_e32 v91, v97
	s_cbranch_execz .LBB42_319
	s_branch .LBB42_320
.LBB42_318:
                                        ; implicit-def: $vgpr90_vgpr91
.LBB42_319:
	ds_load_b64 v[90:91], v1
.LBB42_320:
	s_and_saveexec_b32 s11, s1
	s_cbranch_execz .LBB42_324
; %bb.321:
	v_add_nc_u32_e32 v92, -11, v0
	s_movk_i32 s1, 0x58
	s_movk_i32 s13, 0x1b8
	s_mov_b32 s12, 0
.LBB42_322:                             ; =>This Inner Loop Header: Depth=1
	scratch_load_b64 v[94:95], off, s1
	v_dual_mov_b32 v93, s13 :: v_dual_add_nc_u32 v92, -1, v92
	s_add_co_i32 s13, s13, 8
	s_wait_xcnt 0x0
	s_add_co_i32 s1, s1, 8
	ds_load_b64 v[96:97], v93
	v_cmp_eq_u32_e32 vcc_lo, 0, v92
	s_or_b32 s12, vcc_lo, s12
	s_wait_loadcnt_dscnt 0x0
	v_pk_mul_f32 v[98:99], v[96:97], v[94:95] op_sel:[1,1] op_sel_hi:[0,1]
	s_delay_alu instid0(VALU_DEP_1) | instskip(SKIP_1) | instid1(VALU_DEP_2)
	v_pk_fma_f32 v[100:101], v[96:97], v[94:95], v[98:99] op_sel_hi:[1,0,1]
	v_pk_fma_f32 v[94:95], v[96:97], v[94:95], v[98:99] neg_lo:[0,0,1] neg_hi:[0,0,1]
	v_mov_b32_e32 v95, v101
	s_delay_alu instid0(VALU_DEP_1)
	v_pk_add_f32 v[90:91], v[90:91], v[94:95]
	s_and_not1_b32 exec_lo, exec_lo, s12
	s_cbranch_execnz .LBB42_322
; %bb.323:
	s_or_b32 exec_lo, exec_lo, s12
.LBB42_324:
	s_delay_alu instid0(SALU_CYCLE_1) | instskip(SKIP_4) | instid1(VALU_DEP_1)
	s_or_b32 exec_lo, exec_lo, s11
	v_mov_b32_e32 v92, 0
	ds_load_b64 v[92:93], v92 offset:80
	s_wait_dscnt 0x0
	v_pk_mul_f32 v[94:95], v[90:91], v[92:93] op_sel:[1,1] op_sel_hi:[0,1]
	v_pk_fma_f32 v[96:97], v[90:91], v[92:93], v[94:95] op_sel_hi:[1,0,1]
	v_pk_fma_f32 v[90:91], v[90:91], v[92:93], v[94:95] neg_lo:[0,0,1] neg_hi:[0,0,1]
	s_delay_alu instid0(VALU_DEP_2)
	v_mov_b32_e32 v91, v97
	scratch_store_b64 off, v[90:91], off offset:80
.LBB42_325:
	s_wait_xcnt 0x0
	s_or_b32 exec_lo, exec_lo, s2
	scratch_load_b64 v[90:91], off, off offset:72
	v_cmp_lt_u32_e64 s1, 9, v0
	s_wait_loadcnt 0x0
	ds_store_b64 v1, v[90:91]
	s_wait_storecnt_dscnt 0x0
	s_barrier_signal -1
	s_barrier_wait -1
	s_wait_xcnt 0x0
	s_and_saveexec_b32 s2, s1
	s_cbranch_execz .LBB42_335
; %bb.326:
	s_and_not1_b32 vcc_lo, exec_lo, s3
	s_cbranch_vccnz .LBB42_328
; %bb.327:
	scratch_load_b64 v[90:91], v41, off
	ds_load_b64 v[92:93], v1
	s_wait_loadcnt_dscnt 0x0
	v_pk_mul_f32 v[94:95], v[92:93], v[90:91] op_sel:[1,1] op_sel_hi:[0,1]
	s_delay_alu instid0(VALU_DEP_1) | instskip(SKIP_1) | instid1(VALU_DEP_2)
	v_pk_fma_f32 v[96:97], v[92:93], v[90:91], v[94:95] op_sel_hi:[1,0,1]
	v_pk_fma_f32 v[90:91], v[92:93], v[90:91], v[94:95] neg_lo:[0,0,1] neg_hi:[0,0,1]
	v_mov_b32_e32 v91, v97
	s_cbranch_execz .LBB42_329
	s_branch .LBB42_330
.LBB42_328:
                                        ; implicit-def: $vgpr90_vgpr91
.LBB42_329:
	ds_load_b64 v[90:91], v1
.LBB42_330:
	s_and_saveexec_b32 s11, s0
	s_cbranch_execz .LBB42_334
; %bb.331:
	v_add_nc_u32_e32 v92, -10, v0
	s_movk_i32 s12, 0x1b0
	s_mov_b32 s0, 0
.LBB42_332:                             ; =>This Inner Loop Header: Depth=1
	scratch_load_b64 v[94:95], off, s10
	v_dual_mov_b32 v93, s12 :: v_dual_add_nc_u32 v92, -1, v92
	s_add_co_i32 s12, s12, 8
	s_wait_xcnt 0x0
	s_add_co_i32 s10, s10, 8
	ds_load_b64 v[96:97], v93
	v_cmp_eq_u32_e32 vcc_lo, 0, v92
	s_or_b32 s0, vcc_lo, s0
	s_wait_loadcnt_dscnt 0x0
	v_pk_mul_f32 v[98:99], v[96:97], v[94:95] op_sel:[1,1] op_sel_hi:[0,1]
	s_delay_alu instid0(VALU_DEP_1) | instskip(SKIP_1) | instid1(VALU_DEP_2)
	v_pk_fma_f32 v[100:101], v[96:97], v[94:95], v[98:99] op_sel_hi:[1,0,1]
	v_pk_fma_f32 v[94:95], v[96:97], v[94:95], v[98:99] neg_lo:[0,0,1] neg_hi:[0,0,1]
	v_mov_b32_e32 v95, v101
	s_delay_alu instid0(VALU_DEP_1)
	v_pk_add_f32 v[90:91], v[90:91], v[94:95]
	s_and_not1_b32 exec_lo, exec_lo, s0
	s_cbranch_execnz .LBB42_332
; %bb.333:
	s_or_b32 exec_lo, exec_lo, s0
.LBB42_334:
	s_delay_alu instid0(SALU_CYCLE_1) | instskip(SKIP_4) | instid1(VALU_DEP_1)
	s_or_b32 exec_lo, exec_lo, s11
	v_mov_b32_e32 v92, 0
	ds_load_b64 v[92:93], v92 offset:72
	s_wait_dscnt 0x0
	v_pk_mul_f32 v[94:95], v[90:91], v[92:93] op_sel:[1,1] op_sel_hi:[0,1]
	v_pk_fma_f32 v[96:97], v[90:91], v[92:93], v[94:95] op_sel_hi:[1,0,1]
	v_pk_fma_f32 v[90:91], v[90:91], v[92:93], v[94:95] neg_lo:[0,0,1] neg_hi:[0,0,1]
	s_delay_alu instid0(VALU_DEP_2)
	v_mov_b32_e32 v91, v97
	scratch_store_b64 off, v[90:91], off offset:72
.LBB42_335:
	s_wait_xcnt 0x0
	s_or_b32 exec_lo, exec_lo, s2
	scratch_load_b64 v[90:91], off, off offset:64
	v_cmp_lt_u32_e64 s0, 8, v0
	s_wait_loadcnt 0x0
	ds_store_b64 v1, v[90:91]
	s_wait_storecnt_dscnt 0x0
	s_barrier_signal -1
	s_barrier_wait -1
	s_wait_xcnt 0x0
	s_and_saveexec_b32 s2, s0
	s_cbranch_execz .LBB42_345
; %bb.336:
	s_and_not1_b32 vcc_lo, exec_lo, s3
	s_cbranch_vccnz .LBB42_338
; %bb.337:
	scratch_load_b64 v[90:91], v41, off
	ds_load_b64 v[92:93], v1
	s_wait_loadcnt_dscnt 0x0
	v_pk_mul_f32 v[94:95], v[92:93], v[90:91] op_sel:[1,1] op_sel_hi:[0,1]
	s_delay_alu instid0(VALU_DEP_1) | instskip(SKIP_1) | instid1(VALU_DEP_2)
	v_pk_fma_f32 v[96:97], v[92:93], v[90:91], v[94:95] op_sel_hi:[1,0,1]
	v_pk_fma_f32 v[90:91], v[92:93], v[90:91], v[94:95] neg_lo:[0,0,1] neg_hi:[0,0,1]
	v_mov_b32_e32 v91, v97
	s_cbranch_execz .LBB42_339
	s_branch .LBB42_340
.LBB42_338:
                                        ; implicit-def: $vgpr90_vgpr91
.LBB42_339:
	ds_load_b64 v[90:91], v1
.LBB42_340:
	s_and_saveexec_b32 s10, s1
	s_cbranch_execz .LBB42_344
; %bb.341:
	v_add_nc_u32_e32 v92, -9, v0
	s_movk_i32 s1, 0x48
	s_movk_i32 s12, 0x1a8
	s_mov_b32 s11, 0
.LBB42_342:                             ; =>This Inner Loop Header: Depth=1
	scratch_load_b64 v[94:95], off, s1
	v_dual_mov_b32 v93, s12 :: v_dual_add_nc_u32 v92, -1, v92
	s_add_co_i32 s12, s12, 8
	s_wait_xcnt 0x0
	s_add_co_i32 s1, s1, 8
	ds_load_b64 v[96:97], v93
	v_cmp_eq_u32_e32 vcc_lo, 0, v92
	s_or_b32 s11, vcc_lo, s11
	s_wait_loadcnt_dscnt 0x0
	v_pk_mul_f32 v[98:99], v[96:97], v[94:95] op_sel:[1,1] op_sel_hi:[0,1]
	s_delay_alu instid0(VALU_DEP_1) | instskip(SKIP_1) | instid1(VALU_DEP_2)
	v_pk_fma_f32 v[100:101], v[96:97], v[94:95], v[98:99] op_sel_hi:[1,0,1]
	v_pk_fma_f32 v[94:95], v[96:97], v[94:95], v[98:99] neg_lo:[0,0,1] neg_hi:[0,0,1]
	v_mov_b32_e32 v95, v101
	s_delay_alu instid0(VALU_DEP_1)
	v_pk_add_f32 v[90:91], v[90:91], v[94:95]
	s_and_not1_b32 exec_lo, exec_lo, s11
	s_cbranch_execnz .LBB42_342
; %bb.343:
	s_or_b32 exec_lo, exec_lo, s11
.LBB42_344:
	s_delay_alu instid0(SALU_CYCLE_1) | instskip(SKIP_4) | instid1(VALU_DEP_1)
	s_or_b32 exec_lo, exec_lo, s10
	v_mov_b32_e32 v92, 0
	ds_load_b64 v[92:93], v92 offset:64
	s_wait_dscnt 0x0
	v_pk_mul_f32 v[94:95], v[90:91], v[92:93] op_sel:[1,1] op_sel_hi:[0,1]
	v_pk_fma_f32 v[96:97], v[90:91], v[92:93], v[94:95] op_sel_hi:[1,0,1]
	v_pk_fma_f32 v[90:91], v[90:91], v[92:93], v[94:95] neg_lo:[0,0,1] neg_hi:[0,0,1]
	s_delay_alu instid0(VALU_DEP_2)
	v_mov_b32_e32 v91, v97
	scratch_store_b64 off, v[90:91], off offset:64
.LBB42_345:
	s_wait_xcnt 0x0
	s_or_b32 exec_lo, exec_lo, s2
	scratch_load_b64 v[90:91], off, off offset:56
	v_cmp_lt_u32_e64 s1, 7, v0
	s_wait_loadcnt 0x0
	ds_store_b64 v1, v[90:91]
	s_wait_storecnt_dscnt 0x0
	s_barrier_signal -1
	s_barrier_wait -1
	s_wait_xcnt 0x0
	s_and_saveexec_b32 s2, s1
	s_cbranch_execz .LBB42_355
; %bb.346:
	s_and_not1_b32 vcc_lo, exec_lo, s3
	s_cbranch_vccnz .LBB42_348
; %bb.347:
	scratch_load_b64 v[90:91], v41, off
	ds_load_b64 v[92:93], v1
	s_wait_loadcnt_dscnt 0x0
	v_pk_mul_f32 v[94:95], v[92:93], v[90:91] op_sel:[1,1] op_sel_hi:[0,1]
	s_delay_alu instid0(VALU_DEP_1) | instskip(SKIP_1) | instid1(VALU_DEP_2)
	v_pk_fma_f32 v[96:97], v[92:93], v[90:91], v[94:95] op_sel_hi:[1,0,1]
	v_pk_fma_f32 v[90:91], v[92:93], v[90:91], v[94:95] neg_lo:[0,0,1] neg_hi:[0,0,1]
	v_mov_b32_e32 v91, v97
	s_cbranch_execz .LBB42_349
	s_branch .LBB42_350
.LBB42_348:
                                        ; implicit-def: $vgpr90_vgpr91
.LBB42_349:
	ds_load_b64 v[90:91], v1
.LBB42_350:
	s_and_saveexec_b32 s10, s0
	s_cbranch_execz .LBB42_354
; %bb.351:
	v_add_nc_u32_e32 v92, -8, v0
	s_movk_i32 s11, 0x1a0
	s_mov_b32 s0, 0
.LBB42_352:                             ; =>This Inner Loop Header: Depth=1
	scratch_load_b64 v[94:95], off, s9
	v_dual_mov_b32 v93, s11 :: v_dual_add_nc_u32 v92, -1, v92
	s_add_co_i32 s11, s11, 8
	s_wait_xcnt 0x0
	s_add_co_i32 s9, s9, 8
	ds_load_b64 v[96:97], v93
	v_cmp_eq_u32_e32 vcc_lo, 0, v92
	s_or_b32 s0, vcc_lo, s0
	s_wait_loadcnt_dscnt 0x0
	v_pk_mul_f32 v[98:99], v[96:97], v[94:95] op_sel:[1,1] op_sel_hi:[0,1]
	s_delay_alu instid0(VALU_DEP_1) | instskip(SKIP_1) | instid1(VALU_DEP_2)
	v_pk_fma_f32 v[100:101], v[96:97], v[94:95], v[98:99] op_sel_hi:[1,0,1]
	v_pk_fma_f32 v[94:95], v[96:97], v[94:95], v[98:99] neg_lo:[0,0,1] neg_hi:[0,0,1]
	v_mov_b32_e32 v95, v101
	s_delay_alu instid0(VALU_DEP_1)
	v_pk_add_f32 v[90:91], v[90:91], v[94:95]
	s_and_not1_b32 exec_lo, exec_lo, s0
	s_cbranch_execnz .LBB42_352
; %bb.353:
	s_or_b32 exec_lo, exec_lo, s0
.LBB42_354:
	s_delay_alu instid0(SALU_CYCLE_1) | instskip(SKIP_4) | instid1(VALU_DEP_1)
	s_or_b32 exec_lo, exec_lo, s10
	v_mov_b32_e32 v92, 0
	ds_load_b64 v[92:93], v92 offset:56
	s_wait_dscnt 0x0
	v_pk_mul_f32 v[94:95], v[90:91], v[92:93] op_sel:[1,1] op_sel_hi:[0,1]
	v_pk_fma_f32 v[96:97], v[90:91], v[92:93], v[94:95] op_sel_hi:[1,0,1]
	v_pk_fma_f32 v[90:91], v[90:91], v[92:93], v[94:95] neg_lo:[0,0,1] neg_hi:[0,0,1]
	s_delay_alu instid0(VALU_DEP_2)
	v_mov_b32_e32 v91, v97
	scratch_store_b64 off, v[90:91], off offset:56
.LBB42_355:
	s_wait_xcnt 0x0
	s_or_b32 exec_lo, exec_lo, s2
	scratch_load_b64 v[90:91], off, off offset:48
	v_cmp_lt_u32_e64 s0, 6, v0
	s_wait_loadcnt 0x0
	ds_store_b64 v1, v[90:91]
	s_wait_storecnt_dscnt 0x0
	s_barrier_signal -1
	s_barrier_wait -1
	s_wait_xcnt 0x0
	s_and_saveexec_b32 s2, s0
	s_cbranch_execz .LBB42_365
; %bb.356:
	s_and_not1_b32 vcc_lo, exec_lo, s3
	s_cbranch_vccnz .LBB42_358
; %bb.357:
	scratch_load_b64 v[90:91], v41, off
	ds_load_b64 v[92:93], v1
	s_wait_loadcnt_dscnt 0x0
	v_pk_mul_f32 v[94:95], v[92:93], v[90:91] op_sel:[1,1] op_sel_hi:[0,1]
	s_delay_alu instid0(VALU_DEP_1) | instskip(SKIP_1) | instid1(VALU_DEP_2)
	v_pk_fma_f32 v[96:97], v[92:93], v[90:91], v[94:95] op_sel_hi:[1,0,1]
	v_pk_fma_f32 v[90:91], v[92:93], v[90:91], v[94:95] neg_lo:[0,0,1] neg_hi:[0,0,1]
	v_mov_b32_e32 v91, v97
	s_cbranch_execz .LBB42_359
	s_branch .LBB42_360
.LBB42_358:
                                        ; implicit-def: $vgpr90_vgpr91
.LBB42_359:
	ds_load_b64 v[90:91], v1
.LBB42_360:
	s_and_saveexec_b32 s9, s1
	s_cbranch_execz .LBB42_364
; %bb.361:
	v_add_nc_u32_e32 v92, -7, v0
	s_mov_b32 s1, 56
	s_movk_i32 s11, 0x198
	s_mov_b32 s10, 0
.LBB42_362:                             ; =>This Inner Loop Header: Depth=1
	scratch_load_b64 v[94:95], off, s1
	v_dual_mov_b32 v93, s11 :: v_dual_add_nc_u32 v92, -1, v92
	s_add_co_i32 s11, s11, 8
	s_wait_xcnt 0x0
	s_add_co_i32 s1, s1, 8
	ds_load_b64 v[96:97], v93
	v_cmp_eq_u32_e32 vcc_lo, 0, v92
	s_or_b32 s10, vcc_lo, s10
	s_wait_loadcnt_dscnt 0x0
	v_pk_mul_f32 v[98:99], v[96:97], v[94:95] op_sel:[1,1] op_sel_hi:[0,1]
	s_delay_alu instid0(VALU_DEP_1) | instskip(SKIP_1) | instid1(VALU_DEP_2)
	v_pk_fma_f32 v[100:101], v[96:97], v[94:95], v[98:99] op_sel_hi:[1,0,1]
	v_pk_fma_f32 v[94:95], v[96:97], v[94:95], v[98:99] neg_lo:[0,0,1] neg_hi:[0,0,1]
	v_mov_b32_e32 v95, v101
	s_delay_alu instid0(VALU_DEP_1)
	v_pk_add_f32 v[90:91], v[90:91], v[94:95]
	s_and_not1_b32 exec_lo, exec_lo, s10
	s_cbranch_execnz .LBB42_362
; %bb.363:
	s_or_b32 exec_lo, exec_lo, s10
.LBB42_364:
	s_delay_alu instid0(SALU_CYCLE_1) | instskip(SKIP_4) | instid1(VALU_DEP_1)
	s_or_b32 exec_lo, exec_lo, s9
	v_mov_b32_e32 v92, 0
	ds_load_b64 v[92:93], v92 offset:48
	s_wait_dscnt 0x0
	v_pk_mul_f32 v[94:95], v[90:91], v[92:93] op_sel:[1,1] op_sel_hi:[0,1]
	v_pk_fma_f32 v[96:97], v[90:91], v[92:93], v[94:95] op_sel_hi:[1,0,1]
	v_pk_fma_f32 v[90:91], v[90:91], v[92:93], v[94:95] neg_lo:[0,0,1] neg_hi:[0,0,1]
	s_delay_alu instid0(VALU_DEP_2)
	v_mov_b32_e32 v91, v97
	scratch_store_b64 off, v[90:91], off offset:48
.LBB42_365:
	s_wait_xcnt 0x0
	s_or_b32 exec_lo, exec_lo, s2
	scratch_load_b64 v[90:91], off, off offset:40
	v_cmp_lt_u32_e64 s1, 5, v0
	s_wait_loadcnt 0x0
	ds_store_b64 v1, v[90:91]
	s_wait_storecnt_dscnt 0x0
	s_barrier_signal -1
	s_barrier_wait -1
	s_wait_xcnt 0x0
	s_and_saveexec_b32 s2, s1
	s_cbranch_execz .LBB42_375
; %bb.366:
	s_and_not1_b32 vcc_lo, exec_lo, s3
	s_cbranch_vccnz .LBB42_368
; %bb.367:
	scratch_load_b64 v[90:91], v41, off
	ds_load_b64 v[92:93], v1
	s_wait_loadcnt_dscnt 0x0
	v_pk_mul_f32 v[94:95], v[92:93], v[90:91] op_sel:[1,1] op_sel_hi:[0,1]
	s_delay_alu instid0(VALU_DEP_1) | instskip(SKIP_1) | instid1(VALU_DEP_2)
	v_pk_fma_f32 v[96:97], v[92:93], v[90:91], v[94:95] op_sel_hi:[1,0,1]
	v_pk_fma_f32 v[90:91], v[92:93], v[90:91], v[94:95] neg_lo:[0,0,1] neg_hi:[0,0,1]
	v_mov_b32_e32 v91, v97
	s_cbranch_execz .LBB42_369
	s_branch .LBB42_370
.LBB42_368:
                                        ; implicit-def: $vgpr90_vgpr91
.LBB42_369:
	ds_load_b64 v[90:91], v1
.LBB42_370:
	s_and_saveexec_b32 s9, s0
	s_cbranch_execz .LBB42_374
; %bb.371:
	v_add_nc_u32_e32 v92, -6, v0
	s_movk_i32 s10, 0x190
	s_mov_b32 s0, 0
.LBB42_372:                             ; =>This Inner Loop Header: Depth=1
	scratch_load_b64 v[94:95], off, s8
	v_dual_mov_b32 v93, s10 :: v_dual_add_nc_u32 v92, -1, v92
	s_add_co_i32 s10, s10, 8
	s_wait_xcnt 0x0
	s_add_co_i32 s8, s8, 8
	ds_load_b64 v[96:97], v93
	v_cmp_eq_u32_e32 vcc_lo, 0, v92
	s_or_b32 s0, vcc_lo, s0
	s_wait_loadcnt_dscnt 0x0
	v_pk_mul_f32 v[98:99], v[96:97], v[94:95] op_sel:[1,1] op_sel_hi:[0,1]
	s_delay_alu instid0(VALU_DEP_1) | instskip(SKIP_1) | instid1(VALU_DEP_2)
	v_pk_fma_f32 v[100:101], v[96:97], v[94:95], v[98:99] op_sel_hi:[1,0,1]
	v_pk_fma_f32 v[94:95], v[96:97], v[94:95], v[98:99] neg_lo:[0,0,1] neg_hi:[0,0,1]
	v_mov_b32_e32 v95, v101
	s_delay_alu instid0(VALU_DEP_1)
	v_pk_add_f32 v[90:91], v[90:91], v[94:95]
	s_and_not1_b32 exec_lo, exec_lo, s0
	s_cbranch_execnz .LBB42_372
; %bb.373:
	s_or_b32 exec_lo, exec_lo, s0
.LBB42_374:
	s_delay_alu instid0(SALU_CYCLE_1) | instskip(SKIP_4) | instid1(VALU_DEP_1)
	s_or_b32 exec_lo, exec_lo, s9
	v_mov_b32_e32 v92, 0
	ds_load_b64 v[92:93], v92 offset:40
	s_wait_dscnt 0x0
	v_pk_mul_f32 v[94:95], v[90:91], v[92:93] op_sel:[1,1] op_sel_hi:[0,1]
	v_pk_fma_f32 v[96:97], v[90:91], v[92:93], v[94:95] op_sel_hi:[1,0,1]
	v_pk_fma_f32 v[90:91], v[90:91], v[92:93], v[94:95] neg_lo:[0,0,1] neg_hi:[0,0,1]
	s_delay_alu instid0(VALU_DEP_2)
	v_mov_b32_e32 v91, v97
	scratch_store_b64 off, v[90:91], off offset:40
.LBB42_375:
	s_wait_xcnt 0x0
	s_or_b32 exec_lo, exec_lo, s2
	scratch_load_b64 v[90:91], off, off offset:32
	v_cmp_lt_u32_e64 s0, 4, v0
	s_wait_loadcnt 0x0
	ds_store_b64 v1, v[90:91]
	s_wait_storecnt_dscnt 0x0
	s_barrier_signal -1
	s_barrier_wait -1
	s_wait_xcnt 0x0
	s_and_saveexec_b32 s2, s0
	s_cbranch_execz .LBB42_385
; %bb.376:
	s_and_not1_b32 vcc_lo, exec_lo, s3
	s_cbranch_vccnz .LBB42_378
; %bb.377:
	scratch_load_b64 v[90:91], v41, off
	ds_load_b64 v[92:93], v1
	s_wait_loadcnt_dscnt 0x0
	v_pk_mul_f32 v[94:95], v[92:93], v[90:91] op_sel:[1,1] op_sel_hi:[0,1]
	s_delay_alu instid0(VALU_DEP_1) | instskip(SKIP_1) | instid1(VALU_DEP_2)
	v_pk_fma_f32 v[96:97], v[92:93], v[90:91], v[94:95] op_sel_hi:[1,0,1]
	v_pk_fma_f32 v[90:91], v[92:93], v[90:91], v[94:95] neg_lo:[0,0,1] neg_hi:[0,0,1]
	v_mov_b32_e32 v91, v97
	s_cbranch_execz .LBB42_379
	s_branch .LBB42_380
.LBB42_378:
                                        ; implicit-def: $vgpr90_vgpr91
.LBB42_379:
	ds_load_b64 v[90:91], v1
.LBB42_380:
	s_and_saveexec_b32 s8, s1
	s_cbranch_execz .LBB42_384
; %bb.381:
	v_add_nc_u32_e32 v92, -5, v0
	s_mov_b32 s1, 40
	s_movk_i32 s10, 0x188
	s_mov_b32 s9, 0
.LBB42_382:                             ; =>This Inner Loop Header: Depth=1
	scratch_load_b64 v[94:95], off, s1
	v_dual_mov_b32 v93, s10 :: v_dual_add_nc_u32 v92, -1, v92
	s_add_co_i32 s10, s10, 8
	s_wait_xcnt 0x0
	s_add_co_i32 s1, s1, 8
	ds_load_b64 v[96:97], v93
	v_cmp_eq_u32_e32 vcc_lo, 0, v92
	s_or_b32 s9, vcc_lo, s9
	s_wait_loadcnt_dscnt 0x0
	v_pk_mul_f32 v[98:99], v[96:97], v[94:95] op_sel:[1,1] op_sel_hi:[0,1]
	s_delay_alu instid0(VALU_DEP_1) | instskip(SKIP_1) | instid1(VALU_DEP_2)
	v_pk_fma_f32 v[100:101], v[96:97], v[94:95], v[98:99] op_sel_hi:[1,0,1]
	v_pk_fma_f32 v[94:95], v[96:97], v[94:95], v[98:99] neg_lo:[0,0,1] neg_hi:[0,0,1]
	v_mov_b32_e32 v95, v101
	s_delay_alu instid0(VALU_DEP_1)
	v_pk_add_f32 v[90:91], v[90:91], v[94:95]
	s_and_not1_b32 exec_lo, exec_lo, s9
	s_cbranch_execnz .LBB42_382
; %bb.383:
	s_or_b32 exec_lo, exec_lo, s9
.LBB42_384:
	s_delay_alu instid0(SALU_CYCLE_1) | instskip(SKIP_4) | instid1(VALU_DEP_1)
	s_or_b32 exec_lo, exec_lo, s8
	v_mov_b32_e32 v92, 0
	ds_load_b64 v[92:93], v92 offset:32
	s_wait_dscnt 0x0
	v_pk_mul_f32 v[94:95], v[90:91], v[92:93] op_sel:[1,1] op_sel_hi:[0,1]
	v_pk_fma_f32 v[96:97], v[90:91], v[92:93], v[94:95] op_sel_hi:[1,0,1]
	v_pk_fma_f32 v[90:91], v[90:91], v[92:93], v[94:95] neg_lo:[0,0,1] neg_hi:[0,0,1]
	s_delay_alu instid0(VALU_DEP_2)
	v_mov_b32_e32 v91, v97
	scratch_store_b64 off, v[90:91], off offset:32
.LBB42_385:
	s_wait_xcnt 0x0
	s_or_b32 exec_lo, exec_lo, s2
	scratch_load_b64 v[90:91], off, off offset:24
	v_cmp_lt_u32_e64 s2, 3, v0
	s_wait_loadcnt 0x0
	ds_store_b64 v1, v[90:91]
	s_wait_storecnt_dscnt 0x0
	s_barrier_signal -1
	s_barrier_wait -1
	s_wait_xcnt 0x0
	s_and_saveexec_b32 s1, s2
	s_cbranch_execz .LBB42_395
; %bb.386:
	s_and_not1_b32 vcc_lo, exec_lo, s3
	s_cbranch_vccnz .LBB42_388
; %bb.387:
	scratch_load_b64 v[90:91], v41, off
	ds_load_b64 v[92:93], v1
	s_wait_loadcnt_dscnt 0x0
	v_pk_mul_f32 v[94:95], v[92:93], v[90:91] op_sel:[1,1] op_sel_hi:[0,1]
	s_delay_alu instid0(VALU_DEP_1) | instskip(SKIP_1) | instid1(VALU_DEP_2)
	v_pk_fma_f32 v[96:97], v[92:93], v[90:91], v[94:95] op_sel_hi:[1,0,1]
	v_pk_fma_f32 v[90:91], v[92:93], v[90:91], v[94:95] neg_lo:[0,0,1] neg_hi:[0,0,1]
	v_mov_b32_e32 v91, v97
	s_cbranch_execz .LBB42_389
	s_branch .LBB42_390
.LBB42_388:
                                        ; implicit-def: $vgpr90_vgpr91
.LBB42_389:
	ds_load_b64 v[90:91], v1
.LBB42_390:
	s_and_saveexec_b32 s8, s0
	s_cbranch_execz .LBB42_394
; %bb.391:
	v_add_nc_u32_e32 v92, -4, v0
	s_movk_i32 s9, 0x180
	s_mov_b32 s0, 0
.LBB42_392:                             ; =>This Inner Loop Header: Depth=1
	scratch_load_b64 v[94:95], off, s5
	v_dual_mov_b32 v93, s9 :: v_dual_add_nc_u32 v92, -1, v92
	s_add_co_i32 s9, s9, 8
	s_wait_xcnt 0x0
	s_add_co_i32 s5, s5, 8
	ds_load_b64 v[96:97], v93
	v_cmp_eq_u32_e32 vcc_lo, 0, v92
	s_or_b32 s0, vcc_lo, s0
	s_wait_loadcnt_dscnt 0x0
	v_pk_mul_f32 v[98:99], v[96:97], v[94:95] op_sel:[1,1] op_sel_hi:[0,1]
	s_delay_alu instid0(VALU_DEP_1) | instskip(SKIP_1) | instid1(VALU_DEP_2)
	v_pk_fma_f32 v[100:101], v[96:97], v[94:95], v[98:99] op_sel_hi:[1,0,1]
	v_pk_fma_f32 v[94:95], v[96:97], v[94:95], v[98:99] neg_lo:[0,0,1] neg_hi:[0,0,1]
	v_mov_b32_e32 v95, v101
	s_delay_alu instid0(VALU_DEP_1)
	v_pk_add_f32 v[90:91], v[90:91], v[94:95]
	s_and_not1_b32 exec_lo, exec_lo, s0
	s_cbranch_execnz .LBB42_392
; %bb.393:
	s_or_b32 exec_lo, exec_lo, s0
.LBB42_394:
	s_delay_alu instid0(SALU_CYCLE_1) | instskip(SKIP_4) | instid1(VALU_DEP_1)
	s_or_b32 exec_lo, exec_lo, s8
	v_mov_b32_e32 v92, 0
	ds_load_b64 v[92:93], v92 offset:24
	s_wait_dscnt 0x0
	v_pk_mul_f32 v[94:95], v[90:91], v[92:93] op_sel:[1,1] op_sel_hi:[0,1]
	v_pk_fma_f32 v[96:97], v[90:91], v[92:93], v[94:95] op_sel_hi:[1,0,1]
	v_pk_fma_f32 v[90:91], v[90:91], v[92:93], v[94:95] neg_lo:[0,0,1] neg_hi:[0,0,1]
	s_delay_alu instid0(VALU_DEP_2)
	v_mov_b32_e32 v91, v97
	scratch_store_b64 off, v[90:91], off offset:24
.LBB42_395:
	s_wait_xcnt 0x0
	s_or_b32 exec_lo, exec_lo, s1
	scratch_load_b64 v[90:91], off, off offset:16
	v_cmp_lt_u32_e64 s1, 2, v0
	s_wait_loadcnt 0x0
	ds_store_b64 v1, v[90:91]
	s_wait_storecnt_dscnt 0x0
	s_barrier_signal -1
	s_barrier_wait -1
	s_wait_xcnt 0x0
	s_and_saveexec_b32 s0, s1
	s_cbranch_execz .LBB42_405
; %bb.396:
	s_and_not1_b32 vcc_lo, exec_lo, s3
	s_cbranch_vccnz .LBB42_398
; %bb.397:
	scratch_load_b64 v[90:91], v41, off
	ds_load_b64 v[92:93], v1
	s_wait_loadcnt_dscnt 0x0
	v_pk_mul_f32 v[94:95], v[92:93], v[90:91] op_sel:[1,1] op_sel_hi:[0,1]
	s_delay_alu instid0(VALU_DEP_1) | instskip(SKIP_1) | instid1(VALU_DEP_2)
	v_pk_fma_f32 v[96:97], v[92:93], v[90:91], v[94:95] op_sel_hi:[1,0,1]
	v_pk_fma_f32 v[90:91], v[92:93], v[90:91], v[94:95] neg_lo:[0,0,1] neg_hi:[0,0,1]
	v_mov_b32_e32 v91, v97
	s_cbranch_execz .LBB42_399
	s_branch .LBB42_400
.LBB42_398:
                                        ; implicit-def: $vgpr90_vgpr91
.LBB42_399:
	ds_load_b64 v[90:91], v1
.LBB42_400:
	s_and_saveexec_b32 s5, s2
	s_cbranch_execz .LBB42_404
; %bb.401:
	v_add_nc_u32_e32 v92, -3, v0
	s_mov_b32 s2, 24
	s_movk_i32 s9, 0x178
	s_mov_b32 s8, 0
.LBB42_402:                             ; =>This Inner Loop Header: Depth=1
	scratch_load_b64 v[94:95], off, s2
	v_dual_mov_b32 v93, s9 :: v_dual_add_nc_u32 v92, -1, v92
	s_add_co_i32 s9, s9, 8
	s_wait_xcnt 0x0
	s_add_co_i32 s2, s2, 8
	ds_load_b64 v[96:97], v93
	v_cmp_eq_u32_e32 vcc_lo, 0, v92
	s_or_b32 s8, vcc_lo, s8
	s_wait_loadcnt_dscnt 0x0
	v_pk_mul_f32 v[98:99], v[96:97], v[94:95] op_sel:[1,1] op_sel_hi:[0,1]
	s_delay_alu instid0(VALU_DEP_1) | instskip(SKIP_1) | instid1(VALU_DEP_2)
	v_pk_fma_f32 v[100:101], v[96:97], v[94:95], v[98:99] op_sel_hi:[1,0,1]
	v_pk_fma_f32 v[94:95], v[96:97], v[94:95], v[98:99] neg_lo:[0,0,1] neg_hi:[0,0,1]
	v_mov_b32_e32 v95, v101
	s_delay_alu instid0(VALU_DEP_1)
	v_pk_add_f32 v[90:91], v[90:91], v[94:95]
	s_and_not1_b32 exec_lo, exec_lo, s8
	s_cbranch_execnz .LBB42_402
; %bb.403:
	s_or_b32 exec_lo, exec_lo, s8
.LBB42_404:
	s_delay_alu instid0(SALU_CYCLE_1) | instskip(SKIP_4) | instid1(VALU_DEP_1)
	s_or_b32 exec_lo, exec_lo, s5
	v_mov_b32_e32 v92, 0
	ds_load_b64 v[92:93], v92 offset:16
	s_wait_dscnt 0x0
	v_pk_mul_f32 v[94:95], v[90:91], v[92:93] op_sel:[1,1] op_sel_hi:[0,1]
	v_pk_fma_f32 v[96:97], v[90:91], v[92:93], v[94:95] op_sel_hi:[1,0,1]
	v_pk_fma_f32 v[90:91], v[90:91], v[92:93], v[94:95] neg_lo:[0,0,1] neg_hi:[0,0,1]
	s_delay_alu instid0(VALU_DEP_2)
	v_mov_b32_e32 v91, v97
	scratch_store_b64 off, v[90:91], off offset:16
.LBB42_405:
	s_wait_xcnt 0x0
	s_or_b32 exec_lo, exec_lo, s0
	scratch_load_b64 v[90:91], off, off offset:8
	v_cmp_lt_u32_e64 s0, 1, v0
	s_wait_loadcnt 0x0
	ds_store_b64 v1, v[90:91]
	s_wait_storecnt_dscnt 0x0
	s_barrier_signal -1
	s_barrier_wait -1
	s_wait_xcnt 0x0
	s_and_saveexec_b32 s2, s0
	s_cbranch_execz .LBB42_415
; %bb.406:
	s_and_not1_b32 vcc_lo, exec_lo, s3
	s_cbranch_vccnz .LBB42_408
; %bb.407:
	scratch_load_b64 v[90:91], v41, off
	ds_load_b64 v[92:93], v1
	s_wait_loadcnt_dscnt 0x0
	v_pk_mul_f32 v[94:95], v[92:93], v[90:91] op_sel:[1,1] op_sel_hi:[0,1]
	s_delay_alu instid0(VALU_DEP_1) | instskip(SKIP_1) | instid1(VALU_DEP_2)
	v_pk_fma_f32 v[96:97], v[92:93], v[90:91], v[94:95] op_sel_hi:[1,0,1]
	v_pk_fma_f32 v[90:91], v[92:93], v[90:91], v[94:95] neg_lo:[0,0,1] neg_hi:[0,0,1]
	v_mov_b32_e32 v91, v97
	s_cbranch_execz .LBB42_409
	s_branch .LBB42_410
.LBB42_408:
                                        ; implicit-def: $vgpr90_vgpr91
.LBB42_409:
	ds_load_b64 v[90:91], v1
.LBB42_410:
	s_and_saveexec_b32 s5, s1
	s_cbranch_execz .LBB42_414
; %bb.411:
	v_add_nc_u32_e32 v92, -2, v0
	s_movk_i32 s8, 0x170
	s_mov_b32 s1, 0
.LBB42_412:                             ; =>This Inner Loop Header: Depth=1
	scratch_load_b64 v[94:95], off, s4
	v_dual_mov_b32 v93, s8 :: v_dual_add_nc_u32 v92, -1, v92
	s_add_co_i32 s8, s8, 8
	s_wait_xcnt 0x0
	s_add_co_i32 s4, s4, 8
	ds_load_b64 v[96:97], v93
	v_cmp_eq_u32_e32 vcc_lo, 0, v92
	s_or_b32 s1, vcc_lo, s1
	s_wait_loadcnt_dscnt 0x0
	v_pk_mul_f32 v[98:99], v[96:97], v[94:95] op_sel:[1,1] op_sel_hi:[0,1]
	s_delay_alu instid0(VALU_DEP_1) | instskip(SKIP_1) | instid1(VALU_DEP_2)
	v_pk_fma_f32 v[100:101], v[96:97], v[94:95], v[98:99] op_sel_hi:[1,0,1]
	v_pk_fma_f32 v[94:95], v[96:97], v[94:95], v[98:99] neg_lo:[0,0,1] neg_hi:[0,0,1]
	v_mov_b32_e32 v95, v101
	s_delay_alu instid0(VALU_DEP_1)
	v_pk_add_f32 v[90:91], v[90:91], v[94:95]
	s_and_not1_b32 exec_lo, exec_lo, s1
	s_cbranch_execnz .LBB42_412
; %bb.413:
	s_or_b32 exec_lo, exec_lo, s1
.LBB42_414:
	s_delay_alu instid0(SALU_CYCLE_1) | instskip(SKIP_4) | instid1(VALU_DEP_1)
	s_or_b32 exec_lo, exec_lo, s5
	v_mov_b32_e32 v92, 0
	ds_load_b64 v[92:93], v92 offset:8
	s_wait_dscnt 0x0
	v_pk_mul_f32 v[94:95], v[90:91], v[92:93] op_sel:[1,1] op_sel_hi:[0,1]
	v_pk_fma_f32 v[96:97], v[90:91], v[92:93], v[94:95] op_sel_hi:[1,0,1]
	v_pk_fma_f32 v[90:91], v[90:91], v[92:93], v[94:95] neg_lo:[0,0,1] neg_hi:[0,0,1]
	s_delay_alu instid0(VALU_DEP_2)
	v_mov_b32_e32 v91, v97
	scratch_store_b64 off, v[90:91], off offset:8
.LBB42_415:
	s_wait_xcnt 0x0
	s_or_b32 exec_lo, exec_lo, s2
	scratch_load_b64 v[90:91], off, off
	s_mov_b32 s2, 0
	s_mov_b32 s1, 0
	s_mov_b32 s5, exec_lo
                                        ; implicit-def: $vgpr118
                                        ; implicit-def: $sgpr4
	s_wait_loadcnt 0x0
	ds_store_b64 v1, v[90:91]
	s_wait_storecnt_dscnt 0x0
	s_barrier_signal -1
	s_barrier_wait -1
	s_wait_xcnt 0x0
	v_cmpx_ne_u32_e32 0, v0
	s_cbranch_execz .LBB42_425
; %bb.416:
	s_and_not1_b32 vcc_lo, exec_lo, s3
	s_cbranch_vccnz .LBB42_418
; %bb.417:
	scratch_load_b64 v[92:93], v41, off
	ds_load_b64 v[94:95], v1
	s_wait_loadcnt_dscnt 0x0
	v_dual_mul_f32 v90, v95, v93 :: v_dual_mul_f32 v91, v94, v93
	s_delay_alu instid0(VALU_DEP_1)
	v_dual_fma_f32 v90, v94, v92, -v90 :: v_dual_fmac_f32 v91, v95, v92
	s_and_not1_b32 vcc_lo, exec_lo, s1
	s_cbranch_vccz .LBB42_419
	s_branch .LBB42_420
.LBB42_418:
                                        ; implicit-def: $vgpr90
.LBB42_419:
	ds_load_b64 v[90:91], v1
.LBB42_420:
	s_and_saveexec_b32 s1, s0
	s_cbranch_execz .LBB42_424
; %bb.421:
	v_add_nc_u32_e32 v92, -1, v0
	s_or_b32 s0, 0, 8
	s_movk_i32 s8, 0x168
	s_mov_b32 s4, 0
.LBB42_422:                             ; =>This Inner Loop Header: Depth=1
	scratch_load_b64 v[94:95], off, s0
	v_mov_b32_e32 v93, s8
	s_add_co_i32 s8, s8, 8
	s_wait_xcnt 0x0
	s_add_co_i32 s0, s0, 8
	v_add_nc_u32_e32 v92, -1, v92
	ds_load_b64 v[96:97], v93
	v_cmp_eq_u32_e32 vcc_lo, 0, v92
	s_or_b32 s4, vcc_lo, s4
	s_wait_loadcnt_dscnt 0x0
	v_dual_mul_f32 v93, v97, v95 :: v_dual_mul_f32 v95, v96, v95
	s_delay_alu instid0(VALU_DEP_1) | instskip(NEXT) | instid1(VALU_DEP_1)
	v_dual_fma_f32 v93, v96, v94, -v93 :: v_dual_fmac_f32 v95, v97, v94
	v_dual_add_f32 v90, v90, v93 :: v_dual_add_f32 v91, v91, v95
	s_and_not1_b32 exec_lo, exec_lo, s4
	s_cbranch_execnz .LBB42_422
; %bb.423:
	s_or_b32 exec_lo, exec_lo, s4
.LBB42_424:
	s_delay_alu instid0(SALU_CYCLE_1)
	s_or_b32 exec_lo, exec_lo, s1
	v_mov_b32_e32 v92, 0
	s_mov_b32 s1, exec_lo
	s_or_b32 s4, 0, 4
	ds_load_b64 v[92:93], v92
	s_wait_dscnt 0x0
	v_dual_mul_f32 v94, v91, v93 :: v_dual_mul_f32 v118, v90, v93
	s_delay_alu instid0(VALU_DEP_1) | instskip(NEXT) | instid1(VALU_DEP_2)
	v_fma_f32 v90, v90, v92, -v94
	v_fmac_f32_e32 v118, v91, v92
	scratch_store_b32 off, v90, off
.LBB42_425:
	s_wait_xcnt 0x0
	s_or_b32 exec_lo, exec_lo, s5
	s_delay_alu instid0(SALU_CYCLE_1)
	s_and_b32 vcc_lo, exec_lo, s2
	s_cbranch_vccz .LBB42_841
.LBB42_426:
	scratch_load_b64 v[90:91], off, off offset:8
	v_cmp_eq_u32_e64 s0, 0, v0
	s_wait_loadcnt 0x0
	ds_store_b64 v1, v[90:91]
	s_wait_storecnt_dscnt 0x0
	s_barrier_signal -1
	s_barrier_wait -1
	s_wait_xcnt 0x0
	s_and_saveexec_b32 s2, s0
	s_cbranch_execz .LBB42_432
; %bb.427:
	s_and_b32 vcc_lo, exec_lo, s3
	s_cbranch_vccz .LBB42_429
; %bb.428:
	scratch_load_b64 v[90:91], v41, off
	ds_load_b64 v[92:93], v1
	s_wait_loadcnt_dscnt 0x0
	v_pk_mul_f32 v[94:95], v[92:93], v[90:91] op_sel:[1,1] op_sel_hi:[0,1]
	v_pk_mul_f32 v[96:97], v[92:93], v[90:91] op_sel_hi:[1,0]
	s_delay_alu instid0(VALU_DEP_2) | instskip(NEXT) | instid1(VALU_DEP_2)
	v_pk_fma_f32 v[90:91], v[92:93], v[90:91], v[94:95] op_sel_hi:[1,0,1]
	v_sub_f32_e32 v90, v96, v94
	s_cbranch_execz .LBB42_430
	s_branch .LBB42_431
.LBB42_429:
                                        ; implicit-def: $vgpr91
.LBB42_430:
	ds_load_b64 v[90:91], v1
.LBB42_431:
	s_wait_dscnt 0x0
	v_dual_mov_b32 v92, 0 :: v_dual_mov_b32 v94, v91
	v_mov_b32_e32 v95, v90
	ds_load_b64 v[92:93], v92 offset:8
	s_wait_dscnt 0x0
	v_pk_mul_f32 v[94:95], v[94:95], v[92:93] op_sel:[0,1]
	s_delay_alu instid0(VALU_DEP_1) | instskip(SKIP_1) | instid1(VALU_DEP_2)
	v_pk_fma_f32 v[96:97], v[90:91], v[92:93], v[94:95] op_sel_hi:[1,0,1]
	v_pk_fma_f32 v[90:91], v[90:91], v[92:93], v[94:95] neg_lo:[0,0,1] neg_hi:[0,0,1]
	v_mov_b32_e32 v91, v97
	scratch_store_b64 off, v[90:91], off offset:8
.LBB42_432:
	s_wait_xcnt 0x0
	s_or_b32 exec_lo, exec_lo, s2
	scratch_load_b64 v[90:91], off, off offset:16
	v_cndmask_b32_e64 v92, 0, 1, s3
	s_mov_b32 s2, exec_lo
	s_wait_loadcnt 0x0
	ds_store_b64 v1, v[90:91]
	s_wait_storecnt_dscnt 0x0
	s_barrier_signal -1
	s_barrier_wait -1
	s_wait_xcnt 0x0
	v_cmpx_gt_u32_e32 2, v0
	s_cbranch_execz .LBB42_440
; %bb.433:
	s_and_not1_b32 vcc_lo, exec_lo, s3
	s_cbranch_vccnz .LBB42_435
; %bb.434:
	scratch_load_b64 v[90:91], v41, off
	ds_load_b64 v[94:95], v1
	s_wait_loadcnt_dscnt 0x0
	v_pk_mul_f32 v[96:97], v[94:95], v[90:91] op_sel:[1,1] op_sel_hi:[0,1]
	s_delay_alu instid0(VALU_DEP_1) | instskip(SKIP_1) | instid1(VALU_DEP_2)
	v_pk_fma_f32 v[98:99], v[94:95], v[90:91], v[96:97] op_sel_hi:[1,0,1]
	v_pk_fma_f32 v[90:91], v[94:95], v[90:91], v[96:97] neg_lo:[0,0,1] neg_hi:[0,0,1]
	v_mov_b32_e32 v91, v99
	s_cbranch_execz .LBB42_436
	s_branch .LBB42_437
.LBB42_435:
                                        ; implicit-def: $vgpr90_vgpr91
.LBB42_436:
	ds_load_b64 v[90:91], v1
.LBB42_437:
	s_and_saveexec_b32 s3, s0
	s_cbranch_execz .LBB42_439
; %bb.438:
	scratch_load_b64 v[94:95], off, off offset:8
	v_mov_b32_e32 v93, 0
	ds_load_b64 v[96:97], v93 offset:360
	s_wait_loadcnt_dscnt 0x0
	v_pk_mul_f32 v[98:99], v[96:97], v[94:95] op_sel:[1,1] op_sel_hi:[0,1]
	s_delay_alu instid0(VALU_DEP_1) | instskip(SKIP_1) | instid1(VALU_DEP_2)
	v_pk_fma_f32 v[100:101], v[96:97], v[94:95], v[98:99] op_sel_hi:[1,0,1]
	v_pk_fma_f32 v[94:95], v[96:97], v[94:95], v[98:99] neg_lo:[0,0,1] neg_hi:[0,0,1]
	v_mov_b32_e32 v95, v101
	s_delay_alu instid0(VALU_DEP_1)
	v_pk_add_f32 v[90:91], v[90:91], v[94:95]
.LBB42_439:
	s_or_b32 exec_lo, exec_lo, s3
	v_mov_b32_e32 v93, 0
	ds_load_b64 v[94:95], v93 offset:16
	s_wait_dscnt 0x0
	v_pk_mul_f32 v[96:97], v[90:91], v[94:95] op_sel:[1,1] op_sel_hi:[0,1]
	s_delay_alu instid0(VALU_DEP_1) | instskip(SKIP_1) | instid1(VALU_DEP_2)
	v_pk_fma_f32 v[98:99], v[90:91], v[94:95], v[96:97] op_sel_hi:[1,0,1]
	v_pk_fma_f32 v[90:91], v[90:91], v[94:95], v[96:97] neg_lo:[0,0,1] neg_hi:[0,0,1]
	v_mov_b32_e32 v91, v99
	scratch_store_b64 off, v[90:91], off offset:16
.LBB42_440:
	s_wait_xcnt 0x0
	s_or_b32 exec_lo, exec_lo, s2
	scratch_load_b64 v[90:91], off, off offset:24
	s_mov_b32 s2, exec_lo
	s_wait_loadcnt 0x0
	ds_store_b64 v1, v[90:91]
	s_wait_storecnt_dscnt 0x0
	s_barrier_signal -1
	s_barrier_wait -1
	s_wait_xcnt 0x0
	v_cmpx_gt_u32_e32 3, v0
	s_cbranch_execz .LBB42_450
; %bb.441:
	v_cmp_ne_u32_e32 vcc_lo, 1, v92
	s_cbranch_vccnz .LBB42_443
; %bb.442:
	scratch_load_b64 v[90:91], v41, off
	ds_load_b64 v[94:95], v1
	s_wait_loadcnt_dscnt 0x0
	v_pk_mul_f32 v[96:97], v[94:95], v[90:91] op_sel:[1,1] op_sel_hi:[0,1]
	s_delay_alu instid0(VALU_DEP_1) | instskip(SKIP_1) | instid1(VALU_DEP_2)
	v_pk_fma_f32 v[98:99], v[94:95], v[90:91], v[96:97] op_sel_hi:[1,0,1]
	v_pk_fma_f32 v[90:91], v[94:95], v[90:91], v[96:97] neg_lo:[0,0,1] neg_hi:[0,0,1]
	v_mov_b32_e32 v91, v99
	s_cbranch_execz .LBB42_444
	s_branch .LBB42_445
.LBB42_443:
                                        ; implicit-def: $vgpr90_vgpr91
.LBB42_444:
	ds_load_b64 v[90:91], v1
.LBB42_445:
	s_mov_b32 s3, exec_lo
	v_cmpx_ne_u32_e32 2, v0
	s_cbranch_execz .LBB42_449
; %bb.446:
	scratch_load_b64 v[94:95], v41, off offset:8
	ds_load_b64 v[96:97], v1 offset:8
	s_wait_loadcnt_dscnt 0x0
	v_pk_mul_f32 v[98:99], v[96:97], v[94:95] op_sel:[1,1] op_sel_hi:[0,1]
	s_delay_alu instid0(VALU_DEP_1) | instskip(SKIP_1) | instid1(VALU_DEP_2)
	v_pk_fma_f32 v[100:101], v[96:97], v[94:95], v[98:99] op_sel_hi:[1,0,1]
	v_pk_fma_f32 v[94:95], v[96:97], v[94:95], v[98:99] neg_lo:[0,0,1] neg_hi:[0,0,1]
	v_mov_b32_e32 v95, v101
	s_delay_alu instid0(VALU_DEP_1)
	v_pk_add_f32 v[90:91], v[90:91], v[94:95]
	s_and_saveexec_b32 s4, s0
	s_cbranch_execz .LBB42_448
; %bb.447:
	scratch_load_b64 v[94:95], off, off offset:16
	v_mov_b32_e32 v93, 0
	ds_load_b64 v[96:97], v93 offset:368
	s_wait_loadcnt_dscnt 0x0
	v_pk_mul_f32 v[98:99], v[96:97], v[94:95] op_sel:[1,1] op_sel_hi:[0,1]
	s_delay_alu instid0(VALU_DEP_1) | instskip(SKIP_1) | instid1(VALU_DEP_2)
	v_pk_fma_f32 v[100:101], v[96:97], v[94:95], v[98:99] op_sel_hi:[1,0,1]
	v_pk_fma_f32 v[94:95], v[96:97], v[94:95], v[98:99] neg_lo:[0,0,1] neg_hi:[0,0,1]
	v_mov_b32_e32 v95, v101
	s_delay_alu instid0(VALU_DEP_1)
	v_pk_add_f32 v[90:91], v[90:91], v[94:95]
.LBB42_448:
	s_or_b32 exec_lo, exec_lo, s4
.LBB42_449:
	s_delay_alu instid0(SALU_CYCLE_1) | instskip(SKIP_4) | instid1(VALU_DEP_1)
	s_or_b32 exec_lo, exec_lo, s3
	v_mov_b32_e32 v93, 0
	ds_load_b64 v[94:95], v93 offset:24
	s_wait_dscnt 0x0
	v_pk_mul_f32 v[96:97], v[90:91], v[94:95] op_sel:[1,1] op_sel_hi:[0,1]
	v_pk_fma_f32 v[98:99], v[90:91], v[94:95], v[96:97] op_sel_hi:[1,0,1]
	v_pk_fma_f32 v[90:91], v[90:91], v[94:95], v[96:97] neg_lo:[0,0,1] neg_hi:[0,0,1]
	s_delay_alu instid0(VALU_DEP_2)
	v_mov_b32_e32 v91, v99
	scratch_store_b64 off, v[90:91], off offset:24
.LBB42_450:
	s_wait_xcnt 0x0
	s_or_b32 exec_lo, exec_lo, s2
	scratch_load_b64 v[90:91], off, off offset:32
	s_mov_b32 s0, exec_lo
	s_wait_loadcnt 0x0
	ds_store_b64 v1, v[90:91]
	s_wait_storecnt_dscnt 0x0
	s_barrier_signal -1
	s_barrier_wait -1
	s_wait_xcnt 0x0
	v_cmpx_gt_u32_e32 4, v0
	s_cbranch_execz .LBB42_460
; %bb.451:
	v_cmp_ne_u32_e32 vcc_lo, 1, v92
	s_cbranch_vccnz .LBB42_453
; %bb.452:
	scratch_load_b64 v[90:91], v41, off
	ds_load_b64 v[94:95], v1
	s_wait_loadcnt_dscnt 0x0
	v_pk_mul_f32 v[96:97], v[94:95], v[90:91] op_sel:[1,1] op_sel_hi:[0,1]
	s_delay_alu instid0(VALU_DEP_1) | instskip(SKIP_1) | instid1(VALU_DEP_2)
	v_pk_fma_f32 v[98:99], v[94:95], v[90:91], v[96:97] op_sel_hi:[1,0,1]
	v_pk_fma_f32 v[90:91], v[94:95], v[90:91], v[96:97] neg_lo:[0,0,1] neg_hi:[0,0,1]
	v_mov_b32_e32 v91, v99
	s_cbranch_execz .LBB42_454
	s_branch .LBB42_455
.LBB42_453:
                                        ; implicit-def: $vgpr90_vgpr91
.LBB42_454:
	ds_load_b64 v[90:91], v1
.LBB42_455:
	s_mov_b32 s2, exec_lo
	v_cmpx_ne_u32_e32 3, v0
	s_cbranch_execz .LBB42_459
; %bb.456:
	v_add_nc_u32_e32 v93, 0x168, v40
	v_add3_u32 v94, 0, v40, 8
	v_mov_b32_e32 v95, v0
	s_mov_b32 s3, 0
.LBB42_457:                             ; =>This Inner Loop Header: Depth=1
	scratch_load_b64 v[96:97], v94, off
	ds_load_b64 v[98:99], v93
	s_wait_xcnt 0x0
	v_dual_add_nc_u32 v93, 8, v93 :: v_dual_add_nc_u32 v94, 8, v94
	s_wait_loadcnt_dscnt 0x0
	v_pk_mul_f32 v[100:101], v[98:99], v[96:97] op_sel:[1,1] op_sel_hi:[0,1]
	s_delay_alu instid0(VALU_DEP_1) | instskip(SKIP_2) | instid1(VALU_DEP_3)
	v_pk_fma_f32 v[102:103], v[98:99], v[96:97], v[100:101] op_sel_hi:[1,0,1]
	v_add_nc_u32_e32 v95, 1, v95
	v_pk_fma_f32 v[96:97], v[98:99], v[96:97], v[100:101] neg_lo:[0,0,1] neg_hi:[0,0,1]
	v_mov_b32_e32 v97, v103
	s_delay_alu instid0(VALU_DEP_3) | instskip(NEXT) | instid1(VALU_DEP_2)
	v_cmp_lt_u32_e32 vcc_lo, 2, v95
	v_pk_add_f32 v[90:91], v[90:91], v[96:97]
	s_or_b32 s3, vcc_lo, s3
	s_delay_alu instid0(SALU_CYCLE_1)
	s_and_not1_b32 exec_lo, exec_lo, s3
	s_cbranch_execnz .LBB42_457
; %bb.458:
	s_or_b32 exec_lo, exec_lo, s3
.LBB42_459:
	s_delay_alu instid0(SALU_CYCLE_1) | instskip(SKIP_4) | instid1(VALU_DEP_1)
	s_or_b32 exec_lo, exec_lo, s2
	v_mov_b32_e32 v93, 0
	ds_load_b64 v[94:95], v93 offset:32
	s_wait_dscnt 0x0
	v_pk_mul_f32 v[96:97], v[90:91], v[94:95] op_sel:[1,1] op_sel_hi:[0,1]
	v_pk_fma_f32 v[98:99], v[90:91], v[94:95], v[96:97] op_sel_hi:[1,0,1]
	v_pk_fma_f32 v[90:91], v[90:91], v[94:95], v[96:97] neg_lo:[0,0,1] neg_hi:[0,0,1]
	s_delay_alu instid0(VALU_DEP_2)
	v_mov_b32_e32 v91, v99
	scratch_store_b64 off, v[90:91], off offset:32
.LBB42_460:
	s_wait_xcnt 0x0
	s_or_b32 exec_lo, exec_lo, s0
	scratch_load_b64 v[90:91], off, off offset:40
	s_mov_b32 s0, exec_lo
	s_wait_loadcnt 0x0
	ds_store_b64 v1, v[90:91]
	s_wait_storecnt_dscnt 0x0
	s_barrier_signal -1
	s_barrier_wait -1
	s_wait_xcnt 0x0
	v_cmpx_gt_u32_e32 5, v0
	s_cbranch_execz .LBB42_470
; %bb.461:
	v_cmp_ne_u32_e32 vcc_lo, 1, v92
	s_cbranch_vccnz .LBB42_463
; %bb.462:
	scratch_load_b64 v[90:91], v41, off
	ds_load_b64 v[94:95], v1
	s_wait_loadcnt_dscnt 0x0
	v_pk_mul_f32 v[96:97], v[94:95], v[90:91] op_sel:[1,1] op_sel_hi:[0,1]
	s_delay_alu instid0(VALU_DEP_1) | instskip(SKIP_1) | instid1(VALU_DEP_2)
	v_pk_fma_f32 v[98:99], v[94:95], v[90:91], v[96:97] op_sel_hi:[1,0,1]
	v_pk_fma_f32 v[90:91], v[94:95], v[90:91], v[96:97] neg_lo:[0,0,1] neg_hi:[0,0,1]
	v_mov_b32_e32 v91, v99
	s_cbranch_execz .LBB42_464
	s_branch .LBB42_465
.LBB42_463:
                                        ; implicit-def: $vgpr90_vgpr91
.LBB42_464:
	ds_load_b64 v[90:91], v1
.LBB42_465:
	s_mov_b32 s2, exec_lo
	v_cmpx_ne_u32_e32 4, v0
	s_cbranch_execz .LBB42_469
; %bb.466:
	v_add_nc_u32_e32 v93, 0x168, v40
	v_add3_u32 v94, 0, v40, 8
	v_mov_b32_e32 v95, v0
	s_mov_b32 s3, 0
.LBB42_467:                             ; =>This Inner Loop Header: Depth=1
	scratch_load_b64 v[96:97], v94, off
	ds_load_b64 v[98:99], v93
	s_wait_xcnt 0x0
	v_dual_add_nc_u32 v93, 8, v93 :: v_dual_add_nc_u32 v94, 8, v94
	s_wait_loadcnt_dscnt 0x0
	v_pk_mul_f32 v[100:101], v[98:99], v[96:97] op_sel:[1,1] op_sel_hi:[0,1]
	s_delay_alu instid0(VALU_DEP_1) | instskip(SKIP_2) | instid1(VALU_DEP_3)
	v_pk_fma_f32 v[102:103], v[98:99], v[96:97], v[100:101] op_sel_hi:[1,0,1]
	v_add_nc_u32_e32 v95, 1, v95
	v_pk_fma_f32 v[96:97], v[98:99], v[96:97], v[100:101] neg_lo:[0,0,1] neg_hi:[0,0,1]
	v_mov_b32_e32 v97, v103
	s_delay_alu instid0(VALU_DEP_3) | instskip(NEXT) | instid1(VALU_DEP_2)
	v_cmp_lt_u32_e32 vcc_lo, 3, v95
	v_pk_add_f32 v[90:91], v[90:91], v[96:97]
	s_or_b32 s3, vcc_lo, s3
	s_delay_alu instid0(SALU_CYCLE_1)
	s_and_not1_b32 exec_lo, exec_lo, s3
	s_cbranch_execnz .LBB42_467
; %bb.468:
	s_or_b32 exec_lo, exec_lo, s3
.LBB42_469:
	s_delay_alu instid0(SALU_CYCLE_1) | instskip(SKIP_4) | instid1(VALU_DEP_1)
	s_or_b32 exec_lo, exec_lo, s2
	v_mov_b32_e32 v93, 0
	ds_load_b64 v[94:95], v93 offset:40
	s_wait_dscnt 0x0
	v_pk_mul_f32 v[96:97], v[90:91], v[94:95] op_sel:[1,1] op_sel_hi:[0,1]
	v_pk_fma_f32 v[98:99], v[90:91], v[94:95], v[96:97] op_sel_hi:[1,0,1]
	v_pk_fma_f32 v[90:91], v[90:91], v[94:95], v[96:97] neg_lo:[0,0,1] neg_hi:[0,0,1]
	s_delay_alu instid0(VALU_DEP_2)
	v_mov_b32_e32 v91, v99
	scratch_store_b64 off, v[90:91], off offset:40
.LBB42_470:
	s_wait_xcnt 0x0
	s_or_b32 exec_lo, exec_lo, s0
	scratch_load_b64 v[90:91], off, off offset:48
	s_mov_b32 s0, exec_lo
	s_wait_loadcnt 0x0
	ds_store_b64 v1, v[90:91]
	s_wait_storecnt_dscnt 0x0
	s_barrier_signal -1
	s_barrier_wait -1
	s_wait_xcnt 0x0
	v_cmpx_gt_u32_e32 6, v0
	s_cbranch_execz .LBB42_480
; %bb.471:
	v_cmp_ne_u32_e32 vcc_lo, 1, v92
	s_cbranch_vccnz .LBB42_473
; %bb.472:
	scratch_load_b64 v[90:91], v41, off
	ds_load_b64 v[94:95], v1
	s_wait_loadcnt_dscnt 0x0
	v_pk_mul_f32 v[96:97], v[94:95], v[90:91] op_sel:[1,1] op_sel_hi:[0,1]
	s_delay_alu instid0(VALU_DEP_1) | instskip(SKIP_1) | instid1(VALU_DEP_2)
	v_pk_fma_f32 v[98:99], v[94:95], v[90:91], v[96:97] op_sel_hi:[1,0,1]
	v_pk_fma_f32 v[90:91], v[94:95], v[90:91], v[96:97] neg_lo:[0,0,1] neg_hi:[0,0,1]
	v_mov_b32_e32 v91, v99
	s_cbranch_execz .LBB42_474
	s_branch .LBB42_475
.LBB42_473:
                                        ; implicit-def: $vgpr90_vgpr91
.LBB42_474:
	ds_load_b64 v[90:91], v1
.LBB42_475:
	s_mov_b32 s2, exec_lo
	v_cmpx_ne_u32_e32 5, v0
	s_cbranch_execz .LBB42_479
; %bb.476:
	v_add_nc_u32_e32 v93, 0x168, v40
	v_add3_u32 v94, 0, v40, 8
	v_mov_b32_e32 v95, v0
	s_mov_b32 s3, 0
.LBB42_477:                             ; =>This Inner Loop Header: Depth=1
	scratch_load_b64 v[96:97], v94, off
	ds_load_b64 v[98:99], v93
	s_wait_xcnt 0x0
	v_dual_add_nc_u32 v93, 8, v93 :: v_dual_add_nc_u32 v94, 8, v94
	s_wait_loadcnt_dscnt 0x0
	v_pk_mul_f32 v[100:101], v[98:99], v[96:97] op_sel:[1,1] op_sel_hi:[0,1]
	s_delay_alu instid0(VALU_DEP_1) | instskip(SKIP_2) | instid1(VALU_DEP_3)
	v_pk_fma_f32 v[102:103], v[98:99], v[96:97], v[100:101] op_sel_hi:[1,0,1]
	v_add_nc_u32_e32 v95, 1, v95
	v_pk_fma_f32 v[96:97], v[98:99], v[96:97], v[100:101] neg_lo:[0,0,1] neg_hi:[0,0,1]
	v_mov_b32_e32 v97, v103
	s_delay_alu instid0(VALU_DEP_3) | instskip(NEXT) | instid1(VALU_DEP_2)
	v_cmp_lt_u32_e32 vcc_lo, 4, v95
	v_pk_add_f32 v[90:91], v[90:91], v[96:97]
	s_or_b32 s3, vcc_lo, s3
	s_delay_alu instid0(SALU_CYCLE_1)
	s_and_not1_b32 exec_lo, exec_lo, s3
	s_cbranch_execnz .LBB42_477
; %bb.478:
	s_or_b32 exec_lo, exec_lo, s3
.LBB42_479:
	s_delay_alu instid0(SALU_CYCLE_1) | instskip(SKIP_4) | instid1(VALU_DEP_1)
	s_or_b32 exec_lo, exec_lo, s2
	v_mov_b32_e32 v93, 0
	ds_load_b64 v[94:95], v93 offset:48
	s_wait_dscnt 0x0
	v_pk_mul_f32 v[96:97], v[90:91], v[94:95] op_sel:[1,1] op_sel_hi:[0,1]
	v_pk_fma_f32 v[98:99], v[90:91], v[94:95], v[96:97] op_sel_hi:[1,0,1]
	v_pk_fma_f32 v[90:91], v[90:91], v[94:95], v[96:97] neg_lo:[0,0,1] neg_hi:[0,0,1]
	s_delay_alu instid0(VALU_DEP_2)
	v_mov_b32_e32 v91, v99
	scratch_store_b64 off, v[90:91], off offset:48
.LBB42_480:
	s_wait_xcnt 0x0
	s_or_b32 exec_lo, exec_lo, s0
	scratch_load_b64 v[90:91], off, off offset:56
	s_mov_b32 s0, exec_lo
	s_wait_loadcnt 0x0
	ds_store_b64 v1, v[90:91]
	s_wait_storecnt_dscnt 0x0
	s_barrier_signal -1
	s_barrier_wait -1
	s_wait_xcnt 0x0
	v_cmpx_gt_u32_e32 7, v0
	s_cbranch_execz .LBB42_490
; %bb.481:
	v_cmp_ne_u32_e32 vcc_lo, 1, v92
	s_cbranch_vccnz .LBB42_483
; %bb.482:
	scratch_load_b64 v[90:91], v41, off
	ds_load_b64 v[94:95], v1
	s_wait_loadcnt_dscnt 0x0
	v_pk_mul_f32 v[96:97], v[94:95], v[90:91] op_sel:[1,1] op_sel_hi:[0,1]
	s_delay_alu instid0(VALU_DEP_1) | instskip(SKIP_1) | instid1(VALU_DEP_2)
	v_pk_fma_f32 v[98:99], v[94:95], v[90:91], v[96:97] op_sel_hi:[1,0,1]
	v_pk_fma_f32 v[90:91], v[94:95], v[90:91], v[96:97] neg_lo:[0,0,1] neg_hi:[0,0,1]
	v_mov_b32_e32 v91, v99
	s_cbranch_execz .LBB42_484
	s_branch .LBB42_485
.LBB42_483:
                                        ; implicit-def: $vgpr90_vgpr91
.LBB42_484:
	ds_load_b64 v[90:91], v1
.LBB42_485:
	s_mov_b32 s2, exec_lo
	v_cmpx_ne_u32_e32 6, v0
	s_cbranch_execz .LBB42_489
; %bb.486:
	v_add_nc_u32_e32 v93, 0x168, v40
	v_add3_u32 v94, 0, v40, 8
	v_mov_b32_e32 v95, v0
	s_mov_b32 s3, 0
.LBB42_487:                             ; =>This Inner Loop Header: Depth=1
	scratch_load_b64 v[96:97], v94, off
	ds_load_b64 v[98:99], v93
	s_wait_xcnt 0x0
	v_dual_add_nc_u32 v93, 8, v93 :: v_dual_add_nc_u32 v94, 8, v94
	s_wait_loadcnt_dscnt 0x0
	v_pk_mul_f32 v[100:101], v[98:99], v[96:97] op_sel:[1,1] op_sel_hi:[0,1]
	s_delay_alu instid0(VALU_DEP_1) | instskip(SKIP_2) | instid1(VALU_DEP_3)
	v_pk_fma_f32 v[102:103], v[98:99], v[96:97], v[100:101] op_sel_hi:[1,0,1]
	v_add_nc_u32_e32 v95, 1, v95
	v_pk_fma_f32 v[96:97], v[98:99], v[96:97], v[100:101] neg_lo:[0,0,1] neg_hi:[0,0,1]
	v_mov_b32_e32 v97, v103
	s_delay_alu instid0(VALU_DEP_3) | instskip(NEXT) | instid1(VALU_DEP_2)
	v_cmp_lt_u32_e32 vcc_lo, 5, v95
	v_pk_add_f32 v[90:91], v[90:91], v[96:97]
	s_or_b32 s3, vcc_lo, s3
	s_delay_alu instid0(SALU_CYCLE_1)
	s_and_not1_b32 exec_lo, exec_lo, s3
	s_cbranch_execnz .LBB42_487
; %bb.488:
	s_or_b32 exec_lo, exec_lo, s3
.LBB42_489:
	s_delay_alu instid0(SALU_CYCLE_1) | instskip(SKIP_4) | instid1(VALU_DEP_1)
	s_or_b32 exec_lo, exec_lo, s2
	v_mov_b32_e32 v93, 0
	ds_load_b64 v[94:95], v93 offset:56
	s_wait_dscnt 0x0
	v_pk_mul_f32 v[96:97], v[90:91], v[94:95] op_sel:[1,1] op_sel_hi:[0,1]
	v_pk_fma_f32 v[98:99], v[90:91], v[94:95], v[96:97] op_sel_hi:[1,0,1]
	v_pk_fma_f32 v[90:91], v[90:91], v[94:95], v[96:97] neg_lo:[0,0,1] neg_hi:[0,0,1]
	s_delay_alu instid0(VALU_DEP_2)
	v_mov_b32_e32 v91, v99
	scratch_store_b64 off, v[90:91], off offset:56
.LBB42_490:
	s_wait_xcnt 0x0
	s_or_b32 exec_lo, exec_lo, s0
	scratch_load_b64 v[90:91], off, off offset:64
	s_mov_b32 s0, exec_lo
	s_wait_loadcnt 0x0
	ds_store_b64 v1, v[90:91]
	s_wait_storecnt_dscnt 0x0
	s_barrier_signal -1
	s_barrier_wait -1
	s_wait_xcnt 0x0
	v_cmpx_gt_u32_e32 8, v0
	s_cbranch_execz .LBB42_500
; %bb.491:
	v_cmp_ne_u32_e32 vcc_lo, 1, v92
	s_cbranch_vccnz .LBB42_493
; %bb.492:
	scratch_load_b64 v[90:91], v41, off
	ds_load_b64 v[94:95], v1
	s_wait_loadcnt_dscnt 0x0
	v_pk_mul_f32 v[96:97], v[94:95], v[90:91] op_sel:[1,1] op_sel_hi:[0,1]
	s_delay_alu instid0(VALU_DEP_1) | instskip(SKIP_1) | instid1(VALU_DEP_2)
	v_pk_fma_f32 v[98:99], v[94:95], v[90:91], v[96:97] op_sel_hi:[1,0,1]
	v_pk_fma_f32 v[90:91], v[94:95], v[90:91], v[96:97] neg_lo:[0,0,1] neg_hi:[0,0,1]
	v_mov_b32_e32 v91, v99
	s_cbranch_execz .LBB42_494
	s_branch .LBB42_495
.LBB42_493:
                                        ; implicit-def: $vgpr90_vgpr91
.LBB42_494:
	ds_load_b64 v[90:91], v1
.LBB42_495:
	s_mov_b32 s2, exec_lo
	v_cmpx_ne_u32_e32 7, v0
	s_cbranch_execz .LBB42_499
; %bb.496:
	v_add_nc_u32_e32 v93, 0x168, v40
	v_add3_u32 v94, 0, v40, 8
	v_mov_b32_e32 v95, v0
	s_mov_b32 s3, 0
.LBB42_497:                             ; =>This Inner Loop Header: Depth=1
	scratch_load_b64 v[96:97], v94, off
	ds_load_b64 v[98:99], v93
	s_wait_xcnt 0x0
	v_dual_add_nc_u32 v93, 8, v93 :: v_dual_add_nc_u32 v94, 8, v94
	s_wait_loadcnt_dscnt 0x0
	v_pk_mul_f32 v[100:101], v[98:99], v[96:97] op_sel:[1,1] op_sel_hi:[0,1]
	s_delay_alu instid0(VALU_DEP_1) | instskip(SKIP_2) | instid1(VALU_DEP_3)
	v_pk_fma_f32 v[102:103], v[98:99], v[96:97], v[100:101] op_sel_hi:[1,0,1]
	v_add_nc_u32_e32 v95, 1, v95
	v_pk_fma_f32 v[96:97], v[98:99], v[96:97], v[100:101] neg_lo:[0,0,1] neg_hi:[0,0,1]
	v_mov_b32_e32 v97, v103
	s_delay_alu instid0(VALU_DEP_3) | instskip(NEXT) | instid1(VALU_DEP_2)
	v_cmp_lt_u32_e32 vcc_lo, 6, v95
	v_pk_add_f32 v[90:91], v[90:91], v[96:97]
	s_or_b32 s3, vcc_lo, s3
	s_delay_alu instid0(SALU_CYCLE_1)
	s_and_not1_b32 exec_lo, exec_lo, s3
	s_cbranch_execnz .LBB42_497
; %bb.498:
	s_or_b32 exec_lo, exec_lo, s3
.LBB42_499:
	s_delay_alu instid0(SALU_CYCLE_1) | instskip(SKIP_4) | instid1(VALU_DEP_1)
	s_or_b32 exec_lo, exec_lo, s2
	v_mov_b32_e32 v93, 0
	ds_load_b64 v[94:95], v93 offset:64
	s_wait_dscnt 0x0
	v_pk_mul_f32 v[96:97], v[90:91], v[94:95] op_sel:[1,1] op_sel_hi:[0,1]
	v_pk_fma_f32 v[98:99], v[90:91], v[94:95], v[96:97] op_sel_hi:[1,0,1]
	v_pk_fma_f32 v[90:91], v[90:91], v[94:95], v[96:97] neg_lo:[0,0,1] neg_hi:[0,0,1]
	s_delay_alu instid0(VALU_DEP_2)
	v_mov_b32_e32 v91, v99
	scratch_store_b64 off, v[90:91], off offset:64
.LBB42_500:
	s_wait_xcnt 0x0
	s_or_b32 exec_lo, exec_lo, s0
	scratch_load_b64 v[90:91], off, off offset:72
	s_mov_b32 s0, exec_lo
	s_wait_loadcnt 0x0
	ds_store_b64 v1, v[90:91]
	s_wait_storecnt_dscnt 0x0
	s_barrier_signal -1
	s_barrier_wait -1
	s_wait_xcnt 0x0
	v_cmpx_gt_u32_e32 9, v0
	s_cbranch_execz .LBB42_510
; %bb.501:
	v_cmp_ne_u32_e32 vcc_lo, 1, v92
	s_cbranch_vccnz .LBB42_503
; %bb.502:
	scratch_load_b64 v[90:91], v41, off
	ds_load_b64 v[94:95], v1
	s_wait_loadcnt_dscnt 0x0
	v_pk_mul_f32 v[96:97], v[94:95], v[90:91] op_sel:[1,1] op_sel_hi:[0,1]
	s_delay_alu instid0(VALU_DEP_1) | instskip(SKIP_1) | instid1(VALU_DEP_2)
	v_pk_fma_f32 v[98:99], v[94:95], v[90:91], v[96:97] op_sel_hi:[1,0,1]
	v_pk_fma_f32 v[90:91], v[94:95], v[90:91], v[96:97] neg_lo:[0,0,1] neg_hi:[0,0,1]
	v_mov_b32_e32 v91, v99
	s_cbranch_execz .LBB42_504
	s_branch .LBB42_505
.LBB42_503:
                                        ; implicit-def: $vgpr90_vgpr91
.LBB42_504:
	ds_load_b64 v[90:91], v1
.LBB42_505:
	s_mov_b32 s2, exec_lo
	v_cmpx_ne_u32_e32 8, v0
	s_cbranch_execz .LBB42_509
; %bb.506:
	v_add_nc_u32_e32 v93, 0x168, v40
	v_add3_u32 v94, 0, v40, 8
	v_mov_b32_e32 v95, v0
	s_mov_b32 s3, 0
.LBB42_507:                             ; =>This Inner Loop Header: Depth=1
	scratch_load_b64 v[96:97], v94, off
	ds_load_b64 v[98:99], v93
	s_wait_xcnt 0x0
	v_dual_add_nc_u32 v93, 8, v93 :: v_dual_add_nc_u32 v94, 8, v94
	s_wait_loadcnt_dscnt 0x0
	v_pk_mul_f32 v[100:101], v[98:99], v[96:97] op_sel:[1,1] op_sel_hi:[0,1]
	s_delay_alu instid0(VALU_DEP_1) | instskip(SKIP_2) | instid1(VALU_DEP_3)
	v_pk_fma_f32 v[102:103], v[98:99], v[96:97], v[100:101] op_sel_hi:[1,0,1]
	v_add_nc_u32_e32 v95, 1, v95
	v_pk_fma_f32 v[96:97], v[98:99], v[96:97], v[100:101] neg_lo:[0,0,1] neg_hi:[0,0,1]
	v_mov_b32_e32 v97, v103
	s_delay_alu instid0(VALU_DEP_3) | instskip(NEXT) | instid1(VALU_DEP_2)
	v_cmp_lt_u32_e32 vcc_lo, 7, v95
	v_pk_add_f32 v[90:91], v[90:91], v[96:97]
	s_or_b32 s3, vcc_lo, s3
	s_delay_alu instid0(SALU_CYCLE_1)
	s_and_not1_b32 exec_lo, exec_lo, s3
	s_cbranch_execnz .LBB42_507
; %bb.508:
	s_or_b32 exec_lo, exec_lo, s3
.LBB42_509:
	s_delay_alu instid0(SALU_CYCLE_1) | instskip(SKIP_4) | instid1(VALU_DEP_1)
	s_or_b32 exec_lo, exec_lo, s2
	v_mov_b32_e32 v93, 0
	ds_load_b64 v[94:95], v93 offset:72
	s_wait_dscnt 0x0
	v_pk_mul_f32 v[96:97], v[90:91], v[94:95] op_sel:[1,1] op_sel_hi:[0,1]
	v_pk_fma_f32 v[98:99], v[90:91], v[94:95], v[96:97] op_sel_hi:[1,0,1]
	v_pk_fma_f32 v[90:91], v[90:91], v[94:95], v[96:97] neg_lo:[0,0,1] neg_hi:[0,0,1]
	s_delay_alu instid0(VALU_DEP_2)
	v_mov_b32_e32 v91, v99
	scratch_store_b64 off, v[90:91], off offset:72
.LBB42_510:
	s_wait_xcnt 0x0
	s_or_b32 exec_lo, exec_lo, s0
	scratch_load_b64 v[90:91], off, off offset:80
	s_mov_b32 s0, exec_lo
	s_wait_loadcnt 0x0
	ds_store_b64 v1, v[90:91]
	s_wait_storecnt_dscnt 0x0
	s_barrier_signal -1
	s_barrier_wait -1
	s_wait_xcnt 0x0
	v_cmpx_gt_u32_e32 10, v0
	s_cbranch_execz .LBB42_520
; %bb.511:
	v_cmp_ne_u32_e32 vcc_lo, 1, v92
	s_cbranch_vccnz .LBB42_513
; %bb.512:
	scratch_load_b64 v[90:91], v41, off
	ds_load_b64 v[94:95], v1
	s_wait_loadcnt_dscnt 0x0
	v_pk_mul_f32 v[96:97], v[94:95], v[90:91] op_sel:[1,1] op_sel_hi:[0,1]
	s_delay_alu instid0(VALU_DEP_1) | instskip(SKIP_1) | instid1(VALU_DEP_2)
	v_pk_fma_f32 v[98:99], v[94:95], v[90:91], v[96:97] op_sel_hi:[1,0,1]
	v_pk_fma_f32 v[90:91], v[94:95], v[90:91], v[96:97] neg_lo:[0,0,1] neg_hi:[0,0,1]
	v_mov_b32_e32 v91, v99
	s_cbranch_execz .LBB42_514
	s_branch .LBB42_515
.LBB42_513:
                                        ; implicit-def: $vgpr90_vgpr91
.LBB42_514:
	ds_load_b64 v[90:91], v1
.LBB42_515:
	s_mov_b32 s2, exec_lo
	v_cmpx_ne_u32_e32 9, v0
	s_cbranch_execz .LBB42_519
; %bb.516:
	v_add_nc_u32_e32 v93, 0x168, v40
	v_add3_u32 v94, 0, v40, 8
	v_mov_b32_e32 v95, v0
	s_mov_b32 s3, 0
.LBB42_517:                             ; =>This Inner Loop Header: Depth=1
	scratch_load_b64 v[96:97], v94, off
	ds_load_b64 v[98:99], v93
	s_wait_xcnt 0x0
	v_dual_add_nc_u32 v93, 8, v93 :: v_dual_add_nc_u32 v94, 8, v94
	s_wait_loadcnt_dscnt 0x0
	v_pk_mul_f32 v[100:101], v[98:99], v[96:97] op_sel:[1,1] op_sel_hi:[0,1]
	s_delay_alu instid0(VALU_DEP_1) | instskip(SKIP_2) | instid1(VALU_DEP_3)
	v_pk_fma_f32 v[102:103], v[98:99], v[96:97], v[100:101] op_sel_hi:[1,0,1]
	v_add_nc_u32_e32 v95, 1, v95
	v_pk_fma_f32 v[96:97], v[98:99], v[96:97], v[100:101] neg_lo:[0,0,1] neg_hi:[0,0,1]
	v_mov_b32_e32 v97, v103
	s_delay_alu instid0(VALU_DEP_3) | instskip(NEXT) | instid1(VALU_DEP_2)
	v_cmp_lt_u32_e32 vcc_lo, 8, v95
	v_pk_add_f32 v[90:91], v[90:91], v[96:97]
	s_or_b32 s3, vcc_lo, s3
	s_delay_alu instid0(SALU_CYCLE_1)
	s_and_not1_b32 exec_lo, exec_lo, s3
	s_cbranch_execnz .LBB42_517
; %bb.518:
	s_or_b32 exec_lo, exec_lo, s3
.LBB42_519:
	s_delay_alu instid0(SALU_CYCLE_1) | instskip(SKIP_4) | instid1(VALU_DEP_1)
	s_or_b32 exec_lo, exec_lo, s2
	v_mov_b32_e32 v93, 0
	ds_load_b64 v[94:95], v93 offset:80
	s_wait_dscnt 0x0
	v_pk_mul_f32 v[96:97], v[90:91], v[94:95] op_sel:[1,1] op_sel_hi:[0,1]
	v_pk_fma_f32 v[98:99], v[90:91], v[94:95], v[96:97] op_sel_hi:[1,0,1]
	v_pk_fma_f32 v[90:91], v[90:91], v[94:95], v[96:97] neg_lo:[0,0,1] neg_hi:[0,0,1]
	s_delay_alu instid0(VALU_DEP_2)
	v_mov_b32_e32 v91, v99
	scratch_store_b64 off, v[90:91], off offset:80
.LBB42_520:
	s_wait_xcnt 0x0
	s_or_b32 exec_lo, exec_lo, s0
	scratch_load_b64 v[90:91], off, off offset:88
	s_mov_b32 s0, exec_lo
	s_wait_loadcnt 0x0
	ds_store_b64 v1, v[90:91]
	s_wait_storecnt_dscnt 0x0
	s_barrier_signal -1
	s_barrier_wait -1
	s_wait_xcnt 0x0
	v_cmpx_gt_u32_e32 11, v0
	s_cbranch_execz .LBB42_530
; %bb.521:
	v_cmp_ne_u32_e32 vcc_lo, 1, v92
	s_cbranch_vccnz .LBB42_523
; %bb.522:
	scratch_load_b64 v[90:91], v41, off
	ds_load_b64 v[94:95], v1
	s_wait_loadcnt_dscnt 0x0
	v_pk_mul_f32 v[96:97], v[94:95], v[90:91] op_sel:[1,1] op_sel_hi:[0,1]
	s_delay_alu instid0(VALU_DEP_1) | instskip(SKIP_1) | instid1(VALU_DEP_2)
	v_pk_fma_f32 v[98:99], v[94:95], v[90:91], v[96:97] op_sel_hi:[1,0,1]
	v_pk_fma_f32 v[90:91], v[94:95], v[90:91], v[96:97] neg_lo:[0,0,1] neg_hi:[0,0,1]
	v_mov_b32_e32 v91, v99
	s_cbranch_execz .LBB42_524
	s_branch .LBB42_525
.LBB42_523:
                                        ; implicit-def: $vgpr90_vgpr91
.LBB42_524:
	ds_load_b64 v[90:91], v1
.LBB42_525:
	s_mov_b32 s2, exec_lo
	v_cmpx_ne_u32_e32 10, v0
	s_cbranch_execz .LBB42_529
; %bb.526:
	v_add_nc_u32_e32 v93, 0x168, v40
	v_add3_u32 v94, 0, v40, 8
	v_mov_b32_e32 v95, v0
	s_mov_b32 s3, 0
.LBB42_527:                             ; =>This Inner Loop Header: Depth=1
	scratch_load_b64 v[96:97], v94, off
	ds_load_b64 v[98:99], v93
	s_wait_xcnt 0x0
	v_dual_add_nc_u32 v93, 8, v93 :: v_dual_add_nc_u32 v94, 8, v94
	s_wait_loadcnt_dscnt 0x0
	v_pk_mul_f32 v[100:101], v[98:99], v[96:97] op_sel:[1,1] op_sel_hi:[0,1]
	s_delay_alu instid0(VALU_DEP_1) | instskip(SKIP_2) | instid1(VALU_DEP_3)
	v_pk_fma_f32 v[102:103], v[98:99], v[96:97], v[100:101] op_sel_hi:[1,0,1]
	v_add_nc_u32_e32 v95, 1, v95
	v_pk_fma_f32 v[96:97], v[98:99], v[96:97], v[100:101] neg_lo:[0,0,1] neg_hi:[0,0,1]
	v_mov_b32_e32 v97, v103
	s_delay_alu instid0(VALU_DEP_3) | instskip(NEXT) | instid1(VALU_DEP_2)
	v_cmp_lt_u32_e32 vcc_lo, 9, v95
	v_pk_add_f32 v[90:91], v[90:91], v[96:97]
	s_or_b32 s3, vcc_lo, s3
	s_delay_alu instid0(SALU_CYCLE_1)
	s_and_not1_b32 exec_lo, exec_lo, s3
	s_cbranch_execnz .LBB42_527
; %bb.528:
	s_or_b32 exec_lo, exec_lo, s3
.LBB42_529:
	s_delay_alu instid0(SALU_CYCLE_1) | instskip(SKIP_4) | instid1(VALU_DEP_1)
	s_or_b32 exec_lo, exec_lo, s2
	v_mov_b32_e32 v93, 0
	ds_load_b64 v[94:95], v93 offset:88
	s_wait_dscnt 0x0
	v_pk_mul_f32 v[96:97], v[90:91], v[94:95] op_sel:[1,1] op_sel_hi:[0,1]
	v_pk_fma_f32 v[98:99], v[90:91], v[94:95], v[96:97] op_sel_hi:[1,0,1]
	v_pk_fma_f32 v[90:91], v[90:91], v[94:95], v[96:97] neg_lo:[0,0,1] neg_hi:[0,0,1]
	s_delay_alu instid0(VALU_DEP_2)
	v_mov_b32_e32 v91, v99
	scratch_store_b64 off, v[90:91], off offset:88
.LBB42_530:
	s_wait_xcnt 0x0
	s_or_b32 exec_lo, exec_lo, s0
	scratch_load_b64 v[90:91], off, off offset:96
	s_mov_b32 s0, exec_lo
	s_wait_loadcnt 0x0
	ds_store_b64 v1, v[90:91]
	s_wait_storecnt_dscnt 0x0
	s_barrier_signal -1
	s_barrier_wait -1
	s_wait_xcnt 0x0
	v_cmpx_gt_u32_e32 12, v0
	s_cbranch_execz .LBB42_540
; %bb.531:
	v_cmp_ne_u32_e32 vcc_lo, 1, v92
	s_cbranch_vccnz .LBB42_533
; %bb.532:
	scratch_load_b64 v[90:91], v41, off
	ds_load_b64 v[94:95], v1
	s_wait_loadcnt_dscnt 0x0
	v_pk_mul_f32 v[96:97], v[94:95], v[90:91] op_sel:[1,1] op_sel_hi:[0,1]
	s_delay_alu instid0(VALU_DEP_1) | instskip(SKIP_1) | instid1(VALU_DEP_2)
	v_pk_fma_f32 v[98:99], v[94:95], v[90:91], v[96:97] op_sel_hi:[1,0,1]
	v_pk_fma_f32 v[90:91], v[94:95], v[90:91], v[96:97] neg_lo:[0,0,1] neg_hi:[0,0,1]
	v_mov_b32_e32 v91, v99
	s_cbranch_execz .LBB42_534
	s_branch .LBB42_535
.LBB42_533:
                                        ; implicit-def: $vgpr90_vgpr91
.LBB42_534:
	ds_load_b64 v[90:91], v1
.LBB42_535:
	s_mov_b32 s2, exec_lo
	v_cmpx_ne_u32_e32 11, v0
	s_cbranch_execz .LBB42_539
; %bb.536:
	v_add_nc_u32_e32 v93, 0x168, v40
	v_add3_u32 v94, 0, v40, 8
	v_mov_b32_e32 v95, v0
	s_mov_b32 s3, 0
.LBB42_537:                             ; =>This Inner Loop Header: Depth=1
	scratch_load_b64 v[96:97], v94, off
	ds_load_b64 v[98:99], v93
	s_wait_xcnt 0x0
	v_dual_add_nc_u32 v93, 8, v93 :: v_dual_add_nc_u32 v94, 8, v94
	s_wait_loadcnt_dscnt 0x0
	v_pk_mul_f32 v[100:101], v[98:99], v[96:97] op_sel:[1,1] op_sel_hi:[0,1]
	s_delay_alu instid0(VALU_DEP_1) | instskip(SKIP_2) | instid1(VALU_DEP_3)
	v_pk_fma_f32 v[102:103], v[98:99], v[96:97], v[100:101] op_sel_hi:[1,0,1]
	v_add_nc_u32_e32 v95, 1, v95
	v_pk_fma_f32 v[96:97], v[98:99], v[96:97], v[100:101] neg_lo:[0,0,1] neg_hi:[0,0,1]
	v_mov_b32_e32 v97, v103
	s_delay_alu instid0(VALU_DEP_3) | instskip(NEXT) | instid1(VALU_DEP_2)
	v_cmp_lt_u32_e32 vcc_lo, 10, v95
	v_pk_add_f32 v[90:91], v[90:91], v[96:97]
	s_or_b32 s3, vcc_lo, s3
	s_delay_alu instid0(SALU_CYCLE_1)
	s_and_not1_b32 exec_lo, exec_lo, s3
	s_cbranch_execnz .LBB42_537
; %bb.538:
	s_or_b32 exec_lo, exec_lo, s3
.LBB42_539:
	s_delay_alu instid0(SALU_CYCLE_1) | instskip(SKIP_4) | instid1(VALU_DEP_1)
	s_or_b32 exec_lo, exec_lo, s2
	v_mov_b32_e32 v93, 0
	ds_load_b64 v[94:95], v93 offset:96
	s_wait_dscnt 0x0
	v_pk_mul_f32 v[96:97], v[90:91], v[94:95] op_sel:[1,1] op_sel_hi:[0,1]
	v_pk_fma_f32 v[98:99], v[90:91], v[94:95], v[96:97] op_sel_hi:[1,0,1]
	v_pk_fma_f32 v[90:91], v[90:91], v[94:95], v[96:97] neg_lo:[0,0,1] neg_hi:[0,0,1]
	s_delay_alu instid0(VALU_DEP_2)
	v_mov_b32_e32 v91, v99
	scratch_store_b64 off, v[90:91], off offset:96
.LBB42_540:
	s_wait_xcnt 0x0
	s_or_b32 exec_lo, exec_lo, s0
	scratch_load_b64 v[90:91], off, off offset:104
	s_mov_b32 s0, exec_lo
	s_wait_loadcnt 0x0
	ds_store_b64 v1, v[90:91]
	s_wait_storecnt_dscnt 0x0
	s_barrier_signal -1
	s_barrier_wait -1
	s_wait_xcnt 0x0
	v_cmpx_gt_u32_e32 13, v0
	s_cbranch_execz .LBB42_550
; %bb.541:
	v_cmp_ne_u32_e32 vcc_lo, 1, v92
	s_cbranch_vccnz .LBB42_543
; %bb.542:
	scratch_load_b64 v[90:91], v41, off
	ds_load_b64 v[94:95], v1
	s_wait_loadcnt_dscnt 0x0
	v_pk_mul_f32 v[96:97], v[94:95], v[90:91] op_sel:[1,1] op_sel_hi:[0,1]
	s_delay_alu instid0(VALU_DEP_1) | instskip(SKIP_1) | instid1(VALU_DEP_2)
	v_pk_fma_f32 v[98:99], v[94:95], v[90:91], v[96:97] op_sel_hi:[1,0,1]
	v_pk_fma_f32 v[90:91], v[94:95], v[90:91], v[96:97] neg_lo:[0,0,1] neg_hi:[0,0,1]
	v_mov_b32_e32 v91, v99
	s_cbranch_execz .LBB42_544
	s_branch .LBB42_545
.LBB42_543:
                                        ; implicit-def: $vgpr90_vgpr91
.LBB42_544:
	ds_load_b64 v[90:91], v1
.LBB42_545:
	s_mov_b32 s2, exec_lo
	v_cmpx_ne_u32_e32 12, v0
	s_cbranch_execz .LBB42_549
; %bb.546:
	v_add_nc_u32_e32 v93, 0x168, v40
	v_add3_u32 v94, 0, v40, 8
	v_mov_b32_e32 v95, v0
	s_mov_b32 s3, 0
.LBB42_547:                             ; =>This Inner Loop Header: Depth=1
	scratch_load_b64 v[96:97], v94, off
	ds_load_b64 v[98:99], v93
	s_wait_xcnt 0x0
	v_dual_add_nc_u32 v93, 8, v93 :: v_dual_add_nc_u32 v94, 8, v94
	s_wait_loadcnt_dscnt 0x0
	v_pk_mul_f32 v[100:101], v[98:99], v[96:97] op_sel:[1,1] op_sel_hi:[0,1]
	s_delay_alu instid0(VALU_DEP_1) | instskip(SKIP_2) | instid1(VALU_DEP_3)
	v_pk_fma_f32 v[102:103], v[98:99], v[96:97], v[100:101] op_sel_hi:[1,0,1]
	v_add_nc_u32_e32 v95, 1, v95
	v_pk_fma_f32 v[96:97], v[98:99], v[96:97], v[100:101] neg_lo:[0,0,1] neg_hi:[0,0,1]
	v_mov_b32_e32 v97, v103
	s_delay_alu instid0(VALU_DEP_3) | instskip(NEXT) | instid1(VALU_DEP_2)
	v_cmp_lt_u32_e32 vcc_lo, 11, v95
	v_pk_add_f32 v[90:91], v[90:91], v[96:97]
	s_or_b32 s3, vcc_lo, s3
	s_delay_alu instid0(SALU_CYCLE_1)
	s_and_not1_b32 exec_lo, exec_lo, s3
	s_cbranch_execnz .LBB42_547
; %bb.548:
	s_or_b32 exec_lo, exec_lo, s3
.LBB42_549:
	s_delay_alu instid0(SALU_CYCLE_1) | instskip(SKIP_4) | instid1(VALU_DEP_1)
	s_or_b32 exec_lo, exec_lo, s2
	v_mov_b32_e32 v93, 0
	ds_load_b64 v[94:95], v93 offset:104
	s_wait_dscnt 0x0
	v_pk_mul_f32 v[96:97], v[90:91], v[94:95] op_sel:[1,1] op_sel_hi:[0,1]
	v_pk_fma_f32 v[98:99], v[90:91], v[94:95], v[96:97] op_sel_hi:[1,0,1]
	v_pk_fma_f32 v[90:91], v[90:91], v[94:95], v[96:97] neg_lo:[0,0,1] neg_hi:[0,0,1]
	s_delay_alu instid0(VALU_DEP_2)
	v_mov_b32_e32 v91, v99
	scratch_store_b64 off, v[90:91], off offset:104
.LBB42_550:
	s_wait_xcnt 0x0
	s_or_b32 exec_lo, exec_lo, s0
	scratch_load_b64 v[90:91], off, off offset:112
	s_mov_b32 s0, exec_lo
	s_wait_loadcnt 0x0
	ds_store_b64 v1, v[90:91]
	s_wait_storecnt_dscnt 0x0
	s_barrier_signal -1
	s_barrier_wait -1
	s_wait_xcnt 0x0
	v_cmpx_gt_u32_e32 14, v0
	s_cbranch_execz .LBB42_560
; %bb.551:
	v_cmp_ne_u32_e32 vcc_lo, 1, v92
	s_cbranch_vccnz .LBB42_553
; %bb.552:
	scratch_load_b64 v[90:91], v41, off
	ds_load_b64 v[94:95], v1
	s_wait_loadcnt_dscnt 0x0
	v_pk_mul_f32 v[96:97], v[94:95], v[90:91] op_sel:[1,1] op_sel_hi:[0,1]
	s_delay_alu instid0(VALU_DEP_1) | instskip(SKIP_1) | instid1(VALU_DEP_2)
	v_pk_fma_f32 v[98:99], v[94:95], v[90:91], v[96:97] op_sel_hi:[1,0,1]
	v_pk_fma_f32 v[90:91], v[94:95], v[90:91], v[96:97] neg_lo:[0,0,1] neg_hi:[0,0,1]
	v_mov_b32_e32 v91, v99
	s_cbranch_execz .LBB42_554
	s_branch .LBB42_555
.LBB42_553:
                                        ; implicit-def: $vgpr90_vgpr91
.LBB42_554:
	ds_load_b64 v[90:91], v1
.LBB42_555:
	s_mov_b32 s2, exec_lo
	v_cmpx_ne_u32_e32 13, v0
	s_cbranch_execz .LBB42_559
; %bb.556:
	v_add_nc_u32_e32 v93, 0x168, v40
	v_add3_u32 v94, 0, v40, 8
	v_mov_b32_e32 v95, v0
	s_mov_b32 s3, 0
.LBB42_557:                             ; =>This Inner Loop Header: Depth=1
	scratch_load_b64 v[96:97], v94, off
	ds_load_b64 v[98:99], v93
	s_wait_xcnt 0x0
	v_dual_add_nc_u32 v93, 8, v93 :: v_dual_add_nc_u32 v94, 8, v94
	s_wait_loadcnt_dscnt 0x0
	v_pk_mul_f32 v[100:101], v[98:99], v[96:97] op_sel:[1,1] op_sel_hi:[0,1]
	s_delay_alu instid0(VALU_DEP_1) | instskip(SKIP_2) | instid1(VALU_DEP_3)
	v_pk_fma_f32 v[102:103], v[98:99], v[96:97], v[100:101] op_sel_hi:[1,0,1]
	v_add_nc_u32_e32 v95, 1, v95
	v_pk_fma_f32 v[96:97], v[98:99], v[96:97], v[100:101] neg_lo:[0,0,1] neg_hi:[0,0,1]
	v_mov_b32_e32 v97, v103
	s_delay_alu instid0(VALU_DEP_3) | instskip(NEXT) | instid1(VALU_DEP_2)
	v_cmp_lt_u32_e32 vcc_lo, 12, v95
	v_pk_add_f32 v[90:91], v[90:91], v[96:97]
	s_or_b32 s3, vcc_lo, s3
	s_delay_alu instid0(SALU_CYCLE_1)
	s_and_not1_b32 exec_lo, exec_lo, s3
	s_cbranch_execnz .LBB42_557
; %bb.558:
	s_or_b32 exec_lo, exec_lo, s3
.LBB42_559:
	s_delay_alu instid0(SALU_CYCLE_1) | instskip(SKIP_4) | instid1(VALU_DEP_1)
	s_or_b32 exec_lo, exec_lo, s2
	v_mov_b32_e32 v93, 0
	ds_load_b64 v[94:95], v93 offset:112
	s_wait_dscnt 0x0
	v_pk_mul_f32 v[96:97], v[90:91], v[94:95] op_sel:[1,1] op_sel_hi:[0,1]
	v_pk_fma_f32 v[98:99], v[90:91], v[94:95], v[96:97] op_sel_hi:[1,0,1]
	v_pk_fma_f32 v[90:91], v[90:91], v[94:95], v[96:97] neg_lo:[0,0,1] neg_hi:[0,0,1]
	s_delay_alu instid0(VALU_DEP_2)
	v_mov_b32_e32 v91, v99
	scratch_store_b64 off, v[90:91], off offset:112
.LBB42_560:
	s_wait_xcnt 0x0
	s_or_b32 exec_lo, exec_lo, s0
	scratch_load_b64 v[90:91], off, off offset:120
	s_mov_b32 s0, exec_lo
	s_wait_loadcnt 0x0
	ds_store_b64 v1, v[90:91]
	s_wait_storecnt_dscnt 0x0
	s_barrier_signal -1
	s_barrier_wait -1
	s_wait_xcnt 0x0
	v_cmpx_gt_u32_e32 15, v0
	s_cbranch_execz .LBB42_570
; %bb.561:
	v_cmp_ne_u32_e32 vcc_lo, 1, v92
	s_cbranch_vccnz .LBB42_563
; %bb.562:
	scratch_load_b64 v[90:91], v41, off
	ds_load_b64 v[94:95], v1
	s_wait_loadcnt_dscnt 0x0
	v_pk_mul_f32 v[96:97], v[94:95], v[90:91] op_sel:[1,1] op_sel_hi:[0,1]
	s_delay_alu instid0(VALU_DEP_1) | instskip(SKIP_1) | instid1(VALU_DEP_2)
	v_pk_fma_f32 v[98:99], v[94:95], v[90:91], v[96:97] op_sel_hi:[1,0,1]
	v_pk_fma_f32 v[90:91], v[94:95], v[90:91], v[96:97] neg_lo:[0,0,1] neg_hi:[0,0,1]
	v_mov_b32_e32 v91, v99
	s_cbranch_execz .LBB42_564
	s_branch .LBB42_565
.LBB42_563:
                                        ; implicit-def: $vgpr90_vgpr91
.LBB42_564:
	ds_load_b64 v[90:91], v1
.LBB42_565:
	s_mov_b32 s2, exec_lo
	v_cmpx_ne_u32_e32 14, v0
	s_cbranch_execz .LBB42_569
; %bb.566:
	v_add_nc_u32_e32 v93, 0x168, v40
	v_add3_u32 v94, 0, v40, 8
	v_mov_b32_e32 v95, v0
	s_mov_b32 s3, 0
.LBB42_567:                             ; =>This Inner Loop Header: Depth=1
	scratch_load_b64 v[96:97], v94, off
	ds_load_b64 v[98:99], v93
	s_wait_xcnt 0x0
	v_dual_add_nc_u32 v93, 8, v93 :: v_dual_add_nc_u32 v94, 8, v94
	s_wait_loadcnt_dscnt 0x0
	v_pk_mul_f32 v[100:101], v[98:99], v[96:97] op_sel:[1,1] op_sel_hi:[0,1]
	s_delay_alu instid0(VALU_DEP_1) | instskip(SKIP_2) | instid1(VALU_DEP_3)
	v_pk_fma_f32 v[102:103], v[98:99], v[96:97], v[100:101] op_sel_hi:[1,0,1]
	v_add_nc_u32_e32 v95, 1, v95
	v_pk_fma_f32 v[96:97], v[98:99], v[96:97], v[100:101] neg_lo:[0,0,1] neg_hi:[0,0,1]
	v_mov_b32_e32 v97, v103
	s_delay_alu instid0(VALU_DEP_3) | instskip(NEXT) | instid1(VALU_DEP_2)
	v_cmp_lt_u32_e32 vcc_lo, 13, v95
	v_pk_add_f32 v[90:91], v[90:91], v[96:97]
	s_or_b32 s3, vcc_lo, s3
	s_delay_alu instid0(SALU_CYCLE_1)
	s_and_not1_b32 exec_lo, exec_lo, s3
	s_cbranch_execnz .LBB42_567
; %bb.568:
	s_or_b32 exec_lo, exec_lo, s3
.LBB42_569:
	s_delay_alu instid0(SALU_CYCLE_1) | instskip(SKIP_4) | instid1(VALU_DEP_1)
	s_or_b32 exec_lo, exec_lo, s2
	v_mov_b32_e32 v93, 0
	ds_load_b64 v[94:95], v93 offset:120
	s_wait_dscnt 0x0
	v_pk_mul_f32 v[96:97], v[90:91], v[94:95] op_sel:[1,1] op_sel_hi:[0,1]
	v_pk_fma_f32 v[98:99], v[90:91], v[94:95], v[96:97] op_sel_hi:[1,0,1]
	v_pk_fma_f32 v[90:91], v[90:91], v[94:95], v[96:97] neg_lo:[0,0,1] neg_hi:[0,0,1]
	s_delay_alu instid0(VALU_DEP_2)
	v_mov_b32_e32 v91, v99
	scratch_store_b64 off, v[90:91], off offset:120
.LBB42_570:
	s_wait_xcnt 0x0
	s_or_b32 exec_lo, exec_lo, s0
	scratch_load_b64 v[90:91], off, off offset:128
	s_mov_b32 s0, exec_lo
	s_wait_loadcnt 0x0
	ds_store_b64 v1, v[90:91]
	s_wait_storecnt_dscnt 0x0
	s_barrier_signal -1
	s_barrier_wait -1
	s_wait_xcnt 0x0
	v_cmpx_gt_u32_e32 16, v0
	s_cbranch_execz .LBB42_580
; %bb.571:
	v_cmp_ne_u32_e32 vcc_lo, 1, v92
	s_cbranch_vccnz .LBB42_573
; %bb.572:
	scratch_load_b64 v[90:91], v41, off
	ds_load_b64 v[94:95], v1
	s_wait_loadcnt_dscnt 0x0
	v_pk_mul_f32 v[96:97], v[94:95], v[90:91] op_sel:[1,1] op_sel_hi:[0,1]
	s_delay_alu instid0(VALU_DEP_1) | instskip(SKIP_1) | instid1(VALU_DEP_2)
	v_pk_fma_f32 v[98:99], v[94:95], v[90:91], v[96:97] op_sel_hi:[1,0,1]
	v_pk_fma_f32 v[90:91], v[94:95], v[90:91], v[96:97] neg_lo:[0,0,1] neg_hi:[0,0,1]
	v_mov_b32_e32 v91, v99
	s_cbranch_execz .LBB42_574
	s_branch .LBB42_575
.LBB42_573:
                                        ; implicit-def: $vgpr90_vgpr91
.LBB42_574:
	ds_load_b64 v[90:91], v1
.LBB42_575:
	s_mov_b32 s2, exec_lo
	v_cmpx_ne_u32_e32 15, v0
	s_cbranch_execz .LBB42_579
; %bb.576:
	v_add_nc_u32_e32 v93, 0x168, v40
	v_add3_u32 v94, 0, v40, 8
	v_mov_b32_e32 v95, v0
	s_mov_b32 s3, 0
.LBB42_577:                             ; =>This Inner Loop Header: Depth=1
	scratch_load_b64 v[96:97], v94, off
	ds_load_b64 v[98:99], v93
	s_wait_xcnt 0x0
	v_dual_add_nc_u32 v93, 8, v93 :: v_dual_add_nc_u32 v94, 8, v94
	s_wait_loadcnt_dscnt 0x0
	v_pk_mul_f32 v[100:101], v[98:99], v[96:97] op_sel:[1,1] op_sel_hi:[0,1]
	s_delay_alu instid0(VALU_DEP_1) | instskip(SKIP_2) | instid1(VALU_DEP_3)
	v_pk_fma_f32 v[102:103], v[98:99], v[96:97], v[100:101] op_sel_hi:[1,0,1]
	v_add_nc_u32_e32 v95, 1, v95
	v_pk_fma_f32 v[96:97], v[98:99], v[96:97], v[100:101] neg_lo:[0,0,1] neg_hi:[0,0,1]
	v_mov_b32_e32 v97, v103
	s_delay_alu instid0(VALU_DEP_3) | instskip(NEXT) | instid1(VALU_DEP_2)
	v_cmp_lt_u32_e32 vcc_lo, 14, v95
	v_pk_add_f32 v[90:91], v[90:91], v[96:97]
	s_or_b32 s3, vcc_lo, s3
	s_delay_alu instid0(SALU_CYCLE_1)
	s_and_not1_b32 exec_lo, exec_lo, s3
	s_cbranch_execnz .LBB42_577
; %bb.578:
	s_or_b32 exec_lo, exec_lo, s3
.LBB42_579:
	s_delay_alu instid0(SALU_CYCLE_1) | instskip(SKIP_4) | instid1(VALU_DEP_1)
	s_or_b32 exec_lo, exec_lo, s2
	v_mov_b32_e32 v93, 0
	ds_load_b64 v[94:95], v93 offset:128
	s_wait_dscnt 0x0
	v_pk_mul_f32 v[96:97], v[90:91], v[94:95] op_sel:[1,1] op_sel_hi:[0,1]
	v_pk_fma_f32 v[98:99], v[90:91], v[94:95], v[96:97] op_sel_hi:[1,0,1]
	v_pk_fma_f32 v[90:91], v[90:91], v[94:95], v[96:97] neg_lo:[0,0,1] neg_hi:[0,0,1]
	s_delay_alu instid0(VALU_DEP_2)
	v_mov_b32_e32 v91, v99
	scratch_store_b64 off, v[90:91], off offset:128
.LBB42_580:
	s_wait_xcnt 0x0
	s_or_b32 exec_lo, exec_lo, s0
	scratch_load_b64 v[90:91], off, off offset:136
	s_mov_b32 s0, exec_lo
	s_wait_loadcnt 0x0
	ds_store_b64 v1, v[90:91]
	s_wait_storecnt_dscnt 0x0
	s_barrier_signal -1
	s_barrier_wait -1
	s_wait_xcnt 0x0
	v_cmpx_gt_u32_e32 17, v0
	s_cbranch_execz .LBB42_590
; %bb.581:
	v_cmp_ne_u32_e32 vcc_lo, 1, v92
	s_cbranch_vccnz .LBB42_583
; %bb.582:
	scratch_load_b64 v[90:91], v41, off
	ds_load_b64 v[94:95], v1
	s_wait_loadcnt_dscnt 0x0
	v_pk_mul_f32 v[96:97], v[94:95], v[90:91] op_sel:[1,1] op_sel_hi:[0,1]
	s_delay_alu instid0(VALU_DEP_1) | instskip(SKIP_1) | instid1(VALU_DEP_2)
	v_pk_fma_f32 v[98:99], v[94:95], v[90:91], v[96:97] op_sel_hi:[1,0,1]
	v_pk_fma_f32 v[90:91], v[94:95], v[90:91], v[96:97] neg_lo:[0,0,1] neg_hi:[0,0,1]
	v_mov_b32_e32 v91, v99
	s_cbranch_execz .LBB42_584
	s_branch .LBB42_585
.LBB42_583:
                                        ; implicit-def: $vgpr90_vgpr91
.LBB42_584:
	ds_load_b64 v[90:91], v1
.LBB42_585:
	s_mov_b32 s2, exec_lo
	v_cmpx_ne_u32_e32 16, v0
	s_cbranch_execz .LBB42_589
; %bb.586:
	v_add_nc_u32_e32 v93, 0x168, v40
	v_add3_u32 v94, 0, v40, 8
	v_mov_b32_e32 v95, v0
	s_mov_b32 s3, 0
.LBB42_587:                             ; =>This Inner Loop Header: Depth=1
	scratch_load_b64 v[96:97], v94, off
	ds_load_b64 v[98:99], v93
	s_wait_xcnt 0x0
	v_dual_add_nc_u32 v93, 8, v93 :: v_dual_add_nc_u32 v94, 8, v94
	s_wait_loadcnt_dscnt 0x0
	v_pk_mul_f32 v[100:101], v[98:99], v[96:97] op_sel:[1,1] op_sel_hi:[0,1]
	s_delay_alu instid0(VALU_DEP_1) | instskip(SKIP_2) | instid1(VALU_DEP_3)
	v_pk_fma_f32 v[102:103], v[98:99], v[96:97], v[100:101] op_sel_hi:[1,0,1]
	v_add_nc_u32_e32 v95, 1, v95
	v_pk_fma_f32 v[96:97], v[98:99], v[96:97], v[100:101] neg_lo:[0,0,1] neg_hi:[0,0,1]
	v_mov_b32_e32 v97, v103
	s_delay_alu instid0(VALU_DEP_3) | instskip(NEXT) | instid1(VALU_DEP_2)
	v_cmp_lt_u32_e32 vcc_lo, 15, v95
	v_pk_add_f32 v[90:91], v[90:91], v[96:97]
	s_or_b32 s3, vcc_lo, s3
	s_delay_alu instid0(SALU_CYCLE_1)
	s_and_not1_b32 exec_lo, exec_lo, s3
	s_cbranch_execnz .LBB42_587
; %bb.588:
	s_or_b32 exec_lo, exec_lo, s3
.LBB42_589:
	s_delay_alu instid0(SALU_CYCLE_1) | instskip(SKIP_4) | instid1(VALU_DEP_1)
	s_or_b32 exec_lo, exec_lo, s2
	v_mov_b32_e32 v93, 0
	ds_load_b64 v[94:95], v93 offset:136
	s_wait_dscnt 0x0
	v_pk_mul_f32 v[96:97], v[90:91], v[94:95] op_sel:[1,1] op_sel_hi:[0,1]
	v_pk_fma_f32 v[98:99], v[90:91], v[94:95], v[96:97] op_sel_hi:[1,0,1]
	v_pk_fma_f32 v[90:91], v[90:91], v[94:95], v[96:97] neg_lo:[0,0,1] neg_hi:[0,0,1]
	s_delay_alu instid0(VALU_DEP_2)
	v_mov_b32_e32 v91, v99
	scratch_store_b64 off, v[90:91], off offset:136
.LBB42_590:
	s_wait_xcnt 0x0
	s_or_b32 exec_lo, exec_lo, s0
	scratch_load_b64 v[90:91], off, off offset:144
	s_mov_b32 s0, exec_lo
	s_wait_loadcnt 0x0
	ds_store_b64 v1, v[90:91]
	s_wait_storecnt_dscnt 0x0
	s_barrier_signal -1
	s_barrier_wait -1
	s_wait_xcnt 0x0
	v_cmpx_gt_u32_e32 18, v0
	s_cbranch_execz .LBB42_600
; %bb.591:
	v_cmp_ne_u32_e32 vcc_lo, 1, v92
	s_cbranch_vccnz .LBB42_593
; %bb.592:
	scratch_load_b64 v[90:91], v41, off
	ds_load_b64 v[94:95], v1
	s_wait_loadcnt_dscnt 0x0
	v_pk_mul_f32 v[96:97], v[94:95], v[90:91] op_sel:[1,1] op_sel_hi:[0,1]
	s_delay_alu instid0(VALU_DEP_1) | instskip(SKIP_1) | instid1(VALU_DEP_2)
	v_pk_fma_f32 v[98:99], v[94:95], v[90:91], v[96:97] op_sel_hi:[1,0,1]
	v_pk_fma_f32 v[90:91], v[94:95], v[90:91], v[96:97] neg_lo:[0,0,1] neg_hi:[0,0,1]
	v_mov_b32_e32 v91, v99
	s_cbranch_execz .LBB42_594
	s_branch .LBB42_595
.LBB42_593:
                                        ; implicit-def: $vgpr90_vgpr91
.LBB42_594:
	ds_load_b64 v[90:91], v1
.LBB42_595:
	s_mov_b32 s2, exec_lo
	v_cmpx_ne_u32_e32 17, v0
	s_cbranch_execz .LBB42_599
; %bb.596:
	v_add_nc_u32_e32 v93, 0x168, v40
	v_add3_u32 v94, 0, v40, 8
	v_mov_b32_e32 v95, v0
	s_mov_b32 s3, 0
.LBB42_597:                             ; =>This Inner Loop Header: Depth=1
	scratch_load_b64 v[96:97], v94, off
	ds_load_b64 v[98:99], v93
	s_wait_xcnt 0x0
	v_dual_add_nc_u32 v93, 8, v93 :: v_dual_add_nc_u32 v94, 8, v94
	s_wait_loadcnt_dscnt 0x0
	v_pk_mul_f32 v[100:101], v[98:99], v[96:97] op_sel:[1,1] op_sel_hi:[0,1]
	s_delay_alu instid0(VALU_DEP_1) | instskip(SKIP_2) | instid1(VALU_DEP_3)
	v_pk_fma_f32 v[102:103], v[98:99], v[96:97], v[100:101] op_sel_hi:[1,0,1]
	v_add_nc_u32_e32 v95, 1, v95
	v_pk_fma_f32 v[96:97], v[98:99], v[96:97], v[100:101] neg_lo:[0,0,1] neg_hi:[0,0,1]
	v_mov_b32_e32 v97, v103
	s_delay_alu instid0(VALU_DEP_3) | instskip(NEXT) | instid1(VALU_DEP_2)
	v_cmp_lt_u32_e32 vcc_lo, 16, v95
	v_pk_add_f32 v[90:91], v[90:91], v[96:97]
	s_or_b32 s3, vcc_lo, s3
	s_delay_alu instid0(SALU_CYCLE_1)
	s_and_not1_b32 exec_lo, exec_lo, s3
	s_cbranch_execnz .LBB42_597
; %bb.598:
	s_or_b32 exec_lo, exec_lo, s3
.LBB42_599:
	s_delay_alu instid0(SALU_CYCLE_1) | instskip(SKIP_4) | instid1(VALU_DEP_1)
	s_or_b32 exec_lo, exec_lo, s2
	v_mov_b32_e32 v93, 0
	ds_load_b64 v[94:95], v93 offset:144
	s_wait_dscnt 0x0
	v_pk_mul_f32 v[96:97], v[90:91], v[94:95] op_sel:[1,1] op_sel_hi:[0,1]
	v_pk_fma_f32 v[98:99], v[90:91], v[94:95], v[96:97] op_sel_hi:[1,0,1]
	v_pk_fma_f32 v[90:91], v[90:91], v[94:95], v[96:97] neg_lo:[0,0,1] neg_hi:[0,0,1]
	s_delay_alu instid0(VALU_DEP_2)
	v_mov_b32_e32 v91, v99
	scratch_store_b64 off, v[90:91], off offset:144
.LBB42_600:
	s_wait_xcnt 0x0
	s_or_b32 exec_lo, exec_lo, s0
	scratch_load_b64 v[90:91], off, off offset:152
	s_mov_b32 s0, exec_lo
	s_wait_loadcnt 0x0
	ds_store_b64 v1, v[90:91]
	s_wait_storecnt_dscnt 0x0
	s_barrier_signal -1
	s_barrier_wait -1
	s_wait_xcnt 0x0
	v_cmpx_gt_u32_e32 19, v0
	s_cbranch_execz .LBB42_610
; %bb.601:
	v_cmp_ne_u32_e32 vcc_lo, 1, v92
	s_cbranch_vccnz .LBB42_603
; %bb.602:
	scratch_load_b64 v[90:91], v41, off
	ds_load_b64 v[94:95], v1
	s_wait_loadcnt_dscnt 0x0
	v_pk_mul_f32 v[96:97], v[94:95], v[90:91] op_sel:[1,1] op_sel_hi:[0,1]
	s_delay_alu instid0(VALU_DEP_1) | instskip(SKIP_1) | instid1(VALU_DEP_2)
	v_pk_fma_f32 v[98:99], v[94:95], v[90:91], v[96:97] op_sel_hi:[1,0,1]
	v_pk_fma_f32 v[90:91], v[94:95], v[90:91], v[96:97] neg_lo:[0,0,1] neg_hi:[0,0,1]
	v_mov_b32_e32 v91, v99
	s_cbranch_execz .LBB42_604
	s_branch .LBB42_605
.LBB42_603:
                                        ; implicit-def: $vgpr90_vgpr91
.LBB42_604:
	ds_load_b64 v[90:91], v1
.LBB42_605:
	s_mov_b32 s2, exec_lo
	v_cmpx_ne_u32_e32 18, v0
	s_cbranch_execz .LBB42_609
; %bb.606:
	v_add_nc_u32_e32 v93, 0x168, v40
	v_add3_u32 v94, 0, v40, 8
	v_mov_b32_e32 v95, v0
	s_mov_b32 s3, 0
.LBB42_607:                             ; =>This Inner Loop Header: Depth=1
	scratch_load_b64 v[96:97], v94, off
	ds_load_b64 v[98:99], v93
	s_wait_xcnt 0x0
	v_dual_add_nc_u32 v93, 8, v93 :: v_dual_add_nc_u32 v94, 8, v94
	s_wait_loadcnt_dscnt 0x0
	v_pk_mul_f32 v[100:101], v[98:99], v[96:97] op_sel:[1,1] op_sel_hi:[0,1]
	s_delay_alu instid0(VALU_DEP_1) | instskip(SKIP_2) | instid1(VALU_DEP_3)
	v_pk_fma_f32 v[102:103], v[98:99], v[96:97], v[100:101] op_sel_hi:[1,0,1]
	v_add_nc_u32_e32 v95, 1, v95
	v_pk_fma_f32 v[96:97], v[98:99], v[96:97], v[100:101] neg_lo:[0,0,1] neg_hi:[0,0,1]
	v_mov_b32_e32 v97, v103
	s_delay_alu instid0(VALU_DEP_3) | instskip(NEXT) | instid1(VALU_DEP_2)
	v_cmp_lt_u32_e32 vcc_lo, 17, v95
	v_pk_add_f32 v[90:91], v[90:91], v[96:97]
	s_or_b32 s3, vcc_lo, s3
	s_delay_alu instid0(SALU_CYCLE_1)
	s_and_not1_b32 exec_lo, exec_lo, s3
	s_cbranch_execnz .LBB42_607
; %bb.608:
	s_or_b32 exec_lo, exec_lo, s3
.LBB42_609:
	s_delay_alu instid0(SALU_CYCLE_1) | instskip(SKIP_4) | instid1(VALU_DEP_1)
	s_or_b32 exec_lo, exec_lo, s2
	v_mov_b32_e32 v93, 0
	ds_load_b64 v[94:95], v93 offset:152
	s_wait_dscnt 0x0
	v_pk_mul_f32 v[96:97], v[90:91], v[94:95] op_sel:[1,1] op_sel_hi:[0,1]
	v_pk_fma_f32 v[98:99], v[90:91], v[94:95], v[96:97] op_sel_hi:[1,0,1]
	v_pk_fma_f32 v[90:91], v[90:91], v[94:95], v[96:97] neg_lo:[0,0,1] neg_hi:[0,0,1]
	s_delay_alu instid0(VALU_DEP_2)
	v_mov_b32_e32 v91, v99
	scratch_store_b64 off, v[90:91], off offset:152
.LBB42_610:
	s_wait_xcnt 0x0
	s_or_b32 exec_lo, exec_lo, s0
	scratch_load_b64 v[90:91], off, off offset:160
	s_mov_b32 s0, exec_lo
	s_wait_loadcnt 0x0
	ds_store_b64 v1, v[90:91]
	s_wait_storecnt_dscnt 0x0
	s_barrier_signal -1
	s_barrier_wait -1
	s_wait_xcnt 0x0
	v_cmpx_gt_u32_e32 20, v0
	s_cbranch_execz .LBB42_620
; %bb.611:
	v_cmp_ne_u32_e32 vcc_lo, 1, v92
	s_cbranch_vccnz .LBB42_613
; %bb.612:
	scratch_load_b64 v[90:91], v41, off
	ds_load_b64 v[94:95], v1
	s_wait_loadcnt_dscnt 0x0
	v_pk_mul_f32 v[96:97], v[94:95], v[90:91] op_sel:[1,1] op_sel_hi:[0,1]
	s_delay_alu instid0(VALU_DEP_1) | instskip(SKIP_1) | instid1(VALU_DEP_2)
	v_pk_fma_f32 v[98:99], v[94:95], v[90:91], v[96:97] op_sel_hi:[1,0,1]
	v_pk_fma_f32 v[90:91], v[94:95], v[90:91], v[96:97] neg_lo:[0,0,1] neg_hi:[0,0,1]
	v_mov_b32_e32 v91, v99
	s_cbranch_execz .LBB42_614
	s_branch .LBB42_615
.LBB42_613:
                                        ; implicit-def: $vgpr90_vgpr91
.LBB42_614:
	ds_load_b64 v[90:91], v1
.LBB42_615:
	s_mov_b32 s2, exec_lo
	v_cmpx_ne_u32_e32 19, v0
	s_cbranch_execz .LBB42_619
; %bb.616:
	v_add_nc_u32_e32 v93, 0x168, v40
	v_add3_u32 v94, 0, v40, 8
	v_mov_b32_e32 v95, v0
	s_mov_b32 s3, 0
.LBB42_617:                             ; =>This Inner Loop Header: Depth=1
	scratch_load_b64 v[96:97], v94, off
	ds_load_b64 v[98:99], v93
	s_wait_xcnt 0x0
	v_dual_add_nc_u32 v93, 8, v93 :: v_dual_add_nc_u32 v94, 8, v94
	s_wait_loadcnt_dscnt 0x0
	v_pk_mul_f32 v[100:101], v[98:99], v[96:97] op_sel:[1,1] op_sel_hi:[0,1]
	s_delay_alu instid0(VALU_DEP_1) | instskip(SKIP_2) | instid1(VALU_DEP_3)
	v_pk_fma_f32 v[102:103], v[98:99], v[96:97], v[100:101] op_sel_hi:[1,0,1]
	v_add_nc_u32_e32 v95, 1, v95
	v_pk_fma_f32 v[96:97], v[98:99], v[96:97], v[100:101] neg_lo:[0,0,1] neg_hi:[0,0,1]
	v_mov_b32_e32 v97, v103
	s_delay_alu instid0(VALU_DEP_3) | instskip(NEXT) | instid1(VALU_DEP_2)
	v_cmp_lt_u32_e32 vcc_lo, 18, v95
	v_pk_add_f32 v[90:91], v[90:91], v[96:97]
	s_or_b32 s3, vcc_lo, s3
	s_delay_alu instid0(SALU_CYCLE_1)
	s_and_not1_b32 exec_lo, exec_lo, s3
	s_cbranch_execnz .LBB42_617
; %bb.618:
	s_or_b32 exec_lo, exec_lo, s3
.LBB42_619:
	s_delay_alu instid0(SALU_CYCLE_1) | instskip(SKIP_4) | instid1(VALU_DEP_1)
	s_or_b32 exec_lo, exec_lo, s2
	v_mov_b32_e32 v93, 0
	ds_load_b64 v[94:95], v93 offset:160
	s_wait_dscnt 0x0
	v_pk_mul_f32 v[96:97], v[90:91], v[94:95] op_sel:[1,1] op_sel_hi:[0,1]
	v_pk_fma_f32 v[98:99], v[90:91], v[94:95], v[96:97] op_sel_hi:[1,0,1]
	v_pk_fma_f32 v[90:91], v[90:91], v[94:95], v[96:97] neg_lo:[0,0,1] neg_hi:[0,0,1]
	s_delay_alu instid0(VALU_DEP_2)
	v_mov_b32_e32 v91, v99
	scratch_store_b64 off, v[90:91], off offset:160
.LBB42_620:
	s_wait_xcnt 0x0
	s_or_b32 exec_lo, exec_lo, s0
	scratch_load_b64 v[90:91], off, off offset:168
	s_mov_b32 s0, exec_lo
	s_wait_loadcnt 0x0
	ds_store_b64 v1, v[90:91]
	s_wait_storecnt_dscnt 0x0
	s_barrier_signal -1
	s_barrier_wait -1
	s_wait_xcnt 0x0
	v_cmpx_gt_u32_e32 21, v0
	s_cbranch_execz .LBB42_630
; %bb.621:
	v_cmp_ne_u32_e32 vcc_lo, 1, v92
	s_cbranch_vccnz .LBB42_623
; %bb.622:
	scratch_load_b64 v[90:91], v41, off
	ds_load_b64 v[94:95], v1
	s_wait_loadcnt_dscnt 0x0
	v_pk_mul_f32 v[96:97], v[94:95], v[90:91] op_sel:[1,1] op_sel_hi:[0,1]
	s_delay_alu instid0(VALU_DEP_1) | instskip(SKIP_1) | instid1(VALU_DEP_2)
	v_pk_fma_f32 v[98:99], v[94:95], v[90:91], v[96:97] op_sel_hi:[1,0,1]
	v_pk_fma_f32 v[90:91], v[94:95], v[90:91], v[96:97] neg_lo:[0,0,1] neg_hi:[0,0,1]
	v_mov_b32_e32 v91, v99
	s_cbranch_execz .LBB42_624
	s_branch .LBB42_625
.LBB42_623:
                                        ; implicit-def: $vgpr90_vgpr91
.LBB42_624:
	ds_load_b64 v[90:91], v1
.LBB42_625:
	s_mov_b32 s2, exec_lo
	v_cmpx_ne_u32_e32 20, v0
	s_cbranch_execz .LBB42_629
; %bb.626:
	v_add_nc_u32_e32 v93, 0x168, v40
	v_add3_u32 v94, 0, v40, 8
	v_mov_b32_e32 v95, v0
	s_mov_b32 s3, 0
.LBB42_627:                             ; =>This Inner Loop Header: Depth=1
	scratch_load_b64 v[96:97], v94, off
	ds_load_b64 v[98:99], v93
	s_wait_xcnt 0x0
	v_dual_add_nc_u32 v93, 8, v93 :: v_dual_add_nc_u32 v94, 8, v94
	s_wait_loadcnt_dscnt 0x0
	v_pk_mul_f32 v[100:101], v[98:99], v[96:97] op_sel:[1,1] op_sel_hi:[0,1]
	s_delay_alu instid0(VALU_DEP_1) | instskip(SKIP_2) | instid1(VALU_DEP_3)
	v_pk_fma_f32 v[102:103], v[98:99], v[96:97], v[100:101] op_sel_hi:[1,0,1]
	v_add_nc_u32_e32 v95, 1, v95
	v_pk_fma_f32 v[96:97], v[98:99], v[96:97], v[100:101] neg_lo:[0,0,1] neg_hi:[0,0,1]
	v_mov_b32_e32 v97, v103
	s_delay_alu instid0(VALU_DEP_3) | instskip(NEXT) | instid1(VALU_DEP_2)
	v_cmp_lt_u32_e32 vcc_lo, 19, v95
	v_pk_add_f32 v[90:91], v[90:91], v[96:97]
	s_or_b32 s3, vcc_lo, s3
	s_delay_alu instid0(SALU_CYCLE_1)
	s_and_not1_b32 exec_lo, exec_lo, s3
	s_cbranch_execnz .LBB42_627
; %bb.628:
	s_or_b32 exec_lo, exec_lo, s3
.LBB42_629:
	s_delay_alu instid0(SALU_CYCLE_1) | instskip(SKIP_4) | instid1(VALU_DEP_1)
	s_or_b32 exec_lo, exec_lo, s2
	v_mov_b32_e32 v93, 0
	ds_load_b64 v[94:95], v93 offset:168
	s_wait_dscnt 0x0
	v_pk_mul_f32 v[96:97], v[90:91], v[94:95] op_sel:[1,1] op_sel_hi:[0,1]
	v_pk_fma_f32 v[98:99], v[90:91], v[94:95], v[96:97] op_sel_hi:[1,0,1]
	v_pk_fma_f32 v[90:91], v[90:91], v[94:95], v[96:97] neg_lo:[0,0,1] neg_hi:[0,0,1]
	s_delay_alu instid0(VALU_DEP_2)
	v_mov_b32_e32 v91, v99
	scratch_store_b64 off, v[90:91], off offset:168
.LBB42_630:
	s_wait_xcnt 0x0
	s_or_b32 exec_lo, exec_lo, s0
	scratch_load_b64 v[90:91], off, off offset:176
	s_mov_b32 s0, exec_lo
	s_wait_loadcnt 0x0
	ds_store_b64 v1, v[90:91]
	s_wait_storecnt_dscnt 0x0
	s_barrier_signal -1
	s_barrier_wait -1
	s_wait_xcnt 0x0
	v_cmpx_gt_u32_e32 22, v0
	s_cbranch_execz .LBB42_640
; %bb.631:
	v_cmp_ne_u32_e32 vcc_lo, 1, v92
	s_cbranch_vccnz .LBB42_633
; %bb.632:
	scratch_load_b64 v[90:91], v41, off
	ds_load_b64 v[94:95], v1
	s_wait_loadcnt_dscnt 0x0
	v_pk_mul_f32 v[96:97], v[94:95], v[90:91] op_sel:[1,1] op_sel_hi:[0,1]
	s_delay_alu instid0(VALU_DEP_1) | instskip(SKIP_1) | instid1(VALU_DEP_2)
	v_pk_fma_f32 v[98:99], v[94:95], v[90:91], v[96:97] op_sel_hi:[1,0,1]
	v_pk_fma_f32 v[90:91], v[94:95], v[90:91], v[96:97] neg_lo:[0,0,1] neg_hi:[0,0,1]
	v_mov_b32_e32 v91, v99
	s_cbranch_execz .LBB42_634
	s_branch .LBB42_635
.LBB42_633:
                                        ; implicit-def: $vgpr90_vgpr91
.LBB42_634:
	ds_load_b64 v[90:91], v1
.LBB42_635:
	s_mov_b32 s2, exec_lo
	v_cmpx_ne_u32_e32 21, v0
	s_cbranch_execz .LBB42_639
; %bb.636:
	v_add_nc_u32_e32 v93, 0x168, v40
	v_add3_u32 v94, 0, v40, 8
	v_mov_b32_e32 v95, v0
	s_mov_b32 s3, 0
.LBB42_637:                             ; =>This Inner Loop Header: Depth=1
	scratch_load_b64 v[96:97], v94, off
	ds_load_b64 v[98:99], v93
	s_wait_xcnt 0x0
	v_dual_add_nc_u32 v93, 8, v93 :: v_dual_add_nc_u32 v94, 8, v94
	s_wait_loadcnt_dscnt 0x0
	v_pk_mul_f32 v[100:101], v[98:99], v[96:97] op_sel:[1,1] op_sel_hi:[0,1]
	s_delay_alu instid0(VALU_DEP_1) | instskip(SKIP_2) | instid1(VALU_DEP_3)
	v_pk_fma_f32 v[102:103], v[98:99], v[96:97], v[100:101] op_sel_hi:[1,0,1]
	v_add_nc_u32_e32 v95, 1, v95
	v_pk_fma_f32 v[96:97], v[98:99], v[96:97], v[100:101] neg_lo:[0,0,1] neg_hi:[0,0,1]
	v_mov_b32_e32 v97, v103
	s_delay_alu instid0(VALU_DEP_3) | instskip(NEXT) | instid1(VALU_DEP_2)
	v_cmp_lt_u32_e32 vcc_lo, 20, v95
	v_pk_add_f32 v[90:91], v[90:91], v[96:97]
	s_or_b32 s3, vcc_lo, s3
	s_delay_alu instid0(SALU_CYCLE_1)
	s_and_not1_b32 exec_lo, exec_lo, s3
	s_cbranch_execnz .LBB42_637
; %bb.638:
	s_or_b32 exec_lo, exec_lo, s3
.LBB42_639:
	s_delay_alu instid0(SALU_CYCLE_1) | instskip(SKIP_4) | instid1(VALU_DEP_1)
	s_or_b32 exec_lo, exec_lo, s2
	v_mov_b32_e32 v93, 0
	ds_load_b64 v[94:95], v93 offset:176
	s_wait_dscnt 0x0
	v_pk_mul_f32 v[96:97], v[90:91], v[94:95] op_sel:[1,1] op_sel_hi:[0,1]
	v_pk_fma_f32 v[98:99], v[90:91], v[94:95], v[96:97] op_sel_hi:[1,0,1]
	v_pk_fma_f32 v[90:91], v[90:91], v[94:95], v[96:97] neg_lo:[0,0,1] neg_hi:[0,0,1]
	s_delay_alu instid0(VALU_DEP_2)
	v_mov_b32_e32 v91, v99
	scratch_store_b64 off, v[90:91], off offset:176
.LBB42_640:
	s_wait_xcnt 0x0
	s_or_b32 exec_lo, exec_lo, s0
	scratch_load_b64 v[90:91], off, off offset:184
	s_mov_b32 s0, exec_lo
	s_wait_loadcnt 0x0
	ds_store_b64 v1, v[90:91]
	s_wait_storecnt_dscnt 0x0
	s_barrier_signal -1
	s_barrier_wait -1
	s_wait_xcnt 0x0
	v_cmpx_gt_u32_e32 23, v0
	s_cbranch_execz .LBB42_650
; %bb.641:
	v_cmp_ne_u32_e32 vcc_lo, 1, v92
	s_cbranch_vccnz .LBB42_643
; %bb.642:
	scratch_load_b64 v[90:91], v41, off
	ds_load_b64 v[94:95], v1
	s_wait_loadcnt_dscnt 0x0
	v_pk_mul_f32 v[96:97], v[94:95], v[90:91] op_sel:[1,1] op_sel_hi:[0,1]
	s_delay_alu instid0(VALU_DEP_1) | instskip(SKIP_1) | instid1(VALU_DEP_2)
	v_pk_fma_f32 v[98:99], v[94:95], v[90:91], v[96:97] op_sel_hi:[1,0,1]
	v_pk_fma_f32 v[90:91], v[94:95], v[90:91], v[96:97] neg_lo:[0,0,1] neg_hi:[0,0,1]
	v_mov_b32_e32 v91, v99
	s_cbranch_execz .LBB42_644
	s_branch .LBB42_645
.LBB42_643:
                                        ; implicit-def: $vgpr90_vgpr91
.LBB42_644:
	ds_load_b64 v[90:91], v1
.LBB42_645:
	s_mov_b32 s2, exec_lo
	v_cmpx_ne_u32_e32 22, v0
	s_cbranch_execz .LBB42_649
; %bb.646:
	v_add_nc_u32_e32 v93, 0x168, v40
	v_add3_u32 v94, 0, v40, 8
	v_mov_b32_e32 v95, v0
	s_mov_b32 s3, 0
.LBB42_647:                             ; =>This Inner Loop Header: Depth=1
	scratch_load_b64 v[96:97], v94, off
	ds_load_b64 v[98:99], v93
	s_wait_xcnt 0x0
	v_dual_add_nc_u32 v93, 8, v93 :: v_dual_add_nc_u32 v94, 8, v94
	s_wait_loadcnt_dscnt 0x0
	v_pk_mul_f32 v[100:101], v[98:99], v[96:97] op_sel:[1,1] op_sel_hi:[0,1]
	s_delay_alu instid0(VALU_DEP_1) | instskip(SKIP_2) | instid1(VALU_DEP_3)
	v_pk_fma_f32 v[102:103], v[98:99], v[96:97], v[100:101] op_sel_hi:[1,0,1]
	v_add_nc_u32_e32 v95, 1, v95
	v_pk_fma_f32 v[96:97], v[98:99], v[96:97], v[100:101] neg_lo:[0,0,1] neg_hi:[0,0,1]
	v_mov_b32_e32 v97, v103
	s_delay_alu instid0(VALU_DEP_3) | instskip(NEXT) | instid1(VALU_DEP_2)
	v_cmp_lt_u32_e32 vcc_lo, 21, v95
	v_pk_add_f32 v[90:91], v[90:91], v[96:97]
	s_or_b32 s3, vcc_lo, s3
	s_delay_alu instid0(SALU_CYCLE_1)
	s_and_not1_b32 exec_lo, exec_lo, s3
	s_cbranch_execnz .LBB42_647
; %bb.648:
	s_or_b32 exec_lo, exec_lo, s3
.LBB42_649:
	s_delay_alu instid0(SALU_CYCLE_1) | instskip(SKIP_4) | instid1(VALU_DEP_1)
	s_or_b32 exec_lo, exec_lo, s2
	v_mov_b32_e32 v93, 0
	ds_load_b64 v[94:95], v93 offset:184
	s_wait_dscnt 0x0
	v_pk_mul_f32 v[96:97], v[90:91], v[94:95] op_sel:[1,1] op_sel_hi:[0,1]
	v_pk_fma_f32 v[98:99], v[90:91], v[94:95], v[96:97] op_sel_hi:[1,0,1]
	v_pk_fma_f32 v[90:91], v[90:91], v[94:95], v[96:97] neg_lo:[0,0,1] neg_hi:[0,0,1]
	s_delay_alu instid0(VALU_DEP_2)
	v_mov_b32_e32 v91, v99
	scratch_store_b64 off, v[90:91], off offset:184
.LBB42_650:
	s_wait_xcnt 0x0
	s_or_b32 exec_lo, exec_lo, s0
	scratch_load_b64 v[90:91], off, off offset:192
	s_mov_b32 s0, exec_lo
	s_wait_loadcnt 0x0
	ds_store_b64 v1, v[90:91]
	s_wait_storecnt_dscnt 0x0
	s_barrier_signal -1
	s_barrier_wait -1
	s_wait_xcnt 0x0
	v_cmpx_gt_u32_e32 24, v0
	s_cbranch_execz .LBB42_660
; %bb.651:
	v_cmp_ne_u32_e32 vcc_lo, 1, v92
	s_cbranch_vccnz .LBB42_653
; %bb.652:
	scratch_load_b64 v[90:91], v41, off
	ds_load_b64 v[94:95], v1
	s_wait_loadcnt_dscnt 0x0
	v_pk_mul_f32 v[96:97], v[94:95], v[90:91] op_sel:[1,1] op_sel_hi:[0,1]
	s_delay_alu instid0(VALU_DEP_1) | instskip(SKIP_1) | instid1(VALU_DEP_2)
	v_pk_fma_f32 v[98:99], v[94:95], v[90:91], v[96:97] op_sel_hi:[1,0,1]
	v_pk_fma_f32 v[90:91], v[94:95], v[90:91], v[96:97] neg_lo:[0,0,1] neg_hi:[0,0,1]
	v_mov_b32_e32 v91, v99
	s_cbranch_execz .LBB42_654
	s_branch .LBB42_655
.LBB42_653:
                                        ; implicit-def: $vgpr90_vgpr91
.LBB42_654:
	ds_load_b64 v[90:91], v1
.LBB42_655:
	s_mov_b32 s2, exec_lo
	v_cmpx_ne_u32_e32 23, v0
	s_cbranch_execz .LBB42_659
; %bb.656:
	v_add_nc_u32_e32 v93, 0x168, v40
	v_add3_u32 v94, 0, v40, 8
	v_mov_b32_e32 v95, v0
	s_mov_b32 s3, 0
.LBB42_657:                             ; =>This Inner Loop Header: Depth=1
	scratch_load_b64 v[96:97], v94, off
	ds_load_b64 v[98:99], v93
	s_wait_xcnt 0x0
	v_dual_add_nc_u32 v93, 8, v93 :: v_dual_add_nc_u32 v94, 8, v94
	s_wait_loadcnt_dscnt 0x0
	v_pk_mul_f32 v[100:101], v[98:99], v[96:97] op_sel:[1,1] op_sel_hi:[0,1]
	s_delay_alu instid0(VALU_DEP_1) | instskip(SKIP_2) | instid1(VALU_DEP_3)
	v_pk_fma_f32 v[102:103], v[98:99], v[96:97], v[100:101] op_sel_hi:[1,0,1]
	v_add_nc_u32_e32 v95, 1, v95
	v_pk_fma_f32 v[96:97], v[98:99], v[96:97], v[100:101] neg_lo:[0,0,1] neg_hi:[0,0,1]
	v_mov_b32_e32 v97, v103
	s_delay_alu instid0(VALU_DEP_3) | instskip(NEXT) | instid1(VALU_DEP_2)
	v_cmp_lt_u32_e32 vcc_lo, 22, v95
	v_pk_add_f32 v[90:91], v[90:91], v[96:97]
	s_or_b32 s3, vcc_lo, s3
	s_delay_alu instid0(SALU_CYCLE_1)
	s_and_not1_b32 exec_lo, exec_lo, s3
	s_cbranch_execnz .LBB42_657
; %bb.658:
	s_or_b32 exec_lo, exec_lo, s3
.LBB42_659:
	s_delay_alu instid0(SALU_CYCLE_1) | instskip(SKIP_4) | instid1(VALU_DEP_1)
	s_or_b32 exec_lo, exec_lo, s2
	v_mov_b32_e32 v93, 0
	ds_load_b64 v[94:95], v93 offset:192
	s_wait_dscnt 0x0
	v_pk_mul_f32 v[96:97], v[90:91], v[94:95] op_sel:[1,1] op_sel_hi:[0,1]
	v_pk_fma_f32 v[98:99], v[90:91], v[94:95], v[96:97] op_sel_hi:[1,0,1]
	v_pk_fma_f32 v[90:91], v[90:91], v[94:95], v[96:97] neg_lo:[0,0,1] neg_hi:[0,0,1]
	s_delay_alu instid0(VALU_DEP_2)
	v_mov_b32_e32 v91, v99
	scratch_store_b64 off, v[90:91], off offset:192
.LBB42_660:
	s_wait_xcnt 0x0
	s_or_b32 exec_lo, exec_lo, s0
	scratch_load_b64 v[90:91], off, off offset:200
	s_mov_b32 s0, exec_lo
	s_wait_loadcnt 0x0
	ds_store_b64 v1, v[90:91]
	s_wait_storecnt_dscnt 0x0
	s_barrier_signal -1
	s_barrier_wait -1
	s_wait_xcnt 0x0
	v_cmpx_gt_u32_e32 25, v0
	s_cbranch_execz .LBB42_670
; %bb.661:
	v_cmp_ne_u32_e32 vcc_lo, 1, v92
	s_cbranch_vccnz .LBB42_663
; %bb.662:
	scratch_load_b64 v[90:91], v41, off
	ds_load_b64 v[94:95], v1
	s_wait_loadcnt_dscnt 0x0
	v_pk_mul_f32 v[96:97], v[94:95], v[90:91] op_sel:[1,1] op_sel_hi:[0,1]
	s_delay_alu instid0(VALU_DEP_1) | instskip(SKIP_1) | instid1(VALU_DEP_2)
	v_pk_fma_f32 v[98:99], v[94:95], v[90:91], v[96:97] op_sel_hi:[1,0,1]
	v_pk_fma_f32 v[90:91], v[94:95], v[90:91], v[96:97] neg_lo:[0,0,1] neg_hi:[0,0,1]
	v_mov_b32_e32 v91, v99
	s_cbranch_execz .LBB42_664
	s_branch .LBB42_665
.LBB42_663:
                                        ; implicit-def: $vgpr90_vgpr91
.LBB42_664:
	ds_load_b64 v[90:91], v1
.LBB42_665:
	s_mov_b32 s2, exec_lo
	v_cmpx_ne_u32_e32 24, v0
	s_cbranch_execz .LBB42_669
; %bb.666:
	v_add_nc_u32_e32 v93, 0x168, v40
	v_add3_u32 v94, 0, v40, 8
	v_mov_b32_e32 v95, v0
	s_mov_b32 s3, 0
.LBB42_667:                             ; =>This Inner Loop Header: Depth=1
	scratch_load_b64 v[96:97], v94, off
	ds_load_b64 v[98:99], v93
	s_wait_xcnt 0x0
	v_dual_add_nc_u32 v93, 8, v93 :: v_dual_add_nc_u32 v94, 8, v94
	s_wait_loadcnt_dscnt 0x0
	v_pk_mul_f32 v[100:101], v[98:99], v[96:97] op_sel:[1,1] op_sel_hi:[0,1]
	s_delay_alu instid0(VALU_DEP_1) | instskip(SKIP_2) | instid1(VALU_DEP_3)
	v_pk_fma_f32 v[102:103], v[98:99], v[96:97], v[100:101] op_sel_hi:[1,0,1]
	v_add_nc_u32_e32 v95, 1, v95
	v_pk_fma_f32 v[96:97], v[98:99], v[96:97], v[100:101] neg_lo:[0,0,1] neg_hi:[0,0,1]
	v_mov_b32_e32 v97, v103
	s_delay_alu instid0(VALU_DEP_3) | instskip(NEXT) | instid1(VALU_DEP_2)
	v_cmp_lt_u32_e32 vcc_lo, 23, v95
	v_pk_add_f32 v[90:91], v[90:91], v[96:97]
	s_or_b32 s3, vcc_lo, s3
	s_delay_alu instid0(SALU_CYCLE_1)
	s_and_not1_b32 exec_lo, exec_lo, s3
	s_cbranch_execnz .LBB42_667
; %bb.668:
	s_or_b32 exec_lo, exec_lo, s3
.LBB42_669:
	s_delay_alu instid0(SALU_CYCLE_1) | instskip(SKIP_4) | instid1(VALU_DEP_1)
	s_or_b32 exec_lo, exec_lo, s2
	v_mov_b32_e32 v93, 0
	ds_load_b64 v[94:95], v93 offset:200
	s_wait_dscnt 0x0
	v_pk_mul_f32 v[96:97], v[90:91], v[94:95] op_sel:[1,1] op_sel_hi:[0,1]
	v_pk_fma_f32 v[98:99], v[90:91], v[94:95], v[96:97] op_sel_hi:[1,0,1]
	v_pk_fma_f32 v[90:91], v[90:91], v[94:95], v[96:97] neg_lo:[0,0,1] neg_hi:[0,0,1]
	s_delay_alu instid0(VALU_DEP_2)
	v_mov_b32_e32 v91, v99
	scratch_store_b64 off, v[90:91], off offset:200
.LBB42_670:
	s_wait_xcnt 0x0
	s_or_b32 exec_lo, exec_lo, s0
	scratch_load_b64 v[90:91], off, off offset:208
	s_mov_b32 s0, exec_lo
	s_wait_loadcnt 0x0
	ds_store_b64 v1, v[90:91]
	s_wait_storecnt_dscnt 0x0
	s_barrier_signal -1
	s_barrier_wait -1
	s_wait_xcnt 0x0
	v_cmpx_gt_u32_e32 26, v0
	s_cbranch_execz .LBB42_680
; %bb.671:
	v_cmp_ne_u32_e32 vcc_lo, 1, v92
	s_cbranch_vccnz .LBB42_673
; %bb.672:
	scratch_load_b64 v[90:91], v41, off
	ds_load_b64 v[94:95], v1
	s_wait_loadcnt_dscnt 0x0
	v_pk_mul_f32 v[96:97], v[94:95], v[90:91] op_sel:[1,1] op_sel_hi:[0,1]
	s_delay_alu instid0(VALU_DEP_1) | instskip(SKIP_1) | instid1(VALU_DEP_2)
	v_pk_fma_f32 v[98:99], v[94:95], v[90:91], v[96:97] op_sel_hi:[1,0,1]
	v_pk_fma_f32 v[90:91], v[94:95], v[90:91], v[96:97] neg_lo:[0,0,1] neg_hi:[0,0,1]
	v_mov_b32_e32 v91, v99
	s_cbranch_execz .LBB42_674
	s_branch .LBB42_675
.LBB42_673:
                                        ; implicit-def: $vgpr90_vgpr91
.LBB42_674:
	ds_load_b64 v[90:91], v1
.LBB42_675:
	s_mov_b32 s2, exec_lo
	v_cmpx_ne_u32_e32 25, v0
	s_cbranch_execz .LBB42_679
; %bb.676:
	v_add_nc_u32_e32 v93, 0x168, v40
	v_add3_u32 v94, 0, v40, 8
	v_mov_b32_e32 v95, v0
	s_mov_b32 s3, 0
.LBB42_677:                             ; =>This Inner Loop Header: Depth=1
	scratch_load_b64 v[96:97], v94, off
	ds_load_b64 v[98:99], v93
	s_wait_xcnt 0x0
	v_dual_add_nc_u32 v93, 8, v93 :: v_dual_add_nc_u32 v94, 8, v94
	s_wait_loadcnt_dscnt 0x0
	v_pk_mul_f32 v[100:101], v[98:99], v[96:97] op_sel:[1,1] op_sel_hi:[0,1]
	s_delay_alu instid0(VALU_DEP_1) | instskip(SKIP_2) | instid1(VALU_DEP_3)
	v_pk_fma_f32 v[102:103], v[98:99], v[96:97], v[100:101] op_sel_hi:[1,0,1]
	v_add_nc_u32_e32 v95, 1, v95
	v_pk_fma_f32 v[96:97], v[98:99], v[96:97], v[100:101] neg_lo:[0,0,1] neg_hi:[0,0,1]
	v_mov_b32_e32 v97, v103
	s_delay_alu instid0(VALU_DEP_3) | instskip(NEXT) | instid1(VALU_DEP_2)
	v_cmp_lt_u32_e32 vcc_lo, 24, v95
	v_pk_add_f32 v[90:91], v[90:91], v[96:97]
	s_or_b32 s3, vcc_lo, s3
	s_delay_alu instid0(SALU_CYCLE_1)
	s_and_not1_b32 exec_lo, exec_lo, s3
	s_cbranch_execnz .LBB42_677
; %bb.678:
	s_or_b32 exec_lo, exec_lo, s3
.LBB42_679:
	s_delay_alu instid0(SALU_CYCLE_1) | instskip(SKIP_4) | instid1(VALU_DEP_1)
	s_or_b32 exec_lo, exec_lo, s2
	v_mov_b32_e32 v93, 0
	ds_load_b64 v[94:95], v93 offset:208
	s_wait_dscnt 0x0
	v_pk_mul_f32 v[96:97], v[90:91], v[94:95] op_sel:[1,1] op_sel_hi:[0,1]
	v_pk_fma_f32 v[98:99], v[90:91], v[94:95], v[96:97] op_sel_hi:[1,0,1]
	v_pk_fma_f32 v[90:91], v[90:91], v[94:95], v[96:97] neg_lo:[0,0,1] neg_hi:[0,0,1]
	s_delay_alu instid0(VALU_DEP_2)
	v_mov_b32_e32 v91, v99
	scratch_store_b64 off, v[90:91], off offset:208
.LBB42_680:
	s_wait_xcnt 0x0
	s_or_b32 exec_lo, exec_lo, s0
	scratch_load_b64 v[90:91], off, off offset:216
	s_mov_b32 s0, exec_lo
	s_wait_loadcnt 0x0
	ds_store_b64 v1, v[90:91]
	s_wait_storecnt_dscnt 0x0
	s_barrier_signal -1
	s_barrier_wait -1
	s_wait_xcnt 0x0
	v_cmpx_gt_u32_e32 27, v0
	s_cbranch_execz .LBB42_690
; %bb.681:
	v_cmp_ne_u32_e32 vcc_lo, 1, v92
	s_cbranch_vccnz .LBB42_683
; %bb.682:
	scratch_load_b64 v[90:91], v41, off
	ds_load_b64 v[94:95], v1
	s_wait_loadcnt_dscnt 0x0
	v_pk_mul_f32 v[96:97], v[94:95], v[90:91] op_sel:[1,1] op_sel_hi:[0,1]
	s_delay_alu instid0(VALU_DEP_1) | instskip(SKIP_1) | instid1(VALU_DEP_2)
	v_pk_fma_f32 v[98:99], v[94:95], v[90:91], v[96:97] op_sel_hi:[1,0,1]
	v_pk_fma_f32 v[90:91], v[94:95], v[90:91], v[96:97] neg_lo:[0,0,1] neg_hi:[0,0,1]
	v_mov_b32_e32 v91, v99
	s_cbranch_execz .LBB42_684
	s_branch .LBB42_685
.LBB42_683:
                                        ; implicit-def: $vgpr90_vgpr91
.LBB42_684:
	ds_load_b64 v[90:91], v1
.LBB42_685:
	s_mov_b32 s2, exec_lo
	v_cmpx_ne_u32_e32 26, v0
	s_cbranch_execz .LBB42_689
; %bb.686:
	v_add_nc_u32_e32 v93, 0x168, v40
	v_add3_u32 v94, 0, v40, 8
	v_mov_b32_e32 v95, v0
	s_mov_b32 s3, 0
.LBB42_687:                             ; =>This Inner Loop Header: Depth=1
	scratch_load_b64 v[96:97], v94, off
	ds_load_b64 v[98:99], v93
	s_wait_xcnt 0x0
	v_dual_add_nc_u32 v93, 8, v93 :: v_dual_add_nc_u32 v94, 8, v94
	s_wait_loadcnt_dscnt 0x0
	v_pk_mul_f32 v[100:101], v[98:99], v[96:97] op_sel:[1,1] op_sel_hi:[0,1]
	s_delay_alu instid0(VALU_DEP_1) | instskip(SKIP_2) | instid1(VALU_DEP_3)
	v_pk_fma_f32 v[102:103], v[98:99], v[96:97], v[100:101] op_sel_hi:[1,0,1]
	v_add_nc_u32_e32 v95, 1, v95
	v_pk_fma_f32 v[96:97], v[98:99], v[96:97], v[100:101] neg_lo:[0,0,1] neg_hi:[0,0,1]
	v_mov_b32_e32 v97, v103
	s_delay_alu instid0(VALU_DEP_3) | instskip(NEXT) | instid1(VALU_DEP_2)
	v_cmp_lt_u32_e32 vcc_lo, 25, v95
	v_pk_add_f32 v[90:91], v[90:91], v[96:97]
	s_or_b32 s3, vcc_lo, s3
	s_delay_alu instid0(SALU_CYCLE_1)
	s_and_not1_b32 exec_lo, exec_lo, s3
	s_cbranch_execnz .LBB42_687
; %bb.688:
	s_or_b32 exec_lo, exec_lo, s3
.LBB42_689:
	s_delay_alu instid0(SALU_CYCLE_1) | instskip(SKIP_4) | instid1(VALU_DEP_1)
	s_or_b32 exec_lo, exec_lo, s2
	v_mov_b32_e32 v93, 0
	ds_load_b64 v[94:95], v93 offset:216
	s_wait_dscnt 0x0
	v_pk_mul_f32 v[96:97], v[90:91], v[94:95] op_sel:[1,1] op_sel_hi:[0,1]
	v_pk_fma_f32 v[98:99], v[90:91], v[94:95], v[96:97] op_sel_hi:[1,0,1]
	v_pk_fma_f32 v[90:91], v[90:91], v[94:95], v[96:97] neg_lo:[0,0,1] neg_hi:[0,0,1]
	s_delay_alu instid0(VALU_DEP_2)
	v_mov_b32_e32 v91, v99
	scratch_store_b64 off, v[90:91], off offset:216
.LBB42_690:
	s_wait_xcnt 0x0
	s_or_b32 exec_lo, exec_lo, s0
	scratch_load_b64 v[90:91], off, off offset:224
	s_mov_b32 s0, exec_lo
	s_wait_loadcnt 0x0
	ds_store_b64 v1, v[90:91]
	s_wait_storecnt_dscnt 0x0
	s_barrier_signal -1
	s_barrier_wait -1
	s_wait_xcnt 0x0
	v_cmpx_gt_u32_e32 28, v0
	s_cbranch_execz .LBB42_700
; %bb.691:
	v_cmp_ne_u32_e32 vcc_lo, 1, v92
	s_cbranch_vccnz .LBB42_693
; %bb.692:
	scratch_load_b64 v[90:91], v41, off
	ds_load_b64 v[94:95], v1
	s_wait_loadcnt_dscnt 0x0
	v_pk_mul_f32 v[96:97], v[94:95], v[90:91] op_sel:[1,1] op_sel_hi:[0,1]
	s_delay_alu instid0(VALU_DEP_1) | instskip(SKIP_1) | instid1(VALU_DEP_2)
	v_pk_fma_f32 v[98:99], v[94:95], v[90:91], v[96:97] op_sel_hi:[1,0,1]
	v_pk_fma_f32 v[90:91], v[94:95], v[90:91], v[96:97] neg_lo:[0,0,1] neg_hi:[0,0,1]
	v_mov_b32_e32 v91, v99
	s_cbranch_execz .LBB42_694
	s_branch .LBB42_695
.LBB42_693:
                                        ; implicit-def: $vgpr90_vgpr91
.LBB42_694:
	ds_load_b64 v[90:91], v1
.LBB42_695:
	s_mov_b32 s2, exec_lo
	v_cmpx_ne_u32_e32 27, v0
	s_cbranch_execz .LBB42_699
; %bb.696:
	v_add_nc_u32_e32 v93, 0x168, v40
	v_add3_u32 v94, 0, v40, 8
	v_mov_b32_e32 v95, v0
	s_mov_b32 s3, 0
.LBB42_697:                             ; =>This Inner Loop Header: Depth=1
	scratch_load_b64 v[96:97], v94, off
	ds_load_b64 v[98:99], v93
	s_wait_xcnt 0x0
	v_dual_add_nc_u32 v93, 8, v93 :: v_dual_add_nc_u32 v94, 8, v94
	s_wait_loadcnt_dscnt 0x0
	v_pk_mul_f32 v[100:101], v[98:99], v[96:97] op_sel:[1,1] op_sel_hi:[0,1]
	s_delay_alu instid0(VALU_DEP_1) | instskip(SKIP_2) | instid1(VALU_DEP_3)
	v_pk_fma_f32 v[102:103], v[98:99], v[96:97], v[100:101] op_sel_hi:[1,0,1]
	v_add_nc_u32_e32 v95, 1, v95
	v_pk_fma_f32 v[96:97], v[98:99], v[96:97], v[100:101] neg_lo:[0,0,1] neg_hi:[0,0,1]
	v_mov_b32_e32 v97, v103
	s_delay_alu instid0(VALU_DEP_3) | instskip(NEXT) | instid1(VALU_DEP_2)
	v_cmp_lt_u32_e32 vcc_lo, 26, v95
	v_pk_add_f32 v[90:91], v[90:91], v[96:97]
	s_or_b32 s3, vcc_lo, s3
	s_delay_alu instid0(SALU_CYCLE_1)
	s_and_not1_b32 exec_lo, exec_lo, s3
	s_cbranch_execnz .LBB42_697
; %bb.698:
	s_or_b32 exec_lo, exec_lo, s3
.LBB42_699:
	s_delay_alu instid0(SALU_CYCLE_1) | instskip(SKIP_4) | instid1(VALU_DEP_1)
	s_or_b32 exec_lo, exec_lo, s2
	v_mov_b32_e32 v93, 0
	ds_load_b64 v[94:95], v93 offset:224
	s_wait_dscnt 0x0
	v_pk_mul_f32 v[96:97], v[90:91], v[94:95] op_sel:[1,1] op_sel_hi:[0,1]
	v_pk_fma_f32 v[98:99], v[90:91], v[94:95], v[96:97] op_sel_hi:[1,0,1]
	v_pk_fma_f32 v[90:91], v[90:91], v[94:95], v[96:97] neg_lo:[0,0,1] neg_hi:[0,0,1]
	s_delay_alu instid0(VALU_DEP_2)
	v_mov_b32_e32 v91, v99
	scratch_store_b64 off, v[90:91], off offset:224
.LBB42_700:
	s_wait_xcnt 0x0
	s_or_b32 exec_lo, exec_lo, s0
	scratch_load_b64 v[90:91], off, off offset:232
	s_mov_b32 s0, exec_lo
	s_wait_loadcnt 0x0
	ds_store_b64 v1, v[90:91]
	s_wait_storecnt_dscnt 0x0
	s_barrier_signal -1
	s_barrier_wait -1
	s_wait_xcnt 0x0
	v_cmpx_gt_u32_e32 29, v0
	s_cbranch_execz .LBB42_710
; %bb.701:
	v_cmp_ne_u32_e32 vcc_lo, 1, v92
	s_cbranch_vccnz .LBB42_703
; %bb.702:
	scratch_load_b64 v[90:91], v41, off
	ds_load_b64 v[94:95], v1
	s_wait_loadcnt_dscnt 0x0
	v_pk_mul_f32 v[96:97], v[94:95], v[90:91] op_sel:[1,1] op_sel_hi:[0,1]
	s_delay_alu instid0(VALU_DEP_1) | instskip(SKIP_1) | instid1(VALU_DEP_2)
	v_pk_fma_f32 v[98:99], v[94:95], v[90:91], v[96:97] op_sel_hi:[1,0,1]
	v_pk_fma_f32 v[90:91], v[94:95], v[90:91], v[96:97] neg_lo:[0,0,1] neg_hi:[0,0,1]
	v_mov_b32_e32 v91, v99
	s_cbranch_execz .LBB42_704
	s_branch .LBB42_705
.LBB42_703:
                                        ; implicit-def: $vgpr90_vgpr91
.LBB42_704:
	ds_load_b64 v[90:91], v1
.LBB42_705:
	s_mov_b32 s2, exec_lo
	v_cmpx_ne_u32_e32 28, v0
	s_cbranch_execz .LBB42_709
; %bb.706:
	v_add_nc_u32_e32 v93, 0x168, v40
	v_add3_u32 v94, 0, v40, 8
	v_mov_b32_e32 v95, v0
	s_mov_b32 s3, 0
.LBB42_707:                             ; =>This Inner Loop Header: Depth=1
	scratch_load_b64 v[96:97], v94, off
	ds_load_b64 v[98:99], v93
	s_wait_xcnt 0x0
	v_dual_add_nc_u32 v93, 8, v93 :: v_dual_add_nc_u32 v94, 8, v94
	s_wait_loadcnt_dscnt 0x0
	v_pk_mul_f32 v[100:101], v[98:99], v[96:97] op_sel:[1,1] op_sel_hi:[0,1]
	s_delay_alu instid0(VALU_DEP_1) | instskip(SKIP_2) | instid1(VALU_DEP_3)
	v_pk_fma_f32 v[102:103], v[98:99], v[96:97], v[100:101] op_sel_hi:[1,0,1]
	v_add_nc_u32_e32 v95, 1, v95
	v_pk_fma_f32 v[96:97], v[98:99], v[96:97], v[100:101] neg_lo:[0,0,1] neg_hi:[0,0,1]
	v_mov_b32_e32 v97, v103
	s_delay_alu instid0(VALU_DEP_3) | instskip(NEXT) | instid1(VALU_DEP_2)
	v_cmp_lt_u32_e32 vcc_lo, 27, v95
	v_pk_add_f32 v[90:91], v[90:91], v[96:97]
	s_or_b32 s3, vcc_lo, s3
	s_delay_alu instid0(SALU_CYCLE_1)
	s_and_not1_b32 exec_lo, exec_lo, s3
	s_cbranch_execnz .LBB42_707
; %bb.708:
	s_or_b32 exec_lo, exec_lo, s3
.LBB42_709:
	s_delay_alu instid0(SALU_CYCLE_1) | instskip(SKIP_4) | instid1(VALU_DEP_1)
	s_or_b32 exec_lo, exec_lo, s2
	v_mov_b32_e32 v93, 0
	ds_load_b64 v[94:95], v93 offset:232
	s_wait_dscnt 0x0
	v_pk_mul_f32 v[96:97], v[90:91], v[94:95] op_sel:[1,1] op_sel_hi:[0,1]
	v_pk_fma_f32 v[98:99], v[90:91], v[94:95], v[96:97] op_sel_hi:[1,0,1]
	v_pk_fma_f32 v[90:91], v[90:91], v[94:95], v[96:97] neg_lo:[0,0,1] neg_hi:[0,0,1]
	s_delay_alu instid0(VALU_DEP_2)
	v_mov_b32_e32 v91, v99
	scratch_store_b64 off, v[90:91], off offset:232
.LBB42_710:
	s_wait_xcnt 0x0
	s_or_b32 exec_lo, exec_lo, s0
	scratch_load_b64 v[90:91], off, off offset:240
	s_mov_b32 s0, exec_lo
	s_wait_loadcnt 0x0
	ds_store_b64 v1, v[90:91]
	s_wait_storecnt_dscnt 0x0
	s_barrier_signal -1
	s_barrier_wait -1
	s_wait_xcnt 0x0
	v_cmpx_gt_u32_e32 30, v0
	s_cbranch_execz .LBB42_720
; %bb.711:
	v_cmp_ne_u32_e32 vcc_lo, 1, v92
	s_cbranch_vccnz .LBB42_713
; %bb.712:
	scratch_load_b64 v[90:91], v41, off
	ds_load_b64 v[94:95], v1
	s_wait_loadcnt_dscnt 0x0
	v_pk_mul_f32 v[96:97], v[94:95], v[90:91] op_sel:[1,1] op_sel_hi:[0,1]
	s_delay_alu instid0(VALU_DEP_1) | instskip(SKIP_1) | instid1(VALU_DEP_2)
	v_pk_fma_f32 v[98:99], v[94:95], v[90:91], v[96:97] op_sel_hi:[1,0,1]
	v_pk_fma_f32 v[90:91], v[94:95], v[90:91], v[96:97] neg_lo:[0,0,1] neg_hi:[0,0,1]
	v_mov_b32_e32 v91, v99
	s_cbranch_execz .LBB42_714
	s_branch .LBB42_715
.LBB42_713:
                                        ; implicit-def: $vgpr90_vgpr91
.LBB42_714:
	ds_load_b64 v[90:91], v1
.LBB42_715:
	s_mov_b32 s2, exec_lo
	v_cmpx_ne_u32_e32 29, v0
	s_cbranch_execz .LBB42_719
; %bb.716:
	v_add_nc_u32_e32 v93, 0x168, v40
	v_add3_u32 v94, 0, v40, 8
	v_mov_b32_e32 v95, v0
	s_mov_b32 s3, 0
.LBB42_717:                             ; =>This Inner Loop Header: Depth=1
	scratch_load_b64 v[96:97], v94, off
	ds_load_b64 v[98:99], v93
	s_wait_xcnt 0x0
	v_dual_add_nc_u32 v93, 8, v93 :: v_dual_add_nc_u32 v94, 8, v94
	s_wait_loadcnt_dscnt 0x0
	v_pk_mul_f32 v[100:101], v[98:99], v[96:97] op_sel:[1,1] op_sel_hi:[0,1]
	s_delay_alu instid0(VALU_DEP_1) | instskip(SKIP_2) | instid1(VALU_DEP_3)
	v_pk_fma_f32 v[102:103], v[98:99], v[96:97], v[100:101] op_sel_hi:[1,0,1]
	v_add_nc_u32_e32 v95, 1, v95
	v_pk_fma_f32 v[96:97], v[98:99], v[96:97], v[100:101] neg_lo:[0,0,1] neg_hi:[0,0,1]
	v_mov_b32_e32 v97, v103
	s_delay_alu instid0(VALU_DEP_3) | instskip(NEXT) | instid1(VALU_DEP_2)
	v_cmp_lt_u32_e32 vcc_lo, 28, v95
	v_pk_add_f32 v[90:91], v[90:91], v[96:97]
	s_or_b32 s3, vcc_lo, s3
	s_delay_alu instid0(SALU_CYCLE_1)
	s_and_not1_b32 exec_lo, exec_lo, s3
	s_cbranch_execnz .LBB42_717
; %bb.718:
	s_or_b32 exec_lo, exec_lo, s3
.LBB42_719:
	s_delay_alu instid0(SALU_CYCLE_1) | instskip(SKIP_4) | instid1(VALU_DEP_1)
	s_or_b32 exec_lo, exec_lo, s2
	v_mov_b32_e32 v93, 0
	ds_load_b64 v[94:95], v93 offset:240
	s_wait_dscnt 0x0
	v_pk_mul_f32 v[96:97], v[90:91], v[94:95] op_sel:[1,1] op_sel_hi:[0,1]
	v_pk_fma_f32 v[98:99], v[90:91], v[94:95], v[96:97] op_sel_hi:[1,0,1]
	v_pk_fma_f32 v[90:91], v[90:91], v[94:95], v[96:97] neg_lo:[0,0,1] neg_hi:[0,0,1]
	s_delay_alu instid0(VALU_DEP_2)
	v_mov_b32_e32 v91, v99
	scratch_store_b64 off, v[90:91], off offset:240
.LBB42_720:
	s_wait_xcnt 0x0
	s_or_b32 exec_lo, exec_lo, s0
	scratch_load_b64 v[90:91], off, off offset:248
	s_mov_b32 s0, exec_lo
	s_wait_loadcnt 0x0
	ds_store_b64 v1, v[90:91]
	s_wait_storecnt_dscnt 0x0
	s_barrier_signal -1
	s_barrier_wait -1
	s_wait_xcnt 0x0
	v_cmpx_gt_u32_e32 31, v0
	s_cbranch_execz .LBB42_730
; %bb.721:
	v_cmp_ne_u32_e32 vcc_lo, 1, v92
	s_cbranch_vccnz .LBB42_723
; %bb.722:
	scratch_load_b64 v[90:91], v41, off
	ds_load_b64 v[94:95], v1
	s_wait_loadcnt_dscnt 0x0
	v_pk_mul_f32 v[96:97], v[94:95], v[90:91] op_sel:[1,1] op_sel_hi:[0,1]
	s_delay_alu instid0(VALU_DEP_1) | instskip(SKIP_1) | instid1(VALU_DEP_2)
	v_pk_fma_f32 v[98:99], v[94:95], v[90:91], v[96:97] op_sel_hi:[1,0,1]
	v_pk_fma_f32 v[90:91], v[94:95], v[90:91], v[96:97] neg_lo:[0,0,1] neg_hi:[0,0,1]
	v_mov_b32_e32 v91, v99
	s_cbranch_execz .LBB42_724
	s_branch .LBB42_725
.LBB42_723:
                                        ; implicit-def: $vgpr90_vgpr91
.LBB42_724:
	ds_load_b64 v[90:91], v1
.LBB42_725:
	s_mov_b32 s2, exec_lo
	v_cmpx_ne_u32_e32 30, v0
	s_cbranch_execz .LBB42_729
; %bb.726:
	v_add_nc_u32_e32 v93, 0x168, v40
	v_add3_u32 v94, 0, v40, 8
	v_mov_b32_e32 v95, v0
	s_mov_b32 s3, 0
.LBB42_727:                             ; =>This Inner Loop Header: Depth=1
	scratch_load_b64 v[96:97], v94, off
	ds_load_b64 v[98:99], v93
	s_wait_xcnt 0x0
	v_dual_add_nc_u32 v93, 8, v93 :: v_dual_add_nc_u32 v94, 8, v94
	s_wait_loadcnt_dscnt 0x0
	v_pk_mul_f32 v[100:101], v[98:99], v[96:97] op_sel:[1,1] op_sel_hi:[0,1]
	s_delay_alu instid0(VALU_DEP_1) | instskip(SKIP_2) | instid1(VALU_DEP_3)
	v_pk_fma_f32 v[102:103], v[98:99], v[96:97], v[100:101] op_sel_hi:[1,0,1]
	v_add_nc_u32_e32 v95, 1, v95
	v_pk_fma_f32 v[96:97], v[98:99], v[96:97], v[100:101] neg_lo:[0,0,1] neg_hi:[0,0,1]
	v_mov_b32_e32 v97, v103
	s_delay_alu instid0(VALU_DEP_3) | instskip(NEXT) | instid1(VALU_DEP_2)
	v_cmp_lt_u32_e32 vcc_lo, 29, v95
	v_pk_add_f32 v[90:91], v[90:91], v[96:97]
	s_or_b32 s3, vcc_lo, s3
	s_delay_alu instid0(SALU_CYCLE_1)
	s_and_not1_b32 exec_lo, exec_lo, s3
	s_cbranch_execnz .LBB42_727
; %bb.728:
	s_or_b32 exec_lo, exec_lo, s3
.LBB42_729:
	s_delay_alu instid0(SALU_CYCLE_1) | instskip(SKIP_4) | instid1(VALU_DEP_1)
	s_or_b32 exec_lo, exec_lo, s2
	v_mov_b32_e32 v93, 0
	ds_load_b64 v[94:95], v93 offset:248
	s_wait_dscnt 0x0
	v_pk_mul_f32 v[96:97], v[90:91], v[94:95] op_sel:[1,1] op_sel_hi:[0,1]
	v_pk_fma_f32 v[98:99], v[90:91], v[94:95], v[96:97] op_sel_hi:[1,0,1]
	v_pk_fma_f32 v[90:91], v[90:91], v[94:95], v[96:97] neg_lo:[0,0,1] neg_hi:[0,0,1]
	s_delay_alu instid0(VALU_DEP_2)
	v_mov_b32_e32 v91, v99
	scratch_store_b64 off, v[90:91], off offset:248
.LBB42_730:
	s_wait_xcnt 0x0
	s_or_b32 exec_lo, exec_lo, s0
	scratch_load_b64 v[90:91], off, off offset:256
	s_mov_b32 s0, exec_lo
	s_wait_loadcnt 0x0
	ds_store_b64 v1, v[90:91]
	s_wait_storecnt_dscnt 0x0
	s_barrier_signal -1
	s_barrier_wait -1
	s_wait_xcnt 0x0
	v_cmpx_gt_u32_e32 32, v0
	s_cbranch_execz .LBB42_740
; %bb.731:
	v_cmp_ne_u32_e32 vcc_lo, 1, v92
	s_cbranch_vccnz .LBB42_733
; %bb.732:
	scratch_load_b64 v[90:91], v41, off
	ds_load_b64 v[94:95], v1
	s_wait_loadcnt_dscnt 0x0
	v_pk_mul_f32 v[96:97], v[94:95], v[90:91] op_sel:[1,1] op_sel_hi:[0,1]
	s_delay_alu instid0(VALU_DEP_1) | instskip(SKIP_1) | instid1(VALU_DEP_2)
	v_pk_fma_f32 v[98:99], v[94:95], v[90:91], v[96:97] op_sel_hi:[1,0,1]
	v_pk_fma_f32 v[90:91], v[94:95], v[90:91], v[96:97] neg_lo:[0,0,1] neg_hi:[0,0,1]
	v_mov_b32_e32 v91, v99
	s_cbranch_execz .LBB42_734
	s_branch .LBB42_735
.LBB42_733:
                                        ; implicit-def: $vgpr90_vgpr91
.LBB42_734:
	ds_load_b64 v[90:91], v1
.LBB42_735:
	s_mov_b32 s2, exec_lo
	v_cmpx_ne_u32_e32 31, v0
	s_cbranch_execz .LBB42_739
; %bb.736:
	v_add_nc_u32_e32 v93, 0x168, v40
	v_add3_u32 v94, 0, v40, 8
	v_mov_b32_e32 v95, v0
	s_mov_b32 s3, 0
.LBB42_737:                             ; =>This Inner Loop Header: Depth=1
	scratch_load_b64 v[96:97], v94, off
	ds_load_b64 v[98:99], v93
	s_wait_xcnt 0x0
	v_dual_add_nc_u32 v93, 8, v93 :: v_dual_add_nc_u32 v94, 8, v94
	s_wait_loadcnt_dscnt 0x0
	v_pk_mul_f32 v[100:101], v[98:99], v[96:97] op_sel:[1,1] op_sel_hi:[0,1]
	s_delay_alu instid0(VALU_DEP_1) | instskip(SKIP_2) | instid1(VALU_DEP_3)
	v_pk_fma_f32 v[102:103], v[98:99], v[96:97], v[100:101] op_sel_hi:[1,0,1]
	v_add_nc_u32_e32 v95, 1, v95
	v_pk_fma_f32 v[96:97], v[98:99], v[96:97], v[100:101] neg_lo:[0,0,1] neg_hi:[0,0,1]
	v_mov_b32_e32 v97, v103
	s_delay_alu instid0(VALU_DEP_3) | instskip(NEXT) | instid1(VALU_DEP_2)
	v_cmp_lt_u32_e32 vcc_lo, 30, v95
	v_pk_add_f32 v[90:91], v[90:91], v[96:97]
	s_or_b32 s3, vcc_lo, s3
	s_delay_alu instid0(SALU_CYCLE_1)
	s_and_not1_b32 exec_lo, exec_lo, s3
	s_cbranch_execnz .LBB42_737
; %bb.738:
	s_or_b32 exec_lo, exec_lo, s3
.LBB42_739:
	s_delay_alu instid0(SALU_CYCLE_1) | instskip(SKIP_4) | instid1(VALU_DEP_1)
	s_or_b32 exec_lo, exec_lo, s2
	v_mov_b32_e32 v93, 0
	ds_load_b64 v[94:95], v93 offset:256
	s_wait_dscnt 0x0
	v_pk_mul_f32 v[96:97], v[90:91], v[94:95] op_sel:[1,1] op_sel_hi:[0,1]
	v_pk_fma_f32 v[98:99], v[90:91], v[94:95], v[96:97] op_sel_hi:[1,0,1]
	v_pk_fma_f32 v[90:91], v[90:91], v[94:95], v[96:97] neg_lo:[0,0,1] neg_hi:[0,0,1]
	s_delay_alu instid0(VALU_DEP_2)
	v_mov_b32_e32 v91, v99
	scratch_store_b64 off, v[90:91], off offset:256
.LBB42_740:
	s_wait_xcnt 0x0
	s_or_b32 exec_lo, exec_lo, s0
	scratch_load_b64 v[90:91], off, off offset:264
	s_mov_b32 s0, exec_lo
	s_wait_loadcnt 0x0
	ds_store_b64 v1, v[90:91]
	s_wait_storecnt_dscnt 0x0
	s_barrier_signal -1
	s_barrier_wait -1
	s_wait_xcnt 0x0
	v_cmpx_gt_u32_e32 33, v0
	s_cbranch_execz .LBB42_750
; %bb.741:
	v_cmp_ne_u32_e32 vcc_lo, 1, v92
	s_cbranch_vccnz .LBB42_743
; %bb.742:
	scratch_load_b64 v[90:91], v41, off
	ds_load_b64 v[94:95], v1
	s_wait_loadcnt_dscnt 0x0
	v_pk_mul_f32 v[96:97], v[94:95], v[90:91] op_sel:[1,1] op_sel_hi:[0,1]
	s_delay_alu instid0(VALU_DEP_1) | instskip(SKIP_1) | instid1(VALU_DEP_2)
	v_pk_fma_f32 v[98:99], v[94:95], v[90:91], v[96:97] op_sel_hi:[1,0,1]
	v_pk_fma_f32 v[90:91], v[94:95], v[90:91], v[96:97] neg_lo:[0,0,1] neg_hi:[0,0,1]
	v_mov_b32_e32 v91, v99
	s_cbranch_execz .LBB42_744
	s_branch .LBB42_745
.LBB42_743:
                                        ; implicit-def: $vgpr90_vgpr91
.LBB42_744:
	ds_load_b64 v[90:91], v1
.LBB42_745:
	s_mov_b32 s2, exec_lo
	v_cmpx_ne_u32_e32 32, v0
	s_cbranch_execz .LBB42_749
; %bb.746:
	v_add_nc_u32_e32 v93, 0x168, v40
	v_add3_u32 v94, 0, v40, 8
	v_mov_b32_e32 v95, v0
	s_mov_b32 s3, 0
.LBB42_747:                             ; =>This Inner Loop Header: Depth=1
	scratch_load_b64 v[96:97], v94, off
	ds_load_b64 v[98:99], v93
	s_wait_xcnt 0x0
	v_dual_add_nc_u32 v93, 8, v93 :: v_dual_add_nc_u32 v94, 8, v94
	s_wait_loadcnt_dscnt 0x0
	v_pk_mul_f32 v[100:101], v[98:99], v[96:97] op_sel:[1,1] op_sel_hi:[0,1]
	s_delay_alu instid0(VALU_DEP_1) | instskip(SKIP_2) | instid1(VALU_DEP_3)
	v_pk_fma_f32 v[102:103], v[98:99], v[96:97], v[100:101] op_sel_hi:[1,0,1]
	v_add_nc_u32_e32 v95, 1, v95
	v_pk_fma_f32 v[96:97], v[98:99], v[96:97], v[100:101] neg_lo:[0,0,1] neg_hi:[0,0,1]
	v_mov_b32_e32 v97, v103
	s_delay_alu instid0(VALU_DEP_3) | instskip(NEXT) | instid1(VALU_DEP_2)
	v_cmp_lt_u32_e32 vcc_lo, 31, v95
	v_pk_add_f32 v[90:91], v[90:91], v[96:97]
	s_or_b32 s3, vcc_lo, s3
	s_delay_alu instid0(SALU_CYCLE_1)
	s_and_not1_b32 exec_lo, exec_lo, s3
	s_cbranch_execnz .LBB42_747
; %bb.748:
	s_or_b32 exec_lo, exec_lo, s3
.LBB42_749:
	s_delay_alu instid0(SALU_CYCLE_1) | instskip(SKIP_4) | instid1(VALU_DEP_1)
	s_or_b32 exec_lo, exec_lo, s2
	v_mov_b32_e32 v93, 0
	ds_load_b64 v[94:95], v93 offset:264
	s_wait_dscnt 0x0
	v_pk_mul_f32 v[96:97], v[90:91], v[94:95] op_sel:[1,1] op_sel_hi:[0,1]
	v_pk_fma_f32 v[98:99], v[90:91], v[94:95], v[96:97] op_sel_hi:[1,0,1]
	v_pk_fma_f32 v[90:91], v[90:91], v[94:95], v[96:97] neg_lo:[0,0,1] neg_hi:[0,0,1]
	s_delay_alu instid0(VALU_DEP_2)
	v_mov_b32_e32 v91, v99
	scratch_store_b64 off, v[90:91], off offset:264
.LBB42_750:
	s_wait_xcnt 0x0
	s_or_b32 exec_lo, exec_lo, s0
	scratch_load_b64 v[90:91], off, off offset:272
	s_mov_b32 s0, exec_lo
	s_wait_loadcnt 0x0
	ds_store_b64 v1, v[90:91]
	s_wait_storecnt_dscnt 0x0
	s_barrier_signal -1
	s_barrier_wait -1
	s_wait_xcnt 0x0
	v_cmpx_gt_u32_e32 34, v0
	s_cbranch_execz .LBB42_760
; %bb.751:
	v_cmp_ne_u32_e32 vcc_lo, 1, v92
	s_cbranch_vccnz .LBB42_753
; %bb.752:
	scratch_load_b64 v[90:91], v41, off
	ds_load_b64 v[94:95], v1
	s_wait_loadcnt_dscnt 0x0
	v_pk_mul_f32 v[96:97], v[94:95], v[90:91] op_sel:[1,1] op_sel_hi:[0,1]
	s_delay_alu instid0(VALU_DEP_1) | instskip(SKIP_1) | instid1(VALU_DEP_2)
	v_pk_fma_f32 v[98:99], v[94:95], v[90:91], v[96:97] op_sel_hi:[1,0,1]
	v_pk_fma_f32 v[90:91], v[94:95], v[90:91], v[96:97] neg_lo:[0,0,1] neg_hi:[0,0,1]
	v_mov_b32_e32 v91, v99
	s_cbranch_execz .LBB42_754
	s_branch .LBB42_755
.LBB42_753:
                                        ; implicit-def: $vgpr90_vgpr91
.LBB42_754:
	ds_load_b64 v[90:91], v1
.LBB42_755:
	s_mov_b32 s2, exec_lo
	v_cmpx_ne_u32_e32 33, v0
	s_cbranch_execz .LBB42_759
; %bb.756:
	v_add_nc_u32_e32 v93, 0x168, v40
	v_add3_u32 v94, 0, v40, 8
	v_mov_b32_e32 v95, v0
	s_mov_b32 s3, 0
.LBB42_757:                             ; =>This Inner Loop Header: Depth=1
	scratch_load_b64 v[96:97], v94, off
	ds_load_b64 v[98:99], v93
	s_wait_xcnt 0x0
	v_dual_add_nc_u32 v93, 8, v93 :: v_dual_add_nc_u32 v94, 8, v94
	s_wait_loadcnt_dscnt 0x0
	v_pk_mul_f32 v[100:101], v[98:99], v[96:97] op_sel:[1,1] op_sel_hi:[0,1]
	s_delay_alu instid0(VALU_DEP_1) | instskip(SKIP_2) | instid1(VALU_DEP_3)
	v_pk_fma_f32 v[102:103], v[98:99], v[96:97], v[100:101] op_sel_hi:[1,0,1]
	v_add_nc_u32_e32 v95, 1, v95
	v_pk_fma_f32 v[96:97], v[98:99], v[96:97], v[100:101] neg_lo:[0,0,1] neg_hi:[0,0,1]
	v_mov_b32_e32 v97, v103
	s_delay_alu instid0(VALU_DEP_3) | instskip(NEXT) | instid1(VALU_DEP_2)
	v_cmp_lt_u32_e32 vcc_lo, 32, v95
	v_pk_add_f32 v[90:91], v[90:91], v[96:97]
	s_or_b32 s3, vcc_lo, s3
	s_delay_alu instid0(SALU_CYCLE_1)
	s_and_not1_b32 exec_lo, exec_lo, s3
	s_cbranch_execnz .LBB42_757
; %bb.758:
	s_or_b32 exec_lo, exec_lo, s3
.LBB42_759:
	s_delay_alu instid0(SALU_CYCLE_1) | instskip(SKIP_4) | instid1(VALU_DEP_1)
	s_or_b32 exec_lo, exec_lo, s2
	v_mov_b32_e32 v93, 0
	ds_load_b64 v[94:95], v93 offset:272
	s_wait_dscnt 0x0
	v_pk_mul_f32 v[96:97], v[90:91], v[94:95] op_sel:[1,1] op_sel_hi:[0,1]
	v_pk_fma_f32 v[98:99], v[90:91], v[94:95], v[96:97] op_sel_hi:[1,0,1]
	v_pk_fma_f32 v[90:91], v[90:91], v[94:95], v[96:97] neg_lo:[0,0,1] neg_hi:[0,0,1]
	s_delay_alu instid0(VALU_DEP_2)
	v_mov_b32_e32 v91, v99
	scratch_store_b64 off, v[90:91], off offset:272
.LBB42_760:
	s_wait_xcnt 0x0
	s_or_b32 exec_lo, exec_lo, s0
	scratch_load_b64 v[90:91], off, off offset:280
	s_mov_b32 s0, exec_lo
	s_wait_loadcnt 0x0
	ds_store_b64 v1, v[90:91]
	s_wait_storecnt_dscnt 0x0
	s_barrier_signal -1
	s_barrier_wait -1
	s_wait_xcnt 0x0
	v_cmpx_gt_u32_e32 35, v0
	s_cbranch_execz .LBB42_770
; %bb.761:
	v_cmp_ne_u32_e32 vcc_lo, 1, v92
	s_cbranch_vccnz .LBB42_763
; %bb.762:
	scratch_load_b64 v[90:91], v41, off
	ds_load_b64 v[94:95], v1
	s_wait_loadcnt_dscnt 0x0
	v_pk_mul_f32 v[96:97], v[94:95], v[90:91] op_sel:[1,1] op_sel_hi:[0,1]
	s_delay_alu instid0(VALU_DEP_1) | instskip(SKIP_1) | instid1(VALU_DEP_2)
	v_pk_fma_f32 v[98:99], v[94:95], v[90:91], v[96:97] op_sel_hi:[1,0,1]
	v_pk_fma_f32 v[90:91], v[94:95], v[90:91], v[96:97] neg_lo:[0,0,1] neg_hi:[0,0,1]
	v_mov_b32_e32 v91, v99
	s_cbranch_execz .LBB42_764
	s_branch .LBB42_765
.LBB42_763:
                                        ; implicit-def: $vgpr90_vgpr91
.LBB42_764:
	ds_load_b64 v[90:91], v1
.LBB42_765:
	s_mov_b32 s2, exec_lo
	v_cmpx_ne_u32_e32 34, v0
	s_cbranch_execz .LBB42_769
; %bb.766:
	v_add_nc_u32_e32 v93, 0x168, v40
	v_add3_u32 v94, 0, v40, 8
	v_mov_b32_e32 v95, v0
	s_mov_b32 s3, 0
.LBB42_767:                             ; =>This Inner Loop Header: Depth=1
	scratch_load_b64 v[96:97], v94, off
	ds_load_b64 v[98:99], v93
	s_wait_xcnt 0x0
	v_dual_add_nc_u32 v93, 8, v93 :: v_dual_add_nc_u32 v94, 8, v94
	s_wait_loadcnt_dscnt 0x0
	v_pk_mul_f32 v[100:101], v[98:99], v[96:97] op_sel:[1,1] op_sel_hi:[0,1]
	s_delay_alu instid0(VALU_DEP_1) | instskip(SKIP_2) | instid1(VALU_DEP_3)
	v_pk_fma_f32 v[102:103], v[98:99], v[96:97], v[100:101] op_sel_hi:[1,0,1]
	v_add_nc_u32_e32 v95, 1, v95
	v_pk_fma_f32 v[96:97], v[98:99], v[96:97], v[100:101] neg_lo:[0,0,1] neg_hi:[0,0,1]
	v_mov_b32_e32 v97, v103
	s_delay_alu instid0(VALU_DEP_3) | instskip(NEXT) | instid1(VALU_DEP_2)
	v_cmp_lt_u32_e32 vcc_lo, 33, v95
	v_pk_add_f32 v[90:91], v[90:91], v[96:97]
	s_or_b32 s3, vcc_lo, s3
	s_delay_alu instid0(SALU_CYCLE_1)
	s_and_not1_b32 exec_lo, exec_lo, s3
	s_cbranch_execnz .LBB42_767
; %bb.768:
	s_or_b32 exec_lo, exec_lo, s3
.LBB42_769:
	s_delay_alu instid0(SALU_CYCLE_1) | instskip(SKIP_4) | instid1(VALU_DEP_1)
	s_or_b32 exec_lo, exec_lo, s2
	v_mov_b32_e32 v93, 0
	ds_load_b64 v[94:95], v93 offset:280
	s_wait_dscnt 0x0
	v_pk_mul_f32 v[96:97], v[90:91], v[94:95] op_sel:[1,1] op_sel_hi:[0,1]
	v_pk_fma_f32 v[98:99], v[90:91], v[94:95], v[96:97] op_sel_hi:[1,0,1]
	v_pk_fma_f32 v[90:91], v[90:91], v[94:95], v[96:97] neg_lo:[0,0,1] neg_hi:[0,0,1]
	s_delay_alu instid0(VALU_DEP_2)
	v_mov_b32_e32 v91, v99
	scratch_store_b64 off, v[90:91], off offset:280
.LBB42_770:
	s_wait_xcnt 0x0
	s_or_b32 exec_lo, exec_lo, s0
	scratch_load_b64 v[90:91], off, off offset:288
	s_mov_b32 s0, exec_lo
	s_wait_loadcnt 0x0
	ds_store_b64 v1, v[90:91]
	s_wait_storecnt_dscnt 0x0
	s_barrier_signal -1
	s_barrier_wait -1
	s_wait_xcnt 0x0
	v_cmpx_gt_u32_e32 36, v0
	s_cbranch_execz .LBB42_780
; %bb.771:
	v_cmp_ne_u32_e32 vcc_lo, 1, v92
	s_cbranch_vccnz .LBB42_773
; %bb.772:
	scratch_load_b64 v[90:91], v41, off
	ds_load_b64 v[94:95], v1
	s_wait_loadcnt_dscnt 0x0
	v_pk_mul_f32 v[96:97], v[94:95], v[90:91] op_sel:[1,1] op_sel_hi:[0,1]
	s_delay_alu instid0(VALU_DEP_1) | instskip(SKIP_1) | instid1(VALU_DEP_2)
	v_pk_fma_f32 v[98:99], v[94:95], v[90:91], v[96:97] op_sel_hi:[1,0,1]
	v_pk_fma_f32 v[90:91], v[94:95], v[90:91], v[96:97] neg_lo:[0,0,1] neg_hi:[0,0,1]
	v_mov_b32_e32 v91, v99
	s_cbranch_execz .LBB42_774
	s_branch .LBB42_775
.LBB42_773:
                                        ; implicit-def: $vgpr90_vgpr91
.LBB42_774:
	ds_load_b64 v[90:91], v1
.LBB42_775:
	s_mov_b32 s2, exec_lo
	v_cmpx_ne_u32_e32 35, v0
	s_cbranch_execz .LBB42_779
; %bb.776:
	v_add_nc_u32_e32 v93, 0x168, v40
	v_add3_u32 v94, 0, v40, 8
	v_mov_b32_e32 v95, v0
	s_mov_b32 s3, 0
.LBB42_777:                             ; =>This Inner Loop Header: Depth=1
	scratch_load_b64 v[96:97], v94, off
	ds_load_b64 v[98:99], v93
	s_wait_xcnt 0x0
	v_dual_add_nc_u32 v93, 8, v93 :: v_dual_add_nc_u32 v94, 8, v94
	s_wait_loadcnt_dscnt 0x0
	v_pk_mul_f32 v[100:101], v[98:99], v[96:97] op_sel:[1,1] op_sel_hi:[0,1]
	s_delay_alu instid0(VALU_DEP_1) | instskip(SKIP_2) | instid1(VALU_DEP_3)
	v_pk_fma_f32 v[102:103], v[98:99], v[96:97], v[100:101] op_sel_hi:[1,0,1]
	v_add_nc_u32_e32 v95, 1, v95
	v_pk_fma_f32 v[96:97], v[98:99], v[96:97], v[100:101] neg_lo:[0,0,1] neg_hi:[0,0,1]
	v_mov_b32_e32 v97, v103
	s_delay_alu instid0(VALU_DEP_3) | instskip(NEXT) | instid1(VALU_DEP_2)
	v_cmp_lt_u32_e32 vcc_lo, 34, v95
	v_pk_add_f32 v[90:91], v[90:91], v[96:97]
	s_or_b32 s3, vcc_lo, s3
	s_delay_alu instid0(SALU_CYCLE_1)
	s_and_not1_b32 exec_lo, exec_lo, s3
	s_cbranch_execnz .LBB42_777
; %bb.778:
	s_or_b32 exec_lo, exec_lo, s3
.LBB42_779:
	s_delay_alu instid0(SALU_CYCLE_1) | instskip(SKIP_4) | instid1(VALU_DEP_1)
	s_or_b32 exec_lo, exec_lo, s2
	v_mov_b32_e32 v93, 0
	ds_load_b64 v[94:95], v93 offset:288
	s_wait_dscnt 0x0
	v_pk_mul_f32 v[96:97], v[90:91], v[94:95] op_sel:[1,1] op_sel_hi:[0,1]
	v_pk_fma_f32 v[98:99], v[90:91], v[94:95], v[96:97] op_sel_hi:[1,0,1]
	v_pk_fma_f32 v[90:91], v[90:91], v[94:95], v[96:97] neg_lo:[0,0,1] neg_hi:[0,0,1]
	s_delay_alu instid0(VALU_DEP_2)
	v_mov_b32_e32 v91, v99
	scratch_store_b64 off, v[90:91], off offset:288
.LBB42_780:
	s_wait_xcnt 0x0
	s_or_b32 exec_lo, exec_lo, s0
	scratch_load_b64 v[90:91], off, off offset:296
	s_mov_b32 s0, exec_lo
	s_wait_loadcnt 0x0
	ds_store_b64 v1, v[90:91]
	s_wait_storecnt_dscnt 0x0
	s_barrier_signal -1
	s_barrier_wait -1
	s_wait_xcnt 0x0
	v_cmpx_gt_u32_e32 37, v0
	s_cbranch_execz .LBB42_790
; %bb.781:
	v_cmp_ne_u32_e32 vcc_lo, 1, v92
	s_cbranch_vccnz .LBB42_783
; %bb.782:
	scratch_load_b64 v[90:91], v41, off
	ds_load_b64 v[94:95], v1
	s_wait_loadcnt_dscnt 0x0
	v_pk_mul_f32 v[96:97], v[94:95], v[90:91] op_sel:[1,1] op_sel_hi:[0,1]
	s_delay_alu instid0(VALU_DEP_1) | instskip(SKIP_1) | instid1(VALU_DEP_2)
	v_pk_fma_f32 v[98:99], v[94:95], v[90:91], v[96:97] op_sel_hi:[1,0,1]
	v_pk_fma_f32 v[90:91], v[94:95], v[90:91], v[96:97] neg_lo:[0,0,1] neg_hi:[0,0,1]
	v_mov_b32_e32 v91, v99
	s_cbranch_execz .LBB42_784
	s_branch .LBB42_785
.LBB42_783:
                                        ; implicit-def: $vgpr90_vgpr91
.LBB42_784:
	ds_load_b64 v[90:91], v1
.LBB42_785:
	s_mov_b32 s2, exec_lo
	v_cmpx_ne_u32_e32 36, v0
	s_cbranch_execz .LBB42_789
; %bb.786:
	v_add_nc_u32_e32 v93, 0x168, v40
	v_add3_u32 v94, 0, v40, 8
	v_mov_b32_e32 v95, v0
	s_mov_b32 s3, 0
.LBB42_787:                             ; =>This Inner Loop Header: Depth=1
	scratch_load_b64 v[96:97], v94, off
	ds_load_b64 v[98:99], v93
	s_wait_xcnt 0x0
	v_dual_add_nc_u32 v93, 8, v93 :: v_dual_add_nc_u32 v94, 8, v94
	s_wait_loadcnt_dscnt 0x0
	v_pk_mul_f32 v[100:101], v[98:99], v[96:97] op_sel:[1,1] op_sel_hi:[0,1]
	s_delay_alu instid0(VALU_DEP_1) | instskip(SKIP_2) | instid1(VALU_DEP_3)
	v_pk_fma_f32 v[102:103], v[98:99], v[96:97], v[100:101] op_sel_hi:[1,0,1]
	v_add_nc_u32_e32 v95, 1, v95
	v_pk_fma_f32 v[96:97], v[98:99], v[96:97], v[100:101] neg_lo:[0,0,1] neg_hi:[0,0,1]
	v_mov_b32_e32 v97, v103
	s_delay_alu instid0(VALU_DEP_3) | instskip(NEXT) | instid1(VALU_DEP_2)
	v_cmp_lt_u32_e32 vcc_lo, 35, v95
	v_pk_add_f32 v[90:91], v[90:91], v[96:97]
	s_or_b32 s3, vcc_lo, s3
	s_delay_alu instid0(SALU_CYCLE_1)
	s_and_not1_b32 exec_lo, exec_lo, s3
	s_cbranch_execnz .LBB42_787
; %bb.788:
	s_or_b32 exec_lo, exec_lo, s3
.LBB42_789:
	s_delay_alu instid0(SALU_CYCLE_1) | instskip(SKIP_4) | instid1(VALU_DEP_1)
	s_or_b32 exec_lo, exec_lo, s2
	v_mov_b32_e32 v93, 0
	ds_load_b64 v[94:95], v93 offset:296
	s_wait_dscnt 0x0
	v_pk_mul_f32 v[96:97], v[90:91], v[94:95] op_sel:[1,1] op_sel_hi:[0,1]
	v_pk_fma_f32 v[98:99], v[90:91], v[94:95], v[96:97] op_sel_hi:[1,0,1]
	v_pk_fma_f32 v[90:91], v[90:91], v[94:95], v[96:97] neg_lo:[0,0,1] neg_hi:[0,0,1]
	s_delay_alu instid0(VALU_DEP_2)
	v_mov_b32_e32 v91, v99
	scratch_store_b64 off, v[90:91], off offset:296
.LBB42_790:
	s_wait_xcnt 0x0
	s_or_b32 exec_lo, exec_lo, s0
	scratch_load_b64 v[90:91], off, off offset:304
	s_mov_b32 s0, exec_lo
	s_wait_loadcnt 0x0
	ds_store_b64 v1, v[90:91]
	s_wait_storecnt_dscnt 0x0
	s_barrier_signal -1
	s_barrier_wait -1
	s_wait_xcnt 0x0
	v_cmpx_gt_u32_e32 38, v0
	s_cbranch_execz .LBB42_800
; %bb.791:
	v_cmp_ne_u32_e32 vcc_lo, 1, v92
	s_cbranch_vccnz .LBB42_793
; %bb.792:
	scratch_load_b64 v[90:91], v41, off
	ds_load_b64 v[94:95], v1
	s_wait_loadcnt_dscnt 0x0
	v_pk_mul_f32 v[96:97], v[94:95], v[90:91] op_sel:[1,1] op_sel_hi:[0,1]
	s_delay_alu instid0(VALU_DEP_1) | instskip(SKIP_1) | instid1(VALU_DEP_2)
	v_pk_fma_f32 v[98:99], v[94:95], v[90:91], v[96:97] op_sel_hi:[1,0,1]
	v_pk_fma_f32 v[90:91], v[94:95], v[90:91], v[96:97] neg_lo:[0,0,1] neg_hi:[0,0,1]
	v_mov_b32_e32 v91, v99
	s_cbranch_execz .LBB42_794
	s_branch .LBB42_795
.LBB42_793:
                                        ; implicit-def: $vgpr90_vgpr91
.LBB42_794:
	ds_load_b64 v[90:91], v1
.LBB42_795:
	s_mov_b32 s2, exec_lo
	v_cmpx_ne_u32_e32 37, v0
	s_cbranch_execz .LBB42_799
; %bb.796:
	v_add_nc_u32_e32 v93, 0x168, v40
	v_add3_u32 v94, 0, v40, 8
	v_mov_b32_e32 v95, v0
	s_mov_b32 s3, 0
.LBB42_797:                             ; =>This Inner Loop Header: Depth=1
	scratch_load_b64 v[96:97], v94, off
	ds_load_b64 v[98:99], v93
	s_wait_xcnt 0x0
	v_dual_add_nc_u32 v93, 8, v93 :: v_dual_add_nc_u32 v94, 8, v94
	s_wait_loadcnt_dscnt 0x0
	v_pk_mul_f32 v[100:101], v[98:99], v[96:97] op_sel:[1,1] op_sel_hi:[0,1]
	s_delay_alu instid0(VALU_DEP_1) | instskip(SKIP_2) | instid1(VALU_DEP_3)
	v_pk_fma_f32 v[102:103], v[98:99], v[96:97], v[100:101] op_sel_hi:[1,0,1]
	v_add_nc_u32_e32 v95, 1, v95
	v_pk_fma_f32 v[96:97], v[98:99], v[96:97], v[100:101] neg_lo:[0,0,1] neg_hi:[0,0,1]
	v_mov_b32_e32 v97, v103
	s_delay_alu instid0(VALU_DEP_3) | instskip(NEXT) | instid1(VALU_DEP_2)
	v_cmp_lt_u32_e32 vcc_lo, 36, v95
	v_pk_add_f32 v[90:91], v[90:91], v[96:97]
	s_or_b32 s3, vcc_lo, s3
	s_delay_alu instid0(SALU_CYCLE_1)
	s_and_not1_b32 exec_lo, exec_lo, s3
	s_cbranch_execnz .LBB42_797
; %bb.798:
	s_or_b32 exec_lo, exec_lo, s3
.LBB42_799:
	s_delay_alu instid0(SALU_CYCLE_1) | instskip(SKIP_4) | instid1(VALU_DEP_1)
	s_or_b32 exec_lo, exec_lo, s2
	v_mov_b32_e32 v93, 0
	ds_load_b64 v[94:95], v93 offset:304
	s_wait_dscnt 0x0
	v_pk_mul_f32 v[96:97], v[90:91], v[94:95] op_sel:[1,1] op_sel_hi:[0,1]
	v_pk_fma_f32 v[98:99], v[90:91], v[94:95], v[96:97] op_sel_hi:[1,0,1]
	v_pk_fma_f32 v[90:91], v[90:91], v[94:95], v[96:97] neg_lo:[0,0,1] neg_hi:[0,0,1]
	s_delay_alu instid0(VALU_DEP_2)
	v_mov_b32_e32 v91, v99
	scratch_store_b64 off, v[90:91], off offset:304
.LBB42_800:
	s_wait_xcnt 0x0
	s_or_b32 exec_lo, exec_lo, s0
	scratch_load_b64 v[90:91], off, off offset:312
	s_mov_b32 s0, exec_lo
	s_wait_loadcnt 0x0
	ds_store_b64 v1, v[90:91]
	s_wait_storecnt_dscnt 0x0
	s_barrier_signal -1
	s_barrier_wait -1
	s_wait_xcnt 0x0
	v_cmpx_gt_u32_e32 39, v0
	s_cbranch_execz .LBB42_810
; %bb.801:
	v_cmp_ne_u32_e32 vcc_lo, 1, v92
	s_cbranch_vccnz .LBB42_803
; %bb.802:
	scratch_load_b64 v[90:91], v41, off
	ds_load_b64 v[94:95], v1
	s_wait_loadcnt_dscnt 0x0
	v_pk_mul_f32 v[96:97], v[94:95], v[90:91] op_sel:[1,1] op_sel_hi:[0,1]
	s_delay_alu instid0(VALU_DEP_1) | instskip(SKIP_1) | instid1(VALU_DEP_2)
	v_pk_fma_f32 v[98:99], v[94:95], v[90:91], v[96:97] op_sel_hi:[1,0,1]
	v_pk_fma_f32 v[90:91], v[94:95], v[90:91], v[96:97] neg_lo:[0,0,1] neg_hi:[0,0,1]
	v_mov_b32_e32 v91, v99
	s_cbranch_execz .LBB42_804
	s_branch .LBB42_805
.LBB42_803:
                                        ; implicit-def: $vgpr90_vgpr91
.LBB42_804:
	ds_load_b64 v[90:91], v1
.LBB42_805:
	s_mov_b32 s2, exec_lo
	v_cmpx_ne_u32_e32 38, v0
	s_cbranch_execz .LBB42_809
; %bb.806:
	v_add_nc_u32_e32 v93, 0x168, v40
	v_add3_u32 v94, 0, v40, 8
	v_mov_b32_e32 v95, v0
	s_mov_b32 s3, 0
.LBB42_807:                             ; =>This Inner Loop Header: Depth=1
	scratch_load_b64 v[96:97], v94, off
	ds_load_b64 v[98:99], v93
	s_wait_xcnt 0x0
	v_dual_add_nc_u32 v93, 8, v93 :: v_dual_add_nc_u32 v94, 8, v94
	s_wait_loadcnt_dscnt 0x0
	v_pk_mul_f32 v[100:101], v[98:99], v[96:97] op_sel:[1,1] op_sel_hi:[0,1]
	s_delay_alu instid0(VALU_DEP_1) | instskip(SKIP_2) | instid1(VALU_DEP_3)
	v_pk_fma_f32 v[102:103], v[98:99], v[96:97], v[100:101] op_sel_hi:[1,0,1]
	v_add_nc_u32_e32 v95, 1, v95
	v_pk_fma_f32 v[96:97], v[98:99], v[96:97], v[100:101] neg_lo:[0,0,1] neg_hi:[0,0,1]
	v_mov_b32_e32 v97, v103
	s_delay_alu instid0(VALU_DEP_3) | instskip(NEXT) | instid1(VALU_DEP_2)
	v_cmp_lt_u32_e32 vcc_lo, 37, v95
	v_pk_add_f32 v[90:91], v[90:91], v[96:97]
	s_or_b32 s3, vcc_lo, s3
	s_delay_alu instid0(SALU_CYCLE_1)
	s_and_not1_b32 exec_lo, exec_lo, s3
	s_cbranch_execnz .LBB42_807
; %bb.808:
	s_or_b32 exec_lo, exec_lo, s3
.LBB42_809:
	s_delay_alu instid0(SALU_CYCLE_1) | instskip(SKIP_4) | instid1(VALU_DEP_1)
	s_or_b32 exec_lo, exec_lo, s2
	v_mov_b32_e32 v93, 0
	ds_load_b64 v[94:95], v93 offset:312
	s_wait_dscnt 0x0
	v_pk_mul_f32 v[96:97], v[90:91], v[94:95] op_sel:[1,1] op_sel_hi:[0,1]
	v_pk_fma_f32 v[98:99], v[90:91], v[94:95], v[96:97] op_sel_hi:[1,0,1]
	v_pk_fma_f32 v[90:91], v[90:91], v[94:95], v[96:97] neg_lo:[0,0,1] neg_hi:[0,0,1]
	s_delay_alu instid0(VALU_DEP_2)
	v_mov_b32_e32 v91, v99
	scratch_store_b64 off, v[90:91], off offset:312
.LBB42_810:
	s_wait_xcnt 0x0
	s_or_b32 exec_lo, exec_lo, s0
	scratch_load_b64 v[90:91], off, off offset:320
	s_mov_b32 s0, exec_lo
	s_wait_loadcnt 0x0
	ds_store_b64 v1, v[90:91]
	s_wait_storecnt_dscnt 0x0
	s_barrier_signal -1
	s_barrier_wait -1
	s_wait_xcnt 0x0
	v_cmpx_gt_u32_e32 40, v0
	s_cbranch_execz .LBB42_820
; %bb.811:
	v_cmp_ne_u32_e32 vcc_lo, 1, v92
	s_cbranch_vccnz .LBB42_813
; %bb.812:
	scratch_load_b64 v[90:91], v41, off
	ds_load_b64 v[94:95], v1
	s_wait_loadcnt_dscnt 0x0
	v_pk_mul_f32 v[96:97], v[94:95], v[90:91] op_sel:[1,1] op_sel_hi:[0,1]
	s_delay_alu instid0(VALU_DEP_1) | instskip(SKIP_1) | instid1(VALU_DEP_2)
	v_pk_fma_f32 v[98:99], v[94:95], v[90:91], v[96:97] op_sel_hi:[1,0,1]
	v_pk_fma_f32 v[90:91], v[94:95], v[90:91], v[96:97] neg_lo:[0,0,1] neg_hi:[0,0,1]
	v_mov_b32_e32 v91, v99
	s_cbranch_execz .LBB42_814
	s_branch .LBB42_815
.LBB42_813:
                                        ; implicit-def: $vgpr90_vgpr91
.LBB42_814:
	ds_load_b64 v[90:91], v1
.LBB42_815:
	s_mov_b32 s2, exec_lo
	v_cmpx_ne_u32_e32 39, v0
	s_cbranch_execz .LBB42_819
; %bb.816:
	v_add_nc_u32_e32 v93, 0x168, v40
	v_add3_u32 v94, 0, v40, 8
	v_mov_b32_e32 v95, v0
	s_mov_b32 s3, 0
.LBB42_817:                             ; =>This Inner Loop Header: Depth=1
	scratch_load_b64 v[96:97], v94, off
	ds_load_b64 v[98:99], v93
	s_wait_xcnt 0x0
	v_dual_add_nc_u32 v93, 8, v93 :: v_dual_add_nc_u32 v94, 8, v94
	s_wait_loadcnt_dscnt 0x0
	v_pk_mul_f32 v[100:101], v[98:99], v[96:97] op_sel:[1,1] op_sel_hi:[0,1]
	s_delay_alu instid0(VALU_DEP_1) | instskip(SKIP_2) | instid1(VALU_DEP_3)
	v_pk_fma_f32 v[102:103], v[98:99], v[96:97], v[100:101] op_sel_hi:[1,0,1]
	v_add_nc_u32_e32 v95, 1, v95
	v_pk_fma_f32 v[96:97], v[98:99], v[96:97], v[100:101] neg_lo:[0,0,1] neg_hi:[0,0,1]
	v_mov_b32_e32 v97, v103
	s_delay_alu instid0(VALU_DEP_3) | instskip(NEXT) | instid1(VALU_DEP_2)
	v_cmp_lt_u32_e32 vcc_lo, 38, v95
	v_pk_add_f32 v[90:91], v[90:91], v[96:97]
	s_or_b32 s3, vcc_lo, s3
	s_delay_alu instid0(SALU_CYCLE_1)
	s_and_not1_b32 exec_lo, exec_lo, s3
	s_cbranch_execnz .LBB42_817
; %bb.818:
	s_or_b32 exec_lo, exec_lo, s3
.LBB42_819:
	s_delay_alu instid0(SALU_CYCLE_1) | instskip(SKIP_4) | instid1(VALU_DEP_1)
	s_or_b32 exec_lo, exec_lo, s2
	v_mov_b32_e32 v93, 0
	ds_load_b64 v[94:95], v93 offset:320
	s_wait_dscnt 0x0
	v_pk_mul_f32 v[96:97], v[90:91], v[94:95] op_sel:[1,1] op_sel_hi:[0,1]
	v_pk_fma_f32 v[98:99], v[90:91], v[94:95], v[96:97] op_sel_hi:[1,0,1]
	v_pk_fma_f32 v[90:91], v[90:91], v[94:95], v[96:97] neg_lo:[0,0,1] neg_hi:[0,0,1]
	s_delay_alu instid0(VALU_DEP_2)
	v_mov_b32_e32 v91, v99
	scratch_store_b64 off, v[90:91], off offset:320
.LBB42_820:
	s_wait_xcnt 0x0
	s_or_b32 exec_lo, exec_lo, s0
	scratch_load_b64 v[90:91], off, off offset:328
	v_cmp_gt_u32_e64 s0, 41, v0
	s_wait_loadcnt 0x0
	ds_store_b64 v1, v[90:91]
	s_wait_storecnt_dscnt 0x0
	s_barrier_signal -1
	s_barrier_wait -1
	s_wait_xcnt 0x0
	s_and_saveexec_b32 s2, s0
	s_cbranch_execz .LBB42_830
; %bb.821:
	v_cmp_ne_u32_e32 vcc_lo, 1, v92
	s_cbranch_vccnz .LBB42_823
; %bb.822:
	scratch_load_b64 v[90:91], v41, off
	ds_load_b64 v[94:95], v1
	s_wait_loadcnt_dscnt 0x0
	v_pk_mul_f32 v[96:97], v[94:95], v[90:91] op_sel:[1,1] op_sel_hi:[0,1]
	s_delay_alu instid0(VALU_DEP_1) | instskip(SKIP_1) | instid1(VALU_DEP_2)
	v_pk_fma_f32 v[98:99], v[94:95], v[90:91], v[96:97] op_sel_hi:[1,0,1]
	v_pk_fma_f32 v[90:91], v[94:95], v[90:91], v[96:97] neg_lo:[0,0,1] neg_hi:[0,0,1]
	v_mov_b32_e32 v91, v99
	s_cbranch_execz .LBB42_824
	s_branch .LBB42_825
.LBB42_823:
                                        ; implicit-def: $vgpr90_vgpr91
.LBB42_824:
	ds_load_b64 v[90:91], v1
.LBB42_825:
	s_mov_b32 s3, exec_lo
	v_cmpx_ne_u32_e32 40, v0
	s_cbranch_execz .LBB42_829
; %bb.826:
	v_add_nc_u32_e32 v93, 0x168, v40
	v_add3_u32 v94, 0, v40, 8
	v_mov_b32_e32 v95, v0
	s_mov_b32 s4, 0
.LBB42_827:                             ; =>This Inner Loop Header: Depth=1
	scratch_load_b64 v[96:97], v94, off
	ds_load_b64 v[98:99], v93
	s_wait_xcnt 0x0
	v_dual_add_nc_u32 v93, 8, v93 :: v_dual_add_nc_u32 v94, 8, v94
	s_wait_loadcnt_dscnt 0x0
	v_pk_mul_f32 v[100:101], v[98:99], v[96:97] op_sel:[1,1] op_sel_hi:[0,1]
	s_delay_alu instid0(VALU_DEP_1) | instskip(SKIP_2) | instid1(VALU_DEP_3)
	v_pk_fma_f32 v[102:103], v[98:99], v[96:97], v[100:101] op_sel_hi:[1,0,1]
	v_add_nc_u32_e32 v95, 1, v95
	v_pk_fma_f32 v[96:97], v[98:99], v[96:97], v[100:101] neg_lo:[0,0,1] neg_hi:[0,0,1]
	v_mov_b32_e32 v97, v103
	s_delay_alu instid0(VALU_DEP_3) | instskip(NEXT) | instid1(VALU_DEP_2)
	v_cmp_lt_u32_e32 vcc_lo, 39, v95
	v_pk_add_f32 v[90:91], v[90:91], v[96:97]
	s_or_b32 s4, vcc_lo, s4
	s_delay_alu instid0(SALU_CYCLE_1)
	s_and_not1_b32 exec_lo, exec_lo, s4
	s_cbranch_execnz .LBB42_827
; %bb.828:
	s_or_b32 exec_lo, exec_lo, s4
.LBB42_829:
	s_delay_alu instid0(SALU_CYCLE_1) | instskip(SKIP_4) | instid1(VALU_DEP_1)
	s_or_b32 exec_lo, exec_lo, s3
	v_mov_b32_e32 v93, 0
	ds_load_b64 v[94:95], v93 offset:328
	s_wait_dscnt 0x0
	v_pk_mul_f32 v[96:97], v[90:91], v[94:95] op_sel:[1,1] op_sel_hi:[0,1]
	v_pk_fma_f32 v[98:99], v[90:91], v[94:95], v[96:97] op_sel_hi:[1,0,1]
	v_pk_fma_f32 v[90:91], v[90:91], v[94:95], v[96:97] neg_lo:[0,0,1] neg_hi:[0,0,1]
	s_delay_alu instid0(VALU_DEP_2)
	v_mov_b32_e32 v91, v99
	scratch_store_b64 off, v[90:91], off offset:328
.LBB42_830:
	s_wait_xcnt 0x0
	s_or_b32 exec_lo, exec_lo, s2
	scratch_load_b64 v[90:91], off, off offset:336
	s_mov_b32 s2, exec_lo
                                        ; implicit-def: $vgpr118
                                        ; implicit-def: $sgpr4
	s_wait_loadcnt 0x0
	ds_store_b64 v1, v[90:91]
	s_wait_storecnt_dscnt 0x0
	s_barrier_signal -1
	s_barrier_wait -1
	s_wait_xcnt 0x0
	v_cmpx_ne_u32_e32 42, v0
	s_cbranch_execz .LBB42_840
; %bb.831:
	v_cmp_ne_u32_e32 vcc_lo, 1, v92
	s_cbranch_vccnz .LBB42_833
; %bb.832:
	scratch_load_b64 v[92:93], v41, off
	ds_load_b64 v[94:95], v1
	s_wait_loadcnt_dscnt 0x0
	v_dual_mul_f32 v41, v95, v93 :: v_dual_mul_f32 v91, v94, v93
	s_delay_alu instid0(VALU_DEP_1)
	v_dual_fma_f32 v90, v94, v92, -v41 :: v_dual_fmac_f32 v91, v95, v92
	s_cbranch_execz .LBB42_834
	s_branch .LBB42_835
.LBB42_833:
                                        ; implicit-def: $vgpr91
.LBB42_834:
	ds_load_b64 v[90:91], v1
.LBB42_835:
	s_and_saveexec_b32 s3, s0
	s_cbranch_execz .LBB42_839
; %bb.836:
	v_add_nc_u32_e32 v1, 0x168, v40
	v_add3_u32 v40, 0, v40, 8
	s_mov_b32 s0, 0
.LBB42_837:                             ; =>This Inner Loop Header: Depth=1
	scratch_load_b64 v[92:93], v40, off
	ds_load_b64 v[94:95], v1
	v_dual_add_nc_u32 v0, 1, v0 :: v_dual_add_nc_u32 v1, 8, v1
	s_wait_xcnt 0x0
	v_add_nc_u32_e32 v40, 8, v40
	s_delay_alu instid0(VALU_DEP_2) | instskip(SKIP_3) | instid1(VALU_DEP_1)
	v_cmp_lt_u32_e32 vcc_lo, 40, v0
	s_or_b32 s0, vcc_lo, s0
	s_wait_loadcnt_dscnt 0x0
	v_dual_mul_f32 v41, v95, v93 :: v_dual_mul_f32 v93, v94, v93
	v_fmac_f32_e32 v93, v95, v92
	s_delay_alu instid0(VALU_DEP_1) | instskip(NEXT) | instid1(VALU_DEP_1)
	v_dual_fma_f32 v41, v94, v92, -v41 :: v_dual_add_f32 v91, v91, v93
	v_add_f32_e32 v90, v90, v41
	s_and_not1_b32 exec_lo, exec_lo, s0
	s_cbranch_execnz .LBB42_837
; %bb.838:
	s_or_b32 exec_lo, exec_lo, s0
.LBB42_839:
	s_delay_alu instid0(SALU_CYCLE_1)
	s_or_b32 exec_lo, exec_lo, s3
	v_mov_b32_e32 v0, 0
	s_movk_i32 s4, 0x154
	s_or_b32 s1, s1, exec_lo
	ds_load_b64 v[0:1], v0 offset:336
	s_wait_dscnt 0x0
	v_dual_mul_f32 v40, v91, v1 :: v_dual_mul_f32 v118, v90, v1
	s_delay_alu instid0(VALU_DEP_1)
	v_dual_fma_f32 v1, v90, v0, -v40 :: v_dual_fmac_f32 v118, v91, v0
	scratch_store_b32 off, v1, off offset:336
.LBB42_840:
	s_wait_xcnt 0x0
	s_or_b32 exec_lo, exec_lo, s2
.LBB42_841:
	v_lshl_add_u64 v[116:117], v[6:7], 3, s[6:7]
	v_lshl_add_u64 v[114:115], v[8:9], 3, s[6:7]
	;; [unrolled: 1-line block ×41, first 2 shown]
	s_and_saveexec_b32 s0, s1
	s_cbranch_execz .LBB42_843
; %bb.842:
	scratch_store_b32 off, v118, s4
.LBB42_843:
	s_wait_xcnt 0x0
	s_or_b32 exec_lo, exec_lo, s0
	s_clause 0x7
	scratch_load_b128 v[58:61], off, off
	scratch_load_b128 v[62:65], off, off offset:16
	scratch_load_b128 v[66:69], off, off offset:32
	;; [unrolled: 1-line block ×7, first 2 shown]
	s_wait_loadcnt 0x7
	s_clause 0x1
	global_store_b64 v[2:3], v[58:59], off
	global_store_b64 v[4:5], v[60:61], off
	s_clause 0x1
	scratch_load_b128 v[2:5], off, off offset:96
	scratch_load_b128 v[58:61], off, off offset:112
	s_wait_loadcnt 0x8
	s_clause 0x1
	global_store_b64 v[116:117], v[62:63], off
	global_store_b64 v[114:115], v[64:65], off
	scratch_load_b128 v[62:65], off, off offset:128
	s_wait_loadcnt 0x8
	s_clause 0x1
	global_store_b64 v[112:113], v[66:67], off
	global_store_b64 v[110:111], v[68:69], off
	s_wait_loadcnt 0x7
	s_clause 0x1
	global_store_b64 v[108:109], v[70:71], off
	global_store_b64 v[106:107], v[72:73], off
	s_wait_loadcnt 0x6
	s_clause 0x1
	global_store_b64 v[104:105], v[74:75], off
	global_store_b64 v[102:103], v[76:77], off
	s_wait_loadcnt 0x5
	s_clause 0x1
	global_store_b64 v[100:101], v[78:79], off
	global_store_b64 v[98:99], v[80:81], off
	s_clause 0x5
	scratch_load_b128 v[66:69], off, off offset:160
	scratch_load_b128 v[70:73], off, off offset:192
	;; [unrolled: 1-line block ×6, first 2 shown]
	s_wait_loadcnt 0x8
	s_clause 0x1
	global_store_b64 v[96:97], v[2:3], off
	global_store_b64 v[94:95], v[4:5], off
	s_wait_loadcnt 0x7
	s_clause 0x1
	global_store_b64 v[92:93], v[58:59], off
	global_store_b64 v[90:91], v[60:61], off
	s_clause 0x4
	scratch_load_b128 v[96:99], off, off offset:272
	scratch_load_b128 v[2:5], off, off offset:288
	;; [unrolled: 1-line block ×4, first 2 shown]
	scratch_load_b64 v[90:91], off, off offset:336
	s_wait_loadcnt 0xb
	s_clause 0x3
	global_store_b64 v[0:1], v[62:63], off
	global_store_b64 v[6:7], v[64:65], off
	;; [unrolled: 1-line block ×4, first 2 shown]
	s_wait_loadcnt 0xa
	s_clause 0x3
	global_store_b64 v[12:13], v[66:67], off
	global_store_b64 v[14:15], v[68:69], off
	;; [unrolled: 1-line block ×4, first 2 shown]
	s_wait_loadcnt 0x9
	s_clause 0x1
	global_store_b64 v[20:21], v[70:71], off
	global_store_b64 v[22:23], v[72:73], off
	s_wait_loadcnt 0x8
	s_clause 0x1
	global_store_b64 v[24:25], v[104:105], off
	global_store_b64 v[26:27], v[106:107], off
	;; [unrolled: 4-line block ×9, first 2 shown]
	s_wait_loadcnt 0x0
	global_store_b64 v[56:57], v[90:91], off
.LBB42_844:
	s_sendmsg sendmsg(MSG_DEALLOC_VGPRS)
	s_endpgm
	.section	.rodata,"a",@progbits
	.p2align	6, 0x0
	.amdhsa_kernel _ZN9rocsolver6v33100L18trti2_kernel_smallILi43E19rocblas_complex_numIfEPS3_EEv13rocblas_fill_17rocblas_diagonal_T1_iil
		.amdhsa_group_segment_fixed_size 696
		.amdhsa_private_segment_fixed_size 352
		.amdhsa_kernarg_size 32
		.amdhsa_user_sgpr_count 2
		.amdhsa_user_sgpr_dispatch_ptr 0
		.amdhsa_user_sgpr_queue_ptr 0
		.amdhsa_user_sgpr_kernarg_segment_ptr 1
		.amdhsa_user_sgpr_dispatch_id 0
		.amdhsa_user_sgpr_kernarg_preload_length 0
		.amdhsa_user_sgpr_kernarg_preload_offset 0
		.amdhsa_user_sgpr_private_segment_size 0
		.amdhsa_wavefront_size32 1
		.amdhsa_uses_dynamic_stack 0
		.amdhsa_enable_private_segment 1
		.amdhsa_system_sgpr_workgroup_id_x 1
		.amdhsa_system_sgpr_workgroup_id_y 0
		.amdhsa_system_sgpr_workgroup_id_z 0
		.amdhsa_system_sgpr_workgroup_info 0
		.amdhsa_system_vgpr_workitem_id 0
		.amdhsa_next_free_vgpr 128
		.amdhsa_next_free_sgpr 28
		.amdhsa_named_barrier_count 0
		.amdhsa_reserve_vcc 1
		.amdhsa_float_round_mode_32 0
		.amdhsa_float_round_mode_16_64 0
		.amdhsa_float_denorm_mode_32 3
		.amdhsa_float_denorm_mode_16_64 3
		.amdhsa_fp16_overflow 0
		.amdhsa_memory_ordered 1
		.amdhsa_forward_progress 1
		.amdhsa_inst_pref_size 255
		.amdhsa_round_robin_scheduling 0
		.amdhsa_exception_fp_ieee_invalid_op 0
		.amdhsa_exception_fp_denorm_src 0
		.amdhsa_exception_fp_ieee_div_zero 0
		.amdhsa_exception_fp_ieee_overflow 0
		.amdhsa_exception_fp_ieee_underflow 0
		.amdhsa_exception_fp_ieee_inexact 0
		.amdhsa_exception_int_div_zero 0
	.end_amdhsa_kernel
	.section	.text._ZN9rocsolver6v33100L18trti2_kernel_smallILi43E19rocblas_complex_numIfEPS3_EEv13rocblas_fill_17rocblas_diagonal_T1_iil,"axG",@progbits,_ZN9rocsolver6v33100L18trti2_kernel_smallILi43E19rocblas_complex_numIfEPS3_EEv13rocblas_fill_17rocblas_diagonal_T1_iil,comdat
.Lfunc_end42:
	.size	_ZN9rocsolver6v33100L18trti2_kernel_smallILi43E19rocblas_complex_numIfEPS3_EEv13rocblas_fill_17rocblas_diagonal_T1_iil, .Lfunc_end42-_ZN9rocsolver6v33100L18trti2_kernel_smallILi43E19rocblas_complex_numIfEPS3_EEv13rocblas_fill_17rocblas_diagonal_T1_iil
                                        ; -- End function
	.set _ZN9rocsolver6v33100L18trti2_kernel_smallILi43E19rocblas_complex_numIfEPS3_EEv13rocblas_fill_17rocblas_diagonal_T1_iil.num_vgpr, 128
	.set _ZN9rocsolver6v33100L18trti2_kernel_smallILi43E19rocblas_complex_numIfEPS3_EEv13rocblas_fill_17rocblas_diagonal_T1_iil.num_agpr, 0
	.set _ZN9rocsolver6v33100L18trti2_kernel_smallILi43E19rocblas_complex_numIfEPS3_EEv13rocblas_fill_17rocblas_diagonal_T1_iil.numbered_sgpr, 28
	.set _ZN9rocsolver6v33100L18trti2_kernel_smallILi43E19rocblas_complex_numIfEPS3_EEv13rocblas_fill_17rocblas_diagonal_T1_iil.num_named_barrier, 0
	.set _ZN9rocsolver6v33100L18trti2_kernel_smallILi43E19rocblas_complex_numIfEPS3_EEv13rocblas_fill_17rocblas_diagonal_T1_iil.private_seg_size, 352
	.set _ZN9rocsolver6v33100L18trti2_kernel_smallILi43E19rocblas_complex_numIfEPS3_EEv13rocblas_fill_17rocblas_diagonal_T1_iil.uses_vcc, 1
	.set _ZN9rocsolver6v33100L18trti2_kernel_smallILi43E19rocblas_complex_numIfEPS3_EEv13rocblas_fill_17rocblas_diagonal_T1_iil.uses_flat_scratch, 1
	.set _ZN9rocsolver6v33100L18trti2_kernel_smallILi43E19rocblas_complex_numIfEPS3_EEv13rocblas_fill_17rocblas_diagonal_T1_iil.has_dyn_sized_stack, 0
	.set _ZN9rocsolver6v33100L18trti2_kernel_smallILi43E19rocblas_complex_numIfEPS3_EEv13rocblas_fill_17rocblas_diagonal_T1_iil.has_recursion, 0
	.set _ZN9rocsolver6v33100L18trti2_kernel_smallILi43E19rocblas_complex_numIfEPS3_EEv13rocblas_fill_17rocblas_diagonal_T1_iil.has_indirect_call, 0
	.section	.AMDGPU.csdata,"",@progbits
; Kernel info:
; codeLenInByte = 32516
; TotalNumSgprs: 30
; NumVgprs: 128
; ScratchSize: 352
; MemoryBound: 0
; FloatMode: 240
; IeeeMode: 1
; LDSByteSize: 696 bytes/workgroup (compile time only)
; SGPRBlocks: 0
; VGPRBlocks: 7
; NumSGPRsForWavesPerEU: 30
; NumVGPRsForWavesPerEU: 128
; NamedBarCnt: 0
; Occupancy: 8
; WaveLimiterHint : 0
; COMPUTE_PGM_RSRC2:SCRATCH_EN: 1
; COMPUTE_PGM_RSRC2:USER_SGPR: 2
; COMPUTE_PGM_RSRC2:TRAP_HANDLER: 0
; COMPUTE_PGM_RSRC2:TGID_X_EN: 1
; COMPUTE_PGM_RSRC2:TGID_Y_EN: 0
; COMPUTE_PGM_RSRC2:TGID_Z_EN: 0
; COMPUTE_PGM_RSRC2:TIDIG_COMP_CNT: 0
	.section	.text._ZN9rocsolver6v33100L18trti2_kernel_smallILi44E19rocblas_complex_numIfEPS3_EEv13rocblas_fill_17rocblas_diagonal_T1_iil,"axG",@progbits,_ZN9rocsolver6v33100L18trti2_kernel_smallILi44E19rocblas_complex_numIfEPS3_EEv13rocblas_fill_17rocblas_diagonal_T1_iil,comdat
	.globl	_ZN9rocsolver6v33100L18trti2_kernel_smallILi44E19rocblas_complex_numIfEPS3_EEv13rocblas_fill_17rocblas_diagonal_T1_iil ; -- Begin function _ZN9rocsolver6v33100L18trti2_kernel_smallILi44E19rocblas_complex_numIfEPS3_EEv13rocblas_fill_17rocblas_diagonal_T1_iil
	.p2align	8
	.type	_ZN9rocsolver6v33100L18trti2_kernel_smallILi44E19rocblas_complex_numIfEPS3_EEv13rocblas_fill_17rocblas_diagonal_T1_iil,@function
_ZN9rocsolver6v33100L18trti2_kernel_smallILi44E19rocblas_complex_numIfEPS3_EEv13rocblas_fill_17rocblas_diagonal_T1_iil: ; @_ZN9rocsolver6v33100L18trti2_kernel_smallILi44E19rocblas_complex_numIfEPS3_EEv13rocblas_fill_17rocblas_diagonal_T1_iil
; %bb.0:
	s_mov_b32 s2, exec_lo
	v_cmpx_gt_u32_e32 44, v0
	s_cbranch_execz .LBB43_864
; %bb.1:
	s_load_b256 s[4:11], s[0:1], 0x0
	s_wait_xcnt 0x0
	s_bfe_u32 s0, ttmp6, 0x4000c
	s_and_b32 s1, ttmp6, 15
	s_add_co_i32 s0, s0, 1
	s_getreg_b32 s2, hwreg(HW_REG_IB_STS2, 6, 4)
	s_mul_i32 s0, ttmp9, s0
	v_lshlrev_b32_e32 v46, 3, v0
	s_add_co_i32 s0, s1, s0
	v_mov_b32_e32 v47, 0
	s_wait_kmcnt 0x0
	v_add3_u32 v2, s9, s9, v0
	s_ashr_i32 s1, s8, 31
	s_cmp_eq_u32 s2, 0
	s_cselect_b32 s2, ttmp9, s0
	s_delay_alu instid0(VALU_DEP_1)
	v_add_nc_u32_e32 v4, s9, v2
	s_ashr_i32 s3, s2, 31
	s_mov_b32 s0, s8
	s_mul_u64 s[2:3], s[10:11], s[2:3]
	s_lshl_b64 s[0:1], s[0:1], 3
	v_add_nc_u32_e32 v10, s9, v4
	s_lshl_b64 s[2:3], s[2:3], 3
	s_delay_alu instid0(SALU_CYCLE_1) | instskip(NEXT) | instid1(VALU_DEP_1)
	s_add_nc_u64 s[2:3], s[6:7], s[2:3]
	v_add_nc_u32_e32 v12, s9, v10
	s_add_nc_u64 s[6:7], s[2:3], s[0:1]
	s_mov_b32 s0, s9
	s_ashr_i32 s1, s9, 31
	s_cmp_lg_u32 s5, 0x84
	v_add_nc_u32_e32 v14, s9, v12
	s_cselect_b32 s3, -1, 0
	v_add_nc_u64_e32 v[6:7], s[6:7], v[46:47]
	s_and_b32 vcc_lo, exec_lo, s3
	s_delay_alu instid0(VALU_DEP_2) | instskip(NEXT) | instid1(VALU_DEP_2)
	v_add_nc_u32_e32 v16, s9, v14
	v_lshl_add_u64 v[8:9], s[0:1], 3, v[6:7]
	s_delay_alu instid0(VALU_DEP_2)
	v_add_nc_u32_e32 v18, s9, v16
	s_mov_b32 s0, -1
	s_clause 0x7
	global_load_b64 v[64:65], v10, s[6:7] scale_offset
	global_load_b64 v[66:67], v12, s[6:7] scale_offset
	;; [unrolled: 1-line block ×3, first 2 shown]
	global_load_b64 v[70:71], v[8:9], off
	global_load_b64 v[72:73], v2, s[6:7] scale_offset
	global_load_b64 v[74:75], v4, s[6:7] scale_offset
	;; [unrolled: 1-line block ×4, first 2 shown]
	v_add_nc_u32_e32 v20, s9, v18
	s_delay_alu instid0(VALU_DEP_1) | instskip(NEXT) | instid1(VALU_DEP_1)
	v_add_nc_u32_e32 v22, s9, v20
	v_add_nc_u32_e32 v24, s9, v22
	s_delay_alu instid0(VALU_DEP_1) | instskip(NEXT) | instid1(VALU_DEP_1)
	v_add_nc_u32_e32 v26, s9, v24
	v_add_nc_u32_e32 v28, s9, v26
	s_delay_alu instid0(VALU_DEP_1)
	v_add_nc_u32_e32 v30, s9, v28
	s_clause 0x3
	global_load_b64 v[80:81], v18, s[6:7] scale_offset
	global_load_b64 v[82:83], v20, s[6:7] scale_offset
	;; [unrolled: 1-line block ×4, first 2 shown]
	v_add_nc_u32_e32 v32, s9, v30
	s_delay_alu instid0(VALU_DEP_1)
	v_add_nc_u32_e32 v34, s9, v32
	s_clause 0x3
	global_load_b64 v[88:89], v26, s[6:7] scale_offset
	global_load_b64 v[90:91], v28, s[6:7] scale_offset
	;; [unrolled: 1-line block ×4, first 2 shown]
	v_add_nc_u32_e32 v36, s9, v34
	s_delay_alu instid0(VALU_DEP_1) | instskip(NEXT) | instid1(VALU_DEP_1)
	v_add_nc_u32_e32 v38, s9, v36
	v_add_nc_u32_e32 v40, s9, v38
	s_delay_alu instid0(VALU_DEP_1) | instskip(NEXT) | instid1(VALU_DEP_1)
	v_add_nc_u32_e32 v42, s9, v40
	v_add_nc_u32_e32 v44, s9, v42
	s_delay_alu instid0(VALU_DEP_1)
	v_add_nc_u32_e32 v48, s9, v44
	s_clause 0x5
	global_load_b64 v[96:97], v34, s[6:7] scale_offset
	global_load_b64 v[98:99], v36, s[6:7] scale_offset
	;; [unrolled: 1-line block ×6, first 2 shown]
	v_add_nc_u32_e32 v50, s9, v48
	s_delay_alu instid0(VALU_DEP_1) | instskip(NEXT) | instid1(VALU_DEP_1)
	v_add_nc_u32_e32 v52, s9, v50
	v_add_nc_u32_e32 v54, s9, v52
	s_delay_alu instid0(VALU_DEP_1) | instskip(NEXT) | instid1(VALU_DEP_1)
	v_add_nc_u32_e32 v56, s9, v54
	;; [unrolled: 3-line block ×3, first 2 shown]
	v_add_nc_u32_e32 v62, s9, v60
	s_wait_loadcnt 0x14
	scratch_store_b128 off, v[64:67], off offset:32
	s_wait_xcnt 0x0
	v_add_nc_u32_e32 v64, s9, v62
	s_wait_loadcnt 0x12
	scratch_store_b128 off, v[68:71], off
	s_clause 0x1
	global_load_b64 v[108:109], v48, s[6:7] scale_offset
	global_load_b64 v[110:111], v50, s[6:7] scale_offset
	s_wait_loadcnt 0x12
	scratch_store_b128 off, v[72:75], off offset:16
	s_wait_loadcnt 0x10
	scratch_store_b128 off, v[76:79], off offset:48
	s_clause 0x1
	global_load_b64 v[112:113], v52, s[6:7] scale_offset
	global_load_b64 v[114:115], v54, s[6:7] scale_offset
	v_add_nc_u32_e32 v66, s9, v64
	s_wait_xcnt 0x6
	s_delay_alu instid0(VALU_DEP_1) | instskip(NEXT) | instid1(VALU_DEP_1)
	v_add_nc_u32_e32 v68, s9, v66
	v_add_nc_u32_e32 v70, s9, v68
	s_wait_xcnt 0x3
	s_delay_alu instid0(VALU_DEP_1) | instskip(NEXT) | instid1(VALU_DEP_1)
	v_add_nc_u32_e32 v72, s9, v70
	v_add_nc_u32_e32 v74, s9, v72
	s_wait_loadcnt 0x10
	scratch_store_b128 off, v[80:83], off offset:64
	s_clause 0x1
	global_load_b64 v[116:117], v56, s[6:7] scale_offset
	global_load_b64 v[118:119], v58, s[6:7] scale_offset
	s_wait_loadcnt 0x10
	scratch_store_b128 off, v[84:87], off offset:80
	s_wait_loadcnt 0xe
	scratch_store_b128 off, v[88:91], off offset:96
	;; [unrolled: 2-line block ×3, first 2 shown]
	s_clause 0x3
	global_load_b64 v[90:91], v60, s[6:7] scale_offset
	global_load_b64 v[92:93], v62, s[6:7] scale_offset
	;; [unrolled: 1-line block ×4, first 2 shown]
	v_add_nc_u32_e32 v76, s9, v74
	s_wait_loadcnt 0xe
	scratch_store_b128 off, v[96:99], off offset:128
	s_wait_loadcnt 0xc
	scratch_store_b128 off, v[100:103], off offset:144
	v_add_nc_u32_e32 v78, s9, v76
	s_delay_alu instid0(VALU_DEP_1)
	v_add_nc_u32_e32 v80, s9, v78
	s_clause 0x3
	global_load_b64 v[94:95], v68, s[6:7] scale_offset
	global_load_b64 v[96:97], v70, s[6:7] scale_offset
	;; [unrolled: 1-line block ×4, first 2 shown]
	s_wait_loadcnt 0xe
	scratch_store_b128 off, v[104:107], off offset:160
	v_add_nc_u32_e32 v82, s9, v80
	s_delay_alu instid0(VALU_DEP_1) | instskip(NEXT) | instid1(VALU_DEP_1)
	v_add_nc_u32_e32 v84, s9, v82
	v_add_nc_u32_e32 v86, s9, v84
	s_delay_alu instid0(VALU_DEP_1)
	v_add_nc_u32_e32 v88, s9, v86
	s_wait_loadcnt 0xc
	scratch_store_b128 off, v[108:111], off offset:176
	s_wait_loadcnt 0xa
	scratch_store_b128 off, v[112:115], off offset:192
	;; [unrolled: 2-line block ×5, first 2 shown]
	s_wait_xcnt 0x1
	v_add_nc_u32_e32 v90, s9, v88
	s_clause 0x3
	global_load_b64 v[102:103], v76, s[6:7] scale_offset
	global_load_b64 v[104:105], v78, s[6:7] scale_offset
	;; [unrolled: 1-line block ×4, first 2 shown]
	s_wait_loadcnt 0x6
	scratch_store_b128 off, v[94:97], off offset:256
	s_wait_loadcnt 0x4
	scratch_store_b128 off, v[98:101], off offset:272
	s_clause 0x3
	global_load_b64 v[92:93], v84, s[6:7] scale_offset
	global_load_b64 v[94:95], v86, s[6:7] scale_offset
	;; [unrolled: 1-line block ×4, first 2 shown]
	s_wait_loadcnt 0x6
	scratch_store_b128 off, v[102:105], off offset:288
	s_wait_loadcnt 0x4
	scratch_store_b128 off, v[106:109], off offset:304
	s_wait_loadcnt 0x2
	scratch_store_b128 off, v[92:95], off offset:320
	s_wait_loadcnt 0x0
	scratch_store_b128 off, v[96:99], off offset:336
	s_cbranch_vccz .LBB43_7
; %bb.2:
	scratch_load_b64 v[92:93], v0, off scale_offset
                                        ; implicit-def: $vgpr97
                                        ; implicit-def: $vgpr94
	s_wait_loadcnt 0x0
	v_cmp_ngt_f32_e64 s0, |v92|, |v93|
	s_wait_xcnt 0x0
	s_and_saveexec_b32 s1, s0
	s_delay_alu instid0(SALU_CYCLE_1)
	s_xor_b32 s0, exec_lo, s1
	s_cbranch_execz .LBB43_4
; %bb.3:
	v_div_scale_f32 v1, null, v93, v93, v92
	v_div_scale_f32 v11, vcc_lo, v92, v93, v92
	s_delay_alu instid0(VALU_DEP_2) | instskip(SKIP_1) | instid1(TRANS32_DEP_1)
	v_rcp_f32_e32 v3, v1
	v_nop
	v_fma_f32 v5, -v1, v3, 1.0
	s_delay_alu instid0(VALU_DEP_1) | instskip(NEXT) | instid1(VALU_DEP_1)
	v_fmac_f32_e32 v3, v5, v3
	v_mul_f32_e32 v5, v11, v3
	s_delay_alu instid0(VALU_DEP_1) | instskip(NEXT) | instid1(VALU_DEP_1)
	v_fma_f32 v13, -v1, v5, v11
	v_fmac_f32_e32 v5, v13, v3
	s_delay_alu instid0(VALU_DEP_1) | instskip(NEXT) | instid1(VALU_DEP_1)
	v_fma_f32 v1, -v1, v5, v11
	v_div_fmas_f32 v1, v1, v3, v5
	s_delay_alu instid0(VALU_DEP_1) | instskip(NEXT) | instid1(VALU_DEP_1)
	v_div_fixup_f32 v1, v1, v93, v92
	v_fmac_f32_e32 v93, v92, v1
	s_delay_alu instid0(VALU_DEP_1) | instskip(NEXT) | instid1(VALU_DEP_1)
	v_div_scale_f32 v3, null, v93, v93, -1.0
	v_rcp_f32_e32 v5, v3
	v_nop
	s_delay_alu instid0(TRANS32_DEP_1) | instskip(NEXT) | instid1(VALU_DEP_1)
	v_fma_f32 v11, -v3, v5, 1.0
	v_fmac_f32_e32 v5, v11, v5
	v_div_scale_f32 v11, vcc_lo, -1.0, v93, -1.0
	s_delay_alu instid0(VALU_DEP_1) | instskip(NEXT) | instid1(VALU_DEP_1)
	v_mul_f32_e32 v13, v11, v5
	v_fma_f32 v15, -v3, v13, v11
	s_delay_alu instid0(VALU_DEP_1) | instskip(NEXT) | instid1(VALU_DEP_1)
	v_fmac_f32_e32 v13, v15, v5
	v_fma_f32 v3, -v3, v13, v11
	s_delay_alu instid0(VALU_DEP_1) | instskip(NEXT) | instid1(VALU_DEP_1)
	v_div_fmas_f32 v3, v3, v5, v13
	v_div_fixup_f32 v97, v3, v93, -1.0
                                        ; implicit-def: $vgpr92_vgpr93
	s_delay_alu instid0(VALU_DEP_1) | instskip(NEXT) | instid1(VALU_DEP_1)
	v_mul_f32_e32 v94, v1, v97
	v_xor_b32_e32 v96, 0x80000000, v94
.LBB43_4:
	s_or_saveexec_b32 s0, s0
	v_lshl_add_u32 v1, v0, 3, 0
	s_xor_b32 exec_lo, exec_lo, s0
	s_cbranch_execz .LBB43_6
; %bb.5:
	v_div_scale_f32 v3, null, v92, v92, v93
	v_div_scale_f32 v13, vcc_lo, v93, v92, v93
	s_delay_alu instid0(VALU_DEP_2) | instskip(SKIP_1) | instid1(TRANS32_DEP_1)
	v_rcp_f32_e32 v5, v3
	v_nop
	v_fma_f32 v11, -v3, v5, 1.0
	s_delay_alu instid0(VALU_DEP_1) | instskip(NEXT) | instid1(VALU_DEP_1)
	v_fmac_f32_e32 v5, v11, v5
	v_mul_f32_e32 v11, v13, v5
	s_delay_alu instid0(VALU_DEP_1) | instskip(NEXT) | instid1(VALU_DEP_1)
	v_fma_f32 v15, -v3, v11, v13
	v_fmac_f32_e32 v11, v15, v5
	s_delay_alu instid0(VALU_DEP_1) | instskip(NEXT) | instid1(VALU_DEP_1)
	v_fma_f32 v3, -v3, v11, v13
	v_div_fmas_f32 v3, v3, v5, v11
	s_delay_alu instid0(VALU_DEP_1) | instskip(NEXT) | instid1(VALU_DEP_1)
	v_div_fixup_f32 v3, v3, v92, v93
	v_fmac_f32_e32 v92, v93, v3
	s_delay_alu instid0(VALU_DEP_1) | instskip(SKIP_1) | instid1(VALU_DEP_2)
	v_div_scale_f32 v5, null, v92, v92, 1.0
	v_div_scale_f32 v15, vcc_lo, 1.0, v92, 1.0
	v_rcp_f32_e32 v11, v5
	v_nop
	s_delay_alu instid0(TRANS32_DEP_1) | instskip(NEXT) | instid1(VALU_DEP_1)
	v_fma_f32 v13, -v5, v11, 1.0
	v_fmac_f32_e32 v11, v13, v11
	s_delay_alu instid0(VALU_DEP_1) | instskip(NEXT) | instid1(VALU_DEP_1)
	v_mul_f32_e32 v13, v15, v11
	v_fma_f32 v17, -v5, v13, v15
	s_delay_alu instid0(VALU_DEP_1) | instskip(NEXT) | instid1(VALU_DEP_1)
	v_fmac_f32_e32 v13, v17, v11
	v_fma_f32 v5, -v5, v13, v15
	s_delay_alu instid0(VALU_DEP_1) | instskip(NEXT) | instid1(VALU_DEP_1)
	v_div_fmas_f32 v5, v5, v11, v13
	v_div_fixup_f32 v96, v5, v92, 1.0
	s_delay_alu instid0(VALU_DEP_1)
	v_xor_b32_e32 v94, 0x80000000, v96
	v_mul_f32_e64 v97, v3, -v96
.LBB43_6:
	s_or_b32 exec_lo, exec_lo, s0
	s_delay_alu instid0(VALU_DEP_1)
	v_xor_b32_e32 v95, 0x80000000, v97
	s_mov_b32 s0, 0
	scratch_store_b64 v1, v[96:97], off
	ds_store_b64 v46, v[94:95]
.LBB43_7:
	s_and_b32 vcc_lo, exec_lo, s0
	s_cbranch_vccz .LBB43_9
; %bb.8:
	s_mov_b64 s[0:1], 0xbf800000
	s_wait_xcnt 0x1
	v_mov_b64_e32 v[92:93], s[0:1]
	ds_store_b64 v46, v[92:93]
.LBB43_9:
	v_dual_ashrrev_i32 v3, 31, v2 :: v_dual_ashrrev_i32 v5, 31, v4
	v_dual_ashrrev_i32 v11, 31, v10 :: v_dual_ashrrev_i32 v13, 31, v12
	;; [unrolled: 1-line block ×21, first 2 shown]
	s_wait_xcnt 0x0
	v_add_nc_u32_e32 v1, 0x160, v46
	v_mov_b32_e32 v47, v46
	s_cmp_eq_u32 s4, 0x79
	s_cbranch_scc1 .LBB43_13
; %bb.10:
	scratch_load_b64 v[92:93], off, off offset:336
	v_cmp_eq_u32_e64 s0, 43, v0
	s_movk_i32 s1, 0x50
	s_movk_i32 s10, 0x60
	;; [unrolled: 1-line block ×16, first 2 shown]
	s_wait_loadcnt 0x0
	ds_store_b64 v1, v[92:93]
	s_wait_storecnt_dscnt 0x0
	s_barrier_signal -1
	s_barrier_wait -1
	s_wait_xcnt 0x0
	s_and_saveexec_b32 s2, s0
	s_cbranch_execz .LBB43_17
; %bb.11:
	s_and_b32 vcc_lo, exec_lo, s3
	s_cbranch_vccz .LBB43_14
; %bb.12:
	scratch_load_b64 v[92:93], v47, off
	ds_load_b64 v[94:95], v1
	s_wait_loadcnt_dscnt 0x0
	v_pk_mul_f32 v[96:97], v[94:95], v[92:93] op_sel:[1,1] op_sel_hi:[0,1]
	v_pk_mul_f32 v[98:99], v[94:95], v[92:93] op_sel_hi:[1,0]
	s_delay_alu instid0(VALU_DEP_2) | instskip(NEXT) | instid1(VALU_DEP_2)
	v_pk_fma_f32 v[92:93], v[94:95], v[92:93], v[96:97] op_sel_hi:[1,0,1]
	v_sub_f32_e32 v92, v98, v96
	s_cbranch_execz .LBB43_15
	s_branch .LBB43_16
.LBB43_13:
	s_mov_b32 s1, 0
                                        ; implicit-def: $vgpr124
                                        ; implicit-def: $sgpr4
	s_cbranch_execnz .LBB43_436
	s_branch .LBB43_861
.LBB43_14:
                                        ; implicit-def: $vgpr93
.LBB43_15:
	ds_load_b64 v[92:93], v1
.LBB43_16:
	s_wait_dscnt 0x0
	v_dual_mov_b32 v94, 0 :: v_dual_mov_b32 v96, v93
	v_mov_b32_e32 v97, v92
	ds_load_b64 v[94:95], v94 offset:336
	s_wait_dscnt 0x0
	v_pk_mul_f32 v[96:97], v[96:97], v[94:95] op_sel:[0,1]
	s_delay_alu instid0(VALU_DEP_1) | instskip(SKIP_1) | instid1(VALU_DEP_2)
	v_pk_fma_f32 v[98:99], v[92:93], v[94:95], v[96:97] op_sel_hi:[1,0,1]
	v_pk_fma_f32 v[92:93], v[92:93], v[94:95], v[96:97] neg_lo:[0,0,1] neg_hi:[0,0,1]
	v_mov_b32_e32 v93, v99
	scratch_store_b64 off, v[92:93], off offset:336
.LBB43_17:
	s_wait_xcnt 0x0
	s_or_b32 exec_lo, exec_lo, s2
	scratch_load_b64 v[92:93], off, off offset:328
	s_mov_b32 s9, s1
	v_cmp_lt_u32_e64 s1, 41, v0
	s_mov_b32 s4, 16
	s_mov_b32 s5, 32
	;; [unrolled: 1-line block ×4, first 2 shown]
	s_wait_loadcnt 0x0
	ds_store_b64 v1, v[92:93]
	s_wait_storecnt_dscnt 0x0
	s_barrier_signal -1
	s_barrier_wait -1
	s_wait_xcnt 0x0
	s_and_saveexec_b32 s25, s1
	s_cbranch_execz .LBB43_25
; %bb.18:
	s_and_not1_b32 vcc_lo, exec_lo, s3
	s_cbranch_vccnz .LBB43_20
; %bb.19:
	scratch_load_b64 v[92:93], v47, off
	ds_load_b64 v[94:95], v1
	s_wait_loadcnt_dscnt 0x0
	v_pk_mul_f32 v[96:97], v[94:95], v[92:93] op_sel:[1,1] op_sel_hi:[0,1]
	s_delay_alu instid0(VALU_DEP_1) | instskip(SKIP_1) | instid1(VALU_DEP_2)
	v_pk_fma_f32 v[98:99], v[94:95], v[92:93], v[96:97] op_sel_hi:[1,0,1]
	v_pk_fma_f32 v[92:93], v[94:95], v[92:93], v[96:97] neg_lo:[0,0,1] neg_hi:[0,0,1]
	v_mov_b32_e32 v93, v99
	s_cbranch_execz .LBB43_21
	s_branch .LBB43_22
.LBB43_20:
                                        ; implicit-def: $vgpr92_vgpr93
.LBB43_21:
	ds_load_b64 v[92:93], v1
.LBB43_22:
	s_and_saveexec_b32 s26, s0
	s_cbranch_execz .LBB43_24
; %bb.23:
	scratch_load_b64 v[94:95], off, off offset:336
	v_mov_b32_e32 v96, 0
	ds_load_b64 v[96:97], v96 offset:688
	s_wait_loadcnt_dscnt 0x0
	v_pk_mul_f32 v[98:99], v[96:97], v[94:95] op_sel:[1,1] op_sel_hi:[0,1]
	s_delay_alu instid0(VALU_DEP_1) | instskip(SKIP_1) | instid1(VALU_DEP_2)
	v_pk_fma_f32 v[100:101], v[96:97], v[94:95], v[98:99] op_sel_hi:[1,0,1]
	v_pk_fma_f32 v[94:95], v[96:97], v[94:95], v[98:99] neg_lo:[0,0,1] neg_hi:[0,0,1]
	v_mov_b32_e32 v95, v101
	s_delay_alu instid0(VALU_DEP_1)
	v_pk_add_f32 v[92:93], v[92:93], v[94:95]
.LBB43_24:
	s_or_b32 exec_lo, exec_lo, s26
	v_mov_b32_e32 v94, 0
	ds_load_b64 v[94:95], v94 offset:328
	s_wait_dscnt 0x0
	v_pk_mul_f32 v[96:97], v[92:93], v[94:95] op_sel:[1,1] op_sel_hi:[0,1]
	s_delay_alu instid0(VALU_DEP_1) | instskip(SKIP_1) | instid1(VALU_DEP_2)
	v_pk_fma_f32 v[98:99], v[92:93], v[94:95], v[96:97] op_sel_hi:[1,0,1]
	v_pk_fma_f32 v[92:93], v[92:93], v[94:95], v[96:97] neg_lo:[0,0,1] neg_hi:[0,0,1]
	v_mov_b32_e32 v93, v99
	scratch_store_b64 off, v[92:93], off offset:328
.LBB43_25:
	s_wait_xcnt 0x0
	s_or_b32 exec_lo, exec_lo, s25
	scratch_load_b64 v[92:93], off, off offset:320
	v_cmp_lt_u32_e64 s0, 40, v0
	s_wait_loadcnt 0x0
	ds_store_b64 v1, v[92:93]
	s_wait_storecnt_dscnt 0x0
	s_barrier_signal -1
	s_barrier_wait -1
	s_wait_xcnt 0x0
	s_and_saveexec_b32 s25, s0
	s_cbranch_execz .LBB43_35
; %bb.26:
	s_and_not1_b32 vcc_lo, exec_lo, s3
	s_cbranch_vccnz .LBB43_28
; %bb.27:
	scratch_load_b64 v[92:93], v47, off
	ds_load_b64 v[94:95], v1
	s_wait_loadcnt_dscnt 0x0
	v_pk_mul_f32 v[96:97], v[94:95], v[92:93] op_sel:[1,1] op_sel_hi:[0,1]
	s_delay_alu instid0(VALU_DEP_1) | instskip(SKIP_1) | instid1(VALU_DEP_2)
	v_pk_fma_f32 v[98:99], v[94:95], v[92:93], v[96:97] op_sel_hi:[1,0,1]
	v_pk_fma_f32 v[92:93], v[94:95], v[92:93], v[96:97] neg_lo:[0,0,1] neg_hi:[0,0,1]
	v_mov_b32_e32 v93, v99
	s_cbranch_execz .LBB43_29
	s_branch .LBB43_30
.LBB43_28:
                                        ; implicit-def: $vgpr92_vgpr93
.LBB43_29:
	ds_load_b64 v[92:93], v1
.LBB43_30:
	s_and_saveexec_b32 s26, s1
	s_cbranch_execz .LBB43_34
; %bb.31:
	v_subrev_nc_u32_e32 v94, 41, v0
	s_movk_i32 s1, 0x148
	s_movk_i32 s28, 0x2a8
	s_mov_b32 s27, 0
.LBB43_32:                              ; =>This Inner Loop Header: Depth=1
	scratch_load_b64 v[96:97], off, s1
	v_dual_mov_b32 v95, s28 :: v_dual_add_nc_u32 v94, -1, v94
	s_add_co_i32 s28, s28, 8
	s_wait_xcnt 0x0
	s_add_co_i32 s1, s1, 8
	ds_load_b64 v[98:99], v95
	v_cmp_eq_u32_e32 vcc_lo, 0, v94
	s_or_b32 s27, vcc_lo, s27
	s_wait_loadcnt_dscnt 0x0
	v_pk_mul_f32 v[100:101], v[98:99], v[96:97] op_sel:[1,1] op_sel_hi:[0,1]
	s_delay_alu instid0(VALU_DEP_1) | instskip(SKIP_1) | instid1(VALU_DEP_2)
	v_pk_fma_f32 v[102:103], v[98:99], v[96:97], v[100:101] op_sel_hi:[1,0,1]
	v_pk_fma_f32 v[96:97], v[98:99], v[96:97], v[100:101] neg_lo:[0,0,1] neg_hi:[0,0,1]
	v_mov_b32_e32 v97, v103
	s_delay_alu instid0(VALU_DEP_1)
	v_pk_add_f32 v[92:93], v[92:93], v[96:97]
	s_and_not1_b32 exec_lo, exec_lo, s27
	s_cbranch_execnz .LBB43_32
; %bb.33:
	s_or_b32 exec_lo, exec_lo, s27
.LBB43_34:
	s_delay_alu instid0(SALU_CYCLE_1) | instskip(SKIP_4) | instid1(VALU_DEP_1)
	s_or_b32 exec_lo, exec_lo, s26
	v_mov_b32_e32 v94, 0
	ds_load_b64 v[94:95], v94 offset:320
	s_wait_dscnt 0x0
	v_pk_mul_f32 v[96:97], v[92:93], v[94:95] op_sel:[1,1] op_sel_hi:[0,1]
	v_pk_fma_f32 v[98:99], v[92:93], v[94:95], v[96:97] op_sel_hi:[1,0,1]
	v_pk_fma_f32 v[92:93], v[92:93], v[94:95], v[96:97] neg_lo:[0,0,1] neg_hi:[0,0,1]
	s_delay_alu instid0(VALU_DEP_2)
	v_mov_b32_e32 v93, v99
	scratch_store_b64 off, v[92:93], off offset:320
.LBB43_35:
	s_wait_xcnt 0x0
	s_or_b32 exec_lo, exec_lo, s25
	scratch_load_b64 v[92:93], off, off offset:312
	v_cmp_lt_u32_e64 s1, 39, v0
	s_wait_loadcnt 0x0
	ds_store_b64 v1, v[92:93]
	s_wait_storecnt_dscnt 0x0
	s_barrier_signal -1
	s_barrier_wait -1
	s_wait_xcnt 0x0
	s_and_saveexec_b32 s25, s1
	s_cbranch_execz .LBB43_45
; %bb.36:
	s_and_not1_b32 vcc_lo, exec_lo, s3
	s_cbranch_vccnz .LBB43_38
; %bb.37:
	scratch_load_b64 v[92:93], v47, off
	ds_load_b64 v[94:95], v1
	s_wait_loadcnt_dscnt 0x0
	v_pk_mul_f32 v[96:97], v[94:95], v[92:93] op_sel:[1,1] op_sel_hi:[0,1]
	s_delay_alu instid0(VALU_DEP_1) | instskip(SKIP_1) | instid1(VALU_DEP_2)
	v_pk_fma_f32 v[98:99], v[94:95], v[92:93], v[96:97] op_sel_hi:[1,0,1]
	v_pk_fma_f32 v[92:93], v[94:95], v[92:93], v[96:97] neg_lo:[0,0,1] neg_hi:[0,0,1]
	v_mov_b32_e32 v93, v99
	s_cbranch_execz .LBB43_39
	s_branch .LBB43_40
.LBB43_38:
                                        ; implicit-def: $vgpr92_vgpr93
.LBB43_39:
	ds_load_b64 v[92:93], v1
.LBB43_40:
	s_and_saveexec_b32 s26, s0
	s_cbranch_execz .LBB43_44
; %bb.41:
	v_subrev_nc_u32_e32 v94, 40, v0
	s_movk_i32 s27, 0x2a0
	s_mov_b32 s0, 0
.LBB43_42:                              ; =>This Inner Loop Header: Depth=1
	scratch_load_b64 v[96:97], off, s24
	v_dual_mov_b32 v95, s27 :: v_dual_add_nc_u32 v94, -1, v94
	s_add_co_i32 s27, s27, 8
	s_wait_xcnt 0x0
	s_add_co_i32 s24, s24, 8
	ds_load_b64 v[98:99], v95
	v_cmp_eq_u32_e32 vcc_lo, 0, v94
	s_or_b32 s0, vcc_lo, s0
	s_wait_loadcnt_dscnt 0x0
	v_pk_mul_f32 v[100:101], v[98:99], v[96:97] op_sel:[1,1] op_sel_hi:[0,1]
	s_delay_alu instid0(VALU_DEP_1) | instskip(SKIP_1) | instid1(VALU_DEP_2)
	v_pk_fma_f32 v[102:103], v[98:99], v[96:97], v[100:101] op_sel_hi:[1,0,1]
	v_pk_fma_f32 v[96:97], v[98:99], v[96:97], v[100:101] neg_lo:[0,0,1] neg_hi:[0,0,1]
	v_mov_b32_e32 v97, v103
	s_delay_alu instid0(VALU_DEP_1)
	v_pk_add_f32 v[92:93], v[92:93], v[96:97]
	s_and_not1_b32 exec_lo, exec_lo, s0
	s_cbranch_execnz .LBB43_42
; %bb.43:
	s_or_b32 exec_lo, exec_lo, s0
.LBB43_44:
	s_delay_alu instid0(SALU_CYCLE_1) | instskip(SKIP_4) | instid1(VALU_DEP_1)
	s_or_b32 exec_lo, exec_lo, s26
	v_mov_b32_e32 v94, 0
	ds_load_b64 v[94:95], v94 offset:312
	s_wait_dscnt 0x0
	v_pk_mul_f32 v[96:97], v[92:93], v[94:95] op_sel:[1,1] op_sel_hi:[0,1]
	v_pk_fma_f32 v[98:99], v[92:93], v[94:95], v[96:97] op_sel_hi:[1,0,1]
	v_pk_fma_f32 v[92:93], v[92:93], v[94:95], v[96:97] neg_lo:[0,0,1] neg_hi:[0,0,1]
	s_delay_alu instid0(VALU_DEP_2)
	v_mov_b32_e32 v93, v99
	scratch_store_b64 off, v[92:93], off offset:312
.LBB43_45:
	s_wait_xcnt 0x0
	s_or_b32 exec_lo, exec_lo, s25
	scratch_load_b64 v[92:93], off, off offset:304
	v_cmp_lt_u32_e64 s0, 38, v0
	s_wait_loadcnt 0x0
	ds_store_b64 v1, v[92:93]
	s_wait_storecnt_dscnt 0x0
	s_barrier_signal -1
	s_barrier_wait -1
	s_wait_xcnt 0x0
	s_and_saveexec_b32 s24, s0
	s_cbranch_execz .LBB43_55
; %bb.46:
	s_and_not1_b32 vcc_lo, exec_lo, s3
	s_cbranch_vccnz .LBB43_48
; %bb.47:
	scratch_load_b64 v[92:93], v47, off
	ds_load_b64 v[94:95], v1
	s_wait_loadcnt_dscnt 0x0
	v_pk_mul_f32 v[96:97], v[94:95], v[92:93] op_sel:[1,1] op_sel_hi:[0,1]
	s_delay_alu instid0(VALU_DEP_1) | instskip(SKIP_1) | instid1(VALU_DEP_2)
	v_pk_fma_f32 v[98:99], v[94:95], v[92:93], v[96:97] op_sel_hi:[1,0,1]
	v_pk_fma_f32 v[92:93], v[94:95], v[92:93], v[96:97] neg_lo:[0,0,1] neg_hi:[0,0,1]
	v_mov_b32_e32 v93, v99
	s_cbranch_execz .LBB43_49
	s_branch .LBB43_50
.LBB43_48:
                                        ; implicit-def: $vgpr92_vgpr93
.LBB43_49:
	ds_load_b64 v[92:93], v1
.LBB43_50:
	s_and_saveexec_b32 s25, s1
	s_cbranch_execz .LBB43_54
; %bb.51:
	v_subrev_nc_u32_e32 v94, 39, v0
	s_movk_i32 s1, 0x138
	s_movk_i32 s27, 0x298
	s_mov_b32 s26, 0
.LBB43_52:                              ; =>This Inner Loop Header: Depth=1
	scratch_load_b64 v[96:97], off, s1
	v_dual_mov_b32 v95, s27 :: v_dual_add_nc_u32 v94, -1, v94
	s_add_co_i32 s27, s27, 8
	s_wait_xcnt 0x0
	s_add_co_i32 s1, s1, 8
	ds_load_b64 v[98:99], v95
	v_cmp_eq_u32_e32 vcc_lo, 0, v94
	s_or_b32 s26, vcc_lo, s26
	s_wait_loadcnt_dscnt 0x0
	v_pk_mul_f32 v[100:101], v[98:99], v[96:97] op_sel:[1,1] op_sel_hi:[0,1]
	s_delay_alu instid0(VALU_DEP_1) | instskip(SKIP_1) | instid1(VALU_DEP_2)
	v_pk_fma_f32 v[102:103], v[98:99], v[96:97], v[100:101] op_sel_hi:[1,0,1]
	v_pk_fma_f32 v[96:97], v[98:99], v[96:97], v[100:101] neg_lo:[0,0,1] neg_hi:[0,0,1]
	v_mov_b32_e32 v97, v103
	s_delay_alu instid0(VALU_DEP_1)
	v_pk_add_f32 v[92:93], v[92:93], v[96:97]
	s_and_not1_b32 exec_lo, exec_lo, s26
	s_cbranch_execnz .LBB43_52
; %bb.53:
	s_or_b32 exec_lo, exec_lo, s26
.LBB43_54:
	s_delay_alu instid0(SALU_CYCLE_1) | instskip(SKIP_4) | instid1(VALU_DEP_1)
	s_or_b32 exec_lo, exec_lo, s25
	v_mov_b32_e32 v94, 0
	ds_load_b64 v[94:95], v94 offset:304
	s_wait_dscnt 0x0
	v_pk_mul_f32 v[96:97], v[92:93], v[94:95] op_sel:[1,1] op_sel_hi:[0,1]
	v_pk_fma_f32 v[98:99], v[92:93], v[94:95], v[96:97] op_sel_hi:[1,0,1]
	v_pk_fma_f32 v[92:93], v[92:93], v[94:95], v[96:97] neg_lo:[0,0,1] neg_hi:[0,0,1]
	s_delay_alu instid0(VALU_DEP_2)
	v_mov_b32_e32 v93, v99
	scratch_store_b64 off, v[92:93], off offset:304
.LBB43_55:
	s_wait_xcnt 0x0
	s_or_b32 exec_lo, exec_lo, s24
	scratch_load_b64 v[92:93], off, off offset:296
	v_cmp_lt_u32_e64 s1, 37, v0
	s_wait_loadcnt 0x0
	ds_store_b64 v1, v[92:93]
	s_wait_storecnt_dscnt 0x0
	s_barrier_signal -1
	s_barrier_wait -1
	s_wait_xcnt 0x0
	s_and_saveexec_b32 s24, s1
	s_cbranch_execz .LBB43_65
; %bb.56:
	s_and_not1_b32 vcc_lo, exec_lo, s3
	s_cbranch_vccnz .LBB43_58
; %bb.57:
	scratch_load_b64 v[92:93], v47, off
	ds_load_b64 v[94:95], v1
	s_wait_loadcnt_dscnt 0x0
	v_pk_mul_f32 v[96:97], v[94:95], v[92:93] op_sel:[1,1] op_sel_hi:[0,1]
	s_delay_alu instid0(VALU_DEP_1) | instskip(SKIP_1) | instid1(VALU_DEP_2)
	v_pk_fma_f32 v[98:99], v[94:95], v[92:93], v[96:97] op_sel_hi:[1,0,1]
	v_pk_fma_f32 v[92:93], v[94:95], v[92:93], v[96:97] neg_lo:[0,0,1] neg_hi:[0,0,1]
	v_mov_b32_e32 v93, v99
	s_cbranch_execz .LBB43_59
	s_branch .LBB43_60
.LBB43_58:
                                        ; implicit-def: $vgpr92_vgpr93
.LBB43_59:
	ds_load_b64 v[92:93], v1
.LBB43_60:
	s_and_saveexec_b32 s25, s0
	s_cbranch_execz .LBB43_64
; %bb.61:
	v_subrev_nc_u32_e32 v94, 38, v0
	s_movk_i32 s26, 0x290
	s_mov_b32 s0, 0
.LBB43_62:                              ; =>This Inner Loop Header: Depth=1
	scratch_load_b64 v[96:97], off, s23
	v_dual_mov_b32 v95, s26 :: v_dual_add_nc_u32 v94, -1, v94
	s_add_co_i32 s26, s26, 8
	s_wait_xcnt 0x0
	s_add_co_i32 s23, s23, 8
	ds_load_b64 v[98:99], v95
	v_cmp_eq_u32_e32 vcc_lo, 0, v94
	s_or_b32 s0, vcc_lo, s0
	s_wait_loadcnt_dscnt 0x0
	v_pk_mul_f32 v[100:101], v[98:99], v[96:97] op_sel:[1,1] op_sel_hi:[0,1]
	s_delay_alu instid0(VALU_DEP_1) | instskip(SKIP_1) | instid1(VALU_DEP_2)
	v_pk_fma_f32 v[102:103], v[98:99], v[96:97], v[100:101] op_sel_hi:[1,0,1]
	v_pk_fma_f32 v[96:97], v[98:99], v[96:97], v[100:101] neg_lo:[0,0,1] neg_hi:[0,0,1]
	v_mov_b32_e32 v97, v103
	s_delay_alu instid0(VALU_DEP_1)
	v_pk_add_f32 v[92:93], v[92:93], v[96:97]
	s_and_not1_b32 exec_lo, exec_lo, s0
	s_cbranch_execnz .LBB43_62
; %bb.63:
	s_or_b32 exec_lo, exec_lo, s0
.LBB43_64:
	s_delay_alu instid0(SALU_CYCLE_1) | instskip(SKIP_4) | instid1(VALU_DEP_1)
	s_or_b32 exec_lo, exec_lo, s25
	v_mov_b32_e32 v94, 0
	ds_load_b64 v[94:95], v94 offset:296
	s_wait_dscnt 0x0
	v_pk_mul_f32 v[96:97], v[92:93], v[94:95] op_sel:[1,1] op_sel_hi:[0,1]
	v_pk_fma_f32 v[98:99], v[92:93], v[94:95], v[96:97] op_sel_hi:[1,0,1]
	v_pk_fma_f32 v[92:93], v[92:93], v[94:95], v[96:97] neg_lo:[0,0,1] neg_hi:[0,0,1]
	s_delay_alu instid0(VALU_DEP_2)
	v_mov_b32_e32 v93, v99
	scratch_store_b64 off, v[92:93], off offset:296
.LBB43_65:
	s_wait_xcnt 0x0
	s_or_b32 exec_lo, exec_lo, s24
	scratch_load_b64 v[92:93], off, off offset:288
	v_cmp_lt_u32_e64 s0, 36, v0
	s_wait_loadcnt 0x0
	ds_store_b64 v1, v[92:93]
	s_wait_storecnt_dscnt 0x0
	s_barrier_signal -1
	s_barrier_wait -1
	s_wait_xcnt 0x0
	s_and_saveexec_b32 s23, s0
	s_cbranch_execz .LBB43_75
; %bb.66:
	s_and_not1_b32 vcc_lo, exec_lo, s3
	s_cbranch_vccnz .LBB43_68
; %bb.67:
	scratch_load_b64 v[92:93], v47, off
	ds_load_b64 v[94:95], v1
	s_wait_loadcnt_dscnt 0x0
	v_pk_mul_f32 v[96:97], v[94:95], v[92:93] op_sel:[1,1] op_sel_hi:[0,1]
	s_delay_alu instid0(VALU_DEP_1) | instskip(SKIP_1) | instid1(VALU_DEP_2)
	v_pk_fma_f32 v[98:99], v[94:95], v[92:93], v[96:97] op_sel_hi:[1,0,1]
	v_pk_fma_f32 v[92:93], v[94:95], v[92:93], v[96:97] neg_lo:[0,0,1] neg_hi:[0,0,1]
	v_mov_b32_e32 v93, v99
	s_cbranch_execz .LBB43_69
	s_branch .LBB43_70
.LBB43_68:
                                        ; implicit-def: $vgpr92_vgpr93
.LBB43_69:
	ds_load_b64 v[92:93], v1
.LBB43_70:
	s_and_saveexec_b32 s24, s1
	s_cbranch_execz .LBB43_74
; %bb.71:
	v_subrev_nc_u32_e32 v94, 37, v0
	s_movk_i32 s1, 0x128
	s_movk_i32 s26, 0x288
	s_mov_b32 s25, 0
.LBB43_72:                              ; =>This Inner Loop Header: Depth=1
	scratch_load_b64 v[96:97], off, s1
	v_dual_mov_b32 v95, s26 :: v_dual_add_nc_u32 v94, -1, v94
	s_add_co_i32 s26, s26, 8
	s_wait_xcnt 0x0
	s_add_co_i32 s1, s1, 8
	ds_load_b64 v[98:99], v95
	v_cmp_eq_u32_e32 vcc_lo, 0, v94
	s_or_b32 s25, vcc_lo, s25
	s_wait_loadcnt_dscnt 0x0
	v_pk_mul_f32 v[100:101], v[98:99], v[96:97] op_sel:[1,1] op_sel_hi:[0,1]
	s_delay_alu instid0(VALU_DEP_1) | instskip(SKIP_1) | instid1(VALU_DEP_2)
	v_pk_fma_f32 v[102:103], v[98:99], v[96:97], v[100:101] op_sel_hi:[1,0,1]
	v_pk_fma_f32 v[96:97], v[98:99], v[96:97], v[100:101] neg_lo:[0,0,1] neg_hi:[0,0,1]
	v_mov_b32_e32 v97, v103
	s_delay_alu instid0(VALU_DEP_1)
	v_pk_add_f32 v[92:93], v[92:93], v[96:97]
	s_and_not1_b32 exec_lo, exec_lo, s25
	s_cbranch_execnz .LBB43_72
; %bb.73:
	s_or_b32 exec_lo, exec_lo, s25
.LBB43_74:
	s_delay_alu instid0(SALU_CYCLE_1) | instskip(SKIP_4) | instid1(VALU_DEP_1)
	s_or_b32 exec_lo, exec_lo, s24
	v_mov_b32_e32 v94, 0
	ds_load_b64 v[94:95], v94 offset:288
	s_wait_dscnt 0x0
	v_pk_mul_f32 v[96:97], v[92:93], v[94:95] op_sel:[1,1] op_sel_hi:[0,1]
	v_pk_fma_f32 v[98:99], v[92:93], v[94:95], v[96:97] op_sel_hi:[1,0,1]
	v_pk_fma_f32 v[92:93], v[92:93], v[94:95], v[96:97] neg_lo:[0,0,1] neg_hi:[0,0,1]
	s_delay_alu instid0(VALU_DEP_2)
	v_mov_b32_e32 v93, v99
	scratch_store_b64 off, v[92:93], off offset:288
.LBB43_75:
	s_wait_xcnt 0x0
	s_or_b32 exec_lo, exec_lo, s23
	scratch_load_b64 v[92:93], off, off offset:280
	v_cmp_lt_u32_e64 s1, 35, v0
	s_wait_loadcnt 0x0
	ds_store_b64 v1, v[92:93]
	s_wait_storecnt_dscnt 0x0
	s_barrier_signal -1
	s_barrier_wait -1
	s_wait_xcnt 0x0
	s_and_saveexec_b32 s23, s1
	s_cbranch_execz .LBB43_85
; %bb.76:
	s_and_not1_b32 vcc_lo, exec_lo, s3
	s_cbranch_vccnz .LBB43_78
; %bb.77:
	scratch_load_b64 v[92:93], v47, off
	ds_load_b64 v[94:95], v1
	s_wait_loadcnt_dscnt 0x0
	v_pk_mul_f32 v[96:97], v[94:95], v[92:93] op_sel:[1,1] op_sel_hi:[0,1]
	s_delay_alu instid0(VALU_DEP_1) | instskip(SKIP_1) | instid1(VALU_DEP_2)
	v_pk_fma_f32 v[98:99], v[94:95], v[92:93], v[96:97] op_sel_hi:[1,0,1]
	v_pk_fma_f32 v[92:93], v[94:95], v[92:93], v[96:97] neg_lo:[0,0,1] neg_hi:[0,0,1]
	v_mov_b32_e32 v93, v99
	s_cbranch_execz .LBB43_79
	s_branch .LBB43_80
.LBB43_78:
                                        ; implicit-def: $vgpr92_vgpr93
.LBB43_79:
	ds_load_b64 v[92:93], v1
.LBB43_80:
	s_and_saveexec_b32 s24, s0
	s_cbranch_execz .LBB43_84
; %bb.81:
	v_subrev_nc_u32_e32 v94, 36, v0
	s_movk_i32 s25, 0x280
	s_mov_b32 s0, 0
.LBB43_82:                              ; =>This Inner Loop Header: Depth=1
	scratch_load_b64 v[96:97], off, s22
	v_dual_mov_b32 v95, s25 :: v_dual_add_nc_u32 v94, -1, v94
	s_add_co_i32 s25, s25, 8
	s_wait_xcnt 0x0
	s_add_co_i32 s22, s22, 8
	ds_load_b64 v[98:99], v95
	v_cmp_eq_u32_e32 vcc_lo, 0, v94
	s_or_b32 s0, vcc_lo, s0
	s_wait_loadcnt_dscnt 0x0
	v_pk_mul_f32 v[100:101], v[98:99], v[96:97] op_sel:[1,1] op_sel_hi:[0,1]
	s_delay_alu instid0(VALU_DEP_1) | instskip(SKIP_1) | instid1(VALU_DEP_2)
	v_pk_fma_f32 v[102:103], v[98:99], v[96:97], v[100:101] op_sel_hi:[1,0,1]
	v_pk_fma_f32 v[96:97], v[98:99], v[96:97], v[100:101] neg_lo:[0,0,1] neg_hi:[0,0,1]
	v_mov_b32_e32 v97, v103
	s_delay_alu instid0(VALU_DEP_1)
	v_pk_add_f32 v[92:93], v[92:93], v[96:97]
	s_and_not1_b32 exec_lo, exec_lo, s0
	s_cbranch_execnz .LBB43_82
; %bb.83:
	s_or_b32 exec_lo, exec_lo, s0
.LBB43_84:
	s_delay_alu instid0(SALU_CYCLE_1) | instskip(SKIP_4) | instid1(VALU_DEP_1)
	s_or_b32 exec_lo, exec_lo, s24
	v_mov_b32_e32 v94, 0
	ds_load_b64 v[94:95], v94 offset:280
	s_wait_dscnt 0x0
	v_pk_mul_f32 v[96:97], v[92:93], v[94:95] op_sel:[1,1] op_sel_hi:[0,1]
	v_pk_fma_f32 v[98:99], v[92:93], v[94:95], v[96:97] op_sel_hi:[1,0,1]
	v_pk_fma_f32 v[92:93], v[92:93], v[94:95], v[96:97] neg_lo:[0,0,1] neg_hi:[0,0,1]
	s_delay_alu instid0(VALU_DEP_2)
	v_mov_b32_e32 v93, v99
	scratch_store_b64 off, v[92:93], off offset:280
.LBB43_85:
	s_wait_xcnt 0x0
	s_or_b32 exec_lo, exec_lo, s23
	scratch_load_b64 v[92:93], off, off offset:272
	v_cmp_lt_u32_e64 s0, 34, v0
	s_wait_loadcnt 0x0
	ds_store_b64 v1, v[92:93]
	s_wait_storecnt_dscnt 0x0
	s_barrier_signal -1
	s_barrier_wait -1
	s_wait_xcnt 0x0
	s_and_saveexec_b32 s22, s0
	s_cbranch_execz .LBB43_95
; %bb.86:
	s_and_not1_b32 vcc_lo, exec_lo, s3
	s_cbranch_vccnz .LBB43_88
; %bb.87:
	scratch_load_b64 v[92:93], v47, off
	ds_load_b64 v[94:95], v1
	s_wait_loadcnt_dscnt 0x0
	v_pk_mul_f32 v[96:97], v[94:95], v[92:93] op_sel:[1,1] op_sel_hi:[0,1]
	s_delay_alu instid0(VALU_DEP_1) | instskip(SKIP_1) | instid1(VALU_DEP_2)
	v_pk_fma_f32 v[98:99], v[94:95], v[92:93], v[96:97] op_sel_hi:[1,0,1]
	v_pk_fma_f32 v[92:93], v[94:95], v[92:93], v[96:97] neg_lo:[0,0,1] neg_hi:[0,0,1]
	v_mov_b32_e32 v93, v99
	s_cbranch_execz .LBB43_89
	s_branch .LBB43_90
.LBB43_88:
                                        ; implicit-def: $vgpr92_vgpr93
.LBB43_89:
	ds_load_b64 v[92:93], v1
.LBB43_90:
	s_and_saveexec_b32 s23, s1
	s_cbranch_execz .LBB43_94
; %bb.91:
	v_subrev_nc_u32_e32 v94, 35, v0
	s_movk_i32 s1, 0x118
	s_movk_i32 s25, 0x278
	s_mov_b32 s24, 0
.LBB43_92:                              ; =>This Inner Loop Header: Depth=1
	scratch_load_b64 v[96:97], off, s1
	v_dual_mov_b32 v95, s25 :: v_dual_add_nc_u32 v94, -1, v94
	s_add_co_i32 s25, s25, 8
	s_wait_xcnt 0x0
	s_add_co_i32 s1, s1, 8
	ds_load_b64 v[98:99], v95
	v_cmp_eq_u32_e32 vcc_lo, 0, v94
	s_or_b32 s24, vcc_lo, s24
	s_wait_loadcnt_dscnt 0x0
	v_pk_mul_f32 v[100:101], v[98:99], v[96:97] op_sel:[1,1] op_sel_hi:[0,1]
	s_delay_alu instid0(VALU_DEP_1) | instskip(SKIP_1) | instid1(VALU_DEP_2)
	v_pk_fma_f32 v[102:103], v[98:99], v[96:97], v[100:101] op_sel_hi:[1,0,1]
	v_pk_fma_f32 v[96:97], v[98:99], v[96:97], v[100:101] neg_lo:[0,0,1] neg_hi:[0,0,1]
	v_mov_b32_e32 v97, v103
	s_delay_alu instid0(VALU_DEP_1)
	v_pk_add_f32 v[92:93], v[92:93], v[96:97]
	s_and_not1_b32 exec_lo, exec_lo, s24
	s_cbranch_execnz .LBB43_92
; %bb.93:
	s_or_b32 exec_lo, exec_lo, s24
.LBB43_94:
	s_delay_alu instid0(SALU_CYCLE_1) | instskip(SKIP_4) | instid1(VALU_DEP_1)
	s_or_b32 exec_lo, exec_lo, s23
	v_mov_b32_e32 v94, 0
	ds_load_b64 v[94:95], v94 offset:272
	s_wait_dscnt 0x0
	v_pk_mul_f32 v[96:97], v[92:93], v[94:95] op_sel:[1,1] op_sel_hi:[0,1]
	v_pk_fma_f32 v[98:99], v[92:93], v[94:95], v[96:97] op_sel_hi:[1,0,1]
	v_pk_fma_f32 v[92:93], v[92:93], v[94:95], v[96:97] neg_lo:[0,0,1] neg_hi:[0,0,1]
	s_delay_alu instid0(VALU_DEP_2)
	v_mov_b32_e32 v93, v99
	scratch_store_b64 off, v[92:93], off offset:272
.LBB43_95:
	s_wait_xcnt 0x0
	s_or_b32 exec_lo, exec_lo, s22
	scratch_load_b64 v[92:93], off, off offset:264
	v_cmp_lt_u32_e64 s1, 33, v0
	s_wait_loadcnt 0x0
	ds_store_b64 v1, v[92:93]
	s_wait_storecnt_dscnt 0x0
	s_barrier_signal -1
	s_barrier_wait -1
	s_wait_xcnt 0x0
	s_and_saveexec_b32 s22, s1
	s_cbranch_execz .LBB43_105
; %bb.96:
	s_and_not1_b32 vcc_lo, exec_lo, s3
	s_cbranch_vccnz .LBB43_98
; %bb.97:
	scratch_load_b64 v[92:93], v47, off
	ds_load_b64 v[94:95], v1
	s_wait_loadcnt_dscnt 0x0
	v_pk_mul_f32 v[96:97], v[94:95], v[92:93] op_sel:[1,1] op_sel_hi:[0,1]
	s_delay_alu instid0(VALU_DEP_1) | instskip(SKIP_1) | instid1(VALU_DEP_2)
	v_pk_fma_f32 v[98:99], v[94:95], v[92:93], v[96:97] op_sel_hi:[1,0,1]
	v_pk_fma_f32 v[92:93], v[94:95], v[92:93], v[96:97] neg_lo:[0,0,1] neg_hi:[0,0,1]
	v_mov_b32_e32 v93, v99
	s_cbranch_execz .LBB43_99
	s_branch .LBB43_100
.LBB43_98:
                                        ; implicit-def: $vgpr92_vgpr93
.LBB43_99:
	ds_load_b64 v[92:93], v1
.LBB43_100:
	s_and_saveexec_b32 s23, s0
	s_cbranch_execz .LBB43_104
; %bb.101:
	v_subrev_nc_u32_e32 v94, 34, v0
	s_movk_i32 s24, 0x270
	s_mov_b32 s0, 0
.LBB43_102:                             ; =>This Inner Loop Header: Depth=1
	scratch_load_b64 v[96:97], off, s21
	v_dual_mov_b32 v95, s24 :: v_dual_add_nc_u32 v94, -1, v94
	s_add_co_i32 s24, s24, 8
	s_wait_xcnt 0x0
	s_add_co_i32 s21, s21, 8
	ds_load_b64 v[98:99], v95
	v_cmp_eq_u32_e32 vcc_lo, 0, v94
	s_or_b32 s0, vcc_lo, s0
	s_wait_loadcnt_dscnt 0x0
	v_pk_mul_f32 v[100:101], v[98:99], v[96:97] op_sel:[1,1] op_sel_hi:[0,1]
	s_delay_alu instid0(VALU_DEP_1) | instskip(SKIP_1) | instid1(VALU_DEP_2)
	v_pk_fma_f32 v[102:103], v[98:99], v[96:97], v[100:101] op_sel_hi:[1,0,1]
	v_pk_fma_f32 v[96:97], v[98:99], v[96:97], v[100:101] neg_lo:[0,0,1] neg_hi:[0,0,1]
	v_mov_b32_e32 v97, v103
	s_delay_alu instid0(VALU_DEP_1)
	v_pk_add_f32 v[92:93], v[92:93], v[96:97]
	s_and_not1_b32 exec_lo, exec_lo, s0
	s_cbranch_execnz .LBB43_102
; %bb.103:
	s_or_b32 exec_lo, exec_lo, s0
.LBB43_104:
	s_delay_alu instid0(SALU_CYCLE_1) | instskip(SKIP_4) | instid1(VALU_DEP_1)
	s_or_b32 exec_lo, exec_lo, s23
	v_mov_b32_e32 v94, 0
	ds_load_b64 v[94:95], v94 offset:264
	s_wait_dscnt 0x0
	v_pk_mul_f32 v[96:97], v[92:93], v[94:95] op_sel:[1,1] op_sel_hi:[0,1]
	v_pk_fma_f32 v[98:99], v[92:93], v[94:95], v[96:97] op_sel_hi:[1,0,1]
	v_pk_fma_f32 v[92:93], v[92:93], v[94:95], v[96:97] neg_lo:[0,0,1] neg_hi:[0,0,1]
	s_delay_alu instid0(VALU_DEP_2)
	v_mov_b32_e32 v93, v99
	scratch_store_b64 off, v[92:93], off offset:264
.LBB43_105:
	s_wait_xcnt 0x0
	s_or_b32 exec_lo, exec_lo, s22
	scratch_load_b64 v[92:93], off, off offset:256
	v_cmp_lt_u32_e64 s0, 32, v0
	s_wait_loadcnt 0x0
	ds_store_b64 v1, v[92:93]
	s_wait_storecnt_dscnt 0x0
	s_barrier_signal -1
	s_barrier_wait -1
	s_wait_xcnt 0x0
	s_and_saveexec_b32 s21, s0
	s_cbranch_execz .LBB43_115
; %bb.106:
	s_and_not1_b32 vcc_lo, exec_lo, s3
	s_cbranch_vccnz .LBB43_108
; %bb.107:
	scratch_load_b64 v[92:93], v47, off
	ds_load_b64 v[94:95], v1
	s_wait_loadcnt_dscnt 0x0
	v_pk_mul_f32 v[96:97], v[94:95], v[92:93] op_sel:[1,1] op_sel_hi:[0,1]
	s_delay_alu instid0(VALU_DEP_1) | instskip(SKIP_1) | instid1(VALU_DEP_2)
	v_pk_fma_f32 v[98:99], v[94:95], v[92:93], v[96:97] op_sel_hi:[1,0,1]
	v_pk_fma_f32 v[92:93], v[94:95], v[92:93], v[96:97] neg_lo:[0,0,1] neg_hi:[0,0,1]
	v_mov_b32_e32 v93, v99
	s_cbranch_execz .LBB43_109
	s_branch .LBB43_110
.LBB43_108:
                                        ; implicit-def: $vgpr92_vgpr93
.LBB43_109:
	ds_load_b64 v[92:93], v1
.LBB43_110:
	s_and_saveexec_b32 s22, s1
	s_cbranch_execz .LBB43_114
; %bb.111:
	v_subrev_nc_u32_e32 v94, 33, v0
	s_movk_i32 s1, 0x108
	s_movk_i32 s24, 0x268
	s_mov_b32 s23, 0
.LBB43_112:                             ; =>This Inner Loop Header: Depth=1
	scratch_load_b64 v[96:97], off, s1
	v_dual_mov_b32 v95, s24 :: v_dual_add_nc_u32 v94, -1, v94
	s_add_co_i32 s24, s24, 8
	s_wait_xcnt 0x0
	s_add_co_i32 s1, s1, 8
	ds_load_b64 v[98:99], v95
	v_cmp_eq_u32_e32 vcc_lo, 0, v94
	s_or_b32 s23, vcc_lo, s23
	s_wait_loadcnt_dscnt 0x0
	v_pk_mul_f32 v[100:101], v[98:99], v[96:97] op_sel:[1,1] op_sel_hi:[0,1]
	s_delay_alu instid0(VALU_DEP_1) | instskip(SKIP_1) | instid1(VALU_DEP_2)
	v_pk_fma_f32 v[102:103], v[98:99], v[96:97], v[100:101] op_sel_hi:[1,0,1]
	v_pk_fma_f32 v[96:97], v[98:99], v[96:97], v[100:101] neg_lo:[0,0,1] neg_hi:[0,0,1]
	v_mov_b32_e32 v97, v103
	s_delay_alu instid0(VALU_DEP_1)
	v_pk_add_f32 v[92:93], v[92:93], v[96:97]
	s_and_not1_b32 exec_lo, exec_lo, s23
	s_cbranch_execnz .LBB43_112
; %bb.113:
	s_or_b32 exec_lo, exec_lo, s23
.LBB43_114:
	s_delay_alu instid0(SALU_CYCLE_1) | instskip(SKIP_4) | instid1(VALU_DEP_1)
	s_or_b32 exec_lo, exec_lo, s22
	v_mov_b32_e32 v94, 0
	ds_load_b64 v[94:95], v94 offset:256
	s_wait_dscnt 0x0
	v_pk_mul_f32 v[96:97], v[92:93], v[94:95] op_sel:[1,1] op_sel_hi:[0,1]
	v_pk_fma_f32 v[98:99], v[92:93], v[94:95], v[96:97] op_sel_hi:[1,0,1]
	v_pk_fma_f32 v[92:93], v[92:93], v[94:95], v[96:97] neg_lo:[0,0,1] neg_hi:[0,0,1]
	s_delay_alu instid0(VALU_DEP_2)
	v_mov_b32_e32 v93, v99
	scratch_store_b64 off, v[92:93], off offset:256
.LBB43_115:
	s_wait_xcnt 0x0
	s_or_b32 exec_lo, exec_lo, s21
	scratch_load_b64 v[92:93], off, off offset:248
	v_cmp_lt_u32_e64 s1, 31, v0
	s_wait_loadcnt 0x0
	ds_store_b64 v1, v[92:93]
	s_wait_storecnt_dscnt 0x0
	s_barrier_signal -1
	s_barrier_wait -1
	s_wait_xcnt 0x0
	s_and_saveexec_b32 s21, s1
	s_cbranch_execz .LBB43_125
; %bb.116:
	s_and_not1_b32 vcc_lo, exec_lo, s3
	s_cbranch_vccnz .LBB43_118
; %bb.117:
	scratch_load_b64 v[92:93], v47, off
	ds_load_b64 v[94:95], v1
	s_wait_loadcnt_dscnt 0x0
	v_pk_mul_f32 v[96:97], v[94:95], v[92:93] op_sel:[1,1] op_sel_hi:[0,1]
	s_delay_alu instid0(VALU_DEP_1) | instskip(SKIP_1) | instid1(VALU_DEP_2)
	v_pk_fma_f32 v[98:99], v[94:95], v[92:93], v[96:97] op_sel_hi:[1,0,1]
	v_pk_fma_f32 v[92:93], v[94:95], v[92:93], v[96:97] neg_lo:[0,0,1] neg_hi:[0,0,1]
	v_mov_b32_e32 v93, v99
	s_cbranch_execz .LBB43_119
	s_branch .LBB43_120
.LBB43_118:
                                        ; implicit-def: $vgpr92_vgpr93
.LBB43_119:
	ds_load_b64 v[92:93], v1
.LBB43_120:
	s_and_saveexec_b32 s22, s0
	s_cbranch_execz .LBB43_124
; %bb.121:
	v_subrev_nc_u32_e32 v94, 32, v0
	s_movk_i32 s23, 0x260
	s_mov_b32 s0, 0
.LBB43_122:                             ; =>This Inner Loop Header: Depth=1
	scratch_load_b64 v[96:97], off, s20
	v_dual_mov_b32 v95, s23 :: v_dual_add_nc_u32 v94, -1, v94
	s_add_co_i32 s23, s23, 8
	s_wait_xcnt 0x0
	s_add_co_i32 s20, s20, 8
	ds_load_b64 v[98:99], v95
	v_cmp_eq_u32_e32 vcc_lo, 0, v94
	s_or_b32 s0, vcc_lo, s0
	s_wait_loadcnt_dscnt 0x0
	v_pk_mul_f32 v[100:101], v[98:99], v[96:97] op_sel:[1,1] op_sel_hi:[0,1]
	s_delay_alu instid0(VALU_DEP_1) | instskip(SKIP_1) | instid1(VALU_DEP_2)
	v_pk_fma_f32 v[102:103], v[98:99], v[96:97], v[100:101] op_sel_hi:[1,0,1]
	v_pk_fma_f32 v[96:97], v[98:99], v[96:97], v[100:101] neg_lo:[0,0,1] neg_hi:[0,0,1]
	v_mov_b32_e32 v97, v103
	s_delay_alu instid0(VALU_DEP_1)
	v_pk_add_f32 v[92:93], v[92:93], v[96:97]
	s_and_not1_b32 exec_lo, exec_lo, s0
	s_cbranch_execnz .LBB43_122
; %bb.123:
	s_or_b32 exec_lo, exec_lo, s0
.LBB43_124:
	s_delay_alu instid0(SALU_CYCLE_1) | instskip(SKIP_4) | instid1(VALU_DEP_1)
	s_or_b32 exec_lo, exec_lo, s22
	v_mov_b32_e32 v94, 0
	ds_load_b64 v[94:95], v94 offset:248
	s_wait_dscnt 0x0
	v_pk_mul_f32 v[96:97], v[92:93], v[94:95] op_sel:[1,1] op_sel_hi:[0,1]
	v_pk_fma_f32 v[98:99], v[92:93], v[94:95], v[96:97] op_sel_hi:[1,0,1]
	v_pk_fma_f32 v[92:93], v[92:93], v[94:95], v[96:97] neg_lo:[0,0,1] neg_hi:[0,0,1]
	s_delay_alu instid0(VALU_DEP_2)
	v_mov_b32_e32 v93, v99
	scratch_store_b64 off, v[92:93], off offset:248
.LBB43_125:
	s_wait_xcnt 0x0
	s_or_b32 exec_lo, exec_lo, s21
	scratch_load_b64 v[92:93], off, off offset:240
	v_cmp_lt_u32_e64 s0, 30, v0
	s_wait_loadcnt 0x0
	ds_store_b64 v1, v[92:93]
	s_wait_storecnt_dscnt 0x0
	s_barrier_signal -1
	s_barrier_wait -1
	s_wait_xcnt 0x0
	s_and_saveexec_b32 s20, s0
	s_cbranch_execz .LBB43_135
; %bb.126:
	s_and_not1_b32 vcc_lo, exec_lo, s3
	s_cbranch_vccnz .LBB43_128
; %bb.127:
	scratch_load_b64 v[92:93], v47, off
	ds_load_b64 v[94:95], v1
	s_wait_loadcnt_dscnt 0x0
	v_pk_mul_f32 v[96:97], v[94:95], v[92:93] op_sel:[1,1] op_sel_hi:[0,1]
	s_delay_alu instid0(VALU_DEP_1) | instskip(SKIP_1) | instid1(VALU_DEP_2)
	v_pk_fma_f32 v[98:99], v[94:95], v[92:93], v[96:97] op_sel_hi:[1,0,1]
	v_pk_fma_f32 v[92:93], v[94:95], v[92:93], v[96:97] neg_lo:[0,0,1] neg_hi:[0,0,1]
	v_mov_b32_e32 v93, v99
	s_cbranch_execz .LBB43_129
	s_branch .LBB43_130
.LBB43_128:
                                        ; implicit-def: $vgpr92_vgpr93
.LBB43_129:
	ds_load_b64 v[92:93], v1
.LBB43_130:
	s_and_saveexec_b32 s21, s1
	s_cbranch_execz .LBB43_134
; %bb.131:
	v_subrev_nc_u32_e32 v94, 31, v0
	s_movk_i32 s1, 0xf8
	s_movk_i32 s23, 0x258
	s_mov_b32 s22, 0
.LBB43_132:                             ; =>This Inner Loop Header: Depth=1
	scratch_load_b64 v[96:97], off, s1
	v_dual_mov_b32 v95, s23 :: v_dual_add_nc_u32 v94, -1, v94
	s_add_co_i32 s23, s23, 8
	s_wait_xcnt 0x0
	s_add_co_i32 s1, s1, 8
	ds_load_b64 v[98:99], v95
	v_cmp_eq_u32_e32 vcc_lo, 0, v94
	s_or_b32 s22, vcc_lo, s22
	s_wait_loadcnt_dscnt 0x0
	v_pk_mul_f32 v[100:101], v[98:99], v[96:97] op_sel:[1,1] op_sel_hi:[0,1]
	s_delay_alu instid0(VALU_DEP_1) | instskip(SKIP_1) | instid1(VALU_DEP_2)
	v_pk_fma_f32 v[102:103], v[98:99], v[96:97], v[100:101] op_sel_hi:[1,0,1]
	v_pk_fma_f32 v[96:97], v[98:99], v[96:97], v[100:101] neg_lo:[0,0,1] neg_hi:[0,0,1]
	v_mov_b32_e32 v97, v103
	s_delay_alu instid0(VALU_DEP_1)
	v_pk_add_f32 v[92:93], v[92:93], v[96:97]
	s_and_not1_b32 exec_lo, exec_lo, s22
	s_cbranch_execnz .LBB43_132
; %bb.133:
	s_or_b32 exec_lo, exec_lo, s22
.LBB43_134:
	s_delay_alu instid0(SALU_CYCLE_1) | instskip(SKIP_4) | instid1(VALU_DEP_1)
	s_or_b32 exec_lo, exec_lo, s21
	v_mov_b32_e32 v94, 0
	ds_load_b64 v[94:95], v94 offset:240
	s_wait_dscnt 0x0
	v_pk_mul_f32 v[96:97], v[92:93], v[94:95] op_sel:[1,1] op_sel_hi:[0,1]
	v_pk_fma_f32 v[98:99], v[92:93], v[94:95], v[96:97] op_sel_hi:[1,0,1]
	v_pk_fma_f32 v[92:93], v[92:93], v[94:95], v[96:97] neg_lo:[0,0,1] neg_hi:[0,0,1]
	s_delay_alu instid0(VALU_DEP_2)
	v_mov_b32_e32 v93, v99
	scratch_store_b64 off, v[92:93], off offset:240
.LBB43_135:
	s_wait_xcnt 0x0
	s_or_b32 exec_lo, exec_lo, s20
	scratch_load_b64 v[92:93], off, off offset:232
	v_cmp_lt_u32_e64 s1, 29, v0
	s_wait_loadcnt 0x0
	ds_store_b64 v1, v[92:93]
	s_wait_storecnt_dscnt 0x0
	s_barrier_signal -1
	s_barrier_wait -1
	s_wait_xcnt 0x0
	s_and_saveexec_b32 s20, s1
	s_cbranch_execz .LBB43_145
; %bb.136:
	s_and_not1_b32 vcc_lo, exec_lo, s3
	s_cbranch_vccnz .LBB43_138
; %bb.137:
	scratch_load_b64 v[92:93], v47, off
	ds_load_b64 v[94:95], v1
	s_wait_loadcnt_dscnt 0x0
	v_pk_mul_f32 v[96:97], v[94:95], v[92:93] op_sel:[1,1] op_sel_hi:[0,1]
	s_delay_alu instid0(VALU_DEP_1) | instskip(SKIP_1) | instid1(VALU_DEP_2)
	v_pk_fma_f32 v[98:99], v[94:95], v[92:93], v[96:97] op_sel_hi:[1,0,1]
	v_pk_fma_f32 v[92:93], v[94:95], v[92:93], v[96:97] neg_lo:[0,0,1] neg_hi:[0,0,1]
	v_mov_b32_e32 v93, v99
	s_cbranch_execz .LBB43_139
	s_branch .LBB43_140
.LBB43_138:
                                        ; implicit-def: $vgpr92_vgpr93
.LBB43_139:
	ds_load_b64 v[92:93], v1
.LBB43_140:
	s_and_saveexec_b32 s21, s0
	s_cbranch_execz .LBB43_144
; %bb.141:
	v_subrev_nc_u32_e32 v94, 30, v0
	s_movk_i32 s22, 0x250
	s_mov_b32 s0, 0
.LBB43_142:                             ; =>This Inner Loop Header: Depth=1
	scratch_load_b64 v[96:97], off, s19
	v_dual_mov_b32 v95, s22 :: v_dual_add_nc_u32 v94, -1, v94
	s_add_co_i32 s22, s22, 8
	s_wait_xcnt 0x0
	s_add_co_i32 s19, s19, 8
	ds_load_b64 v[98:99], v95
	v_cmp_eq_u32_e32 vcc_lo, 0, v94
	s_or_b32 s0, vcc_lo, s0
	s_wait_loadcnt_dscnt 0x0
	v_pk_mul_f32 v[100:101], v[98:99], v[96:97] op_sel:[1,1] op_sel_hi:[0,1]
	s_delay_alu instid0(VALU_DEP_1) | instskip(SKIP_1) | instid1(VALU_DEP_2)
	v_pk_fma_f32 v[102:103], v[98:99], v[96:97], v[100:101] op_sel_hi:[1,0,1]
	v_pk_fma_f32 v[96:97], v[98:99], v[96:97], v[100:101] neg_lo:[0,0,1] neg_hi:[0,0,1]
	v_mov_b32_e32 v97, v103
	s_delay_alu instid0(VALU_DEP_1)
	v_pk_add_f32 v[92:93], v[92:93], v[96:97]
	s_and_not1_b32 exec_lo, exec_lo, s0
	s_cbranch_execnz .LBB43_142
; %bb.143:
	s_or_b32 exec_lo, exec_lo, s0
.LBB43_144:
	s_delay_alu instid0(SALU_CYCLE_1) | instskip(SKIP_4) | instid1(VALU_DEP_1)
	s_or_b32 exec_lo, exec_lo, s21
	v_mov_b32_e32 v94, 0
	ds_load_b64 v[94:95], v94 offset:232
	s_wait_dscnt 0x0
	v_pk_mul_f32 v[96:97], v[92:93], v[94:95] op_sel:[1,1] op_sel_hi:[0,1]
	v_pk_fma_f32 v[98:99], v[92:93], v[94:95], v[96:97] op_sel_hi:[1,0,1]
	v_pk_fma_f32 v[92:93], v[92:93], v[94:95], v[96:97] neg_lo:[0,0,1] neg_hi:[0,0,1]
	s_delay_alu instid0(VALU_DEP_2)
	v_mov_b32_e32 v93, v99
	scratch_store_b64 off, v[92:93], off offset:232
.LBB43_145:
	s_wait_xcnt 0x0
	s_or_b32 exec_lo, exec_lo, s20
	scratch_load_b64 v[92:93], off, off offset:224
	v_cmp_lt_u32_e64 s0, 28, v0
	s_wait_loadcnt 0x0
	ds_store_b64 v1, v[92:93]
	s_wait_storecnt_dscnt 0x0
	s_barrier_signal -1
	s_barrier_wait -1
	s_wait_xcnt 0x0
	s_and_saveexec_b32 s19, s0
	s_cbranch_execz .LBB43_155
; %bb.146:
	s_and_not1_b32 vcc_lo, exec_lo, s3
	s_cbranch_vccnz .LBB43_148
; %bb.147:
	scratch_load_b64 v[92:93], v47, off
	ds_load_b64 v[94:95], v1
	s_wait_loadcnt_dscnt 0x0
	v_pk_mul_f32 v[96:97], v[94:95], v[92:93] op_sel:[1,1] op_sel_hi:[0,1]
	s_delay_alu instid0(VALU_DEP_1) | instskip(SKIP_1) | instid1(VALU_DEP_2)
	v_pk_fma_f32 v[98:99], v[94:95], v[92:93], v[96:97] op_sel_hi:[1,0,1]
	v_pk_fma_f32 v[92:93], v[94:95], v[92:93], v[96:97] neg_lo:[0,0,1] neg_hi:[0,0,1]
	v_mov_b32_e32 v93, v99
	s_cbranch_execz .LBB43_149
	s_branch .LBB43_150
.LBB43_148:
                                        ; implicit-def: $vgpr92_vgpr93
.LBB43_149:
	ds_load_b64 v[92:93], v1
.LBB43_150:
	s_and_saveexec_b32 s20, s1
	s_cbranch_execz .LBB43_154
; %bb.151:
	v_subrev_nc_u32_e32 v94, 29, v0
	s_movk_i32 s1, 0xe8
	s_movk_i32 s22, 0x248
	s_mov_b32 s21, 0
.LBB43_152:                             ; =>This Inner Loop Header: Depth=1
	scratch_load_b64 v[96:97], off, s1
	v_dual_mov_b32 v95, s22 :: v_dual_add_nc_u32 v94, -1, v94
	s_add_co_i32 s22, s22, 8
	s_wait_xcnt 0x0
	s_add_co_i32 s1, s1, 8
	ds_load_b64 v[98:99], v95
	v_cmp_eq_u32_e32 vcc_lo, 0, v94
	s_or_b32 s21, vcc_lo, s21
	s_wait_loadcnt_dscnt 0x0
	v_pk_mul_f32 v[100:101], v[98:99], v[96:97] op_sel:[1,1] op_sel_hi:[0,1]
	s_delay_alu instid0(VALU_DEP_1) | instskip(SKIP_1) | instid1(VALU_DEP_2)
	v_pk_fma_f32 v[102:103], v[98:99], v[96:97], v[100:101] op_sel_hi:[1,0,1]
	v_pk_fma_f32 v[96:97], v[98:99], v[96:97], v[100:101] neg_lo:[0,0,1] neg_hi:[0,0,1]
	v_mov_b32_e32 v97, v103
	s_delay_alu instid0(VALU_DEP_1)
	v_pk_add_f32 v[92:93], v[92:93], v[96:97]
	s_and_not1_b32 exec_lo, exec_lo, s21
	s_cbranch_execnz .LBB43_152
; %bb.153:
	s_or_b32 exec_lo, exec_lo, s21
.LBB43_154:
	s_delay_alu instid0(SALU_CYCLE_1) | instskip(SKIP_4) | instid1(VALU_DEP_1)
	s_or_b32 exec_lo, exec_lo, s20
	v_mov_b32_e32 v94, 0
	ds_load_b64 v[94:95], v94 offset:224
	s_wait_dscnt 0x0
	v_pk_mul_f32 v[96:97], v[92:93], v[94:95] op_sel:[1,1] op_sel_hi:[0,1]
	v_pk_fma_f32 v[98:99], v[92:93], v[94:95], v[96:97] op_sel_hi:[1,0,1]
	v_pk_fma_f32 v[92:93], v[92:93], v[94:95], v[96:97] neg_lo:[0,0,1] neg_hi:[0,0,1]
	s_delay_alu instid0(VALU_DEP_2)
	v_mov_b32_e32 v93, v99
	scratch_store_b64 off, v[92:93], off offset:224
.LBB43_155:
	s_wait_xcnt 0x0
	s_or_b32 exec_lo, exec_lo, s19
	scratch_load_b64 v[92:93], off, off offset:216
	v_cmp_lt_u32_e64 s1, 27, v0
	s_wait_loadcnt 0x0
	ds_store_b64 v1, v[92:93]
	s_wait_storecnt_dscnt 0x0
	s_barrier_signal -1
	s_barrier_wait -1
	s_wait_xcnt 0x0
	s_and_saveexec_b32 s19, s1
	s_cbranch_execz .LBB43_165
; %bb.156:
	s_and_not1_b32 vcc_lo, exec_lo, s3
	s_cbranch_vccnz .LBB43_158
; %bb.157:
	scratch_load_b64 v[92:93], v47, off
	ds_load_b64 v[94:95], v1
	s_wait_loadcnt_dscnt 0x0
	v_pk_mul_f32 v[96:97], v[94:95], v[92:93] op_sel:[1,1] op_sel_hi:[0,1]
	s_delay_alu instid0(VALU_DEP_1) | instskip(SKIP_1) | instid1(VALU_DEP_2)
	v_pk_fma_f32 v[98:99], v[94:95], v[92:93], v[96:97] op_sel_hi:[1,0,1]
	v_pk_fma_f32 v[92:93], v[94:95], v[92:93], v[96:97] neg_lo:[0,0,1] neg_hi:[0,0,1]
	v_mov_b32_e32 v93, v99
	s_cbranch_execz .LBB43_159
	s_branch .LBB43_160
.LBB43_158:
                                        ; implicit-def: $vgpr92_vgpr93
.LBB43_159:
	ds_load_b64 v[92:93], v1
.LBB43_160:
	s_and_saveexec_b32 s20, s0
	s_cbranch_execz .LBB43_164
; %bb.161:
	v_subrev_nc_u32_e32 v94, 28, v0
	s_movk_i32 s21, 0x240
	s_mov_b32 s0, 0
.LBB43_162:                             ; =>This Inner Loop Header: Depth=1
	scratch_load_b64 v[96:97], off, s18
	v_dual_mov_b32 v95, s21 :: v_dual_add_nc_u32 v94, -1, v94
	s_add_co_i32 s21, s21, 8
	s_wait_xcnt 0x0
	s_add_co_i32 s18, s18, 8
	ds_load_b64 v[98:99], v95
	v_cmp_eq_u32_e32 vcc_lo, 0, v94
	s_or_b32 s0, vcc_lo, s0
	s_wait_loadcnt_dscnt 0x0
	v_pk_mul_f32 v[100:101], v[98:99], v[96:97] op_sel:[1,1] op_sel_hi:[0,1]
	s_delay_alu instid0(VALU_DEP_1) | instskip(SKIP_1) | instid1(VALU_DEP_2)
	v_pk_fma_f32 v[102:103], v[98:99], v[96:97], v[100:101] op_sel_hi:[1,0,1]
	v_pk_fma_f32 v[96:97], v[98:99], v[96:97], v[100:101] neg_lo:[0,0,1] neg_hi:[0,0,1]
	v_mov_b32_e32 v97, v103
	s_delay_alu instid0(VALU_DEP_1)
	v_pk_add_f32 v[92:93], v[92:93], v[96:97]
	s_and_not1_b32 exec_lo, exec_lo, s0
	s_cbranch_execnz .LBB43_162
; %bb.163:
	s_or_b32 exec_lo, exec_lo, s0
.LBB43_164:
	s_delay_alu instid0(SALU_CYCLE_1) | instskip(SKIP_4) | instid1(VALU_DEP_1)
	s_or_b32 exec_lo, exec_lo, s20
	v_mov_b32_e32 v94, 0
	ds_load_b64 v[94:95], v94 offset:216
	s_wait_dscnt 0x0
	v_pk_mul_f32 v[96:97], v[92:93], v[94:95] op_sel:[1,1] op_sel_hi:[0,1]
	v_pk_fma_f32 v[98:99], v[92:93], v[94:95], v[96:97] op_sel_hi:[1,0,1]
	v_pk_fma_f32 v[92:93], v[92:93], v[94:95], v[96:97] neg_lo:[0,0,1] neg_hi:[0,0,1]
	s_delay_alu instid0(VALU_DEP_2)
	v_mov_b32_e32 v93, v99
	scratch_store_b64 off, v[92:93], off offset:216
.LBB43_165:
	s_wait_xcnt 0x0
	s_or_b32 exec_lo, exec_lo, s19
	scratch_load_b64 v[92:93], off, off offset:208
	v_cmp_lt_u32_e64 s0, 26, v0
	s_wait_loadcnt 0x0
	ds_store_b64 v1, v[92:93]
	s_wait_storecnt_dscnt 0x0
	s_barrier_signal -1
	s_barrier_wait -1
	s_wait_xcnt 0x0
	s_and_saveexec_b32 s18, s0
	s_cbranch_execz .LBB43_175
; %bb.166:
	s_and_not1_b32 vcc_lo, exec_lo, s3
	s_cbranch_vccnz .LBB43_168
; %bb.167:
	scratch_load_b64 v[92:93], v47, off
	ds_load_b64 v[94:95], v1
	s_wait_loadcnt_dscnt 0x0
	v_pk_mul_f32 v[96:97], v[94:95], v[92:93] op_sel:[1,1] op_sel_hi:[0,1]
	s_delay_alu instid0(VALU_DEP_1) | instskip(SKIP_1) | instid1(VALU_DEP_2)
	v_pk_fma_f32 v[98:99], v[94:95], v[92:93], v[96:97] op_sel_hi:[1,0,1]
	v_pk_fma_f32 v[92:93], v[94:95], v[92:93], v[96:97] neg_lo:[0,0,1] neg_hi:[0,0,1]
	v_mov_b32_e32 v93, v99
	s_cbranch_execz .LBB43_169
	s_branch .LBB43_170
.LBB43_168:
                                        ; implicit-def: $vgpr92_vgpr93
.LBB43_169:
	ds_load_b64 v[92:93], v1
.LBB43_170:
	s_and_saveexec_b32 s19, s1
	s_cbranch_execz .LBB43_174
; %bb.171:
	v_subrev_nc_u32_e32 v94, 27, v0
	s_movk_i32 s1, 0xd8
	s_movk_i32 s21, 0x238
	s_mov_b32 s20, 0
.LBB43_172:                             ; =>This Inner Loop Header: Depth=1
	scratch_load_b64 v[96:97], off, s1
	v_dual_mov_b32 v95, s21 :: v_dual_add_nc_u32 v94, -1, v94
	s_add_co_i32 s21, s21, 8
	s_wait_xcnt 0x0
	s_add_co_i32 s1, s1, 8
	ds_load_b64 v[98:99], v95
	v_cmp_eq_u32_e32 vcc_lo, 0, v94
	s_or_b32 s20, vcc_lo, s20
	s_wait_loadcnt_dscnt 0x0
	v_pk_mul_f32 v[100:101], v[98:99], v[96:97] op_sel:[1,1] op_sel_hi:[0,1]
	s_delay_alu instid0(VALU_DEP_1) | instskip(SKIP_1) | instid1(VALU_DEP_2)
	v_pk_fma_f32 v[102:103], v[98:99], v[96:97], v[100:101] op_sel_hi:[1,0,1]
	v_pk_fma_f32 v[96:97], v[98:99], v[96:97], v[100:101] neg_lo:[0,0,1] neg_hi:[0,0,1]
	v_mov_b32_e32 v97, v103
	s_delay_alu instid0(VALU_DEP_1)
	v_pk_add_f32 v[92:93], v[92:93], v[96:97]
	s_and_not1_b32 exec_lo, exec_lo, s20
	s_cbranch_execnz .LBB43_172
; %bb.173:
	s_or_b32 exec_lo, exec_lo, s20
.LBB43_174:
	s_delay_alu instid0(SALU_CYCLE_1) | instskip(SKIP_4) | instid1(VALU_DEP_1)
	s_or_b32 exec_lo, exec_lo, s19
	v_mov_b32_e32 v94, 0
	ds_load_b64 v[94:95], v94 offset:208
	s_wait_dscnt 0x0
	v_pk_mul_f32 v[96:97], v[92:93], v[94:95] op_sel:[1,1] op_sel_hi:[0,1]
	v_pk_fma_f32 v[98:99], v[92:93], v[94:95], v[96:97] op_sel_hi:[1,0,1]
	v_pk_fma_f32 v[92:93], v[92:93], v[94:95], v[96:97] neg_lo:[0,0,1] neg_hi:[0,0,1]
	s_delay_alu instid0(VALU_DEP_2)
	v_mov_b32_e32 v93, v99
	scratch_store_b64 off, v[92:93], off offset:208
.LBB43_175:
	s_wait_xcnt 0x0
	s_or_b32 exec_lo, exec_lo, s18
	scratch_load_b64 v[92:93], off, off offset:200
	v_cmp_lt_u32_e64 s1, 25, v0
	s_wait_loadcnt 0x0
	ds_store_b64 v1, v[92:93]
	s_wait_storecnt_dscnt 0x0
	s_barrier_signal -1
	s_barrier_wait -1
	s_wait_xcnt 0x0
	s_and_saveexec_b32 s18, s1
	s_cbranch_execz .LBB43_185
; %bb.176:
	s_and_not1_b32 vcc_lo, exec_lo, s3
	s_cbranch_vccnz .LBB43_178
; %bb.177:
	scratch_load_b64 v[92:93], v47, off
	ds_load_b64 v[94:95], v1
	s_wait_loadcnt_dscnt 0x0
	v_pk_mul_f32 v[96:97], v[94:95], v[92:93] op_sel:[1,1] op_sel_hi:[0,1]
	s_delay_alu instid0(VALU_DEP_1) | instskip(SKIP_1) | instid1(VALU_DEP_2)
	v_pk_fma_f32 v[98:99], v[94:95], v[92:93], v[96:97] op_sel_hi:[1,0,1]
	v_pk_fma_f32 v[92:93], v[94:95], v[92:93], v[96:97] neg_lo:[0,0,1] neg_hi:[0,0,1]
	v_mov_b32_e32 v93, v99
	s_cbranch_execz .LBB43_179
	s_branch .LBB43_180
.LBB43_178:
                                        ; implicit-def: $vgpr92_vgpr93
.LBB43_179:
	ds_load_b64 v[92:93], v1
.LBB43_180:
	s_and_saveexec_b32 s19, s0
	s_cbranch_execz .LBB43_184
; %bb.181:
	v_subrev_nc_u32_e32 v94, 26, v0
	s_movk_i32 s20, 0x230
	s_mov_b32 s0, 0
.LBB43_182:                             ; =>This Inner Loop Header: Depth=1
	scratch_load_b64 v[96:97], off, s17
	v_dual_mov_b32 v95, s20 :: v_dual_add_nc_u32 v94, -1, v94
	s_add_co_i32 s20, s20, 8
	s_wait_xcnt 0x0
	s_add_co_i32 s17, s17, 8
	ds_load_b64 v[98:99], v95
	v_cmp_eq_u32_e32 vcc_lo, 0, v94
	s_or_b32 s0, vcc_lo, s0
	s_wait_loadcnt_dscnt 0x0
	v_pk_mul_f32 v[100:101], v[98:99], v[96:97] op_sel:[1,1] op_sel_hi:[0,1]
	s_delay_alu instid0(VALU_DEP_1) | instskip(SKIP_1) | instid1(VALU_DEP_2)
	v_pk_fma_f32 v[102:103], v[98:99], v[96:97], v[100:101] op_sel_hi:[1,0,1]
	v_pk_fma_f32 v[96:97], v[98:99], v[96:97], v[100:101] neg_lo:[0,0,1] neg_hi:[0,0,1]
	v_mov_b32_e32 v97, v103
	s_delay_alu instid0(VALU_DEP_1)
	v_pk_add_f32 v[92:93], v[92:93], v[96:97]
	s_and_not1_b32 exec_lo, exec_lo, s0
	s_cbranch_execnz .LBB43_182
; %bb.183:
	s_or_b32 exec_lo, exec_lo, s0
.LBB43_184:
	s_delay_alu instid0(SALU_CYCLE_1) | instskip(SKIP_4) | instid1(VALU_DEP_1)
	s_or_b32 exec_lo, exec_lo, s19
	v_mov_b32_e32 v94, 0
	ds_load_b64 v[94:95], v94 offset:200
	s_wait_dscnt 0x0
	v_pk_mul_f32 v[96:97], v[92:93], v[94:95] op_sel:[1,1] op_sel_hi:[0,1]
	v_pk_fma_f32 v[98:99], v[92:93], v[94:95], v[96:97] op_sel_hi:[1,0,1]
	v_pk_fma_f32 v[92:93], v[92:93], v[94:95], v[96:97] neg_lo:[0,0,1] neg_hi:[0,0,1]
	s_delay_alu instid0(VALU_DEP_2)
	v_mov_b32_e32 v93, v99
	scratch_store_b64 off, v[92:93], off offset:200
.LBB43_185:
	s_wait_xcnt 0x0
	s_or_b32 exec_lo, exec_lo, s18
	scratch_load_b64 v[92:93], off, off offset:192
	v_cmp_lt_u32_e64 s0, 24, v0
	s_wait_loadcnt 0x0
	ds_store_b64 v1, v[92:93]
	s_wait_storecnt_dscnt 0x0
	s_barrier_signal -1
	s_barrier_wait -1
	s_wait_xcnt 0x0
	s_and_saveexec_b32 s17, s0
	s_cbranch_execz .LBB43_195
; %bb.186:
	s_and_not1_b32 vcc_lo, exec_lo, s3
	s_cbranch_vccnz .LBB43_188
; %bb.187:
	scratch_load_b64 v[92:93], v47, off
	ds_load_b64 v[94:95], v1
	s_wait_loadcnt_dscnt 0x0
	v_pk_mul_f32 v[96:97], v[94:95], v[92:93] op_sel:[1,1] op_sel_hi:[0,1]
	s_delay_alu instid0(VALU_DEP_1) | instskip(SKIP_1) | instid1(VALU_DEP_2)
	v_pk_fma_f32 v[98:99], v[94:95], v[92:93], v[96:97] op_sel_hi:[1,0,1]
	v_pk_fma_f32 v[92:93], v[94:95], v[92:93], v[96:97] neg_lo:[0,0,1] neg_hi:[0,0,1]
	v_mov_b32_e32 v93, v99
	s_cbranch_execz .LBB43_189
	s_branch .LBB43_190
.LBB43_188:
                                        ; implicit-def: $vgpr92_vgpr93
.LBB43_189:
	ds_load_b64 v[92:93], v1
.LBB43_190:
	s_and_saveexec_b32 s18, s1
	s_cbranch_execz .LBB43_194
; %bb.191:
	v_subrev_nc_u32_e32 v94, 25, v0
	s_movk_i32 s1, 0xc8
	s_movk_i32 s20, 0x228
	s_mov_b32 s19, 0
.LBB43_192:                             ; =>This Inner Loop Header: Depth=1
	scratch_load_b64 v[96:97], off, s1
	v_dual_mov_b32 v95, s20 :: v_dual_add_nc_u32 v94, -1, v94
	s_add_co_i32 s20, s20, 8
	s_wait_xcnt 0x0
	s_add_co_i32 s1, s1, 8
	ds_load_b64 v[98:99], v95
	v_cmp_eq_u32_e32 vcc_lo, 0, v94
	s_or_b32 s19, vcc_lo, s19
	s_wait_loadcnt_dscnt 0x0
	v_pk_mul_f32 v[100:101], v[98:99], v[96:97] op_sel:[1,1] op_sel_hi:[0,1]
	s_delay_alu instid0(VALU_DEP_1) | instskip(SKIP_1) | instid1(VALU_DEP_2)
	v_pk_fma_f32 v[102:103], v[98:99], v[96:97], v[100:101] op_sel_hi:[1,0,1]
	v_pk_fma_f32 v[96:97], v[98:99], v[96:97], v[100:101] neg_lo:[0,0,1] neg_hi:[0,0,1]
	v_mov_b32_e32 v97, v103
	s_delay_alu instid0(VALU_DEP_1)
	v_pk_add_f32 v[92:93], v[92:93], v[96:97]
	s_and_not1_b32 exec_lo, exec_lo, s19
	s_cbranch_execnz .LBB43_192
; %bb.193:
	s_or_b32 exec_lo, exec_lo, s19
.LBB43_194:
	s_delay_alu instid0(SALU_CYCLE_1) | instskip(SKIP_4) | instid1(VALU_DEP_1)
	s_or_b32 exec_lo, exec_lo, s18
	v_mov_b32_e32 v94, 0
	ds_load_b64 v[94:95], v94 offset:192
	s_wait_dscnt 0x0
	v_pk_mul_f32 v[96:97], v[92:93], v[94:95] op_sel:[1,1] op_sel_hi:[0,1]
	v_pk_fma_f32 v[98:99], v[92:93], v[94:95], v[96:97] op_sel_hi:[1,0,1]
	v_pk_fma_f32 v[92:93], v[92:93], v[94:95], v[96:97] neg_lo:[0,0,1] neg_hi:[0,0,1]
	s_delay_alu instid0(VALU_DEP_2)
	v_mov_b32_e32 v93, v99
	scratch_store_b64 off, v[92:93], off offset:192
.LBB43_195:
	s_wait_xcnt 0x0
	s_or_b32 exec_lo, exec_lo, s17
	scratch_load_b64 v[92:93], off, off offset:184
	v_cmp_lt_u32_e64 s1, 23, v0
	s_wait_loadcnt 0x0
	ds_store_b64 v1, v[92:93]
	s_wait_storecnt_dscnt 0x0
	s_barrier_signal -1
	s_barrier_wait -1
	s_wait_xcnt 0x0
	s_and_saveexec_b32 s17, s1
	s_cbranch_execz .LBB43_205
; %bb.196:
	s_and_not1_b32 vcc_lo, exec_lo, s3
	s_cbranch_vccnz .LBB43_198
; %bb.197:
	scratch_load_b64 v[92:93], v47, off
	ds_load_b64 v[94:95], v1
	s_wait_loadcnt_dscnt 0x0
	v_pk_mul_f32 v[96:97], v[94:95], v[92:93] op_sel:[1,1] op_sel_hi:[0,1]
	s_delay_alu instid0(VALU_DEP_1) | instskip(SKIP_1) | instid1(VALU_DEP_2)
	v_pk_fma_f32 v[98:99], v[94:95], v[92:93], v[96:97] op_sel_hi:[1,0,1]
	v_pk_fma_f32 v[92:93], v[94:95], v[92:93], v[96:97] neg_lo:[0,0,1] neg_hi:[0,0,1]
	v_mov_b32_e32 v93, v99
	s_cbranch_execz .LBB43_199
	s_branch .LBB43_200
.LBB43_198:
                                        ; implicit-def: $vgpr92_vgpr93
.LBB43_199:
	ds_load_b64 v[92:93], v1
.LBB43_200:
	s_and_saveexec_b32 s18, s0
	s_cbranch_execz .LBB43_204
; %bb.201:
	v_subrev_nc_u32_e32 v94, 24, v0
	s_movk_i32 s19, 0x220
	s_mov_b32 s0, 0
.LBB43_202:                             ; =>This Inner Loop Header: Depth=1
	scratch_load_b64 v[96:97], off, s16
	v_dual_mov_b32 v95, s19 :: v_dual_add_nc_u32 v94, -1, v94
	s_add_co_i32 s19, s19, 8
	s_wait_xcnt 0x0
	s_add_co_i32 s16, s16, 8
	ds_load_b64 v[98:99], v95
	v_cmp_eq_u32_e32 vcc_lo, 0, v94
	s_or_b32 s0, vcc_lo, s0
	s_wait_loadcnt_dscnt 0x0
	v_pk_mul_f32 v[100:101], v[98:99], v[96:97] op_sel:[1,1] op_sel_hi:[0,1]
	s_delay_alu instid0(VALU_DEP_1) | instskip(SKIP_1) | instid1(VALU_DEP_2)
	v_pk_fma_f32 v[102:103], v[98:99], v[96:97], v[100:101] op_sel_hi:[1,0,1]
	v_pk_fma_f32 v[96:97], v[98:99], v[96:97], v[100:101] neg_lo:[0,0,1] neg_hi:[0,0,1]
	v_mov_b32_e32 v97, v103
	s_delay_alu instid0(VALU_DEP_1)
	v_pk_add_f32 v[92:93], v[92:93], v[96:97]
	s_and_not1_b32 exec_lo, exec_lo, s0
	s_cbranch_execnz .LBB43_202
; %bb.203:
	s_or_b32 exec_lo, exec_lo, s0
.LBB43_204:
	s_delay_alu instid0(SALU_CYCLE_1) | instskip(SKIP_4) | instid1(VALU_DEP_1)
	s_or_b32 exec_lo, exec_lo, s18
	v_mov_b32_e32 v94, 0
	ds_load_b64 v[94:95], v94 offset:184
	s_wait_dscnt 0x0
	v_pk_mul_f32 v[96:97], v[92:93], v[94:95] op_sel:[1,1] op_sel_hi:[0,1]
	v_pk_fma_f32 v[98:99], v[92:93], v[94:95], v[96:97] op_sel_hi:[1,0,1]
	v_pk_fma_f32 v[92:93], v[92:93], v[94:95], v[96:97] neg_lo:[0,0,1] neg_hi:[0,0,1]
	s_delay_alu instid0(VALU_DEP_2)
	v_mov_b32_e32 v93, v99
	scratch_store_b64 off, v[92:93], off offset:184
.LBB43_205:
	s_wait_xcnt 0x0
	s_or_b32 exec_lo, exec_lo, s17
	scratch_load_b64 v[92:93], off, off offset:176
	v_cmp_lt_u32_e64 s0, 22, v0
	s_wait_loadcnt 0x0
	ds_store_b64 v1, v[92:93]
	s_wait_storecnt_dscnt 0x0
	s_barrier_signal -1
	s_barrier_wait -1
	s_wait_xcnt 0x0
	s_and_saveexec_b32 s16, s0
	s_cbranch_execz .LBB43_215
; %bb.206:
	s_and_not1_b32 vcc_lo, exec_lo, s3
	s_cbranch_vccnz .LBB43_208
; %bb.207:
	scratch_load_b64 v[92:93], v47, off
	ds_load_b64 v[94:95], v1
	s_wait_loadcnt_dscnt 0x0
	v_pk_mul_f32 v[96:97], v[94:95], v[92:93] op_sel:[1,1] op_sel_hi:[0,1]
	s_delay_alu instid0(VALU_DEP_1) | instskip(SKIP_1) | instid1(VALU_DEP_2)
	v_pk_fma_f32 v[98:99], v[94:95], v[92:93], v[96:97] op_sel_hi:[1,0,1]
	v_pk_fma_f32 v[92:93], v[94:95], v[92:93], v[96:97] neg_lo:[0,0,1] neg_hi:[0,0,1]
	v_mov_b32_e32 v93, v99
	s_cbranch_execz .LBB43_209
	s_branch .LBB43_210
.LBB43_208:
                                        ; implicit-def: $vgpr92_vgpr93
.LBB43_209:
	ds_load_b64 v[92:93], v1
.LBB43_210:
	s_and_saveexec_b32 s17, s1
	s_cbranch_execz .LBB43_214
; %bb.211:
	v_subrev_nc_u32_e32 v94, 23, v0
	s_movk_i32 s1, 0xb8
	s_movk_i32 s19, 0x218
	s_mov_b32 s18, 0
.LBB43_212:                             ; =>This Inner Loop Header: Depth=1
	scratch_load_b64 v[96:97], off, s1
	v_dual_mov_b32 v95, s19 :: v_dual_add_nc_u32 v94, -1, v94
	s_add_co_i32 s19, s19, 8
	s_wait_xcnt 0x0
	s_add_co_i32 s1, s1, 8
	ds_load_b64 v[98:99], v95
	v_cmp_eq_u32_e32 vcc_lo, 0, v94
	s_or_b32 s18, vcc_lo, s18
	s_wait_loadcnt_dscnt 0x0
	v_pk_mul_f32 v[100:101], v[98:99], v[96:97] op_sel:[1,1] op_sel_hi:[0,1]
	s_delay_alu instid0(VALU_DEP_1) | instskip(SKIP_1) | instid1(VALU_DEP_2)
	v_pk_fma_f32 v[102:103], v[98:99], v[96:97], v[100:101] op_sel_hi:[1,0,1]
	v_pk_fma_f32 v[96:97], v[98:99], v[96:97], v[100:101] neg_lo:[0,0,1] neg_hi:[0,0,1]
	v_mov_b32_e32 v97, v103
	s_delay_alu instid0(VALU_DEP_1)
	v_pk_add_f32 v[92:93], v[92:93], v[96:97]
	s_and_not1_b32 exec_lo, exec_lo, s18
	s_cbranch_execnz .LBB43_212
; %bb.213:
	s_or_b32 exec_lo, exec_lo, s18
.LBB43_214:
	s_delay_alu instid0(SALU_CYCLE_1) | instskip(SKIP_4) | instid1(VALU_DEP_1)
	s_or_b32 exec_lo, exec_lo, s17
	v_mov_b32_e32 v94, 0
	ds_load_b64 v[94:95], v94 offset:176
	s_wait_dscnt 0x0
	v_pk_mul_f32 v[96:97], v[92:93], v[94:95] op_sel:[1,1] op_sel_hi:[0,1]
	v_pk_fma_f32 v[98:99], v[92:93], v[94:95], v[96:97] op_sel_hi:[1,0,1]
	v_pk_fma_f32 v[92:93], v[92:93], v[94:95], v[96:97] neg_lo:[0,0,1] neg_hi:[0,0,1]
	s_delay_alu instid0(VALU_DEP_2)
	v_mov_b32_e32 v93, v99
	scratch_store_b64 off, v[92:93], off offset:176
.LBB43_215:
	s_wait_xcnt 0x0
	s_or_b32 exec_lo, exec_lo, s16
	scratch_load_b64 v[92:93], off, off offset:168
	v_cmp_lt_u32_e64 s1, 21, v0
	s_wait_loadcnt 0x0
	ds_store_b64 v1, v[92:93]
	s_wait_storecnt_dscnt 0x0
	s_barrier_signal -1
	s_barrier_wait -1
	s_wait_xcnt 0x0
	s_and_saveexec_b32 s16, s1
	s_cbranch_execz .LBB43_225
; %bb.216:
	s_and_not1_b32 vcc_lo, exec_lo, s3
	s_cbranch_vccnz .LBB43_218
; %bb.217:
	scratch_load_b64 v[92:93], v47, off
	ds_load_b64 v[94:95], v1
	s_wait_loadcnt_dscnt 0x0
	v_pk_mul_f32 v[96:97], v[94:95], v[92:93] op_sel:[1,1] op_sel_hi:[0,1]
	s_delay_alu instid0(VALU_DEP_1) | instskip(SKIP_1) | instid1(VALU_DEP_2)
	v_pk_fma_f32 v[98:99], v[94:95], v[92:93], v[96:97] op_sel_hi:[1,0,1]
	v_pk_fma_f32 v[92:93], v[94:95], v[92:93], v[96:97] neg_lo:[0,0,1] neg_hi:[0,0,1]
	v_mov_b32_e32 v93, v99
	s_cbranch_execz .LBB43_219
	s_branch .LBB43_220
.LBB43_218:
                                        ; implicit-def: $vgpr92_vgpr93
.LBB43_219:
	ds_load_b64 v[92:93], v1
.LBB43_220:
	s_and_saveexec_b32 s17, s0
	s_cbranch_execz .LBB43_224
; %bb.221:
	v_subrev_nc_u32_e32 v94, 22, v0
	s_movk_i32 s18, 0x210
	s_mov_b32 s0, 0
.LBB43_222:                             ; =>This Inner Loop Header: Depth=1
	scratch_load_b64 v[96:97], off, s15
	v_dual_mov_b32 v95, s18 :: v_dual_add_nc_u32 v94, -1, v94
	s_add_co_i32 s18, s18, 8
	s_wait_xcnt 0x0
	s_add_co_i32 s15, s15, 8
	ds_load_b64 v[98:99], v95
	v_cmp_eq_u32_e32 vcc_lo, 0, v94
	s_or_b32 s0, vcc_lo, s0
	s_wait_loadcnt_dscnt 0x0
	v_pk_mul_f32 v[100:101], v[98:99], v[96:97] op_sel:[1,1] op_sel_hi:[0,1]
	s_delay_alu instid0(VALU_DEP_1) | instskip(SKIP_1) | instid1(VALU_DEP_2)
	v_pk_fma_f32 v[102:103], v[98:99], v[96:97], v[100:101] op_sel_hi:[1,0,1]
	v_pk_fma_f32 v[96:97], v[98:99], v[96:97], v[100:101] neg_lo:[0,0,1] neg_hi:[0,0,1]
	v_mov_b32_e32 v97, v103
	s_delay_alu instid0(VALU_DEP_1)
	v_pk_add_f32 v[92:93], v[92:93], v[96:97]
	s_and_not1_b32 exec_lo, exec_lo, s0
	s_cbranch_execnz .LBB43_222
; %bb.223:
	s_or_b32 exec_lo, exec_lo, s0
.LBB43_224:
	s_delay_alu instid0(SALU_CYCLE_1) | instskip(SKIP_4) | instid1(VALU_DEP_1)
	s_or_b32 exec_lo, exec_lo, s17
	v_mov_b32_e32 v94, 0
	ds_load_b64 v[94:95], v94 offset:168
	s_wait_dscnt 0x0
	v_pk_mul_f32 v[96:97], v[92:93], v[94:95] op_sel:[1,1] op_sel_hi:[0,1]
	v_pk_fma_f32 v[98:99], v[92:93], v[94:95], v[96:97] op_sel_hi:[1,0,1]
	v_pk_fma_f32 v[92:93], v[92:93], v[94:95], v[96:97] neg_lo:[0,0,1] neg_hi:[0,0,1]
	s_delay_alu instid0(VALU_DEP_2)
	v_mov_b32_e32 v93, v99
	scratch_store_b64 off, v[92:93], off offset:168
.LBB43_225:
	s_wait_xcnt 0x0
	s_or_b32 exec_lo, exec_lo, s16
	scratch_load_b64 v[92:93], off, off offset:160
	v_cmp_lt_u32_e64 s0, 20, v0
	s_wait_loadcnt 0x0
	ds_store_b64 v1, v[92:93]
	s_wait_storecnt_dscnt 0x0
	s_barrier_signal -1
	s_barrier_wait -1
	s_wait_xcnt 0x0
	s_and_saveexec_b32 s15, s0
	s_cbranch_execz .LBB43_235
; %bb.226:
	s_and_not1_b32 vcc_lo, exec_lo, s3
	s_cbranch_vccnz .LBB43_228
; %bb.227:
	scratch_load_b64 v[92:93], v47, off
	ds_load_b64 v[94:95], v1
	s_wait_loadcnt_dscnt 0x0
	v_pk_mul_f32 v[96:97], v[94:95], v[92:93] op_sel:[1,1] op_sel_hi:[0,1]
	s_delay_alu instid0(VALU_DEP_1) | instskip(SKIP_1) | instid1(VALU_DEP_2)
	v_pk_fma_f32 v[98:99], v[94:95], v[92:93], v[96:97] op_sel_hi:[1,0,1]
	v_pk_fma_f32 v[92:93], v[94:95], v[92:93], v[96:97] neg_lo:[0,0,1] neg_hi:[0,0,1]
	v_mov_b32_e32 v93, v99
	s_cbranch_execz .LBB43_229
	s_branch .LBB43_230
.LBB43_228:
                                        ; implicit-def: $vgpr92_vgpr93
.LBB43_229:
	ds_load_b64 v[92:93], v1
.LBB43_230:
	s_and_saveexec_b32 s16, s1
	s_cbranch_execz .LBB43_234
; %bb.231:
	v_subrev_nc_u32_e32 v94, 21, v0
	s_movk_i32 s1, 0xa8
	s_movk_i32 s18, 0x208
	s_mov_b32 s17, 0
.LBB43_232:                             ; =>This Inner Loop Header: Depth=1
	scratch_load_b64 v[96:97], off, s1
	v_dual_mov_b32 v95, s18 :: v_dual_add_nc_u32 v94, -1, v94
	s_add_co_i32 s18, s18, 8
	s_wait_xcnt 0x0
	s_add_co_i32 s1, s1, 8
	ds_load_b64 v[98:99], v95
	v_cmp_eq_u32_e32 vcc_lo, 0, v94
	s_or_b32 s17, vcc_lo, s17
	s_wait_loadcnt_dscnt 0x0
	v_pk_mul_f32 v[100:101], v[98:99], v[96:97] op_sel:[1,1] op_sel_hi:[0,1]
	s_delay_alu instid0(VALU_DEP_1) | instskip(SKIP_1) | instid1(VALU_DEP_2)
	v_pk_fma_f32 v[102:103], v[98:99], v[96:97], v[100:101] op_sel_hi:[1,0,1]
	v_pk_fma_f32 v[96:97], v[98:99], v[96:97], v[100:101] neg_lo:[0,0,1] neg_hi:[0,0,1]
	v_mov_b32_e32 v97, v103
	s_delay_alu instid0(VALU_DEP_1)
	v_pk_add_f32 v[92:93], v[92:93], v[96:97]
	s_and_not1_b32 exec_lo, exec_lo, s17
	s_cbranch_execnz .LBB43_232
; %bb.233:
	s_or_b32 exec_lo, exec_lo, s17
.LBB43_234:
	s_delay_alu instid0(SALU_CYCLE_1) | instskip(SKIP_4) | instid1(VALU_DEP_1)
	s_or_b32 exec_lo, exec_lo, s16
	v_mov_b32_e32 v94, 0
	ds_load_b64 v[94:95], v94 offset:160
	s_wait_dscnt 0x0
	v_pk_mul_f32 v[96:97], v[92:93], v[94:95] op_sel:[1,1] op_sel_hi:[0,1]
	v_pk_fma_f32 v[98:99], v[92:93], v[94:95], v[96:97] op_sel_hi:[1,0,1]
	v_pk_fma_f32 v[92:93], v[92:93], v[94:95], v[96:97] neg_lo:[0,0,1] neg_hi:[0,0,1]
	s_delay_alu instid0(VALU_DEP_2)
	v_mov_b32_e32 v93, v99
	scratch_store_b64 off, v[92:93], off offset:160
.LBB43_235:
	s_wait_xcnt 0x0
	s_or_b32 exec_lo, exec_lo, s15
	scratch_load_b64 v[92:93], off, off offset:152
	v_cmp_lt_u32_e64 s1, 19, v0
	s_wait_loadcnt 0x0
	ds_store_b64 v1, v[92:93]
	s_wait_storecnt_dscnt 0x0
	s_barrier_signal -1
	s_barrier_wait -1
	s_wait_xcnt 0x0
	s_and_saveexec_b32 s15, s1
	s_cbranch_execz .LBB43_245
; %bb.236:
	s_and_not1_b32 vcc_lo, exec_lo, s3
	s_cbranch_vccnz .LBB43_238
; %bb.237:
	scratch_load_b64 v[92:93], v47, off
	ds_load_b64 v[94:95], v1
	s_wait_loadcnt_dscnt 0x0
	v_pk_mul_f32 v[96:97], v[94:95], v[92:93] op_sel:[1,1] op_sel_hi:[0,1]
	s_delay_alu instid0(VALU_DEP_1) | instskip(SKIP_1) | instid1(VALU_DEP_2)
	v_pk_fma_f32 v[98:99], v[94:95], v[92:93], v[96:97] op_sel_hi:[1,0,1]
	v_pk_fma_f32 v[92:93], v[94:95], v[92:93], v[96:97] neg_lo:[0,0,1] neg_hi:[0,0,1]
	v_mov_b32_e32 v93, v99
	s_cbranch_execz .LBB43_239
	s_branch .LBB43_240
.LBB43_238:
                                        ; implicit-def: $vgpr92_vgpr93
.LBB43_239:
	ds_load_b64 v[92:93], v1
.LBB43_240:
	s_and_saveexec_b32 s16, s0
	s_cbranch_execz .LBB43_244
; %bb.241:
	v_subrev_nc_u32_e32 v94, 20, v0
	s_movk_i32 s17, 0x200
	s_mov_b32 s0, 0
.LBB43_242:                             ; =>This Inner Loop Header: Depth=1
	scratch_load_b64 v[96:97], off, s14
	v_dual_mov_b32 v95, s17 :: v_dual_add_nc_u32 v94, -1, v94
	s_add_co_i32 s17, s17, 8
	s_wait_xcnt 0x0
	s_add_co_i32 s14, s14, 8
	ds_load_b64 v[98:99], v95
	v_cmp_eq_u32_e32 vcc_lo, 0, v94
	s_or_b32 s0, vcc_lo, s0
	s_wait_loadcnt_dscnt 0x0
	v_pk_mul_f32 v[100:101], v[98:99], v[96:97] op_sel:[1,1] op_sel_hi:[0,1]
	s_delay_alu instid0(VALU_DEP_1) | instskip(SKIP_1) | instid1(VALU_DEP_2)
	v_pk_fma_f32 v[102:103], v[98:99], v[96:97], v[100:101] op_sel_hi:[1,0,1]
	v_pk_fma_f32 v[96:97], v[98:99], v[96:97], v[100:101] neg_lo:[0,0,1] neg_hi:[0,0,1]
	v_mov_b32_e32 v97, v103
	s_delay_alu instid0(VALU_DEP_1)
	v_pk_add_f32 v[92:93], v[92:93], v[96:97]
	s_and_not1_b32 exec_lo, exec_lo, s0
	s_cbranch_execnz .LBB43_242
; %bb.243:
	s_or_b32 exec_lo, exec_lo, s0
.LBB43_244:
	s_delay_alu instid0(SALU_CYCLE_1) | instskip(SKIP_4) | instid1(VALU_DEP_1)
	s_or_b32 exec_lo, exec_lo, s16
	v_mov_b32_e32 v94, 0
	ds_load_b64 v[94:95], v94 offset:152
	s_wait_dscnt 0x0
	v_pk_mul_f32 v[96:97], v[92:93], v[94:95] op_sel:[1,1] op_sel_hi:[0,1]
	v_pk_fma_f32 v[98:99], v[92:93], v[94:95], v[96:97] op_sel_hi:[1,0,1]
	v_pk_fma_f32 v[92:93], v[92:93], v[94:95], v[96:97] neg_lo:[0,0,1] neg_hi:[0,0,1]
	s_delay_alu instid0(VALU_DEP_2)
	v_mov_b32_e32 v93, v99
	scratch_store_b64 off, v[92:93], off offset:152
.LBB43_245:
	s_wait_xcnt 0x0
	s_or_b32 exec_lo, exec_lo, s15
	scratch_load_b64 v[92:93], off, off offset:144
	v_cmp_lt_u32_e64 s0, 18, v0
	s_wait_loadcnt 0x0
	ds_store_b64 v1, v[92:93]
	s_wait_storecnt_dscnt 0x0
	s_barrier_signal -1
	s_barrier_wait -1
	s_wait_xcnt 0x0
	s_and_saveexec_b32 s14, s0
	s_cbranch_execz .LBB43_255
; %bb.246:
	s_and_not1_b32 vcc_lo, exec_lo, s3
	s_cbranch_vccnz .LBB43_248
; %bb.247:
	scratch_load_b64 v[92:93], v47, off
	ds_load_b64 v[94:95], v1
	s_wait_loadcnt_dscnt 0x0
	v_pk_mul_f32 v[96:97], v[94:95], v[92:93] op_sel:[1,1] op_sel_hi:[0,1]
	s_delay_alu instid0(VALU_DEP_1) | instskip(SKIP_1) | instid1(VALU_DEP_2)
	v_pk_fma_f32 v[98:99], v[94:95], v[92:93], v[96:97] op_sel_hi:[1,0,1]
	v_pk_fma_f32 v[92:93], v[94:95], v[92:93], v[96:97] neg_lo:[0,0,1] neg_hi:[0,0,1]
	v_mov_b32_e32 v93, v99
	s_cbranch_execz .LBB43_249
	s_branch .LBB43_250
.LBB43_248:
                                        ; implicit-def: $vgpr92_vgpr93
.LBB43_249:
	ds_load_b64 v[92:93], v1
.LBB43_250:
	s_and_saveexec_b32 s15, s1
	s_cbranch_execz .LBB43_254
; %bb.251:
	v_subrev_nc_u32_e32 v94, 19, v0
	s_movk_i32 s1, 0x98
	s_movk_i32 s17, 0x1f8
	s_mov_b32 s16, 0
.LBB43_252:                             ; =>This Inner Loop Header: Depth=1
	scratch_load_b64 v[96:97], off, s1
	v_dual_mov_b32 v95, s17 :: v_dual_add_nc_u32 v94, -1, v94
	s_add_co_i32 s17, s17, 8
	s_wait_xcnt 0x0
	s_add_co_i32 s1, s1, 8
	ds_load_b64 v[98:99], v95
	v_cmp_eq_u32_e32 vcc_lo, 0, v94
	s_or_b32 s16, vcc_lo, s16
	s_wait_loadcnt_dscnt 0x0
	v_pk_mul_f32 v[100:101], v[98:99], v[96:97] op_sel:[1,1] op_sel_hi:[0,1]
	s_delay_alu instid0(VALU_DEP_1) | instskip(SKIP_1) | instid1(VALU_DEP_2)
	v_pk_fma_f32 v[102:103], v[98:99], v[96:97], v[100:101] op_sel_hi:[1,0,1]
	v_pk_fma_f32 v[96:97], v[98:99], v[96:97], v[100:101] neg_lo:[0,0,1] neg_hi:[0,0,1]
	v_mov_b32_e32 v97, v103
	s_delay_alu instid0(VALU_DEP_1)
	v_pk_add_f32 v[92:93], v[92:93], v[96:97]
	s_and_not1_b32 exec_lo, exec_lo, s16
	s_cbranch_execnz .LBB43_252
; %bb.253:
	s_or_b32 exec_lo, exec_lo, s16
.LBB43_254:
	s_delay_alu instid0(SALU_CYCLE_1) | instskip(SKIP_4) | instid1(VALU_DEP_1)
	s_or_b32 exec_lo, exec_lo, s15
	v_mov_b32_e32 v94, 0
	ds_load_b64 v[94:95], v94 offset:144
	s_wait_dscnt 0x0
	v_pk_mul_f32 v[96:97], v[92:93], v[94:95] op_sel:[1,1] op_sel_hi:[0,1]
	v_pk_fma_f32 v[98:99], v[92:93], v[94:95], v[96:97] op_sel_hi:[1,0,1]
	v_pk_fma_f32 v[92:93], v[92:93], v[94:95], v[96:97] neg_lo:[0,0,1] neg_hi:[0,0,1]
	s_delay_alu instid0(VALU_DEP_2)
	v_mov_b32_e32 v93, v99
	scratch_store_b64 off, v[92:93], off offset:144
.LBB43_255:
	s_wait_xcnt 0x0
	s_or_b32 exec_lo, exec_lo, s14
	scratch_load_b64 v[92:93], off, off offset:136
	v_cmp_lt_u32_e64 s1, 17, v0
	s_wait_loadcnt 0x0
	ds_store_b64 v1, v[92:93]
	s_wait_storecnt_dscnt 0x0
	s_barrier_signal -1
	s_barrier_wait -1
	s_wait_xcnt 0x0
	s_and_saveexec_b32 s14, s1
	s_cbranch_execz .LBB43_265
; %bb.256:
	s_and_not1_b32 vcc_lo, exec_lo, s3
	s_cbranch_vccnz .LBB43_258
; %bb.257:
	scratch_load_b64 v[92:93], v47, off
	ds_load_b64 v[94:95], v1
	s_wait_loadcnt_dscnt 0x0
	v_pk_mul_f32 v[96:97], v[94:95], v[92:93] op_sel:[1,1] op_sel_hi:[0,1]
	s_delay_alu instid0(VALU_DEP_1) | instskip(SKIP_1) | instid1(VALU_DEP_2)
	v_pk_fma_f32 v[98:99], v[94:95], v[92:93], v[96:97] op_sel_hi:[1,0,1]
	v_pk_fma_f32 v[92:93], v[94:95], v[92:93], v[96:97] neg_lo:[0,0,1] neg_hi:[0,0,1]
	v_mov_b32_e32 v93, v99
	s_cbranch_execz .LBB43_259
	s_branch .LBB43_260
.LBB43_258:
                                        ; implicit-def: $vgpr92_vgpr93
.LBB43_259:
	ds_load_b64 v[92:93], v1
.LBB43_260:
	s_and_saveexec_b32 s15, s0
	s_cbranch_execz .LBB43_264
; %bb.261:
	v_subrev_nc_u32_e32 v94, 18, v0
	s_movk_i32 s16, 0x1f0
	s_mov_b32 s0, 0
.LBB43_262:                             ; =>This Inner Loop Header: Depth=1
	scratch_load_b64 v[96:97], off, s13
	v_dual_mov_b32 v95, s16 :: v_dual_add_nc_u32 v94, -1, v94
	s_add_co_i32 s16, s16, 8
	s_wait_xcnt 0x0
	s_add_co_i32 s13, s13, 8
	ds_load_b64 v[98:99], v95
	v_cmp_eq_u32_e32 vcc_lo, 0, v94
	s_or_b32 s0, vcc_lo, s0
	s_wait_loadcnt_dscnt 0x0
	v_pk_mul_f32 v[100:101], v[98:99], v[96:97] op_sel:[1,1] op_sel_hi:[0,1]
	s_delay_alu instid0(VALU_DEP_1) | instskip(SKIP_1) | instid1(VALU_DEP_2)
	v_pk_fma_f32 v[102:103], v[98:99], v[96:97], v[100:101] op_sel_hi:[1,0,1]
	v_pk_fma_f32 v[96:97], v[98:99], v[96:97], v[100:101] neg_lo:[0,0,1] neg_hi:[0,0,1]
	v_mov_b32_e32 v97, v103
	s_delay_alu instid0(VALU_DEP_1)
	v_pk_add_f32 v[92:93], v[92:93], v[96:97]
	s_and_not1_b32 exec_lo, exec_lo, s0
	s_cbranch_execnz .LBB43_262
; %bb.263:
	s_or_b32 exec_lo, exec_lo, s0
.LBB43_264:
	s_delay_alu instid0(SALU_CYCLE_1) | instskip(SKIP_4) | instid1(VALU_DEP_1)
	s_or_b32 exec_lo, exec_lo, s15
	v_mov_b32_e32 v94, 0
	ds_load_b64 v[94:95], v94 offset:136
	s_wait_dscnt 0x0
	v_pk_mul_f32 v[96:97], v[92:93], v[94:95] op_sel:[1,1] op_sel_hi:[0,1]
	v_pk_fma_f32 v[98:99], v[92:93], v[94:95], v[96:97] op_sel_hi:[1,0,1]
	v_pk_fma_f32 v[92:93], v[92:93], v[94:95], v[96:97] neg_lo:[0,0,1] neg_hi:[0,0,1]
	s_delay_alu instid0(VALU_DEP_2)
	v_mov_b32_e32 v93, v99
	scratch_store_b64 off, v[92:93], off offset:136
.LBB43_265:
	s_wait_xcnt 0x0
	s_or_b32 exec_lo, exec_lo, s14
	scratch_load_b64 v[92:93], off, off offset:128
	v_cmp_lt_u32_e64 s0, 16, v0
	s_wait_loadcnt 0x0
	ds_store_b64 v1, v[92:93]
	s_wait_storecnt_dscnt 0x0
	s_barrier_signal -1
	s_barrier_wait -1
	s_wait_xcnt 0x0
	s_and_saveexec_b32 s13, s0
	s_cbranch_execz .LBB43_275
; %bb.266:
	s_and_not1_b32 vcc_lo, exec_lo, s3
	s_cbranch_vccnz .LBB43_268
; %bb.267:
	scratch_load_b64 v[92:93], v47, off
	ds_load_b64 v[94:95], v1
	s_wait_loadcnt_dscnt 0x0
	v_pk_mul_f32 v[96:97], v[94:95], v[92:93] op_sel:[1,1] op_sel_hi:[0,1]
	s_delay_alu instid0(VALU_DEP_1) | instskip(SKIP_1) | instid1(VALU_DEP_2)
	v_pk_fma_f32 v[98:99], v[94:95], v[92:93], v[96:97] op_sel_hi:[1,0,1]
	v_pk_fma_f32 v[92:93], v[94:95], v[92:93], v[96:97] neg_lo:[0,0,1] neg_hi:[0,0,1]
	v_mov_b32_e32 v93, v99
	s_cbranch_execz .LBB43_269
	s_branch .LBB43_270
.LBB43_268:
                                        ; implicit-def: $vgpr92_vgpr93
.LBB43_269:
	ds_load_b64 v[92:93], v1
.LBB43_270:
	s_and_saveexec_b32 s14, s1
	s_cbranch_execz .LBB43_274
; %bb.271:
	v_subrev_nc_u32_e32 v94, 17, v0
	s_movk_i32 s1, 0x88
	s_movk_i32 s16, 0x1e8
	s_mov_b32 s15, 0
.LBB43_272:                             ; =>This Inner Loop Header: Depth=1
	scratch_load_b64 v[96:97], off, s1
	v_dual_mov_b32 v95, s16 :: v_dual_add_nc_u32 v94, -1, v94
	s_add_co_i32 s16, s16, 8
	s_wait_xcnt 0x0
	s_add_co_i32 s1, s1, 8
	ds_load_b64 v[98:99], v95
	v_cmp_eq_u32_e32 vcc_lo, 0, v94
	s_or_b32 s15, vcc_lo, s15
	s_wait_loadcnt_dscnt 0x0
	v_pk_mul_f32 v[100:101], v[98:99], v[96:97] op_sel:[1,1] op_sel_hi:[0,1]
	s_delay_alu instid0(VALU_DEP_1) | instskip(SKIP_1) | instid1(VALU_DEP_2)
	v_pk_fma_f32 v[102:103], v[98:99], v[96:97], v[100:101] op_sel_hi:[1,0,1]
	v_pk_fma_f32 v[96:97], v[98:99], v[96:97], v[100:101] neg_lo:[0,0,1] neg_hi:[0,0,1]
	v_mov_b32_e32 v97, v103
	s_delay_alu instid0(VALU_DEP_1)
	v_pk_add_f32 v[92:93], v[92:93], v[96:97]
	s_and_not1_b32 exec_lo, exec_lo, s15
	s_cbranch_execnz .LBB43_272
; %bb.273:
	s_or_b32 exec_lo, exec_lo, s15
.LBB43_274:
	s_delay_alu instid0(SALU_CYCLE_1) | instskip(SKIP_4) | instid1(VALU_DEP_1)
	s_or_b32 exec_lo, exec_lo, s14
	v_mov_b32_e32 v94, 0
	ds_load_b64 v[94:95], v94 offset:128
	s_wait_dscnt 0x0
	v_pk_mul_f32 v[96:97], v[92:93], v[94:95] op_sel:[1,1] op_sel_hi:[0,1]
	v_pk_fma_f32 v[98:99], v[92:93], v[94:95], v[96:97] op_sel_hi:[1,0,1]
	v_pk_fma_f32 v[92:93], v[92:93], v[94:95], v[96:97] neg_lo:[0,0,1] neg_hi:[0,0,1]
	s_delay_alu instid0(VALU_DEP_2)
	v_mov_b32_e32 v93, v99
	scratch_store_b64 off, v[92:93], off offset:128
.LBB43_275:
	s_wait_xcnt 0x0
	s_or_b32 exec_lo, exec_lo, s13
	scratch_load_b64 v[92:93], off, off offset:120
	v_cmp_lt_u32_e64 s1, 15, v0
	s_wait_loadcnt 0x0
	ds_store_b64 v1, v[92:93]
	s_wait_storecnt_dscnt 0x0
	s_barrier_signal -1
	s_barrier_wait -1
	s_wait_xcnt 0x0
	s_and_saveexec_b32 s13, s1
	s_cbranch_execz .LBB43_285
; %bb.276:
	s_and_not1_b32 vcc_lo, exec_lo, s3
	s_cbranch_vccnz .LBB43_278
; %bb.277:
	scratch_load_b64 v[92:93], v47, off
	ds_load_b64 v[94:95], v1
	s_wait_loadcnt_dscnt 0x0
	v_pk_mul_f32 v[96:97], v[94:95], v[92:93] op_sel:[1,1] op_sel_hi:[0,1]
	s_delay_alu instid0(VALU_DEP_1) | instskip(SKIP_1) | instid1(VALU_DEP_2)
	v_pk_fma_f32 v[98:99], v[94:95], v[92:93], v[96:97] op_sel_hi:[1,0,1]
	v_pk_fma_f32 v[92:93], v[94:95], v[92:93], v[96:97] neg_lo:[0,0,1] neg_hi:[0,0,1]
	v_mov_b32_e32 v93, v99
	s_cbranch_execz .LBB43_279
	s_branch .LBB43_280
.LBB43_278:
                                        ; implicit-def: $vgpr92_vgpr93
.LBB43_279:
	ds_load_b64 v[92:93], v1
.LBB43_280:
	s_and_saveexec_b32 s14, s0
	s_cbranch_execz .LBB43_284
; %bb.281:
	v_add_nc_u32_e32 v94, -16, v0
	s_movk_i32 s15, 0x1e0
	s_mov_b32 s0, 0
.LBB43_282:                             ; =>This Inner Loop Header: Depth=1
	scratch_load_b64 v[96:97], off, s12
	v_dual_mov_b32 v95, s15 :: v_dual_add_nc_u32 v94, -1, v94
	s_add_co_i32 s15, s15, 8
	s_wait_xcnt 0x0
	s_add_co_i32 s12, s12, 8
	ds_load_b64 v[98:99], v95
	v_cmp_eq_u32_e32 vcc_lo, 0, v94
	s_or_b32 s0, vcc_lo, s0
	s_wait_loadcnt_dscnt 0x0
	v_pk_mul_f32 v[100:101], v[98:99], v[96:97] op_sel:[1,1] op_sel_hi:[0,1]
	s_delay_alu instid0(VALU_DEP_1) | instskip(SKIP_1) | instid1(VALU_DEP_2)
	v_pk_fma_f32 v[102:103], v[98:99], v[96:97], v[100:101] op_sel_hi:[1,0,1]
	v_pk_fma_f32 v[96:97], v[98:99], v[96:97], v[100:101] neg_lo:[0,0,1] neg_hi:[0,0,1]
	v_mov_b32_e32 v97, v103
	s_delay_alu instid0(VALU_DEP_1)
	v_pk_add_f32 v[92:93], v[92:93], v[96:97]
	s_and_not1_b32 exec_lo, exec_lo, s0
	s_cbranch_execnz .LBB43_282
; %bb.283:
	s_or_b32 exec_lo, exec_lo, s0
.LBB43_284:
	s_delay_alu instid0(SALU_CYCLE_1) | instskip(SKIP_4) | instid1(VALU_DEP_1)
	s_or_b32 exec_lo, exec_lo, s14
	v_mov_b32_e32 v94, 0
	ds_load_b64 v[94:95], v94 offset:120
	s_wait_dscnt 0x0
	v_pk_mul_f32 v[96:97], v[92:93], v[94:95] op_sel:[1,1] op_sel_hi:[0,1]
	v_pk_fma_f32 v[98:99], v[92:93], v[94:95], v[96:97] op_sel_hi:[1,0,1]
	v_pk_fma_f32 v[92:93], v[92:93], v[94:95], v[96:97] neg_lo:[0,0,1] neg_hi:[0,0,1]
	s_delay_alu instid0(VALU_DEP_2)
	v_mov_b32_e32 v93, v99
	scratch_store_b64 off, v[92:93], off offset:120
.LBB43_285:
	s_wait_xcnt 0x0
	s_or_b32 exec_lo, exec_lo, s13
	scratch_load_b64 v[92:93], off, off offset:112
	v_cmp_lt_u32_e64 s0, 14, v0
	s_wait_loadcnt 0x0
	ds_store_b64 v1, v[92:93]
	s_wait_storecnt_dscnt 0x0
	s_barrier_signal -1
	s_barrier_wait -1
	s_wait_xcnt 0x0
	s_and_saveexec_b32 s12, s0
	s_cbranch_execz .LBB43_295
; %bb.286:
	s_and_not1_b32 vcc_lo, exec_lo, s3
	s_cbranch_vccnz .LBB43_288
; %bb.287:
	scratch_load_b64 v[92:93], v47, off
	ds_load_b64 v[94:95], v1
	s_wait_loadcnt_dscnt 0x0
	v_pk_mul_f32 v[96:97], v[94:95], v[92:93] op_sel:[1,1] op_sel_hi:[0,1]
	s_delay_alu instid0(VALU_DEP_1) | instskip(SKIP_1) | instid1(VALU_DEP_2)
	v_pk_fma_f32 v[98:99], v[94:95], v[92:93], v[96:97] op_sel_hi:[1,0,1]
	v_pk_fma_f32 v[92:93], v[94:95], v[92:93], v[96:97] neg_lo:[0,0,1] neg_hi:[0,0,1]
	v_mov_b32_e32 v93, v99
	s_cbranch_execz .LBB43_289
	s_branch .LBB43_290
.LBB43_288:
                                        ; implicit-def: $vgpr92_vgpr93
.LBB43_289:
	ds_load_b64 v[92:93], v1
.LBB43_290:
	s_and_saveexec_b32 s13, s1
	s_cbranch_execz .LBB43_294
; %bb.291:
	v_add_nc_u32_e32 v94, -15, v0
	s_movk_i32 s1, 0x78
	s_movk_i32 s15, 0x1d8
	s_mov_b32 s14, 0
.LBB43_292:                             ; =>This Inner Loop Header: Depth=1
	scratch_load_b64 v[96:97], off, s1
	v_dual_mov_b32 v95, s15 :: v_dual_add_nc_u32 v94, -1, v94
	s_add_co_i32 s15, s15, 8
	s_wait_xcnt 0x0
	s_add_co_i32 s1, s1, 8
	ds_load_b64 v[98:99], v95
	v_cmp_eq_u32_e32 vcc_lo, 0, v94
	s_or_b32 s14, vcc_lo, s14
	s_wait_loadcnt_dscnt 0x0
	v_pk_mul_f32 v[100:101], v[98:99], v[96:97] op_sel:[1,1] op_sel_hi:[0,1]
	s_delay_alu instid0(VALU_DEP_1) | instskip(SKIP_1) | instid1(VALU_DEP_2)
	v_pk_fma_f32 v[102:103], v[98:99], v[96:97], v[100:101] op_sel_hi:[1,0,1]
	v_pk_fma_f32 v[96:97], v[98:99], v[96:97], v[100:101] neg_lo:[0,0,1] neg_hi:[0,0,1]
	v_mov_b32_e32 v97, v103
	s_delay_alu instid0(VALU_DEP_1)
	v_pk_add_f32 v[92:93], v[92:93], v[96:97]
	s_and_not1_b32 exec_lo, exec_lo, s14
	s_cbranch_execnz .LBB43_292
; %bb.293:
	s_or_b32 exec_lo, exec_lo, s14
.LBB43_294:
	s_delay_alu instid0(SALU_CYCLE_1) | instskip(SKIP_4) | instid1(VALU_DEP_1)
	s_or_b32 exec_lo, exec_lo, s13
	v_mov_b32_e32 v94, 0
	ds_load_b64 v[94:95], v94 offset:112
	s_wait_dscnt 0x0
	v_pk_mul_f32 v[96:97], v[92:93], v[94:95] op_sel:[1,1] op_sel_hi:[0,1]
	v_pk_fma_f32 v[98:99], v[92:93], v[94:95], v[96:97] op_sel_hi:[1,0,1]
	v_pk_fma_f32 v[92:93], v[92:93], v[94:95], v[96:97] neg_lo:[0,0,1] neg_hi:[0,0,1]
	s_delay_alu instid0(VALU_DEP_2)
	v_mov_b32_e32 v93, v99
	scratch_store_b64 off, v[92:93], off offset:112
.LBB43_295:
	s_wait_xcnt 0x0
	s_or_b32 exec_lo, exec_lo, s12
	scratch_load_b64 v[92:93], off, off offset:104
	v_cmp_lt_u32_e64 s1, 13, v0
	s_wait_loadcnt 0x0
	ds_store_b64 v1, v[92:93]
	s_wait_storecnt_dscnt 0x0
	s_barrier_signal -1
	s_barrier_wait -1
	s_wait_xcnt 0x0
	s_and_saveexec_b32 s12, s1
	s_cbranch_execz .LBB43_305
; %bb.296:
	s_and_not1_b32 vcc_lo, exec_lo, s3
	s_cbranch_vccnz .LBB43_298
; %bb.297:
	scratch_load_b64 v[92:93], v47, off
	ds_load_b64 v[94:95], v1
	s_wait_loadcnt_dscnt 0x0
	v_pk_mul_f32 v[96:97], v[94:95], v[92:93] op_sel:[1,1] op_sel_hi:[0,1]
	s_delay_alu instid0(VALU_DEP_1) | instskip(SKIP_1) | instid1(VALU_DEP_2)
	v_pk_fma_f32 v[98:99], v[94:95], v[92:93], v[96:97] op_sel_hi:[1,0,1]
	v_pk_fma_f32 v[92:93], v[94:95], v[92:93], v[96:97] neg_lo:[0,0,1] neg_hi:[0,0,1]
	v_mov_b32_e32 v93, v99
	s_cbranch_execz .LBB43_299
	s_branch .LBB43_300
.LBB43_298:
                                        ; implicit-def: $vgpr92_vgpr93
.LBB43_299:
	ds_load_b64 v[92:93], v1
.LBB43_300:
	s_and_saveexec_b32 s13, s0
	s_cbranch_execz .LBB43_304
; %bb.301:
	v_add_nc_u32_e32 v94, -14, v0
	s_movk_i32 s14, 0x1d0
	s_mov_b32 s0, 0
.LBB43_302:                             ; =>This Inner Loop Header: Depth=1
	scratch_load_b64 v[96:97], off, s11
	v_dual_mov_b32 v95, s14 :: v_dual_add_nc_u32 v94, -1, v94
	s_add_co_i32 s14, s14, 8
	s_wait_xcnt 0x0
	s_add_co_i32 s11, s11, 8
	ds_load_b64 v[98:99], v95
	v_cmp_eq_u32_e32 vcc_lo, 0, v94
	s_or_b32 s0, vcc_lo, s0
	s_wait_loadcnt_dscnt 0x0
	v_pk_mul_f32 v[100:101], v[98:99], v[96:97] op_sel:[1,1] op_sel_hi:[0,1]
	s_delay_alu instid0(VALU_DEP_1) | instskip(SKIP_1) | instid1(VALU_DEP_2)
	v_pk_fma_f32 v[102:103], v[98:99], v[96:97], v[100:101] op_sel_hi:[1,0,1]
	v_pk_fma_f32 v[96:97], v[98:99], v[96:97], v[100:101] neg_lo:[0,0,1] neg_hi:[0,0,1]
	v_mov_b32_e32 v97, v103
	s_delay_alu instid0(VALU_DEP_1)
	v_pk_add_f32 v[92:93], v[92:93], v[96:97]
	s_and_not1_b32 exec_lo, exec_lo, s0
	s_cbranch_execnz .LBB43_302
; %bb.303:
	s_or_b32 exec_lo, exec_lo, s0
.LBB43_304:
	s_delay_alu instid0(SALU_CYCLE_1) | instskip(SKIP_4) | instid1(VALU_DEP_1)
	s_or_b32 exec_lo, exec_lo, s13
	v_mov_b32_e32 v94, 0
	ds_load_b64 v[94:95], v94 offset:104
	s_wait_dscnt 0x0
	v_pk_mul_f32 v[96:97], v[92:93], v[94:95] op_sel:[1,1] op_sel_hi:[0,1]
	v_pk_fma_f32 v[98:99], v[92:93], v[94:95], v[96:97] op_sel_hi:[1,0,1]
	v_pk_fma_f32 v[92:93], v[92:93], v[94:95], v[96:97] neg_lo:[0,0,1] neg_hi:[0,0,1]
	s_delay_alu instid0(VALU_DEP_2)
	v_mov_b32_e32 v93, v99
	scratch_store_b64 off, v[92:93], off offset:104
.LBB43_305:
	s_wait_xcnt 0x0
	s_or_b32 exec_lo, exec_lo, s12
	scratch_load_b64 v[92:93], off, off offset:96
	v_cmp_lt_u32_e64 s0, 12, v0
	s_wait_loadcnt 0x0
	ds_store_b64 v1, v[92:93]
	s_wait_storecnt_dscnt 0x0
	s_barrier_signal -1
	s_barrier_wait -1
	s_wait_xcnt 0x0
	s_and_saveexec_b32 s11, s0
	s_cbranch_execz .LBB43_315
; %bb.306:
	s_and_not1_b32 vcc_lo, exec_lo, s3
	s_cbranch_vccnz .LBB43_308
; %bb.307:
	scratch_load_b64 v[92:93], v47, off
	ds_load_b64 v[94:95], v1
	s_wait_loadcnt_dscnt 0x0
	v_pk_mul_f32 v[96:97], v[94:95], v[92:93] op_sel:[1,1] op_sel_hi:[0,1]
	s_delay_alu instid0(VALU_DEP_1) | instskip(SKIP_1) | instid1(VALU_DEP_2)
	v_pk_fma_f32 v[98:99], v[94:95], v[92:93], v[96:97] op_sel_hi:[1,0,1]
	v_pk_fma_f32 v[92:93], v[94:95], v[92:93], v[96:97] neg_lo:[0,0,1] neg_hi:[0,0,1]
	v_mov_b32_e32 v93, v99
	s_cbranch_execz .LBB43_309
	s_branch .LBB43_310
.LBB43_308:
                                        ; implicit-def: $vgpr92_vgpr93
.LBB43_309:
	ds_load_b64 v[92:93], v1
.LBB43_310:
	s_and_saveexec_b32 s12, s1
	s_cbranch_execz .LBB43_314
; %bb.311:
	v_add_nc_u32_e32 v94, -13, v0
	s_movk_i32 s1, 0x68
	s_movk_i32 s14, 0x1c8
	s_mov_b32 s13, 0
.LBB43_312:                             ; =>This Inner Loop Header: Depth=1
	scratch_load_b64 v[96:97], off, s1
	v_dual_mov_b32 v95, s14 :: v_dual_add_nc_u32 v94, -1, v94
	s_add_co_i32 s14, s14, 8
	s_wait_xcnt 0x0
	s_add_co_i32 s1, s1, 8
	ds_load_b64 v[98:99], v95
	v_cmp_eq_u32_e32 vcc_lo, 0, v94
	s_or_b32 s13, vcc_lo, s13
	s_wait_loadcnt_dscnt 0x0
	v_pk_mul_f32 v[100:101], v[98:99], v[96:97] op_sel:[1,1] op_sel_hi:[0,1]
	s_delay_alu instid0(VALU_DEP_1) | instskip(SKIP_1) | instid1(VALU_DEP_2)
	v_pk_fma_f32 v[102:103], v[98:99], v[96:97], v[100:101] op_sel_hi:[1,0,1]
	v_pk_fma_f32 v[96:97], v[98:99], v[96:97], v[100:101] neg_lo:[0,0,1] neg_hi:[0,0,1]
	v_mov_b32_e32 v97, v103
	s_delay_alu instid0(VALU_DEP_1)
	v_pk_add_f32 v[92:93], v[92:93], v[96:97]
	s_and_not1_b32 exec_lo, exec_lo, s13
	s_cbranch_execnz .LBB43_312
; %bb.313:
	s_or_b32 exec_lo, exec_lo, s13
.LBB43_314:
	s_delay_alu instid0(SALU_CYCLE_1) | instskip(SKIP_4) | instid1(VALU_DEP_1)
	s_or_b32 exec_lo, exec_lo, s12
	v_mov_b32_e32 v94, 0
	ds_load_b64 v[94:95], v94 offset:96
	s_wait_dscnt 0x0
	v_pk_mul_f32 v[96:97], v[92:93], v[94:95] op_sel:[1,1] op_sel_hi:[0,1]
	v_pk_fma_f32 v[98:99], v[92:93], v[94:95], v[96:97] op_sel_hi:[1,0,1]
	v_pk_fma_f32 v[92:93], v[92:93], v[94:95], v[96:97] neg_lo:[0,0,1] neg_hi:[0,0,1]
	s_delay_alu instid0(VALU_DEP_2)
	v_mov_b32_e32 v93, v99
	scratch_store_b64 off, v[92:93], off offset:96
.LBB43_315:
	s_wait_xcnt 0x0
	s_or_b32 exec_lo, exec_lo, s11
	scratch_load_b64 v[92:93], off, off offset:88
	v_cmp_lt_u32_e64 s1, 11, v0
	s_wait_loadcnt 0x0
	ds_store_b64 v1, v[92:93]
	s_wait_storecnt_dscnt 0x0
	s_barrier_signal -1
	s_barrier_wait -1
	s_wait_xcnt 0x0
	s_and_saveexec_b32 s11, s1
	s_cbranch_execz .LBB43_325
; %bb.316:
	s_and_not1_b32 vcc_lo, exec_lo, s3
	s_cbranch_vccnz .LBB43_318
; %bb.317:
	scratch_load_b64 v[92:93], v47, off
	ds_load_b64 v[94:95], v1
	s_wait_loadcnt_dscnt 0x0
	v_pk_mul_f32 v[96:97], v[94:95], v[92:93] op_sel:[1,1] op_sel_hi:[0,1]
	s_delay_alu instid0(VALU_DEP_1) | instskip(SKIP_1) | instid1(VALU_DEP_2)
	v_pk_fma_f32 v[98:99], v[94:95], v[92:93], v[96:97] op_sel_hi:[1,0,1]
	v_pk_fma_f32 v[92:93], v[94:95], v[92:93], v[96:97] neg_lo:[0,0,1] neg_hi:[0,0,1]
	v_mov_b32_e32 v93, v99
	s_cbranch_execz .LBB43_319
	s_branch .LBB43_320
.LBB43_318:
                                        ; implicit-def: $vgpr92_vgpr93
.LBB43_319:
	ds_load_b64 v[92:93], v1
.LBB43_320:
	s_and_saveexec_b32 s12, s0
	s_cbranch_execz .LBB43_324
; %bb.321:
	v_add_nc_u32_e32 v94, -12, v0
	s_movk_i32 s13, 0x1c0
	s_mov_b32 s0, 0
.LBB43_322:                             ; =>This Inner Loop Header: Depth=1
	scratch_load_b64 v[96:97], off, s10
	v_dual_mov_b32 v95, s13 :: v_dual_add_nc_u32 v94, -1, v94
	s_add_co_i32 s13, s13, 8
	s_wait_xcnt 0x0
	s_add_co_i32 s10, s10, 8
	ds_load_b64 v[98:99], v95
	v_cmp_eq_u32_e32 vcc_lo, 0, v94
	s_or_b32 s0, vcc_lo, s0
	s_wait_loadcnt_dscnt 0x0
	v_pk_mul_f32 v[100:101], v[98:99], v[96:97] op_sel:[1,1] op_sel_hi:[0,1]
	s_delay_alu instid0(VALU_DEP_1) | instskip(SKIP_1) | instid1(VALU_DEP_2)
	v_pk_fma_f32 v[102:103], v[98:99], v[96:97], v[100:101] op_sel_hi:[1,0,1]
	v_pk_fma_f32 v[96:97], v[98:99], v[96:97], v[100:101] neg_lo:[0,0,1] neg_hi:[0,0,1]
	v_mov_b32_e32 v97, v103
	s_delay_alu instid0(VALU_DEP_1)
	v_pk_add_f32 v[92:93], v[92:93], v[96:97]
	s_and_not1_b32 exec_lo, exec_lo, s0
	s_cbranch_execnz .LBB43_322
; %bb.323:
	s_or_b32 exec_lo, exec_lo, s0
.LBB43_324:
	s_delay_alu instid0(SALU_CYCLE_1) | instskip(SKIP_4) | instid1(VALU_DEP_1)
	s_or_b32 exec_lo, exec_lo, s12
	v_mov_b32_e32 v94, 0
	ds_load_b64 v[94:95], v94 offset:88
	s_wait_dscnt 0x0
	v_pk_mul_f32 v[96:97], v[92:93], v[94:95] op_sel:[1,1] op_sel_hi:[0,1]
	v_pk_fma_f32 v[98:99], v[92:93], v[94:95], v[96:97] op_sel_hi:[1,0,1]
	v_pk_fma_f32 v[92:93], v[92:93], v[94:95], v[96:97] neg_lo:[0,0,1] neg_hi:[0,0,1]
	s_delay_alu instid0(VALU_DEP_2)
	v_mov_b32_e32 v93, v99
	scratch_store_b64 off, v[92:93], off offset:88
.LBB43_325:
	s_wait_xcnt 0x0
	s_or_b32 exec_lo, exec_lo, s11
	scratch_load_b64 v[92:93], off, off offset:80
	v_cmp_lt_u32_e64 s0, 10, v0
	s_wait_loadcnt 0x0
	ds_store_b64 v1, v[92:93]
	s_wait_storecnt_dscnt 0x0
	s_barrier_signal -1
	s_barrier_wait -1
	s_wait_xcnt 0x0
	s_and_saveexec_b32 s10, s0
	s_cbranch_execz .LBB43_335
; %bb.326:
	s_and_not1_b32 vcc_lo, exec_lo, s3
	s_cbranch_vccnz .LBB43_328
; %bb.327:
	scratch_load_b64 v[92:93], v47, off
	ds_load_b64 v[94:95], v1
	s_wait_loadcnt_dscnt 0x0
	v_pk_mul_f32 v[96:97], v[94:95], v[92:93] op_sel:[1,1] op_sel_hi:[0,1]
	s_delay_alu instid0(VALU_DEP_1) | instskip(SKIP_1) | instid1(VALU_DEP_2)
	v_pk_fma_f32 v[98:99], v[94:95], v[92:93], v[96:97] op_sel_hi:[1,0,1]
	v_pk_fma_f32 v[92:93], v[94:95], v[92:93], v[96:97] neg_lo:[0,0,1] neg_hi:[0,0,1]
	v_mov_b32_e32 v93, v99
	s_cbranch_execz .LBB43_329
	s_branch .LBB43_330
.LBB43_328:
                                        ; implicit-def: $vgpr92_vgpr93
.LBB43_329:
	ds_load_b64 v[92:93], v1
.LBB43_330:
	s_and_saveexec_b32 s11, s1
	s_cbranch_execz .LBB43_334
; %bb.331:
	v_add_nc_u32_e32 v94, -11, v0
	s_movk_i32 s1, 0x58
	s_movk_i32 s13, 0x1b8
	s_mov_b32 s12, 0
.LBB43_332:                             ; =>This Inner Loop Header: Depth=1
	scratch_load_b64 v[96:97], off, s1
	v_dual_mov_b32 v95, s13 :: v_dual_add_nc_u32 v94, -1, v94
	s_add_co_i32 s13, s13, 8
	s_wait_xcnt 0x0
	s_add_co_i32 s1, s1, 8
	ds_load_b64 v[98:99], v95
	v_cmp_eq_u32_e32 vcc_lo, 0, v94
	s_or_b32 s12, vcc_lo, s12
	s_wait_loadcnt_dscnt 0x0
	v_pk_mul_f32 v[100:101], v[98:99], v[96:97] op_sel:[1,1] op_sel_hi:[0,1]
	s_delay_alu instid0(VALU_DEP_1) | instskip(SKIP_1) | instid1(VALU_DEP_2)
	v_pk_fma_f32 v[102:103], v[98:99], v[96:97], v[100:101] op_sel_hi:[1,0,1]
	v_pk_fma_f32 v[96:97], v[98:99], v[96:97], v[100:101] neg_lo:[0,0,1] neg_hi:[0,0,1]
	v_mov_b32_e32 v97, v103
	s_delay_alu instid0(VALU_DEP_1)
	v_pk_add_f32 v[92:93], v[92:93], v[96:97]
	s_and_not1_b32 exec_lo, exec_lo, s12
	s_cbranch_execnz .LBB43_332
; %bb.333:
	s_or_b32 exec_lo, exec_lo, s12
.LBB43_334:
	s_delay_alu instid0(SALU_CYCLE_1) | instskip(SKIP_4) | instid1(VALU_DEP_1)
	s_or_b32 exec_lo, exec_lo, s11
	v_mov_b32_e32 v94, 0
	ds_load_b64 v[94:95], v94 offset:80
	s_wait_dscnt 0x0
	v_pk_mul_f32 v[96:97], v[92:93], v[94:95] op_sel:[1,1] op_sel_hi:[0,1]
	v_pk_fma_f32 v[98:99], v[92:93], v[94:95], v[96:97] op_sel_hi:[1,0,1]
	v_pk_fma_f32 v[92:93], v[92:93], v[94:95], v[96:97] neg_lo:[0,0,1] neg_hi:[0,0,1]
	s_delay_alu instid0(VALU_DEP_2)
	v_mov_b32_e32 v93, v99
	scratch_store_b64 off, v[92:93], off offset:80
.LBB43_335:
	s_wait_xcnt 0x0
	s_or_b32 exec_lo, exec_lo, s10
	scratch_load_b64 v[92:93], off, off offset:72
	v_cmp_lt_u32_e64 s1, 9, v0
	s_wait_loadcnt 0x0
	ds_store_b64 v1, v[92:93]
	s_wait_storecnt_dscnt 0x0
	s_barrier_signal -1
	s_barrier_wait -1
	s_wait_xcnt 0x0
	s_and_saveexec_b32 s10, s1
	s_cbranch_execz .LBB43_345
; %bb.336:
	s_and_not1_b32 vcc_lo, exec_lo, s3
	s_cbranch_vccnz .LBB43_338
; %bb.337:
	scratch_load_b64 v[92:93], v47, off
	ds_load_b64 v[94:95], v1
	s_wait_loadcnt_dscnt 0x0
	v_pk_mul_f32 v[96:97], v[94:95], v[92:93] op_sel:[1,1] op_sel_hi:[0,1]
	s_delay_alu instid0(VALU_DEP_1) | instskip(SKIP_1) | instid1(VALU_DEP_2)
	v_pk_fma_f32 v[98:99], v[94:95], v[92:93], v[96:97] op_sel_hi:[1,0,1]
	v_pk_fma_f32 v[92:93], v[94:95], v[92:93], v[96:97] neg_lo:[0,0,1] neg_hi:[0,0,1]
	v_mov_b32_e32 v93, v99
	s_cbranch_execz .LBB43_339
	s_branch .LBB43_340
.LBB43_338:
                                        ; implicit-def: $vgpr92_vgpr93
.LBB43_339:
	ds_load_b64 v[92:93], v1
.LBB43_340:
	s_and_saveexec_b32 s11, s0
	s_cbranch_execz .LBB43_344
; %bb.341:
	v_add_nc_u32_e32 v94, -10, v0
	s_movk_i32 s12, 0x1b0
	s_mov_b32 s0, 0
.LBB43_342:                             ; =>This Inner Loop Header: Depth=1
	scratch_load_b64 v[96:97], off, s9
	v_dual_mov_b32 v95, s12 :: v_dual_add_nc_u32 v94, -1, v94
	s_add_co_i32 s12, s12, 8
	s_wait_xcnt 0x0
	s_add_co_i32 s9, s9, 8
	ds_load_b64 v[98:99], v95
	v_cmp_eq_u32_e32 vcc_lo, 0, v94
	s_or_b32 s0, vcc_lo, s0
	s_wait_loadcnt_dscnt 0x0
	v_pk_mul_f32 v[100:101], v[98:99], v[96:97] op_sel:[1,1] op_sel_hi:[0,1]
	s_delay_alu instid0(VALU_DEP_1) | instskip(SKIP_1) | instid1(VALU_DEP_2)
	v_pk_fma_f32 v[102:103], v[98:99], v[96:97], v[100:101] op_sel_hi:[1,0,1]
	v_pk_fma_f32 v[96:97], v[98:99], v[96:97], v[100:101] neg_lo:[0,0,1] neg_hi:[0,0,1]
	v_mov_b32_e32 v97, v103
	s_delay_alu instid0(VALU_DEP_1)
	v_pk_add_f32 v[92:93], v[92:93], v[96:97]
	s_and_not1_b32 exec_lo, exec_lo, s0
	s_cbranch_execnz .LBB43_342
; %bb.343:
	s_or_b32 exec_lo, exec_lo, s0
.LBB43_344:
	s_delay_alu instid0(SALU_CYCLE_1) | instskip(SKIP_4) | instid1(VALU_DEP_1)
	s_or_b32 exec_lo, exec_lo, s11
	v_mov_b32_e32 v94, 0
	ds_load_b64 v[94:95], v94 offset:72
	s_wait_dscnt 0x0
	v_pk_mul_f32 v[96:97], v[92:93], v[94:95] op_sel:[1,1] op_sel_hi:[0,1]
	v_pk_fma_f32 v[98:99], v[92:93], v[94:95], v[96:97] op_sel_hi:[1,0,1]
	v_pk_fma_f32 v[92:93], v[92:93], v[94:95], v[96:97] neg_lo:[0,0,1] neg_hi:[0,0,1]
	s_delay_alu instid0(VALU_DEP_2)
	v_mov_b32_e32 v93, v99
	scratch_store_b64 off, v[92:93], off offset:72
.LBB43_345:
	s_wait_xcnt 0x0
	s_or_b32 exec_lo, exec_lo, s10
	scratch_load_b64 v[92:93], off, off offset:64
	v_cmp_lt_u32_e64 s0, 8, v0
	s_wait_loadcnt 0x0
	ds_store_b64 v1, v[92:93]
	s_wait_storecnt_dscnt 0x0
	s_barrier_signal -1
	s_barrier_wait -1
	s_wait_xcnt 0x0
	s_and_saveexec_b32 s9, s0
	s_cbranch_execz .LBB43_355
; %bb.346:
	s_and_not1_b32 vcc_lo, exec_lo, s3
	s_cbranch_vccnz .LBB43_348
; %bb.347:
	scratch_load_b64 v[92:93], v47, off
	ds_load_b64 v[94:95], v1
	s_wait_loadcnt_dscnt 0x0
	v_pk_mul_f32 v[96:97], v[94:95], v[92:93] op_sel:[1,1] op_sel_hi:[0,1]
	s_delay_alu instid0(VALU_DEP_1) | instskip(SKIP_1) | instid1(VALU_DEP_2)
	v_pk_fma_f32 v[98:99], v[94:95], v[92:93], v[96:97] op_sel_hi:[1,0,1]
	v_pk_fma_f32 v[92:93], v[94:95], v[92:93], v[96:97] neg_lo:[0,0,1] neg_hi:[0,0,1]
	v_mov_b32_e32 v93, v99
	s_cbranch_execz .LBB43_349
	s_branch .LBB43_350
.LBB43_348:
                                        ; implicit-def: $vgpr92_vgpr93
.LBB43_349:
	ds_load_b64 v[92:93], v1
.LBB43_350:
	s_and_saveexec_b32 s10, s1
	s_cbranch_execz .LBB43_354
; %bb.351:
	v_add_nc_u32_e32 v94, -9, v0
	s_movk_i32 s1, 0x48
	s_movk_i32 s12, 0x1a8
	s_mov_b32 s11, 0
.LBB43_352:                             ; =>This Inner Loop Header: Depth=1
	scratch_load_b64 v[96:97], off, s1
	v_dual_mov_b32 v95, s12 :: v_dual_add_nc_u32 v94, -1, v94
	s_add_co_i32 s12, s12, 8
	s_wait_xcnt 0x0
	s_add_co_i32 s1, s1, 8
	ds_load_b64 v[98:99], v95
	v_cmp_eq_u32_e32 vcc_lo, 0, v94
	s_or_b32 s11, vcc_lo, s11
	s_wait_loadcnt_dscnt 0x0
	v_pk_mul_f32 v[100:101], v[98:99], v[96:97] op_sel:[1,1] op_sel_hi:[0,1]
	s_delay_alu instid0(VALU_DEP_1) | instskip(SKIP_1) | instid1(VALU_DEP_2)
	v_pk_fma_f32 v[102:103], v[98:99], v[96:97], v[100:101] op_sel_hi:[1,0,1]
	v_pk_fma_f32 v[96:97], v[98:99], v[96:97], v[100:101] neg_lo:[0,0,1] neg_hi:[0,0,1]
	v_mov_b32_e32 v97, v103
	s_delay_alu instid0(VALU_DEP_1)
	v_pk_add_f32 v[92:93], v[92:93], v[96:97]
	s_and_not1_b32 exec_lo, exec_lo, s11
	s_cbranch_execnz .LBB43_352
; %bb.353:
	s_or_b32 exec_lo, exec_lo, s11
.LBB43_354:
	s_delay_alu instid0(SALU_CYCLE_1) | instskip(SKIP_4) | instid1(VALU_DEP_1)
	s_or_b32 exec_lo, exec_lo, s10
	v_mov_b32_e32 v94, 0
	ds_load_b64 v[94:95], v94 offset:64
	s_wait_dscnt 0x0
	v_pk_mul_f32 v[96:97], v[92:93], v[94:95] op_sel:[1,1] op_sel_hi:[0,1]
	v_pk_fma_f32 v[98:99], v[92:93], v[94:95], v[96:97] op_sel_hi:[1,0,1]
	v_pk_fma_f32 v[92:93], v[92:93], v[94:95], v[96:97] neg_lo:[0,0,1] neg_hi:[0,0,1]
	s_delay_alu instid0(VALU_DEP_2)
	v_mov_b32_e32 v93, v99
	scratch_store_b64 off, v[92:93], off offset:64
.LBB43_355:
	s_wait_xcnt 0x0
	s_or_b32 exec_lo, exec_lo, s9
	scratch_load_b64 v[92:93], off, off offset:56
	v_cmp_lt_u32_e64 s1, 7, v0
	s_wait_loadcnt 0x0
	ds_store_b64 v1, v[92:93]
	s_wait_storecnt_dscnt 0x0
	s_barrier_signal -1
	s_barrier_wait -1
	s_wait_xcnt 0x0
	s_and_saveexec_b32 s9, s1
	s_cbranch_execz .LBB43_365
; %bb.356:
	s_and_not1_b32 vcc_lo, exec_lo, s3
	s_cbranch_vccnz .LBB43_358
; %bb.357:
	scratch_load_b64 v[92:93], v47, off
	ds_load_b64 v[94:95], v1
	s_wait_loadcnt_dscnt 0x0
	v_pk_mul_f32 v[96:97], v[94:95], v[92:93] op_sel:[1,1] op_sel_hi:[0,1]
	s_delay_alu instid0(VALU_DEP_1) | instskip(SKIP_1) | instid1(VALU_DEP_2)
	v_pk_fma_f32 v[98:99], v[94:95], v[92:93], v[96:97] op_sel_hi:[1,0,1]
	v_pk_fma_f32 v[92:93], v[94:95], v[92:93], v[96:97] neg_lo:[0,0,1] neg_hi:[0,0,1]
	v_mov_b32_e32 v93, v99
	s_cbranch_execz .LBB43_359
	s_branch .LBB43_360
.LBB43_358:
                                        ; implicit-def: $vgpr92_vgpr93
.LBB43_359:
	ds_load_b64 v[92:93], v1
.LBB43_360:
	s_and_saveexec_b32 s10, s0
	s_cbranch_execz .LBB43_364
; %bb.361:
	v_add_nc_u32_e32 v94, -8, v0
	s_movk_i32 s11, 0x1a0
	s_mov_b32 s0, 0
.LBB43_362:                             ; =>This Inner Loop Header: Depth=1
	scratch_load_b64 v[96:97], off, s8
	v_dual_mov_b32 v95, s11 :: v_dual_add_nc_u32 v94, -1, v94
	s_add_co_i32 s11, s11, 8
	s_wait_xcnt 0x0
	s_add_co_i32 s8, s8, 8
	ds_load_b64 v[98:99], v95
	v_cmp_eq_u32_e32 vcc_lo, 0, v94
	s_or_b32 s0, vcc_lo, s0
	s_wait_loadcnt_dscnt 0x0
	v_pk_mul_f32 v[100:101], v[98:99], v[96:97] op_sel:[1,1] op_sel_hi:[0,1]
	s_delay_alu instid0(VALU_DEP_1) | instskip(SKIP_1) | instid1(VALU_DEP_2)
	v_pk_fma_f32 v[102:103], v[98:99], v[96:97], v[100:101] op_sel_hi:[1,0,1]
	v_pk_fma_f32 v[96:97], v[98:99], v[96:97], v[100:101] neg_lo:[0,0,1] neg_hi:[0,0,1]
	v_mov_b32_e32 v97, v103
	s_delay_alu instid0(VALU_DEP_1)
	v_pk_add_f32 v[92:93], v[92:93], v[96:97]
	s_and_not1_b32 exec_lo, exec_lo, s0
	s_cbranch_execnz .LBB43_362
; %bb.363:
	s_or_b32 exec_lo, exec_lo, s0
.LBB43_364:
	s_delay_alu instid0(SALU_CYCLE_1) | instskip(SKIP_4) | instid1(VALU_DEP_1)
	s_or_b32 exec_lo, exec_lo, s10
	v_mov_b32_e32 v94, 0
	ds_load_b64 v[94:95], v94 offset:56
	s_wait_dscnt 0x0
	v_pk_mul_f32 v[96:97], v[92:93], v[94:95] op_sel:[1,1] op_sel_hi:[0,1]
	v_pk_fma_f32 v[98:99], v[92:93], v[94:95], v[96:97] op_sel_hi:[1,0,1]
	v_pk_fma_f32 v[92:93], v[92:93], v[94:95], v[96:97] neg_lo:[0,0,1] neg_hi:[0,0,1]
	s_delay_alu instid0(VALU_DEP_2)
	v_mov_b32_e32 v93, v99
	scratch_store_b64 off, v[92:93], off offset:56
.LBB43_365:
	s_wait_xcnt 0x0
	s_or_b32 exec_lo, exec_lo, s9
	scratch_load_b64 v[92:93], off, off offset:48
	v_cmp_lt_u32_e64 s0, 6, v0
	s_wait_loadcnt 0x0
	ds_store_b64 v1, v[92:93]
	s_wait_storecnt_dscnt 0x0
	s_barrier_signal -1
	s_barrier_wait -1
	s_wait_xcnt 0x0
	s_and_saveexec_b32 s8, s0
	s_cbranch_execz .LBB43_375
; %bb.366:
	s_and_not1_b32 vcc_lo, exec_lo, s3
	s_cbranch_vccnz .LBB43_368
; %bb.367:
	scratch_load_b64 v[92:93], v47, off
	ds_load_b64 v[94:95], v1
	s_wait_loadcnt_dscnt 0x0
	v_pk_mul_f32 v[96:97], v[94:95], v[92:93] op_sel:[1,1] op_sel_hi:[0,1]
	s_delay_alu instid0(VALU_DEP_1) | instskip(SKIP_1) | instid1(VALU_DEP_2)
	v_pk_fma_f32 v[98:99], v[94:95], v[92:93], v[96:97] op_sel_hi:[1,0,1]
	v_pk_fma_f32 v[92:93], v[94:95], v[92:93], v[96:97] neg_lo:[0,0,1] neg_hi:[0,0,1]
	v_mov_b32_e32 v93, v99
	s_cbranch_execz .LBB43_369
	s_branch .LBB43_370
.LBB43_368:
                                        ; implicit-def: $vgpr92_vgpr93
.LBB43_369:
	ds_load_b64 v[92:93], v1
.LBB43_370:
	s_and_saveexec_b32 s9, s1
	s_cbranch_execz .LBB43_374
; %bb.371:
	v_add_nc_u32_e32 v94, -7, v0
	s_mov_b32 s1, 56
	s_movk_i32 s11, 0x198
	s_mov_b32 s10, 0
.LBB43_372:                             ; =>This Inner Loop Header: Depth=1
	scratch_load_b64 v[96:97], off, s1
	v_dual_mov_b32 v95, s11 :: v_dual_add_nc_u32 v94, -1, v94
	s_add_co_i32 s11, s11, 8
	s_wait_xcnt 0x0
	s_add_co_i32 s1, s1, 8
	ds_load_b64 v[98:99], v95
	v_cmp_eq_u32_e32 vcc_lo, 0, v94
	s_or_b32 s10, vcc_lo, s10
	s_wait_loadcnt_dscnt 0x0
	v_pk_mul_f32 v[100:101], v[98:99], v[96:97] op_sel:[1,1] op_sel_hi:[0,1]
	s_delay_alu instid0(VALU_DEP_1) | instskip(SKIP_1) | instid1(VALU_DEP_2)
	v_pk_fma_f32 v[102:103], v[98:99], v[96:97], v[100:101] op_sel_hi:[1,0,1]
	v_pk_fma_f32 v[96:97], v[98:99], v[96:97], v[100:101] neg_lo:[0,0,1] neg_hi:[0,0,1]
	v_mov_b32_e32 v97, v103
	s_delay_alu instid0(VALU_DEP_1)
	v_pk_add_f32 v[92:93], v[92:93], v[96:97]
	s_and_not1_b32 exec_lo, exec_lo, s10
	s_cbranch_execnz .LBB43_372
; %bb.373:
	s_or_b32 exec_lo, exec_lo, s10
.LBB43_374:
	s_delay_alu instid0(SALU_CYCLE_1) | instskip(SKIP_4) | instid1(VALU_DEP_1)
	s_or_b32 exec_lo, exec_lo, s9
	v_mov_b32_e32 v94, 0
	ds_load_b64 v[94:95], v94 offset:48
	s_wait_dscnt 0x0
	v_pk_mul_f32 v[96:97], v[92:93], v[94:95] op_sel:[1,1] op_sel_hi:[0,1]
	v_pk_fma_f32 v[98:99], v[92:93], v[94:95], v[96:97] op_sel_hi:[1,0,1]
	v_pk_fma_f32 v[92:93], v[92:93], v[94:95], v[96:97] neg_lo:[0,0,1] neg_hi:[0,0,1]
	s_delay_alu instid0(VALU_DEP_2)
	v_mov_b32_e32 v93, v99
	scratch_store_b64 off, v[92:93], off offset:48
.LBB43_375:
	s_wait_xcnt 0x0
	s_or_b32 exec_lo, exec_lo, s8
	scratch_load_b64 v[92:93], off, off offset:40
	v_cmp_lt_u32_e64 s1, 5, v0
	s_wait_loadcnt 0x0
	ds_store_b64 v1, v[92:93]
	s_wait_storecnt_dscnt 0x0
	s_barrier_signal -1
	s_barrier_wait -1
	s_wait_xcnt 0x0
	s_and_saveexec_b32 s8, s1
	s_cbranch_execz .LBB43_385
; %bb.376:
	s_and_not1_b32 vcc_lo, exec_lo, s3
	s_cbranch_vccnz .LBB43_378
; %bb.377:
	scratch_load_b64 v[92:93], v47, off
	ds_load_b64 v[94:95], v1
	s_wait_loadcnt_dscnt 0x0
	v_pk_mul_f32 v[96:97], v[94:95], v[92:93] op_sel:[1,1] op_sel_hi:[0,1]
	s_delay_alu instid0(VALU_DEP_1) | instskip(SKIP_1) | instid1(VALU_DEP_2)
	v_pk_fma_f32 v[98:99], v[94:95], v[92:93], v[96:97] op_sel_hi:[1,0,1]
	v_pk_fma_f32 v[92:93], v[94:95], v[92:93], v[96:97] neg_lo:[0,0,1] neg_hi:[0,0,1]
	v_mov_b32_e32 v93, v99
	s_cbranch_execz .LBB43_379
	s_branch .LBB43_380
.LBB43_378:
                                        ; implicit-def: $vgpr92_vgpr93
.LBB43_379:
	ds_load_b64 v[92:93], v1
.LBB43_380:
	s_and_saveexec_b32 s9, s0
	s_cbranch_execz .LBB43_384
; %bb.381:
	v_add_nc_u32_e32 v94, -6, v0
	s_movk_i32 s10, 0x190
	s_mov_b32 s0, 0
.LBB43_382:                             ; =>This Inner Loop Header: Depth=1
	scratch_load_b64 v[96:97], off, s2
	v_dual_mov_b32 v95, s10 :: v_dual_add_nc_u32 v94, -1, v94
	s_add_co_i32 s10, s10, 8
	s_wait_xcnt 0x0
	s_add_co_i32 s2, s2, 8
	ds_load_b64 v[98:99], v95
	v_cmp_eq_u32_e32 vcc_lo, 0, v94
	s_or_b32 s0, vcc_lo, s0
	s_wait_loadcnt_dscnt 0x0
	v_pk_mul_f32 v[100:101], v[98:99], v[96:97] op_sel:[1,1] op_sel_hi:[0,1]
	s_delay_alu instid0(VALU_DEP_1) | instskip(SKIP_1) | instid1(VALU_DEP_2)
	v_pk_fma_f32 v[102:103], v[98:99], v[96:97], v[100:101] op_sel_hi:[1,0,1]
	v_pk_fma_f32 v[96:97], v[98:99], v[96:97], v[100:101] neg_lo:[0,0,1] neg_hi:[0,0,1]
	v_mov_b32_e32 v97, v103
	s_delay_alu instid0(VALU_DEP_1)
	v_pk_add_f32 v[92:93], v[92:93], v[96:97]
	s_and_not1_b32 exec_lo, exec_lo, s0
	s_cbranch_execnz .LBB43_382
; %bb.383:
	s_or_b32 exec_lo, exec_lo, s0
.LBB43_384:
	s_delay_alu instid0(SALU_CYCLE_1) | instskip(SKIP_4) | instid1(VALU_DEP_1)
	s_or_b32 exec_lo, exec_lo, s9
	v_mov_b32_e32 v94, 0
	ds_load_b64 v[94:95], v94 offset:40
	s_wait_dscnt 0x0
	v_pk_mul_f32 v[96:97], v[92:93], v[94:95] op_sel:[1,1] op_sel_hi:[0,1]
	v_pk_fma_f32 v[98:99], v[92:93], v[94:95], v[96:97] op_sel_hi:[1,0,1]
	v_pk_fma_f32 v[92:93], v[92:93], v[94:95], v[96:97] neg_lo:[0,0,1] neg_hi:[0,0,1]
	s_delay_alu instid0(VALU_DEP_2)
	v_mov_b32_e32 v93, v99
	scratch_store_b64 off, v[92:93], off offset:40
.LBB43_385:
	s_wait_xcnt 0x0
	s_or_b32 exec_lo, exec_lo, s8
	scratch_load_b64 v[92:93], off, off offset:32
	v_cmp_lt_u32_e64 s0, 4, v0
	s_wait_loadcnt 0x0
	ds_store_b64 v1, v[92:93]
	s_wait_storecnt_dscnt 0x0
	s_barrier_signal -1
	s_barrier_wait -1
	s_wait_xcnt 0x0
	s_and_saveexec_b32 s2, s0
	s_cbranch_execz .LBB43_395
; %bb.386:
	s_and_not1_b32 vcc_lo, exec_lo, s3
	s_cbranch_vccnz .LBB43_388
; %bb.387:
	scratch_load_b64 v[92:93], v47, off
	ds_load_b64 v[94:95], v1
	s_wait_loadcnt_dscnt 0x0
	v_pk_mul_f32 v[96:97], v[94:95], v[92:93] op_sel:[1,1] op_sel_hi:[0,1]
	s_delay_alu instid0(VALU_DEP_1) | instskip(SKIP_1) | instid1(VALU_DEP_2)
	v_pk_fma_f32 v[98:99], v[94:95], v[92:93], v[96:97] op_sel_hi:[1,0,1]
	v_pk_fma_f32 v[92:93], v[94:95], v[92:93], v[96:97] neg_lo:[0,0,1] neg_hi:[0,0,1]
	v_mov_b32_e32 v93, v99
	s_cbranch_execz .LBB43_389
	s_branch .LBB43_390
.LBB43_388:
                                        ; implicit-def: $vgpr92_vgpr93
.LBB43_389:
	ds_load_b64 v[92:93], v1
.LBB43_390:
	s_and_saveexec_b32 s8, s1
	s_cbranch_execz .LBB43_394
; %bb.391:
	v_add_nc_u32_e32 v94, -5, v0
	s_mov_b32 s1, 40
	s_movk_i32 s10, 0x188
	s_mov_b32 s9, 0
.LBB43_392:                             ; =>This Inner Loop Header: Depth=1
	scratch_load_b64 v[96:97], off, s1
	v_dual_mov_b32 v95, s10 :: v_dual_add_nc_u32 v94, -1, v94
	s_add_co_i32 s10, s10, 8
	s_wait_xcnt 0x0
	s_add_co_i32 s1, s1, 8
	ds_load_b64 v[98:99], v95
	v_cmp_eq_u32_e32 vcc_lo, 0, v94
	s_or_b32 s9, vcc_lo, s9
	s_wait_loadcnt_dscnt 0x0
	v_pk_mul_f32 v[100:101], v[98:99], v[96:97] op_sel:[1,1] op_sel_hi:[0,1]
	s_delay_alu instid0(VALU_DEP_1) | instskip(SKIP_1) | instid1(VALU_DEP_2)
	v_pk_fma_f32 v[102:103], v[98:99], v[96:97], v[100:101] op_sel_hi:[1,0,1]
	v_pk_fma_f32 v[96:97], v[98:99], v[96:97], v[100:101] neg_lo:[0,0,1] neg_hi:[0,0,1]
	v_mov_b32_e32 v97, v103
	s_delay_alu instid0(VALU_DEP_1)
	v_pk_add_f32 v[92:93], v[92:93], v[96:97]
	s_and_not1_b32 exec_lo, exec_lo, s9
	s_cbranch_execnz .LBB43_392
; %bb.393:
	s_or_b32 exec_lo, exec_lo, s9
.LBB43_394:
	s_delay_alu instid0(SALU_CYCLE_1) | instskip(SKIP_4) | instid1(VALU_DEP_1)
	s_or_b32 exec_lo, exec_lo, s8
	v_mov_b32_e32 v94, 0
	ds_load_b64 v[94:95], v94 offset:32
	s_wait_dscnt 0x0
	v_pk_mul_f32 v[96:97], v[92:93], v[94:95] op_sel:[1,1] op_sel_hi:[0,1]
	v_pk_fma_f32 v[98:99], v[92:93], v[94:95], v[96:97] op_sel_hi:[1,0,1]
	v_pk_fma_f32 v[92:93], v[92:93], v[94:95], v[96:97] neg_lo:[0,0,1] neg_hi:[0,0,1]
	s_delay_alu instid0(VALU_DEP_2)
	v_mov_b32_e32 v93, v99
	scratch_store_b64 off, v[92:93], off offset:32
.LBB43_395:
	s_wait_xcnt 0x0
	s_or_b32 exec_lo, exec_lo, s2
	scratch_load_b64 v[92:93], off, off offset:24
	v_cmp_lt_u32_e64 s2, 3, v0
	s_wait_loadcnt 0x0
	ds_store_b64 v1, v[92:93]
	s_wait_storecnt_dscnt 0x0
	s_barrier_signal -1
	s_barrier_wait -1
	s_wait_xcnt 0x0
	s_and_saveexec_b32 s1, s2
	s_cbranch_execz .LBB43_405
; %bb.396:
	s_and_not1_b32 vcc_lo, exec_lo, s3
	s_cbranch_vccnz .LBB43_398
; %bb.397:
	scratch_load_b64 v[92:93], v47, off
	ds_load_b64 v[94:95], v1
	s_wait_loadcnt_dscnt 0x0
	v_pk_mul_f32 v[96:97], v[94:95], v[92:93] op_sel:[1,1] op_sel_hi:[0,1]
	s_delay_alu instid0(VALU_DEP_1) | instskip(SKIP_1) | instid1(VALU_DEP_2)
	v_pk_fma_f32 v[98:99], v[94:95], v[92:93], v[96:97] op_sel_hi:[1,0,1]
	v_pk_fma_f32 v[92:93], v[94:95], v[92:93], v[96:97] neg_lo:[0,0,1] neg_hi:[0,0,1]
	v_mov_b32_e32 v93, v99
	s_cbranch_execz .LBB43_399
	s_branch .LBB43_400
.LBB43_398:
                                        ; implicit-def: $vgpr92_vgpr93
.LBB43_399:
	ds_load_b64 v[92:93], v1
.LBB43_400:
	s_and_saveexec_b32 s8, s0
	s_cbranch_execz .LBB43_404
; %bb.401:
	v_add_nc_u32_e32 v94, -4, v0
	s_movk_i32 s9, 0x180
	s_mov_b32 s0, 0
.LBB43_402:                             ; =>This Inner Loop Header: Depth=1
	scratch_load_b64 v[96:97], off, s5
	v_dual_mov_b32 v95, s9 :: v_dual_add_nc_u32 v94, -1, v94
	s_add_co_i32 s9, s9, 8
	s_wait_xcnt 0x0
	s_add_co_i32 s5, s5, 8
	ds_load_b64 v[98:99], v95
	v_cmp_eq_u32_e32 vcc_lo, 0, v94
	s_or_b32 s0, vcc_lo, s0
	s_wait_loadcnt_dscnt 0x0
	v_pk_mul_f32 v[100:101], v[98:99], v[96:97] op_sel:[1,1] op_sel_hi:[0,1]
	s_delay_alu instid0(VALU_DEP_1) | instskip(SKIP_1) | instid1(VALU_DEP_2)
	v_pk_fma_f32 v[102:103], v[98:99], v[96:97], v[100:101] op_sel_hi:[1,0,1]
	v_pk_fma_f32 v[96:97], v[98:99], v[96:97], v[100:101] neg_lo:[0,0,1] neg_hi:[0,0,1]
	v_mov_b32_e32 v97, v103
	s_delay_alu instid0(VALU_DEP_1)
	v_pk_add_f32 v[92:93], v[92:93], v[96:97]
	s_and_not1_b32 exec_lo, exec_lo, s0
	s_cbranch_execnz .LBB43_402
; %bb.403:
	s_or_b32 exec_lo, exec_lo, s0
.LBB43_404:
	s_delay_alu instid0(SALU_CYCLE_1) | instskip(SKIP_4) | instid1(VALU_DEP_1)
	s_or_b32 exec_lo, exec_lo, s8
	v_mov_b32_e32 v94, 0
	ds_load_b64 v[94:95], v94 offset:24
	s_wait_dscnt 0x0
	v_pk_mul_f32 v[96:97], v[92:93], v[94:95] op_sel:[1,1] op_sel_hi:[0,1]
	v_pk_fma_f32 v[98:99], v[92:93], v[94:95], v[96:97] op_sel_hi:[1,0,1]
	v_pk_fma_f32 v[92:93], v[92:93], v[94:95], v[96:97] neg_lo:[0,0,1] neg_hi:[0,0,1]
	s_delay_alu instid0(VALU_DEP_2)
	v_mov_b32_e32 v93, v99
	scratch_store_b64 off, v[92:93], off offset:24
.LBB43_405:
	s_wait_xcnt 0x0
	s_or_b32 exec_lo, exec_lo, s1
	scratch_load_b64 v[92:93], off, off offset:16
	v_cmp_lt_u32_e64 s1, 2, v0
	s_wait_loadcnt 0x0
	ds_store_b64 v1, v[92:93]
	s_wait_storecnt_dscnt 0x0
	s_barrier_signal -1
	s_barrier_wait -1
	s_wait_xcnt 0x0
	s_and_saveexec_b32 s0, s1
	s_cbranch_execz .LBB43_415
; %bb.406:
	s_and_not1_b32 vcc_lo, exec_lo, s3
	s_cbranch_vccnz .LBB43_408
; %bb.407:
	scratch_load_b64 v[92:93], v47, off
	ds_load_b64 v[94:95], v1
	s_wait_loadcnt_dscnt 0x0
	v_pk_mul_f32 v[96:97], v[94:95], v[92:93] op_sel:[1,1] op_sel_hi:[0,1]
	s_delay_alu instid0(VALU_DEP_1) | instskip(SKIP_1) | instid1(VALU_DEP_2)
	v_pk_fma_f32 v[98:99], v[94:95], v[92:93], v[96:97] op_sel_hi:[1,0,1]
	v_pk_fma_f32 v[92:93], v[94:95], v[92:93], v[96:97] neg_lo:[0,0,1] neg_hi:[0,0,1]
	v_mov_b32_e32 v93, v99
	s_cbranch_execz .LBB43_409
	s_branch .LBB43_410
.LBB43_408:
                                        ; implicit-def: $vgpr92_vgpr93
.LBB43_409:
	ds_load_b64 v[92:93], v1
.LBB43_410:
	s_and_saveexec_b32 s5, s2
	s_cbranch_execz .LBB43_414
; %bb.411:
	v_add_nc_u32_e32 v94, -3, v0
	s_mov_b32 s2, 24
	s_movk_i32 s9, 0x178
	s_mov_b32 s8, 0
.LBB43_412:                             ; =>This Inner Loop Header: Depth=1
	scratch_load_b64 v[96:97], off, s2
	v_dual_mov_b32 v95, s9 :: v_dual_add_nc_u32 v94, -1, v94
	s_add_co_i32 s9, s9, 8
	s_wait_xcnt 0x0
	s_add_co_i32 s2, s2, 8
	ds_load_b64 v[98:99], v95
	v_cmp_eq_u32_e32 vcc_lo, 0, v94
	s_or_b32 s8, vcc_lo, s8
	s_wait_loadcnt_dscnt 0x0
	v_pk_mul_f32 v[100:101], v[98:99], v[96:97] op_sel:[1,1] op_sel_hi:[0,1]
	s_delay_alu instid0(VALU_DEP_1) | instskip(SKIP_1) | instid1(VALU_DEP_2)
	v_pk_fma_f32 v[102:103], v[98:99], v[96:97], v[100:101] op_sel_hi:[1,0,1]
	v_pk_fma_f32 v[96:97], v[98:99], v[96:97], v[100:101] neg_lo:[0,0,1] neg_hi:[0,0,1]
	v_mov_b32_e32 v97, v103
	s_delay_alu instid0(VALU_DEP_1)
	v_pk_add_f32 v[92:93], v[92:93], v[96:97]
	s_and_not1_b32 exec_lo, exec_lo, s8
	s_cbranch_execnz .LBB43_412
; %bb.413:
	s_or_b32 exec_lo, exec_lo, s8
.LBB43_414:
	s_delay_alu instid0(SALU_CYCLE_1) | instskip(SKIP_4) | instid1(VALU_DEP_1)
	s_or_b32 exec_lo, exec_lo, s5
	v_mov_b32_e32 v94, 0
	ds_load_b64 v[94:95], v94 offset:16
	s_wait_dscnt 0x0
	v_pk_mul_f32 v[96:97], v[92:93], v[94:95] op_sel:[1,1] op_sel_hi:[0,1]
	v_pk_fma_f32 v[98:99], v[92:93], v[94:95], v[96:97] op_sel_hi:[1,0,1]
	v_pk_fma_f32 v[92:93], v[92:93], v[94:95], v[96:97] neg_lo:[0,0,1] neg_hi:[0,0,1]
	s_delay_alu instid0(VALU_DEP_2)
	v_mov_b32_e32 v93, v99
	scratch_store_b64 off, v[92:93], off offset:16
.LBB43_415:
	s_wait_xcnt 0x0
	s_or_b32 exec_lo, exec_lo, s0
	scratch_load_b64 v[92:93], off, off offset:8
	v_cmp_lt_u32_e64 s0, 1, v0
	s_wait_loadcnt 0x0
	ds_store_b64 v1, v[92:93]
	s_wait_storecnt_dscnt 0x0
	s_barrier_signal -1
	s_barrier_wait -1
	s_wait_xcnt 0x0
	s_and_saveexec_b32 s2, s0
	s_cbranch_execz .LBB43_425
; %bb.416:
	s_and_not1_b32 vcc_lo, exec_lo, s3
	s_cbranch_vccnz .LBB43_418
; %bb.417:
	scratch_load_b64 v[92:93], v47, off
	ds_load_b64 v[94:95], v1
	s_wait_loadcnt_dscnt 0x0
	v_pk_mul_f32 v[96:97], v[94:95], v[92:93] op_sel:[1,1] op_sel_hi:[0,1]
	s_delay_alu instid0(VALU_DEP_1) | instskip(SKIP_1) | instid1(VALU_DEP_2)
	v_pk_fma_f32 v[98:99], v[94:95], v[92:93], v[96:97] op_sel_hi:[1,0,1]
	v_pk_fma_f32 v[92:93], v[94:95], v[92:93], v[96:97] neg_lo:[0,0,1] neg_hi:[0,0,1]
	v_mov_b32_e32 v93, v99
	s_cbranch_execz .LBB43_419
	s_branch .LBB43_420
.LBB43_418:
                                        ; implicit-def: $vgpr92_vgpr93
.LBB43_419:
	ds_load_b64 v[92:93], v1
.LBB43_420:
	s_and_saveexec_b32 s5, s1
	s_cbranch_execz .LBB43_424
; %bb.421:
	v_add_nc_u32_e32 v94, -2, v0
	s_movk_i32 s8, 0x170
	s_mov_b32 s1, 0
.LBB43_422:                             ; =>This Inner Loop Header: Depth=1
	scratch_load_b64 v[96:97], off, s4
	v_dual_mov_b32 v95, s8 :: v_dual_add_nc_u32 v94, -1, v94
	s_add_co_i32 s8, s8, 8
	s_wait_xcnt 0x0
	s_add_co_i32 s4, s4, 8
	ds_load_b64 v[98:99], v95
	v_cmp_eq_u32_e32 vcc_lo, 0, v94
	s_or_b32 s1, vcc_lo, s1
	s_wait_loadcnt_dscnt 0x0
	v_pk_mul_f32 v[100:101], v[98:99], v[96:97] op_sel:[1,1] op_sel_hi:[0,1]
	s_delay_alu instid0(VALU_DEP_1) | instskip(SKIP_1) | instid1(VALU_DEP_2)
	v_pk_fma_f32 v[102:103], v[98:99], v[96:97], v[100:101] op_sel_hi:[1,0,1]
	v_pk_fma_f32 v[96:97], v[98:99], v[96:97], v[100:101] neg_lo:[0,0,1] neg_hi:[0,0,1]
	v_mov_b32_e32 v97, v103
	s_delay_alu instid0(VALU_DEP_1)
	v_pk_add_f32 v[92:93], v[92:93], v[96:97]
	s_and_not1_b32 exec_lo, exec_lo, s1
	s_cbranch_execnz .LBB43_422
; %bb.423:
	s_or_b32 exec_lo, exec_lo, s1
.LBB43_424:
	s_delay_alu instid0(SALU_CYCLE_1) | instskip(SKIP_4) | instid1(VALU_DEP_1)
	s_or_b32 exec_lo, exec_lo, s5
	v_mov_b32_e32 v94, 0
	ds_load_b64 v[94:95], v94 offset:8
	s_wait_dscnt 0x0
	v_pk_mul_f32 v[96:97], v[92:93], v[94:95] op_sel:[1,1] op_sel_hi:[0,1]
	v_pk_fma_f32 v[98:99], v[92:93], v[94:95], v[96:97] op_sel_hi:[1,0,1]
	v_pk_fma_f32 v[92:93], v[92:93], v[94:95], v[96:97] neg_lo:[0,0,1] neg_hi:[0,0,1]
	s_delay_alu instid0(VALU_DEP_2)
	v_mov_b32_e32 v93, v99
	scratch_store_b64 off, v[92:93], off offset:8
.LBB43_425:
	s_wait_xcnt 0x0
	s_or_b32 exec_lo, exec_lo, s2
	scratch_load_b64 v[92:93], off, off
	s_mov_b32 s2, 0
	s_mov_b32 s1, 0
	s_mov_b32 s5, exec_lo
                                        ; implicit-def: $vgpr124
                                        ; implicit-def: $sgpr4
	s_wait_loadcnt 0x0
	ds_store_b64 v1, v[92:93]
	s_wait_storecnt_dscnt 0x0
	s_barrier_signal -1
	s_barrier_wait -1
	s_wait_xcnt 0x0
	v_cmpx_ne_u32_e32 0, v0
	s_cbranch_execz .LBB43_435
; %bb.426:
	s_and_not1_b32 vcc_lo, exec_lo, s3
	s_cbranch_vccnz .LBB43_428
; %bb.427:
	scratch_load_b64 v[94:95], v47, off
	ds_load_b64 v[96:97], v1
	s_wait_loadcnt_dscnt 0x0
	v_dual_mul_f32 v92, v97, v95 :: v_dual_mul_f32 v93, v96, v95
	s_delay_alu instid0(VALU_DEP_1)
	v_dual_fma_f32 v92, v96, v94, -v92 :: v_dual_fmac_f32 v93, v97, v94
	s_and_not1_b32 vcc_lo, exec_lo, s1
	s_cbranch_vccz .LBB43_429
	s_branch .LBB43_430
.LBB43_428:
                                        ; implicit-def: $vgpr92
.LBB43_429:
	ds_load_b64 v[92:93], v1
.LBB43_430:
	s_and_saveexec_b32 s1, s0
	s_cbranch_execz .LBB43_434
; %bb.431:
	v_add_nc_u32_e32 v94, -1, v0
	s_or_b32 s0, 0, 8
	s_movk_i32 s8, 0x168
	s_mov_b32 s4, 0
.LBB43_432:                             ; =>This Inner Loop Header: Depth=1
	scratch_load_b64 v[96:97], off, s0
	v_mov_b32_e32 v95, s8
	s_add_co_i32 s8, s8, 8
	s_wait_xcnt 0x0
	s_add_co_i32 s0, s0, 8
	v_add_nc_u32_e32 v94, -1, v94
	ds_load_b64 v[98:99], v95
	v_cmp_eq_u32_e32 vcc_lo, 0, v94
	s_or_b32 s4, vcc_lo, s4
	s_wait_loadcnt_dscnt 0x0
	v_dual_mul_f32 v95, v99, v97 :: v_dual_mul_f32 v97, v98, v97
	s_delay_alu instid0(VALU_DEP_1) | instskip(NEXT) | instid1(VALU_DEP_1)
	v_dual_fma_f32 v95, v98, v96, -v95 :: v_dual_fmac_f32 v97, v99, v96
	v_dual_add_f32 v92, v92, v95 :: v_dual_add_f32 v93, v93, v97
	s_and_not1_b32 exec_lo, exec_lo, s4
	s_cbranch_execnz .LBB43_432
; %bb.433:
	s_or_b32 exec_lo, exec_lo, s4
.LBB43_434:
	s_delay_alu instid0(SALU_CYCLE_1)
	s_or_b32 exec_lo, exec_lo, s1
	v_mov_b32_e32 v94, 0
	s_mov_b32 s1, exec_lo
	s_or_b32 s4, 0, 4
	ds_load_b64 v[94:95], v94
	s_wait_dscnt 0x0
	v_dual_mul_f32 v96, v93, v95 :: v_dual_mul_f32 v124, v92, v95
	s_delay_alu instid0(VALU_DEP_1) | instskip(NEXT) | instid1(VALU_DEP_2)
	v_fma_f32 v92, v92, v94, -v96
	v_fmac_f32_e32 v124, v93, v94
	scratch_store_b32 off, v92, off
.LBB43_435:
	s_wait_xcnt 0x0
	s_or_b32 exec_lo, exec_lo, s5
	s_delay_alu instid0(SALU_CYCLE_1)
	s_and_b32 vcc_lo, exec_lo, s2
	s_cbranch_vccz .LBB43_861
.LBB43_436:
	scratch_load_b64 v[92:93], off, off offset:8
	v_cmp_eq_u32_e64 s0, 0, v0
	s_wait_loadcnt 0x0
	ds_store_b64 v1, v[92:93]
	s_wait_storecnt_dscnt 0x0
	s_barrier_signal -1
	s_barrier_wait -1
	s_wait_xcnt 0x0
	s_and_saveexec_b32 s2, s0
	s_cbranch_execz .LBB43_442
; %bb.437:
	s_and_b32 vcc_lo, exec_lo, s3
	s_cbranch_vccz .LBB43_439
; %bb.438:
	scratch_load_b64 v[92:93], v47, off
	ds_load_b64 v[94:95], v1
	s_wait_loadcnt_dscnt 0x0
	v_pk_mul_f32 v[96:97], v[94:95], v[92:93] op_sel:[1,1] op_sel_hi:[0,1]
	v_pk_mul_f32 v[98:99], v[94:95], v[92:93] op_sel_hi:[1,0]
	s_delay_alu instid0(VALU_DEP_2) | instskip(NEXT) | instid1(VALU_DEP_2)
	v_pk_fma_f32 v[92:93], v[94:95], v[92:93], v[96:97] op_sel_hi:[1,0,1]
	v_sub_f32_e32 v92, v98, v96
	s_cbranch_execz .LBB43_440
	s_branch .LBB43_441
.LBB43_439:
                                        ; implicit-def: $vgpr93
.LBB43_440:
	ds_load_b64 v[92:93], v1
.LBB43_441:
	s_wait_dscnt 0x0
	v_dual_mov_b32 v94, 0 :: v_dual_mov_b32 v96, v93
	v_mov_b32_e32 v97, v92
	ds_load_b64 v[94:95], v94 offset:8
	s_wait_dscnt 0x0
	v_pk_mul_f32 v[96:97], v[96:97], v[94:95] op_sel:[0,1]
	s_delay_alu instid0(VALU_DEP_1) | instskip(SKIP_1) | instid1(VALU_DEP_2)
	v_pk_fma_f32 v[98:99], v[92:93], v[94:95], v[96:97] op_sel_hi:[1,0,1]
	v_pk_fma_f32 v[92:93], v[92:93], v[94:95], v[96:97] neg_lo:[0,0,1] neg_hi:[0,0,1]
	v_mov_b32_e32 v93, v99
	scratch_store_b64 off, v[92:93], off offset:8
.LBB43_442:
	s_wait_xcnt 0x0
	s_or_b32 exec_lo, exec_lo, s2
	scratch_load_b64 v[92:93], off, off offset:16
	v_cndmask_b32_e64 v94, 0, 1, s3
	s_mov_b32 s2, exec_lo
	s_wait_loadcnt 0x0
	ds_store_b64 v1, v[92:93]
	s_wait_storecnt_dscnt 0x0
	s_barrier_signal -1
	s_barrier_wait -1
	s_wait_xcnt 0x0
	v_cmpx_gt_u32_e32 2, v0
	s_cbranch_execz .LBB43_450
; %bb.443:
	s_and_not1_b32 vcc_lo, exec_lo, s3
	s_cbranch_vccnz .LBB43_445
; %bb.444:
	scratch_load_b64 v[92:93], v47, off
	ds_load_b64 v[96:97], v1
	s_wait_loadcnt_dscnt 0x0
	v_pk_mul_f32 v[98:99], v[96:97], v[92:93] op_sel:[1,1] op_sel_hi:[0,1]
	s_delay_alu instid0(VALU_DEP_1) | instskip(SKIP_1) | instid1(VALU_DEP_2)
	v_pk_fma_f32 v[100:101], v[96:97], v[92:93], v[98:99] op_sel_hi:[1,0,1]
	v_pk_fma_f32 v[92:93], v[96:97], v[92:93], v[98:99] neg_lo:[0,0,1] neg_hi:[0,0,1]
	v_mov_b32_e32 v93, v101
	s_cbranch_execz .LBB43_446
	s_branch .LBB43_447
.LBB43_445:
                                        ; implicit-def: $vgpr92_vgpr93
.LBB43_446:
	ds_load_b64 v[92:93], v1
.LBB43_447:
	s_and_saveexec_b32 s3, s0
	s_cbranch_execz .LBB43_449
; %bb.448:
	scratch_load_b64 v[96:97], off, off offset:8
	v_mov_b32_e32 v95, 0
	ds_load_b64 v[98:99], v95 offset:360
	s_wait_loadcnt_dscnt 0x0
	v_pk_mul_f32 v[100:101], v[98:99], v[96:97] op_sel:[1,1] op_sel_hi:[0,1]
	s_delay_alu instid0(VALU_DEP_1) | instskip(SKIP_1) | instid1(VALU_DEP_2)
	v_pk_fma_f32 v[102:103], v[98:99], v[96:97], v[100:101] op_sel_hi:[1,0,1]
	v_pk_fma_f32 v[96:97], v[98:99], v[96:97], v[100:101] neg_lo:[0,0,1] neg_hi:[0,0,1]
	v_mov_b32_e32 v97, v103
	s_delay_alu instid0(VALU_DEP_1)
	v_pk_add_f32 v[92:93], v[92:93], v[96:97]
.LBB43_449:
	s_or_b32 exec_lo, exec_lo, s3
	v_mov_b32_e32 v95, 0
	ds_load_b64 v[96:97], v95 offset:16
	s_wait_dscnt 0x0
	v_pk_mul_f32 v[98:99], v[92:93], v[96:97] op_sel:[1,1] op_sel_hi:[0,1]
	s_delay_alu instid0(VALU_DEP_1) | instskip(SKIP_1) | instid1(VALU_DEP_2)
	v_pk_fma_f32 v[100:101], v[92:93], v[96:97], v[98:99] op_sel_hi:[1,0,1]
	v_pk_fma_f32 v[92:93], v[92:93], v[96:97], v[98:99] neg_lo:[0,0,1] neg_hi:[0,0,1]
	v_mov_b32_e32 v93, v101
	scratch_store_b64 off, v[92:93], off offset:16
.LBB43_450:
	s_wait_xcnt 0x0
	s_or_b32 exec_lo, exec_lo, s2
	scratch_load_b64 v[92:93], off, off offset:24
	s_mov_b32 s2, exec_lo
	s_wait_loadcnt 0x0
	ds_store_b64 v1, v[92:93]
	s_wait_storecnt_dscnt 0x0
	s_barrier_signal -1
	s_barrier_wait -1
	s_wait_xcnt 0x0
	v_cmpx_gt_u32_e32 3, v0
	s_cbranch_execz .LBB43_460
; %bb.451:
	v_cmp_ne_u32_e32 vcc_lo, 1, v94
	s_cbranch_vccnz .LBB43_453
; %bb.452:
	scratch_load_b64 v[92:93], v47, off
	ds_load_b64 v[96:97], v1
	s_wait_loadcnt_dscnt 0x0
	v_pk_mul_f32 v[98:99], v[96:97], v[92:93] op_sel:[1,1] op_sel_hi:[0,1]
	s_delay_alu instid0(VALU_DEP_1) | instskip(SKIP_1) | instid1(VALU_DEP_2)
	v_pk_fma_f32 v[100:101], v[96:97], v[92:93], v[98:99] op_sel_hi:[1,0,1]
	v_pk_fma_f32 v[92:93], v[96:97], v[92:93], v[98:99] neg_lo:[0,0,1] neg_hi:[0,0,1]
	v_mov_b32_e32 v93, v101
	s_cbranch_execz .LBB43_454
	s_branch .LBB43_455
.LBB43_453:
                                        ; implicit-def: $vgpr92_vgpr93
.LBB43_454:
	ds_load_b64 v[92:93], v1
.LBB43_455:
	s_mov_b32 s3, exec_lo
	v_cmpx_ne_u32_e32 2, v0
	s_cbranch_execz .LBB43_459
; %bb.456:
	scratch_load_b64 v[96:97], v47, off offset:8
	ds_load_b64 v[98:99], v1 offset:8
	s_wait_loadcnt_dscnt 0x0
	v_pk_mul_f32 v[100:101], v[98:99], v[96:97] op_sel:[1,1] op_sel_hi:[0,1]
	s_delay_alu instid0(VALU_DEP_1) | instskip(SKIP_1) | instid1(VALU_DEP_2)
	v_pk_fma_f32 v[102:103], v[98:99], v[96:97], v[100:101] op_sel_hi:[1,0,1]
	v_pk_fma_f32 v[96:97], v[98:99], v[96:97], v[100:101] neg_lo:[0,0,1] neg_hi:[0,0,1]
	v_mov_b32_e32 v97, v103
	s_delay_alu instid0(VALU_DEP_1)
	v_pk_add_f32 v[92:93], v[92:93], v[96:97]
	s_and_saveexec_b32 s4, s0
	s_cbranch_execz .LBB43_458
; %bb.457:
	scratch_load_b64 v[96:97], off, off offset:16
	v_mov_b32_e32 v95, 0
	ds_load_b64 v[98:99], v95 offset:368
	s_wait_loadcnt_dscnt 0x0
	v_pk_mul_f32 v[100:101], v[98:99], v[96:97] op_sel:[1,1] op_sel_hi:[0,1]
	s_delay_alu instid0(VALU_DEP_1) | instskip(SKIP_1) | instid1(VALU_DEP_2)
	v_pk_fma_f32 v[102:103], v[98:99], v[96:97], v[100:101] op_sel_hi:[1,0,1]
	v_pk_fma_f32 v[96:97], v[98:99], v[96:97], v[100:101] neg_lo:[0,0,1] neg_hi:[0,0,1]
	v_mov_b32_e32 v97, v103
	s_delay_alu instid0(VALU_DEP_1)
	v_pk_add_f32 v[92:93], v[92:93], v[96:97]
.LBB43_458:
	s_or_b32 exec_lo, exec_lo, s4
.LBB43_459:
	s_delay_alu instid0(SALU_CYCLE_1) | instskip(SKIP_4) | instid1(VALU_DEP_1)
	s_or_b32 exec_lo, exec_lo, s3
	v_mov_b32_e32 v95, 0
	ds_load_b64 v[96:97], v95 offset:24
	s_wait_dscnt 0x0
	v_pk_mul_f32 v[98:99], v[92:93], v[96:97] op_sel:[1,1] op_sel_hi:[0,1]
	v_pk_fma_f32 v[100:101], v[92:93], v[96:97], v[98:99] op_sel_hi:[1,0,1]
	v_pk_fma_f32 v[92:93], v[92:93], v[96:97], v[98:99] neg_lo:[0,0,1] neg_hi:[0,0,1]
	s_delay_alu instid0(VALU_DEP_2)
	v_mov_b32_e32 v93, v101
	scratch_store_b64 off, v[92:93], off offset:24
.LBB43_460:
	s_wait_xcnt 0x0
	s_or_b32 exec_lo, exec_lo, s2
	scratch_load_b64 v[92:93], off, off offset:32
	s_mov_b32 s0, exec_lo
	s_wait_loadcnt 0x0
	ds_store_b64 v1, v[92:93]
	s_wait_storecnt_dscnt 0x0
	s_barrier_signal -1
	s_barrier_wait -1
	s_wait_xcnt 0x0
	v_cmpx_gt_u32_e32 4, v0
	s_cbranch_execz .LBB43_470
; %bb.461:
	v_cmp_ne_u32_e32 vcc_lo, 1, v94
	s_cbranch_vccnz .LBB43_463
; %bb.462:
	scratch_load_b64 v[92:93], v47, off
	ds_load_b64 v[96:97], v1
	s_wait_loadcnt_dscnt 0x0
	v_pk_mul_f32 v[98:99], v[96:97], v[92:93] op_sel:[1,1] op_sel_hi:[0,1]
	s_delay_alu instid0(VALU_DEP_1) | instskip(SKIP_1) | instid1(VALU_DEP_2)
	v_pk_fma_f32 v[100:101], v[96:97], v[92:93], v[98:99] op_sel_hi:[1,0,1]
	v_pk_fma_f32 v[92:93], v[96:97], v[92:93], v[98:99] neg_lo:[0,0,1] neg_hi:[0,0,1]
	v_mov_b32_e32 v93, v101
	s_cbranch_execz .LBB43_464
	s_branch .LBB43_465
.LBB43_463:
                                        ; implicit-def: $vgpr92_vgpr93
.LBB43_464:
	ds_load_b64 v[92:93], v1
.LBB43_465:
	s_mov_b32 s2, exec_lo
	v_cmpx_ne_u32_e32 3, v0
	s_cbranch_execz .LBB43_469
; %bb.466:
	v_add_nc_u32_e32 v95, 0x168, v46
	v_add3_u32 v96, 0, v46, 8
	v_mov_b32_e32 v97, v0
	s_mov_b32 s3, 0
.LBB43_467:                             ; =>This Inner Loop Header: Depth=1
	scratch_load_b64 v[98:99], v96, off
	ds_load_b64 v[100:101], v95
	s_wait_xcnt 0x0
	v_dual_add_nc_u32 v95, 8, v95 :: v_dual_add_nc_u32 v96, 8, v96
	s_wait_loadcnt_dscnt 0x0
	v_pk_mul_f32 v[102:103], v[100:101], v[98:99] op_sel:[1,1] op_sel_hi:[0,1]
	s_delay_alu instid0(VALU_DEP_1) | instskip(SKIP_2) | instid1(VALU_DEP_3)
	v_pk_fma_f32 v[104:105], v[100:101], v[98:99], v[102:103] op_sel_hi:[1,0,1]
	v_add_nc_u32_e32 v97, 1, v97
	v_pk_fma_f32 v[98:99], v[100:101], v[98:99], v[102:103] neg_lo:[0,0,1] neg_hi:[0,0,1]
	v_mov_b32_e32 v99, v105
	s_delay_alu instid0(VALU_DEP_3) | instskip(NEXT) | instid1(VALU_DEP_2)
	v_cmp_lt_u32_e32 vcc_lo, 2, v97
	v_pk_add_f32 v[92:93], v[92:93], v[98:99]
	s_or_b32 s3, vcc_lo, s3
	s_delay_alu instid0(SALU_CYCLE_1)
	s_and_not1_b32 exec_lo, exec_lo, s3
	s_cbranch_execnz .LBB43_467
; %bb.468:
	s_or_b32 exec_lo, exec_lo, s3
.LBB43_469:
	s_delay_alu instid0(SALU_CYCLE_1) | instskip(SKIP_4) | instid1(VALU_DEP_1)
	s_or_b32 exec_lo, exec_lo, s2
	v_mov_b32_e32 v95, 0
	ds_load_b64 v[96:97], v95 offset:32
	s_wait_dscnt 0x0
	v_pk_mul_f32 v[98:99], v[92:93], v[96:97] op_sel:[1,1] op_sel_hi:[0,1]
	v_pk_fma_f32 v[100:101], v[92:93], v[96:97], v[98:99] op_sel_hi:[1,0,1]
	v_pk_fma_f32 v[92:93], v[92:93], v[96:97], v[98:99] neg_lo:[0,0,1] neg_hi:[0,0,1]
	s_delay_alu instid0(VALU_DEP_2)
	v_mov_b32_e32 v93, v101
	scratch_store_b64 off, v[92:93], off offset:32
.LBB43_470:
	s_wait_xcnt 0x0
	s_or_b32 exec_lo, exec_lo, s0
	scratch_load_b64 v[92:93], off, off offset:40
	s_mov_b32 s0, exec_lo
	s_wait_loadcnt 0x0
	ds_store_b64 v1, v[92:93]
	s_wait_storecnt_dscnt 0x0
	s_barrier_signal -1
	s_barrier_wait -1
	s_wait_xcnt 0x0
	v_cmpx_gt_u32_e32 5, v0
	s_cbranch_execz .LBB43_480
; %bb.471:
	v_cmp_ne_u32_e32 vcc_lo, 1, v94
	s_cbranch_vccnz .LBB43_473
; %bb.472:
	scratch_load_b64 v[92:93], v47, off
	ds_load_b64 v[96:97], v1
	s_wait_loadcnt_dscnt 0x0
	v_pk_mul_f32 v[98:99], v[96:97], v[92:93] op_sel:[1,1] op_sel_hi:[0,1]
	s_delay_alu instid0(VALU_DEP_1) | instskip(SKIP_1) | instid1(VALU_DEP_2)
	v_pk_fma_f32 v[100:101], v[96:97], v[92:93], v[98:99] op_sel_hi:[1,0,1]
	v_pk_fma_f32 v[92:93], v[96:97], v[92:93], v[98:99] neg_lo:[0,0,1] neg_hi:[0,0,1]
	v_mov_b32_e32 v93, v101
	s_cbranch_execz .LBB43_474
	s_branch .LBB43_475
.LBB43_473:
                                        ; implicit-def: $vgpr92_vgpr93
.LBB43_474:
	ds_load_b64 v[92:93], v1
.LBB43_475:
	s_mov_b32 s2, exec_lo
	v_cmpx_ne_u32_e32 4, v0
	s_cbranch_execz .LBB43_479
; %bb.476:
	v_add_nc_u32_e32 v95, 0x168, v46
	v_add3_u32 v96, 0, v46, 8
	v_mov_b32_e32 v97, v0
	s_mov_b32 s3, 0
.LBB43_477:                             ; =>This Inner Loop Header: Depth=1
	scratch_load_b64 v[98:99], v96, off
	ds_load_b64 v[100:101], v95
	s_wait_xcnt 0x0
	v_dual_add_nc_u32 v95, 8, v95 :: v_dual_add_nc_u32 v96, 8, v96
	s_wait_loadcnt_dscnt 0x0
	v_pk_mul_f32 v[102:103], v[100:101], v[98:99] op_sel:[1,1] op_sel_hi:[0,1]
	s_delay_alu instid0(VALU_DEP_1) | instskip(SKIP_2) | instid1(VALU_DEP_3)
	v_pk_fma_f32 v[104:105], v[100:101], v[98:99], v[102:103] op_sel_hi:[1,0,1]
	v_add_nc_u32_e32 v97, 1, v97
	v_pk_fma_f32 v[98:99], v[100:101], v[98:99], v[102:103] neg_lo:[0,0,1] neg_hi:[0,0,1]
	v_mov_b32_e32 v99, v105
	s_delay_alu instid0(VALU_DEP_3) | instskip(NEXT) | instid1(VALU_DEP_2)
	v_cmp_lt_u32_e32 vcc_lo, 3, v97
	v_pk_add_f32 v[92:93], v[92:93], v[98:99]
	s_or_b32 s3, vcc_lo, s3
	s_delay_alu instid0(SALU_CYCLE_1)
	s_and_not1_b32 exec_lo, exec_lo, s3
	s_cbranch_execnz .LBB43_477
; %bb.478:
	s_or_b32 exec_lo, exec_lo, s3
.LBB43_479:
	s_delay_alu instid0(SALU_CYCLE_1) | instskip(SKIP_4) | instid1(VALU_DEP_1)
	s_or_b32 exec_lo, exec_lo, s2
	v_mov_b32_e32 v95, 0
	ds_load_b64 v[96:97], v95 offset:40
	s_wait_dscnt 0x0
	v_pk_mul_f32 v[98:99], v[92:93], v[96:97] op_sel:[1,1] op_sel_hi:[0,1]
	v_pk_fma_f32 v[100:101], v[92:93], v[96:97], v[98:99] op_sel_hi:[1,0,1]
	v_pk_fma_f32 v[92:93], v[92:93], v[96:97], v[98:99] neg_lo:[0,0,1] neg_hi:[0,0,1]
	s_delay_alu instid0(VALU_DEP_2)
	v_mov_b32_e32 v93, v101
	scratch_store_b64 off, v[92:93], off offset:40
.LBB43_480:
	s_wait_xcnt 0x0
	s_or_b32 exec_lo, exec_lo, s0
	scratch_load_b64 v[92:93], off, off offset:48
	s_mov_b32 s0, exec_lo
	s_wait_loadcnt 0x0
	ds_store_b64 v1, v[92:93]
	s_wait_storecnt_dscnt 0x0
	s_barrier_signal -1
	s_barrier_wait -1
	s_wait_xcnt 0x0
	v_cmpx_gt_u32_e32 6, v0
	s_cbranch_execz .LBB43_490
; %bb.481:
	v_cmp_ne_u32_e32 vcc_lo, 1, v94
	s_cbranch_vccnz .LBB43_483
; %bb.482:
	scratch_load_b64 v[92:93], v47, off
	ds_load_b64 v[96:97], v1
	s_wait_loadcnt_dscnt 0x0
	v_pk_mul_f32 v[98:99], v[96:97], v[92:93] op_sel:[1,1] op_sel_hi:[0,1]
	s_delay_alu instid0(VALU_DEP_1) | instskip(SKIP_1) | instid1(VALU_DEP_2)
	v_pk_fma_f32 v[100:101], v[96:97], v[92:93], v[98:99] op_sel_hi:[1,0,1]
	v_pk_fma_f32 v[92:93], v[96:97], v[92:93], v[98:99] neg_lo:[0,0,1] neg_hi:[0,0,1]
	v_mov_b32_e32 v93, v101
	s_cbranch_execz .LBB43_484
	s_branch .LBB43_485
.LBB43_483:
                                        ; implicit-def: $vgpr92_vgpr93
.LBB43_484:
	ds_load_b64 v[92:93], v1
.LBB43_485:
	s_mov_b32 s2, exec_lo
	v_cmpx_ne_u32_e32 5, v0
	s_cbranch_execz .LBB43_489
; %bb.486:
	v_add_nc_u32_e32 v95, 0x168, v46
	v_add3_u32 v96, 0, v46, 8
	v_mov_b32_e32 v97, v0
	s_mov_b32 s3, 0
.LBB43_487:                             ; =>This Inner Loop Header: Depth=1
	scratch_load_b64 v[98:99], v96, off
	ds_load_b64 v[100:101], v95
	s_wait_xcnt 0x0
	v_dual_add_nc_u32 v95, 8, v95 :: v_dual_add_nc_u32 v96, 8, v96
	s_wait_loadcnt_dscnt 0x0
	v_pk_mul_f32 v[102:103], v[100:101], v[98:99] op_sel:[1,1] op_sel_hi:[0,1]
	s_delay_alu instid0(VALU_DEP_1) | instskip(SKIP_2) | instid1(VALU_DEP_3)
	v_pk_fma_f32 v[104:105], v[100:101], v[98:99], v[102:103] op_sel_hi:[1,0,1]
	v_add_nc_u32_e32 v97, 1, v97
	v_pk_fma_f32 v[98:99], v[100:101], v[98:99], v[102:103] neg_lo:[0,0,1] neg_hi:[0,0,1]
	v_mov_b32_e32 v99, v105
	s_delay_alu instid0(VALU_DEP_3) | instskip(NEXT) | instid1(VALU_DEP_2)
	v_cmp_lt_u32_e32 vcc_lo, 4, v97
	v_pk_add_f32 v[92:93], v[92:93], v[98:99]
	s_or_b32 s3, vcc_lo, s3
	s_delay_alu instid0(SALU_CYCLE_1)
	s_and_not1_b32 exec_lo, exec_lo, s3
	s_cbranch_execnz .LBB43_487
; %bb.488:
	s_or_b32 exec_lo, exec_lo, s3
.LBB43_489:
	s_delay_alu instid0(SALU_CYCLE_1) | instskip(SKIP_4) | instid1(VALU_DEP_1)
	s_or_b32 exec_lo, exec_lo, s2
	v_mov_b32_e32 v95, 0
	ds_load_b64 v[96:97], v95 offset:48
	s_wait_dscnt 0x0
	v_pk_mul_f32 v[98:99], v[92:93], v[96:97] op_sel:[1,1] op_sel_hi:[0,1]
	v_pk_fma_f32 v[100:101], v[92:93], v[96:97], v[98:99] op_sel_hi:[1,0,1]
	v_pk_fma_f32 v[92:93], v[92:93], v[96:97], v[98:99] neg_lo:[0,0,1] neg_hi:[0,0,1]
	s_delay_alu instid0(VALU_DEP_2)
	v_mov_b32_e32 v93, v101
	scratch_store_b64 off, v[92:93], off offset:48
.LBB43_490:
	s_wait_xcnt 0x0
	s_or_b32 exec_lo, exec_lo, s0
	scratch_load_b64 v[92:93], off, off offset:56
	s_mov_b32 s0, exec_lo
	s_wait_loadcnt 0x0
	ds_store_b64 v1, v[92:93]
	s_wait_storecnt_dscnt 0x0
	s_barrier_signal -1
	s_barrier_wait -1
	s_wait_xcnt 0x0
	v_cmpx_gt_u32_e32 7, v0
	s_cbranch_execz .LBB43_500
; %bb.491:
	v_cmp_ne_u32_e32 vcc_lo, 1, v94
	s_cbranch_vccnz .LBB43_493
; %bb.492:
	scratch_load_b64 v[92:93], v47, off
	ds_load_b64 v[96:97], v1
	s_wait_loadcnt_dscnt 0x0
	v_pk_mul_f32 v[98:99], v[96:97], v[92:93] op_sel:[1,1] op_sel_hi:[0,1]
	s_delay_alu instid0(VALU_DEP_1) | instskip(SKIP_1) | instid1(VALU_DEP_2)
	v_pk_fma_f32 v[100:101], v[96:97], v[92:93], v[98:99] op_sel_hi:[1,0,1]
	v_pk_fma_f32 v[92:93], v[96:97], v[92:93], v[98:99] neg_lo:[0,0,1] neg_hi:[0,0,1]
	v_mov_b32_e32 v93, v101
	s_cbranch_execz .LBB43_494
	s_branch .LBB43_495
.LBB43_493:
                                        ; implicit-def: $vgpr92_vgpr93
.LBB43_494:
	ds_load_b64 v[92:93], v1
.LBB43_495:
	s_mov_b32 s2, exec_lo
	v_cmpx_ne_u32_e32 6, v0
	s_cbranch_execz .LBB43_499
; %bb.496:
	v_add_nc_u32_e32 v95, 0x168, v46
	v_add3_u32 v96, 0, v46, 8
	v_mov_b32_e32 v97, v0
	s_mov_b32 s3, 0
.LBB43_497:                             ; =>This Inner Loop Header: Depth=1
	scratch_load_b64 v[98:99], v96, off
	ds_load_b64 v[100:101], v95
	s_wait_xcnt 0x0
	v_dual_add_nc_u32 v95, 8, v95 :: v_dual_add_nc_u32 v96, 8, v96
	s_wait_loadcnt_dscnt 0x0
	v_pk_mul_f32 v[102:103], v[100:101], v[98:99] op_sel:[1,1] op_sel_hi:[0,1]
	s_delay_alu instid0(VALU_DEP_1) | instskip(SKIP_2) | instid1(VALU_DEP_3)
	v_pk_fma_f32 v[104:105], v[100:101], v[98:99], v[102:103] op_sel_hi:[1,0,1]
	v_add_nc_u32_e32 v97, 1, v97
	v_pk_fma_f32 v[98:99], v[100:101], v[98:99], v[102:103] neg_lo:[0,0,1] neg_hi:[0,0,1]
	v_mov_b32_e32 v99, v105
	s_delay_alu instid0(VALU_DEP_3) | instskip(NEXT) | instid1(VALU_DEP_2)
	v_cmp_lt_u32_e32 vcc_lo, 5, v97
	v_pk_add_f32 v[92:93], v[92:93], v[98:99]
	s_or_b32 s3, vcc_lo, s3
	s_delay_alu instid0(SALU_CYCLE_1)
	s_and_not1_b32 exec_lo, exec_lo, s3
	s_cbranch_execnz .LBB43_497
; %bb.498:
	s_or_b32 exec_lo, exec_lo, s3
.LBB43_499:
	s_delay_alu instid0(SALU_CYCLE_1) | instskip(SKIP_4) | instid1(VALU_DEP_1)
	s_or_b32 exec_lo, exec_lo, s2
	v_mov_b32_e32 v95, 0
	ds_load_b64 v[96:97], v95 offset:56
	s_wait_dscnt 0x0
	v_pk_mul_f32 v[98:99], v[92:93], v[96:97] op_sel:[1,1] op_sel_hi:[0,1]
	v_pk_fma_f32 v[100:101], v[92:93], v[96:97], v[98:99] op_sel_hi:[1,0,1]
	v_pk_fma_f32 v[92:93], v[92:93], v[96:97], v[98:99] neg_lo:[0,0,1] neg_hi:[0,0,1]
	s_delay_alu instid0(VALU_DEP_2)
	v_mov_b32_e32 v93, v101
	scratch_store_b64 off, v[92:93], off offset:56
.LBB43_500:
	s_wait_xcnt 0x0
	s_or_b32 exec_lo, exec_lo, s0
	scratch_load_b64 v[92:93], off, off offset:64
	s_mov_b32 s0, exec_lo
	s_wait_loadcnt 0x0
	ds_store_b64 v1, v[92:93]
	s_wait_storecnt_dscnt 0x0
	s_barrier_signal -1
	s_barrier_wait -1
	s_wait_xcnt 0x0
	v_cmpx_gt_u32_e32 8, v0
	s_cbranch_execz .LBB43_510
; %bb.501:
	v_cmp_ne_u32_e32 vcc_lo, 1, v94
	s_cbranch_vccnz .LBB43_503
; %bb.502:
	scratch_load_b64 v[92:93], v47, off
	ds_load_b64 v[96:97], v1
	s_wait_loadcnt_dscnt 0x0
	v_pk_mul_f32 v[98:99], v[96:97], v[92:93] op_sel:[1,1] op_sel_hi:[0,1]
	s_delay_alu instid0(VALU_DEP_1) | instskip(SKIP_1) | instid1(VALU_DEP_2)
	v_pk_fma_f32 v[100:101], v[96:97], v[92:93], v[98:99] op_sel_hi:[1,0,1]
	v_pk_fma_f32 v[92:93], v[96:97], v[92:93], v[98:99] neg_lo:[0,0,1] neg_hi:[0,0,1]
	v_mov_b32_e32 v93, v101
	s_cbranch_execz .LBB43_504
	s_branch .LBB43_505
.LBB43_503:
                                        ; implicit-def: $vgpr92_vgpr93
.LBB43_504:
	ds_load_b64 v[92:93], v1
.LBB43_505:
	s_mov_b32 s2, exec_lo
	v_cmpx_ne_u32_e32 7, v0
	s_cbranch_execz .LBB43_509
; %bb.506:
	v_add_nc_u32_e32 v95, 0x168, v46
	v_add3_u32 v96, 0, v46, 8
	v_mov_b32_e32 v97, v0
	s_mov_b32 s3, 0
.LBB43_507:                             ; =>This Inner Loop Header: Depth=1
	scratch_load_b64 v[98:99], v96, off
	ds_load_b64 v[100:101], v95
	s_wait_xcnt 0x0
	v_dual_add_nc_u32 v95, 8, v95 :: v_dual_add_nc_u32 v96, 8, v96
	s_wait_loadcnt_dscnt 0x0
	v_pk_mul_f32 v[102:103], v[100:101], v[98:99] op_sel:[1,1] op_sel_hi:[0,1]
	s_delay_alu instid0(VALU_DEP_1) | instskip(SKIP_2) | instid1(VALU_DEP_3)
	v_pk_fma_f32 v[104:105], v[100:101], v[98:99], v[102:103] op_sel_hi:[1,0,1]
	v_add_nc_u32_e32 v97, 1, v97
	v_pk_fma_f32 v[98:99], v[100:101], v[98:99], v[102:103] neg_lo:[0,0,1] neg_hi:[0,0,1]
	v_mov_b32_e32 v99, v105
	s_delay_alu instid0(VALU_DEP_3) | instskip(NEXT) | instid1(VALU_DEP_2)
	v_cmp_lt_u32_e32 vcc_lo, 6, v97
	v_pk_add_f32 v[92:93], v[92:93], v[98:99]
	s_or_b32 s3, vcc_lo, s3
	s_delay_alu instid0(SALU_CYCLE_1)
	s_and_not1_b32 exec_lo, exec_lo, s3
	s_cbranch_execnz .LBB43_507
; %bb.508:
	s_or_b32 exec_lo, exec_lo, s3
.LBB43_509:
	s_delay_alu instid0(SALU_CYCLE_1) | instskip(SKIP_4) | instid1(VALU_DEP_1)
	s_or_b32 exec_lo, exec_lo, s2
	v_mov_b32_e32 v95, 0
	ds_load_b64 v[96:97], v95 offset:64
	s_wait_dscnt 0x0
	v_pk_mul_f32 v[98:99], v[92:93], v[96:97] op_sel:[1,1] op_sel_hi:[0,1]
	v_pk_fma_f32 v[100:101], v[92:93], v[96:97], v[98:99] op_sel_hi:[1,0,1]
	v_pk_fma_f32 v[92:93], v[92:93], v[96:97], v[98:99] neg_lo:[0,0,1] neg_hi:[0,0,1]
	s_delay_alu instid0(VALU_DEP_2)
	v_mov_b32_e32 v93, v101
	scratch_store_b64 off, v[92:93], off offset:64
.LBB43_510:
	s_wait_xcnt 0x0
	s_or_b32 exec_lo, exec_lo, s0
	scratch_load_b64 v[92:93], off, off offset:72
	s_mov_b32 s0, exec_lo
	s_wait_loadcnt 0x0
	ds_store_b64 v1, v[92:93]
	s_wait_storecnt_dscnt 0x0
	s_barrier_signal -1
	s_barrier_wait -1
	s_wait_xcnt 0x0
	v_cmpx_gt_u32_e32 9, v0
	s_cbranch_execz .LBB43_520
; %bb.511:
	v_cmp_ne_u32_e32 vcc_lo, 1, v94
	s_cbranch_vccnz .LBB43_513
; %bb.512:
	scratch_load_b64 v[92:93], v47, off
	ds_load_b64 v[96:97], v1
	s_wait_loadcnt_dscnt 0x0
	v_pk_mul_f32 v[98:99], v[96:97], v[92:93] op_sel:[1,1] op_sel_hi:[0,1]
	s_delay_alu instid0(VALU_DEP_1) | instskip(SKIP_1) | instid1(VALU_DEP_2)
	v_pk_fma_f32 v[100:101], v[96:97], v[92:93], v[98:99] op_sel_hi:[1,0,1]
	v_pk_fma_f32 v[92:93], v[96:97], v[92:93], v[98:99] neg_lo:[0,0,1] neg_hi:[0,0,1]
	v_mov_b32_e32 v93, v101
	s_cbranch_execz .LBB43_514
	s_branch .LBB43_515
.LBB43_513:
                                        ; implicit-def: $vgpr92_vgpr93
.LBB43_514:
	ds_load_b64 v[92:93], v1
.LBB43_515:
	s_mov_b32 s2, exec_lo
	v_cmpx_ne_u32_e32 8, v0
	s_cbranch_execz .LBB43_519
; %bb.516:
	v_add_nc_u32_e32 v95, 0x168, v46
	v_add3_u32 v96, 0, v46, 8
	v_mov_b32_e32 v97, v0
	s_mov_b32 s3, 0
.LBB43_517:                             ; =>This Inner Loop Header: Depth=1
	scratch_load_b64 v[98:99], v96, off
	ds_load_b64 v[100:101], v95
	s_wait_xcnt 0x0
	v_dual_add_nc_u32 v95, 8, v95 :: v_dual_add_nc_u32 v96, 8, v96
	s_wait_loadcnt_dscnt 0x0
	v_pk_mul_f32 v[102:103], v[100:101], v[98:99] op_sel:[1,1] op_sel_hi:[0,1]
	s_delay_alu instid0(VALU_DEP_1) | instskip(SKIP_2) | instid1(VALU_DEP_3)
	v_pk_fma_f32 v[104:105], v[100:101], v[98:99], v[102:103] op_sel_hi:[1,0,1]
	v_add_nc_u32_e32 v97, 1, v97
	v_pk_fma_f32 v[98:99], v[100:101], v[98:99], v[102:103] neg_lo:[0,0,1] neg_hi:[0,0,1]
	v_mov_b32_e32 v99, v105
	s_delay_alu instid0(VALU_DEP_3) | instskip(NEXT) | instid1(VALU_DEP_2)
	v_cmp_lt_u32_e32 vcc_lo, 7, v97
	v_pk_add_f32 v[92:93], v[92:93], v[98:99]
	s_or_b32 s3, vcc_lo, s3
	s_delay_alu instid0(SALU_CYCLE_1)
	s_and_not1_b32 exec_lo, exec_lo, s3
	s_cbranch_execnz .LBB43_517
; %bb.518:
	s_or_b32 exec_lo, exec_lo, s3
.LBB43_519:
	s_delay_alu instid0(SALU_CYCLE_1) | instskip(SKIP_4) | instid1(VALU_DEP_1)
	s_or_b32 exec_lo, exec_lo, s2
	v_mov_b32_e32 v95, 0
	ds_load_b64 v[96:97], v95 offset:72
	s_wait_dscnt 0x0
	v_pk_mul_f32 v[98:99], v[92:93], v[96:97] op_sel:[1,1] op_sel_hi:[0,1]
	v_pk_fma_f32 v[100:101], v[92:93], v[96:97], v[98:99] op_sel_hi:[1,0,1]
	v_pk_fma_f32 v[92:93], v[92:93], v[96:97], v[98:99] neg_lo:[0,0,1] neg_hi:[0,0,1]
	s_delay_alu instid0(VALU_DEP_2)
	v_mov_b32_e32 v93, v101
	scratch_store_b64 off, v[92:93], off offset:72
.LBB43_520:
	s_wait_xcnt 0x0
	s_or_b32 exec_lo, exec_lo, s0
	scratch_load_b64 v[92:93], off, off offset:80
	s_mov_b32 s0, exec_lo
	s_wait_loadcnt 0x0
	ds_store_b64 v1, v[92:93]
	s_wait_storecnt_dscnt 0x0
	s_barrier_signal -1
	s_barrier_wait -1
	s_wait_xcnt 0x0
	v_cmpx_gt_u32_e32 10, v0
	s_cbranch_execz .LBB43_530
; %bb.521:
	v_cmp_ne_u32_e32 vcc_lo, 1, v94
	s_cbranch_vccnz .LBB43_523
; %bb.522:
	scratch_load_b64 v[92:93], v47, off
	ds_load_b64 v[96:97], v1
	s_wait_loadcnt_dscnt 0x0
	v_pk_mul_f32 v[98:99], v[96:97], v[92:93] op_sel:[1,1] op_sel_hi:[0,1]
	s_delay_alu instid0(VALU_DEP_1) | instskip(SKIP_1) | instid1(VALU_DEP_2)
	v_pk_fma_f32 v[100:101], v[96:97], v[92:93], v[98:99] op_sel_hi:[1,0,1]
	v_pk_fma_f32 v[92:93], v[96:97], v[92:93], v[98:99] neg_lo:[0,0,1] neg_hi:[0,0,1]
	v_mov_b32_e32 v93, v101
	s_cbranch_execz .LBB43_524
	s_branch .LBB43_525
.LBB43_523:
                                        ; implicit-def: $vgpr92_vgpr93
.LBB43_524:
	ds_load_b64 v[92:93], v1
.LBB43_525:
	s_mov_b32 s2, exec_lo
	v_cmpx_ne_u32_e32 9, v0
	s_cbranch_execz .LBB43_529
; %bb.526:
	v_add_nc_u32_e32 v95, 0x168, v46
	v_add3_u32 v96, 0, v46, 8
	v_mov_b32_e32 v97, v0
	s_mov_b32 s3, 0
.LBB43_527:                             ; =>This Inner Loop Header: Depth=1
	scratch_load_b64 v[98:99], v96, off
	ds_load_b64 v[100:101], v95
	s_wait_xcnt 0x0
	v_dual_add_nc_u32 v95, 8, v95 :: v_dual_add_nc_u32 v96, 8, v96
	s_wait_loadcnt_dscnt 0x0
	v_pk_mul_f32 v[102:103], v[100:101], v[98:99] op_sel:[1,1] op_sel_hi:[0,1]
	s_delay_alu instid0(VALU_DEP_1) | instskip(SKIP_2) | instid1(VALU_DEP_3)
	v_pk_fma_f32 v[104:105], v[100:101], v[98:99], v[102:103] op_sel_hi:[1,0,1]
	v_add_nc_u32_e32 v97, 1, v97
	v_pk_fma_f32 v[98:99], v[100:101], v[98:99], v[102:103] neg_lo:[0,0,1] neg_hi:[0,0,1]
	v_mov_b32_e32 v99, v105
	s_delay_alu instid0(VALU_DEP_3) | instskip(NEXT) | instid1(VALU_DEP_2)
	v_cmp_lt_u32_e32 vcc_lo, 8, v97
	v_pk_add_f32 v[92:93], v[92:93], v[98:99]
	s_or_b32 s3, vcc_lo, s3
	s_delay_alu instid0(SALU_CYCLE_1)
	s_and_not1_b32 exec_lo, exec_lo, s3
	s_cbranch_execnz .LBB43_527
; %bb.528:
	s_or_b32 exec_lo, exec_lo, s3
.LBB43_529:
	s_delay_alu instid0(SALU_CYCLE_1) | instskip(SKIP_4) | instid1(VALU_DEP_1)
	s_or_b32 exec_lo, exec_lo, s2
	v_mov_b32_e32 v95, 0
	ds_load_b64 v[96:97], v95 offset:80
	s_wait_dscnt 0x0
	v_pk_mul_f32 v[98:99], v[92:93], v[96:97] op_sel:[1,1] op_sel_hi:[0,1]
	v_pk_fma_f32 v[100:101], v[92:93], v[96:97], v[98:99] op_sel_hi:[1,0,1]
	v_pk_fma_f32 v[92:93], v[92:93], v[96:97], v[98:99] neg_lo:[0,0,1] neg_hi:[0,0,1]
	s_delay_alu instid0(VALU_DEP_2)
	v_mov_b32_e32 v93, v101
	scratch_store_b64 off, v[92:93], off offset:80
.LBB43_530:
	s_wait_xcnt 0x0
	s_or_b32 exec_lo, exec_lo, s0
	scratch_load_b64 v[92:93], off, off offset:88
	s_mov_b32 s0, exec_lo
	s_wait_loadcnt 0x0
	ds_store_b64 v1, v[92:93]
	s_wait_storecnt_dscnt 0x0
	s_barrier_signal -1
	s_barrier_wait -1
	s_wait_xcnt 0x0
	v_cmpx_gt_u32_e32 11, v0
	s_cbranch_execz .LBB43_540
; %bb.531:
	v_cmp_ne_u32_e32 vcc_lo, 1, v94
	s_cbranch_vccnz .LBB43_533
; %bb.532:
	scratch_load_b64 v[92:93], v47, off
	ds_load_b64 v[96:97], v1
	s_wait_loadcnt_dscnt 0x0
	v_pk_mul_f32 v[98:99], v[96:97], v[92:93] op_sel:[1,1] op_sel_hi:[0,1]
	s_delay_alu instid0(VALU_DEP_1) | instskip(SKIP_1) | instid1(VALU_DEP_2)
	v_pk_fma_f32 v[100:101], v[96:97], v[92:93], v[98:99] op_sel_hi:[1,0,1]
	v_pk_fma_f32 v[92:93], v[96:97], v[92:93], v[98:99] neg_lo:[0,0,1] neg_hi:[0,0,1]
	v_mov_b32_e32 v93, v101
	s_cbranch_execz .LBB43_534
	s_branch .LBB43_535
.LBB43_533:
                                        ; implicit-def: $vgpr92_vgpr93
.LBB43_534:
	ds_load_b64 v[92:93], v1
.LBB43_535:
	s_mov_b32 s2, exec_lo
	v_cmpx_ne_u32_e32 10, v0
	s_cbranch_execz .LBB43_539
; %bb.536:
	v_add_nc_u32_e32 v95, 0x168, v46
	v_add3_u32 v96, 0, v46, 8
	v_mov_b32_e32 v97, v0
	s_mov_b32 s3, 0
.LBB43_537:                             ; =>This Inner Loop Header: Depth=1
	scratch_load_b64 v[98:99], v96, off
	ds_load_b64 v[100:101], v95
	s_wait_xcnt 0x0
	v_dual_add_nc_u32 v95, 8, v95 :: v_dual_add_nc_u32 v96, 8, v96
	s_wait_loadcnt_dscnt 0x0
	v_pk_mul_f32 v[102:103], v[100:101], v[98:99] op_sel:[1,1] op_sel_hi:[0,1]
	s_delay_alu instid0(VALU_DEP_1) | instskip(SKIP_2) | instid1(VALU_DEP_3)
	v_pk_fma_f32 v[104:105], v[100:101], v[98:99], v[102:103] op_sel_hi:[1,0,1]
	v_add_nc_u32_e32 v97, 1, v97
	v_pk_fma_f32 v[98:99], v[100:101], v[98:99], v[102:103] neg_lo:[0,0,1] neg_hi:[0,0,1]
	v_mov_b32_e32 v99, v105
	s_delay_alu instid0(VALU_DEP_3) | instskip(NEXT) | instid1(VALU_DEP_2)
	v_cmp_lt_u32_e32 vcc_lo, 9, v97
	v_pk_add_f32 v[92:93], v[92:93], v[98:99]
	s_or_b32 s3, vcc_lo, s3
	s_delay_alu instid0(SALU_CYCLE_1)
	s_and_not1_b32 exec_lo, exec_lo, s3
	s_cbranch_execnz .LBB43_537
; %bb.538:
	s_or_b32 exec_lo, exec_lo, s3
.LBB43_539:
	s_delay_alu instid0(SALU_CYCLE_1) | instskip(SKIP_4) | instid1(VALU_DEP_1)
	s_or_b32 exec_lo, exec_lo, s2
	v_mov_b32_e32 v95, 0
	ds_load_b64 v[96:97], v95 offset:88
	s_wait_dscnt 0x0
	v_pk_mul_f32 v[98:99], v[92:93], v[96:97] op_sel:[1,1] op_sel_hi:[0,1]
	v_pk_fma_f32 v[100:101], v[92:93], v[96:97], v[98:99] op_sel_hi:[1,0,1]
	v_pk_fma_f32 v[92:93], v[92:93], v[96:97], v[98:99] neg_lo:[0,0,1] neg_hi:[0,0,1]
	s_delay_alu instid0(VALU_DEP_2)
	v_mov_b32_e32 v93, v101
	scratch_store_b64 off, v[92:93], off offset:88
.LBB43_540:
	s_wait_xcnt 0x0
	s_or_b32 exec_lo, exec_lo, s0
	scratch_load_b64 v[92:93], off, off offset:96
	s_mov_b32 s0, exec_lo
	s_wait_loadcnt 0x0
	ds_store_b64 v1, v[92:93]
	s_wait_storecnt_dscnt 0x0
	s_barrier_signal -1
	s_barrier_wait -1
	s_wait_xcnt 0x0
	v_cmpx_gt_u32_e32 12, v0
	s_cbranch_execz .LBB43_550
; %bb.541:
	v_cmp_ne_u32_e32 vcc_lo, 1, v94
	s_cbranch_vccnz .LBB43_543
; %bb.542:
	scratch_load_b64 v[92:93], v47, off
	ds_load_b64 v[96:97], v1
	s_wait_loadcnt_dscnt 0x0
	v_pk_mul_f32 v[98:99], v[96:97], v[92:93] op_sel:[1,1] op_sel_hi:[0,1]
	s_delay_alu instid0(VALU_DEP_1) | instskip(SKIP_1) | instid1(VALU_DEP_2)
	v_pk_fma_f32 v[100:101], v[96:97], v[92:93], v[98:99] op_sel_hi:[1,0,1]
	v_pk_fma_f32 v[92:93], v[96:97], v[92:93], v[98:99] neg_lo:[0,0,1] neg_hi:[0,0,1]
	v_mov_b32_e32 v93, v101
	s_cbranch_execz .LBB43_544
	s_branch .LBB43_545
.LBB43_543:
                                        ; implicit-def: $vgpr92_vgpr93
.LBB43_544:
	ds_load_b64 v[92:93], v1
.LBB43_545:
	s_mov_b32 s2, exec_lo
	v_cmpx_ne_u32_e32 11, v0
	s_cbranch_execz .LBB43_549
; %bb.546:
	v_add_nc_u32_e32 v95, 0x168, v46
	v_add3_u32 v96, 0, v46, 8
	v_mov_b32_e32 v97, v0
	s_mov_b32 s3, 0
.LBB43_547:                             ; =>This Inner Loop Header: Depth=1
	scratch_load_b64 v[98:99], v96, off
	ds_load_b64 v[100:101], v95
	s_wait_xcnt 0x0
	v_dual_add_nc_u32 v95, 8, v95 :: v_dual_add_nc_u32 v96, 8, v96
	s_wait_loadcnt_dscnt 0x0
	v_pk_mul_f32 v[102:103], v[100:101], v[98:99] op_sel:[1,1] op_sel_hi:[0,1]
	s_delay_alu instid0(VALU_DEP_1) | instskip(SKIP_2) | instid1(VALU_DEP_3)
	v_pk_fma_f32 v[104:105], v[100:101], v[98:99], v[102:103] op_sel_hi:[1,0,1]
	v_add_nc_u32_e32 v97, 1, v97
	v_pk_fma_f32 v[98:99], v[100:101], v[98:99], v[102:103] neg_lo:[0,0,1] neg_hi:[0,0,1]
	v_mov_b32_e32 v99, v105
	s_delay_alu instid0(VALU_DEP_3) | instskip(NEXT) | instid1(VALU_DEP_2)
	v_cmp_lt_u32_e32 vcc_lo, 10, v97
	v_pk_add_f32 v[92:93], v[92:93], v[98:99]
	s_or_b32 s3, vcc_lo, s3
	s_delay_alu instid0(SALU_CYCLE_1)
	s_and_not1_b32 exec_lo, exec_lo, s3
	s_cbranch_execnz .LBB43_547
; %bb.548:
	s_or_b32 exec_lo, exec_lo, s3
.LBB43_549:
	s_delay_alu instid0(SALU_CYCLE_1) | instskip(SKIP_4) | instid1(VALU_DEP_1)
	s_or_b32 exec_lo, exec_lo, s2
	v_mov_b32_e32 v95, 0
	ds_load_b64 v[96:97], v95 offset:96
	s_wait_dscnt 0x0
	v_pk_mul_f32 v[98:99], v[92:93], v[96:97] op_sel:[1,1] op_sel_hi:[0,1]
	v_pk_fma_f32 v[100:101], v[92:93], v[96:97], v[98:99] op_sel_hi:[1,0,1]
	v_pk_fma_f32 v[92:93], v[92:93], v[96:97], v[98:99] neg_lo:[0,0,1] neg_hi:[0,0,1]
	s_delay_alu instid0(VALU_DEP_2)
	v_mov_b32_e32 v93, v101
	scratch_store_b64 off, v[92:93], off offset:96
.LBB43_550:
	s_wait_xcnt 0x0
	s_or_b32 exec_lo, exec_lo, s0
	scratch_load_b64 v[92:93], off, off offset:104
	s_mov_b32 s0, exec_lo
	s_wait_loadcnt 0x0
	ds_store_b64 v1, v[92:93]
	s_wait_storecnt_dscnt 0x0
	s_barrier_signal -1
	s_barrier_wait -1
	s_wait_xcnt 0x0
	v_cmpx_gt_u32_e32 13, v0
	s_cbranch_execz .LBB43_560
; %bb.551:
	v_cmp_ne_u32_e32 vcc_lo, 1, v94
	s_cbranch_vccnz .LBB43_553
; %bb.552:
	scratch_load_b64 v[92:93], v47, off
	ds_load_b64 v[96:97], v1
	s_wait_loadcnt_dscnt 0x0
	v_pk_mul_f32 v[98:99], v[96:97], v[92:93] op_sel:[1,1] op_sel_hi:[0,1]
	s_delay_alu instid0(VALU_DEP_1) | instskip(SKIP_1) | instid1(VALU_DEP_2)
	v_pk_fma_f32 v[100:101], v[96:97], v[92:93], v[98:99] op_sel_hi:[1,0,1]
	v_pk_fma_f32 v[92:93], v[96:97], v[92:93], v[98:99] neg_lo:[0,0,1] neg_hi:[0,0,1]
	v_mov_b32_e32 v93, v101
	s_cbranch_execz .LBB43_554
	s_branch .LBB43_555
.LBB43_553:
                                        ; implicit-def: $vgpr92_vgpr93
.LBB43_554:
	ds_load_b64 v[92:93], v1
.LBB43_555:
	s_mov_b32 s2, exec_lo
	v_cmpx_ne_u32_e32 12, v0
	s_cbranch_execz .LBB43_559
; %bb.556:
	v_add_nc_u32_e32 v95, 0x168, v46
	v_add3_u32 v96, 0, v46, 8
	v_mov_b32_e32 v97, v0
	s_mov_b32 s3, 0
.LBB43_557:                             ; =>This Inner Loop Header: Depth=1
	scratch_load_b64 v[98:99], v96, off
	ds_load_b64 v[100:101], v95
	s_wait_xcnt 0x0
	v_dual_add_nc_u32 v95, 8, v95 :: v_dual_add_nc_u32 v96, 8, v96
	s_wait_loadcnt_dscnt 0x0
	v_pk_mul_f32 v[102:103], v[100:101], v[98:99] op_sel:[1,1] op_sel_hi:[0,1]
	s_delay_alu instid0(VALU_DEP_1) | instskip(SKIP_2) | instid1(VALU_DEP_3)
	v_pk_fma_f32 v[104:105], v[100:101], v[98:99], v[102:103] op_sel_hi:[1,0,1]
	v_add_nc_u32_e32 v97, 1, v97
	v_pk_fma_f32 v[98:99], v[100:101], v[98:99], v[102:103] neg_lo:[0,0,1] neg_hi:[0,0,1]
	v_mov_b32_e32 v99, v105
	s_delay_alu instid0(VALU_DEP_3) | instskip(NEXT) | instid1(VALU_DEP_2)
	v_cmp_lt_u32_e32 vcc_lo, 11, v97
	v_pk_add_f32 v[92:93], v[92:93], v[98:99]
	s_or_b32 s3, vcc_lo, s3
	s_delay_alu instid0(SALU_CYCLE_1)
	s_and_not1_b32 exec_lo, exec_lo, s3
	s_cbranch_execnz .LBB43_557
; %bb.558:
	s_or_b32 exec_lo, exec_lo, s3
.LBB43_559:
	s_delay_alu instid0(SALU_CYCLE_1) | instskip(SKIP_4) | instid1(VALU_DEP_1)
	s_or_b32 exec_lo, exec_lo, s2
	v_mov_b32_e32 v95, 0
	ds_load_b64 v[96:97], v95 offset:104
	s_wait_dscnt 0x0
	v_pk_mul_f32 v[98:99], v[92:93], v[96:97] op_sel:[1,1] op_sel_hi:[0,1]
	v_pk_fma_f32 v[100:101], v[92:93], v[96:97], v[98:99] op_sel_hi:[1,0,1]
	v_pk_fma_f32 v[92:93], v[92:93], v[96:97], v[98:99] neg_lo:[0,0,1] neg_hi:[0,0,1]
	s_delay_alu instid0(VALU_DEP_2)
	v_mov_b32_e32 v93, v101
	scratch_store_b64 off, v[92:93], off offset:104
.LBB43_560:
	s_wait_xcnt 0x0
	s_or_b32 exec_lo, exec_lo, s0
	scratch_load_b64 v[92:93], off, off offset:112
	s_mov_b32 s0, exec_lo
	s_wait_loadcnt 0x0
	ds_store_b64 v1, v[92:93]
	s_wait_storecnt_dscnt 0x0
	s_barrier_signal -1
	s_barrier_wait -1
	s_wait_xcnt 0x0
	v_cmpx_gt_u32_e32 14, v0
	s_cbranch_execz .LBB43_570
; %bb.561:
	v_cmp_ne_u32_e32 vcc_lo, 1, v94
	s_cbranch_vccnz .LBB43_563
; %bb.562:
	scratch_load_b64 v[92:93], v47, off
	ds_load_b64 v[96:97], v1
	s_wait_loadcnt_dscnt 0x0
	v_pk_mul_f32 v[98:99], v[96:97], v[92:93] op_sel:[1,1] op_sel_hi:[0,1]
	s_delay_alu instid0(VALU_DEP_1) | instskip(SKIP_1) | instid1(VALU_DEP_2)
	v_pk_fma_f32 v[100:101], v[96:97], v[92:93], v[98:99] op_sel_hi:[1,0,1]
	v_pk_fma_f32 v[92:93], v[96:97], v[92:93], v[98:99] neg_lo:[0,0,1] neg_hi:[0,0,1]
	v_mov_b32_e32 v93, v101
	s_cbranch_execz .LBB43_564
	s_branch .LBB43_565
.LBB43_563:
                                        ; implicit-def: $vgpr92_vgpr93
.LBB43_564:
	ds_load_b64 v[92:93], v1
.LBB43_565:
	s_mov_b32 s2, exec_lo
	v_cmpx_ne_u32_e32 13, v0
	s_cbranch_execz .LBB43_569
; %bb.566:
	v_add_nc_u32_e32 v95, 0x168, v46
	v_add3_u32 v96, 0, v46, 8
	v_mov_b32_e32 v97, v0
	s_mov_b32 s3, 0
.LBB43_567:                             ; =>This Inner Loop Header: Depth=1
	scratch_load_b64 v[98:99], v96, off
	ds_load_b64 v[100:101], v95
	s_wait_xcnt 0x0
	v_dual_add_nc_u32 v95, 8, v95 :: v_dual_add_nc_u32 v96, 8, v96
	s_wait_loadcnt_dscnt 0x0
	v_pk_mul_f32 v[102:103], v[100:101], v[98:99] op_sel:[1,1] op_sel_hi:[0,1]
	s_delay_alu instid0(VALU_DEP_1) | instskip(SKIP_2) | instid1(VALU_DEP_3)
	v_pk_fma_f32 v[104:105], v[100:101], v[98:99], v[102:103] op_sel_hi:[1,0,1]
	v_add_nc_u32_e32 v97, 1, v97
	v_pk_fma_f32 v[98:99], v[100:101], v[98:99], v[102:103] neg_lo:[0,0,1] neg_hi:[0,0,1]
	v_mov_b32_e32 v99, v105
	s_delay_alu instid0(VALU_DEP_3) | instskip(NEXT) | instid1(VALU_DEP_2)
	v_cmp_lt_u32_e32 vcc_lo, 12, v97
	v_pk_add_f32 v[92:93], v[92:93], v[98:99]
	s_or_b32 s3, vcc_lo, s3
	s_delay_alu instid0(SALU_CYCLE_1)
	s_and_not1_b32 exec_lo, exec_lo, s3
	s_cbranch_execnz .LBB43_567
; %bb.568:
	s_or_b32 exec_lo, exec_lo, s3
.LBB43_569:
	s_delay_alu instid0(SALU_CYCLE_1) | instskip(SKIP_4) | instid1(VALU_DEP_1)
	s_or_b32 exec_lo, exec_lo, s2
	v_mov_b32_e32 v95, 0
	ds_load_b64 v[96:97], v95 offset:112
	s_wait_dscnt 0x0
	v_pk_mul_f32 v[98:99], v[92:93], v[96:97] op_sel:[1,1] op_sel_hi:[0,1]
	v_pk_fma_f32 v[100:101], v[92:93], v[96:97], v[98:99] op_sel_hi:[1,0,1]
	v_pk_fma_f32 v[92:93], v[92:93], v[96:97], v[98:99] neg_lo:[0,0,1] neg_hi:[0,0,1]
	s_delay_alu instid0(VALU_DEP_2)
	v_mov_b32_e32 v93, v101
	scratch_store_b64 off, v[92:93], off offset:112
.LBB43_570:
	s_wait_xcnt 0x0
	s_or_b32 exec_lo, exec_lo, s0
	scratch_load_b64 v[92:93], off, off offset:120
	s_mov_b32 s0, exec_lo
	s_wait_loadcnt 0x0
	ds_store_b64 v1, v[92:93]
	s_wait_storecnt_dscnt 0x0
	s_barrier_signal -1
	s_barrier_wait -1
	s_wait_xcnt 0x0
	v_cmpx_gt_u32_e32 15, v0
	s_cbranch_execz .LBB43_580
; %bb.571:
	v_cmp_ne_u32_e32 vcc_lo, 1, v94
	s_cbranch_vccnz .LBB43_573
; %bb.572:
	scratch_load_b64 v[92:93], v47, off
	ds_load_b64 v[96:97], v1
	s_wait_loadcnt_dscnt 0x0
	v_pk_mul_f32 v[98:99], v[96:97], v[92:93] op_sel:[1,1] op_sel_hi:[0,1]
	s_delay_alu instid0(VALU_DEP_1) | instskip(SKIP_1) | instid1(VALU_DEP_2)
	v_pk_fma_f32 v[100:101], v[96:97], v[92:93], v[98:99] op_sel_hi:[1,0,1]
	v_pk_fma_f32 v[92:93], v[96:97], v[92:93], v[98:99] neg_lo:[0,0,1] neg_hi:[0,0,1]
	v_mov_b32_e32 v93, v101
	s_cbranch_execz .LBB43_574
	s_branch .LBB43_575
.LBB43_573:
                                        ; implicit-def: $vgpr92_vgpr93
.LBB43_574:
	ds_load_b64 v[92:93], v1
.LBB43_575:
	s_mov_b32 s2, exec_lo
	v_cmpx_ne_u32_e32 14, v0
	s_cbranch_execz .LBB43_579
; %bb.576:
	v_add_nc_u32_e32 v95, 0x168, v46
	v_add3_u32 v96, 0, v46, 8
	v_mov_b32_e32 v97, v0
	s_mov_b32 s3, 0
.LBB43_577:                             ; =>This Inner Loop Header: Depth=1
	scratch_load_b64 v[98:99], v96, off
	ds_load_b64 v[100:101], v95
	s_wait_xcnt 0x0
	v_dual_add_nc_u32 v95, 8, v95 :: v_dual_add_nc_u32 v96, 8, v96
	s_wait_loadcnt_dscnt 0x0
	v_pk_mul_f32 v[102:103], v[100:101], v[98:99] op_sel:[1,1] op_sel_hi:[0,1]
	s_delay_alu instid0(VALU_DEP_1) | instskip(SKIP_2) | instid1(VALU_DEP_3)
	v_pk_fma_f32 v[104:105], v[100:101], v[98:99], v[102:103] op_sel_hi:[1,0,1]
	v_add_nc_u32_e32 v97, 1, v97
	v_pk_fma_f32 v[98:99], v[100:101], v[98:99], v[102:103] neg_lo:[0,0,1] neg_hi:[0,0,1]
	v_mov_b32_e32 v99, v105
	s_delay_alu instid0(VALU_DEP_3) | instskip(NEXT) | instid1(VALU_DEP_2)
	v_cmp_lt_u32_e32 vcc_lo, 13, v97
	v_pk_add_f32 v[92:93], v[92:93], v[98:99]
	s_or_b32 s3, vcc_lo, s3
	s_delay_alu instid0(SALU_CYCLE_1)
	s_and_not1_b32 exec_lo, exec_lo, s3
	s_cbranch_execnz .LBB43_577
; %bb.578:
	s_or_b32 exec_lo, exec_lo, s3
.LBB43_579:
	s_delay_alu instid0(SALU_CYCLE_1) | instskip(SKIP_4) | instid1(VALU_DEP_1)
	s_or_b32 exec_lo, exec_lo, s2
	v_mov_b32_e32 v95, 0
	ds_load_b64 v[96:97], v95 offset:120
	s_wait_dscnt 0x0
	v_pk_mul_f32 v[98:99], v[92:93], v[96:97] op_sel:[1,1] op_sel_hi:[0,1]
	v_pk_fma_f32 v[100:101], v[92:93], v[96:97], v[98:99] op_sel_hi:[1,0,1]
	v_pk_fma_f32 v[92:93], v[92:93], v[96:97], v[98:99] neg_lo:[0,0,1] neg_hi:[0,0,1]
	s_delay_alu instid0(VALU_DEP_2)
	v_mov_b32_e32 v93, v101
	scratch_store_b64 off, v[92:93], off offset:120
.LBB43_580:
	s_wait_xcnt 0x0
	s_or_b32 exec_lo, exec_lo, s0
	scratch_load_b64 v[92:93], off, off offset:128
	s_mov_b32 s0, exec_lo
	s_wait_loadcnt 0x0
	ds_store_b64 v1, v[92:93]
	s_wait_storecnt_dscnt 0x0
	s_barrier_signal -1
	s_barrier_wait -1
	s_wait_xcnt 0x0
	v_cmpx_gt_u32_e32 16, v0
	s_cbranch_execz .LBB43_590
; %bb.581:
	v_cmp_ne_u32_e32 vcc_lo, 1, v94
	s_cbranch_vccnz .LBB43_583
; %bb.582:
	scratch_load_b64 v[92:93], v47, off
	ds_load_b64 v[96:97], v1
	s_wait_loadcnt_dscnt 0x0
	v_pk_mul_f32 v[98:99], v[96:97], v[92:93] op_sel:[1,1] op_sel_hi:[0,1]
	s_delay_alu instid0(VALU_DEP_1) | instskip(SKIP_1) | instid1(VALU_DEP_2)
	v_pk_fma_f32 v[100:101], v[96:97], v[92:93], v[98:99] op_sel_hi:[1,0,1]
	v_pk_fma_f32 v[92:93], v[96:97], v[92:93], v[98:99] neg_lo:[0,0,1] neg_hi:[0,0,1]
	v_mov_b32_e32 v93, v101
	s_cbranch_execz .LBB43_584
	s_branch .LBB43_585
.LBB43_583:
                                        ; implicit-def: $vgpr92_vgpr93
.LBB43_584:
	ds_load_b64 v[92:93], v1
.LBB43_585:
	s_mov_b32 s2, exec_lo
	v_cmpx_ne_u32_e32 15, v0
	s_cbranch_execz .LBB43_589
; %bb.586:
	v_add_nc_u32_e32 v95, 0x168, v46
	v_add3_u32 v96, 0, v46, 8
	v_mov_b32_e32 v97, v0
	s_mov_b32 s3, 0
.LBB43_587:                             ; =>This Inner Loop Header: Depth=1
	scratch_load_b64 v[98:99], v96, off
	ds_load_b64 v[100:101], v95
	s_wait_xcnt 0x0
	v_dual_add_nc_u32 v95, 8, v95 :: v_dual_add_nc_u32 v96, 8, v96
	s_wait_loadcnt_dscnt 0x0
	v_pk_mul_f32 v[102:103], v[100:101], v[98:99] op_sel:[1,1] op_sel_hi:[0,1]
	s_delay_alu instid0(VALU_DEP_1) | instskip(SKIP_2) | instid1(VALU_DEP_3)
	v_pk_fma_f32 v[104:105], v[100:101], v[98:99], v[102:103] op_sel_hi:[1,0,1]
	v_add_nc_u32_e32 v97, 1, v97
	v_pk_fma_f32 v[98:99], v[100:101], v[98:99], v[102:103] neg_lo:[0,0,1] neg_hi:[0,0,1]
	v_mov_b32_e32 v99, v105
	s_delay_alu instid0(VALU_DEP_3) | instskip(NEXT) | instid1(VALU_DEP_2)
	v_cmp_lt_u32_e32 vcc_lo, 14, v97
	v_pk_add_f32 v[92:93], v[92:93], v[98:99]
	s_or_b32 s3, vcc_lo, s3
	s_delay_alu instid0(SALU_CYCLE_1)
	s_and_not1_b32 exec_lo, exec_lo, s3
	s_cbranch_execnz .LBB43_587
; %bb.588:
	s_or_b32 exec_lo, exec_lo, s3
.LBB43_589:
	s_delay_alu instid0(SALU_CYCLE_1) | instskip(SKIP_4) | instid1(VALU_DEP_1)
	s_or_b32 exec_lo, exec_lo, s2
	v_mov_b32_e32 v95, 0
	ds_load_b64 v[96:97], v95 offset:128
	s_wait_dscnt 0x0
	v_pk_mul_f32 v[98:99], v[92:93], v[96:97] op_sel:[1,1] op_sel_hi:[0,1]
	v_pk_fma_f32 v[100:101], v[92:93], v[96:97], v[98:99] op_sel_hi:[1,0,1]
	v_pk_fma_f32 v[92:93], v[92:93], v[96:97], v[98:99] neg_lo:[0,0,1] neg_hi:[0,0,1]
	s_delay_alu instid0(VALU_DEP_2)
	v_mov_b32_e32 v93, v101
	scratch_store_b64 off, v[92:93], off offset:128
.LBB43_590:
	s_wait_xcnt 0x0
	s_or_b32 exec_lo, exec_lo, s0
	scratch_load_b64 v[92:93], off, off offset:136
	s_mov_b32 s0, exec_lo
	s_wait_loadcnt 0x0
	ds_store_b64 v1, v[92:93]
	s_wait_storecnt_dscnt 0x0
	s_barrier_signal -1
	s_barrier_wait -1
	s_wait_xcnt 0x0
	v_cmpx_gt_u32_e32 17, v0
	s_cbranch_execz .LBB43_600
; %bb.591:
	v_cmp_ne_u32_e32 vcc_lo, 1, v94
	s_cbranch_vccnz .LBB43_593
; %bb.592:
	scratch_load_b64 v[92:93], v47, off
	ds_load_b64 v[96:97], v1
	s_wait_loadcnt_dscnt 0x0
	v_pk_mul_f32 v[98:99], v[96:97], v[92:93] op_sel:[1,1] op_sel_hi:[0,1]
	s_delay_alu instid0(VALU_DEP_1) | instskip(SKIP_1) | instid1(VALU_DEP_2)
	v_pk_fma_f32 v[100:101], v[96:97], v[92:93], v[98:99] op_sel_hi:[1,0,1]
	v_pk_fma_f32 v[92:93], v[96:97], v[92:93], v[98:99] neg_lo:[0,0,1] neg_hi:[0,0,1]
	v_mov_b32_e32 v93, v101
	s_cbranch_execz .LBB43_594
	s_branch .LBB43_595
.LBB43_593:
                                        ; implicit-def: $vgpr92_vgpr93
.LBB43_594:
	ds_load_b64 v[92:93], v1
.LBB43_595:
	s_mov_b32 s2, exec_lo
	v_cmpx_ne_u32_e32 16, v0
	s_cbranch_execz .LBB43_599
; %bb.596:
	v_add_nc_u32_e32 v95, 0x168, v46
	v_add3_u32 v96, 0, v46, 8
	v_mov_b32_e32 v97, v0
	s_mov_b32 s3, 0
.LBB43_597:                             ; =>This Inner Loop Header: Depth=1
	scratch_load_b64 v[98:99], v96, off
	ds_load_b64 v[100:101], v95
	s_wait_xcnt 0x0
	v_dual_add_nc_u32 v95, 8, v95 :: v_dual_add_nc_u32 v96, 8, v96
	s_wait_loadcnt_dscnt 0x0
	v_pk_mul_f32 v[102:103], v[100:101], v[98:99] op_sel:[1,1] op_sel_hi:[0,1]
	s_delay_alu instid0(VALU_DEP_1) | instskip(SKIP_2) | instid1(VALU_DEP_3)
	v_pk_fma_f32 v[104:105], v[100:101], v[98:99], v[102:103] op_sel_hi:[1,0,1]
	v_add_nc_u32_e32 v97, 1, v97
	v_pk_fma_f32 v[98:99], v[100:101], v[98:99], v[102:103] neg_lo:[0,0,1] neg_hi:[0,0,1]
	v_mov_b32_e32 v99, v105
	s_delay_alu instid0(VALU_DEP_3) | instskip(NEXT) | instid1(VALU_DEP_2)
	v_cmp_lt_u32_e32 vcc_lo, 15, v97
	v_pk_add_f32 v[92:93], v[92:93], v[98:99]
	s_or_b32 s3, vcc_lo, s3
	s_delay_alu instid0(SALU_CYCLE_1)
	s_and_not1_b32 exec_lo, exec_lo, s3
	s_cbranch_execnz .LBB43_597
; %bb.598:
	s_or_b32 exec_lo, exec_lo, s3
.LBB43_599:
	s_delay_alu instid0(SALU_CYCLE_1) | instskip(SKIP_4) | instid1(VALU_DEP_1)
	s_or_b32 exec_lo, exec_lo, s2
	v_mov_b32_e32 v95, 0
	ds_load_b64 v[96:97], v95 offset:136
	s_wait_dscnt 0x0
	v_pk_mul_f32 v[98:99], v[92:93], v[96:97] op_sel:[1,1] op_sel_hi:[0,1]
	v_pk_fma_f32 v[100:101], v[92:93], v[96:97], v[98:99] op_sel_hi:[1,0,1]
	v_pk_fma_f32 v[92:93], v[92:93], v[96:97], v[98:99] neg_lo:[0,0,1] neg_hi:[0,0,1]
	s_delay_alu instid0(VALU_DEP_2)
	v_mov_b32_e32 v93, v101
	scratch_store_b64 off, v[92:93], off offset:136
.LBB43_600:
	s_wait_xcnt 0x0
	s_or_b32 exec_lo, exec_lo, s0
	scratch_load_b64 v[92:93], off, off offset:144
	s_mov_b32 s0, exec_lo
	s_wait_loadcnt 0x0
	ds_store_b64 v1, v[92:93]
	s_wait_storecnt_dscnt 0x0
	s_barrier_signal -1
	s_barrier_wait -1
	s_wait_xcnt 0x0
	v_cmpx_gt_u32_e32 18, v0
	s_cbranch_execz .LBB43_610
; %bb.601:
	v_cmp_ne_u32_e32 vcc_lo, 1, v94
	s_cbranch_vccnz .LBB43_603
; %bb.602:
	scratch_load_b64 v[92:93], v47, off
	ds_load_b64 v[96:97], v1
	s_wait_loadcnt_dscnt 0x0
	v_pk_mul_f32 v[98:99], v[96:97], v[92:93] op_sel:[1,1] op_sel_hi:[0,1]
	s_delay_alu instid0(VALU_DEP_1) | instskip(SKIP_1) | instid1(VALU_DEP_2)
	v_pk_fma_f32 v[100:101], v[96:97], v[92:93], v[98:99] op_sel_hi:[1,0,1]
	v_pk_fma_f32 v[92:93], v[96:97], v[92:93], v[98:99] neg_lo:[0,0,1] neg_hi:[0,0,1]
	v_mov_b32_e32 v93, v101
	s_cbranch_execz .LBB43_604
	s_branch .LBB43_605
.LBB43_603:
                                        ; implicit-def: $vgpr92_vgpr93
.LBB43_604:
	ds_load_b64 v[92:93], v1
.LBB43_605:
	s_mov_b32 s2, exec_lo
	v_cmpx_ne_u32_e32 17, v0
	s_cbranch_execz .LBB43_609
; %bb.606:
	v_add_nc_u32_e32 v95, 0x168, v46
	v_add3_u32 v96, 0, v46, 8
	v_mov_b32_e32 v97, v0
	s_mov_b32 s3, 0
.LBB43_607:                             ; =>This Inner Loop Header: Depth=1
	scratch_load_b64 v[98:99], v96, off
	ds_load_b64 v[100:101], v95
	s_wait_xcnt 0x0
	v_dual_add_nc_u32 v95, 8, v95 :: v_dual_add_nc_u32 v96, 8, v96
	s_wait_loadcnt_dscnt 0x0
	v_pk_mul_f32 v[102:103], v[100:101], v[98:99] op_sel:[1,1] op_sel_hi:[0,1]
	s_delay_alu instid0(VALU_DEP_1) | instskip(SKIP_2) | instid1(VALU_DEP_3)
	v_pk_fma_f32 v[104:105], v[100:101], v[98:99], v[102:103] op_sel_hi:[1,0,1]
	v_add_nc_u32_e32 v97, 1, v97
	v_pk_fma_f32 v[98:99], v[100:101], v[98:99], v[102:103] neg_lo:[0,0,1] neg_hi:[0,0,1]
	v_mov_b32_e32 v99, v105
	s_delay_alu instid0(VALU_DEP_3) | instskip(NEXT) | instid1(VALU_DEP_2)
	v_cmp_lt_u32_e32 vcc_lo, 16, v97
	v_pk_add_f32 v[92:93], v[92:93], v[98:99]
	s_or_b32 s3, vcc_lo, s3
	s_delay_alu instid0(SALU_CYCLE_1)
	s_and_not1_b32 exec_lo, exec_lo, s3
	s_cbranch_execnz .LBB43_607
; %bb.608:
	s_or_b32 exec_lo, exec_lo, s3
.LBB43_609:
	s_delay_alu instid0(SALU_CYCLE_1) | instskip(SKIP_4) | instid1(VALU_DEP_1)
	s_or_b32 exec_lo, exec_lo, s2
	v_mov_b32_e32 v95, 0
	ds_load_b64 v[96:97], v95 offset:144
	s_wait_dscnt 0x0
	v_pk_mul_f32 v[98:99], v[92:93], v[96:97] op_sel:[1,1] op_sel_hi:[0,1]
	v_pk_fma_f32 v[100:101], v[92:93], v[96:97], v[98:99] op_sel_hi:[1,0,1]
	v_pk_fma_f32 v[92:93], v[92:93], v[96:97], v[98:99] neg_lo:[0,0,1] neg_hi:[0,0,1]
	s_delay_alu instid0(VALU_DEP_2)
	v_mov_b32_e32 v93, v101
	scratch_store_b64 off, v[92:93], off offset:144
.LBB43_610:
	s_wait_xcnt 0x0
	s_or_b32 exec_lo, exec_lo, s0
	scratch_load_b64 v[92:93], off, off offset:152
	s_mov_b32 s0, exec_lo
	s_wait_loadcnt 0x0
	ds_store_b64 v1, v[92:93]
	s_wait_storecnt_dscnt 0x0
	s_barrier_signal -1
	s_barrier_wait -1
	s_wait_xcnt 0x0
	v_cmpx_gt_u32_e32 19, v0
	s_cbranch_execz .LBB43_620
; %bb.611:
	v_cmp_ne_u32_e32 vcc_lo, 1, v94
	s_cbranch_vccnz .LBB43_613
; %bb.612:
	scratch_load_b64 v[92:93], v47, off
	ds_load_b64 v[96:97], v1
	s_wait_loadcnt_dscnt 0x0
	v_pk_mul_f32 v[98:99], v[96:97], v[92:93] op_sel:[1,1] op_sel_hi:[0,1]
	s_delay_alu instid0(VALU_DEP_1) | instskip(SKIP_1) | instid1(VALU_DEP_2)
	v_pk_fma_f32 v[100:101], v[96:97], v[92:93], v[98:99] op_sel_hi:[1,0,1]
	v_pk_fma_f32 v[92:93], v[96:97], v[92:93], v[98:99] neg_lo:[0,0,1] neg_hi:[0,0,1]
	v_mov_b32_e32 v93, v101
	s_cbranch_execz .LBB43_614
	s_branch .LBB43_615
.LBB43_613:
                                        ; implicit-def: $vgpr92_vgpr93
.LBB43_614:
	ds_load_b64 v[92:93], v1
.LBB43_615:
	s_mov_b32 s2, exec_lo
	v_cmpx_ne_u32_e32 18, v0
	s_cbranch_execz .LBB43_619
; %bb.616:
	v_add_nc_u32_e32 v95, 0x168, v46
	v_add3_u32 v96, 0, v46, 8
	v_mov_b32_e32 v97, v0
	s_mov_b32 s3, 0
.LBB43_617:                             ; =>This Inner Loop Header: Depth=1
	scratch_load_b64 v[98:99], v96, off
	ds_load_b64 v[100:101], v95
	s_wait_xcnt 0x0
	v_dual_add_nc_u32 v95, 8, v95 :: v_dual_add_nc_u32 v96, 8, v96
	s_wait_loadcnt_dscnt 0x0
	v_pk_mul_f32 v[102:103], v[100:101], v[98:99] op_sel:[1,1] op_sel_hi:[0,1]
	s_delay_alu instid0(VALU_DEP_1) | instskip(SKIP_2) | instid1(VALU_DEP_3)
	v_pk_fma_f32 v[104:105], v[100:101], v[98:99], v[102:103] op_sel_hi:[1,0,1]
	v_add_nc_u32_e32 v97, 1, v97
	v_pk_fma_f32 v[98:99], v[100:101], v[98:99], v[102:103] neg_lo:[0,0,1] neg_hi:[0,0,1]
	v_mov_b32_e32 v99, v105
	s_delay_alu instid0(VALU_DEP_3) | instskip(NEXT) | instid1(VALU_DEP_2)
	v_cmp_lt_u32_e32 vcc_lo, 17, v97
	v_pk_add_f32 v[92:93], v[92:93], v[98:99]
	s_or_b32 s3, vcc_lo, s3
	s_delay_alu instid0(SALU_CYCLE_1)
	s_and_not1_b32 exec_lo, exec_lo, s3
	s_cbranch_execnz .LBB43_617
; %bb.618:
	s_or_b32 exec_lo, exec_lo, s3
.LBB43_619:
	s_delay_alu instid0(SALU_CYCLE_1) | instskip(SKIP_4) | instid1(VALU_DEP_1)
	s_or_b32 exec_lo, exec_lo, s2
	v_mov_b32_e32 v95, 0
	ds_load_b64 v[96:97], v95 offset:152
	s_wait_dscnt 0x0
	v_pk_mul_f32 v[98:99], v[92:93], v[96:97] op_sel:[1,1] op_sel_hi:[0,1]
	v_pk_fma_f32 v[100:101], v[92:93], v[96:97], v[98:99] op_sel_hi:[1,0,1]
	v_pk_fma_f32 v[92:93], v[92:93], v[96:97], v[98:99] neg_lo:[0,0,1] neg_hi:[0,0,1]
	s_delay_alu instid0(VALU_DEP_2)
	v_mov_b32_e32 v93, v101
	scratch_store_b64 off, v[92:93], off offset:152
.LBB43_620:
	s_wait_xcnt 0x0
	s_or_b32 exec_lo, exec_lo, s0
	scratch_load_b64 v[92:93], off, off offset:160
	s_mov_b32 s0, exec_lo
	s_wait_loadcnt 0x0
	ds_store_b64 v1, v[92:93]
	s_wait_storecnt_dscnt 0x0
	s_barrier_signal -1
	s_barrier_wait -1
	s_wait_xcnt 0x0
	v_cmpx_gt_u32_e32 20, v0
	s_cbranch_execz .LBB43_630
; %bb.621:
	v_cmp_ne_u32_e32 vcc_lo, 1, v94
	s_cbranch_vccnz .LBB43_623
; %bb.622:
	scratch_load_b64 v[92:93], v47, off
	ds_load_b64 v[96:97], v1
	s_wait_loadcnt_dscnt 0x0
	v_pk_mul_f32 v[98:99], v[96:97], v[92:93] op_sel:[1,1] op_sel_hi:[0,1]
	s_delay_alu instid0(VALU_DEP_1) | instskip(SKIP_1) | instid1(VALU_DEP_2)
	v_pk_fma_f32 v[100:101], v[96:97], v[92:93], v[98:99] op_sel_hi:[1,0,1]
	v_pk_fma_f32 v[92:93], v[96:97], v[92:93], v[98:99] neg_lo:[0,0,1] neg_hi:[0,0,1]
	v_mov_b32_e32 v93, v101
	s_cbranch_execz .LBB43_624
	s_branch .LBB43_625
.LBB43_623:
                                        ; implicit-def: $vgpr92_vgpr93
.LBB43_624:
	ds_load_b64 v[92:93], v1
.LBB43_625:
	s_mov_b32 s2, exec_lo
	v_cmpx_ne_u32_e32 19, v0
	s_cbranch_execz .LBB43_629
; %bb.626:
	v_add_nc_u32_e32 v95, 0x168, v46
	v_add3_u32 v96, 0, v46, 8
	v_mov_b32_e32 v97, v0
	s_mov_b32 s3, 0
.LBB43_627:                             ; =>This Inner Loop Header: Depth=1
	scratch_load_b64 v[98:99], v96, off
	ds_load_b64 v[100:101], v95
	s_wait_xcnt 0x0
	v_dual_add_nc_u32 v95, 8, v95 :: v_dual_add_nc_u32 v96, 8, v96
	s_wait_loadcnt_dscnt 0x0
	v_pk_mul_f32 v[102:103], v[100:101], v[98:99] op_sel:[1,1] op_sel_hi:[0,1]
	s_delay_alu instid0(VALU_DEP_1) | instskip(SKIP_2) | instid1(VALU_DEP_3)
	v_pk_fma_f32 v[104:105], v[100:101], v[98:99], v[102:103] op_sel_hi:[1,0,1]
	v_add_nc_u32_e32 v97, 1, v97
	v_pk_fma_f32 v[98:99], v[100:101], v[98:99], v[102:103] neg_lo:[0,0,1] neg_hi:[0,0,1]
	v_mov_b32_e32 v99, v105
	s_delay_alu instid0(VALU_DEP_3) | instskip(NEXT) | instid1(VALU_DEP_2)
	v_cmp_lt_u32_e32 vcc_lo, 18, v97
	v_pk_add_f32 v[92:93], v[92:93], v[98:99]
	s_or_b32 s3, vcc_lo, s3
	s_delay_alu instid0(SALU_CYCLE_1)
	s_and_not1_b32 exec_lo, exec_lo, s3
	s_cbranch_execnz .LBB43_627
; %bb.628:
	s_or_b32 exec_lo, exec_lo, s3
.LBB43_629:
	s_delay_alu instid0(SALU_CYCLE_1) | instskip(SKIP_4) | instid1(VALU_DEP_1)
	s_or_b32 exec_lo, exec_lo, s2
	v_mov_b32_e32 v95, 0
	ds_load_b64 v[96:97], v95 offset:160
	s_wait_dscnt 0x0
	v_pk_mul_f32 v[98:99], v[92:93], v[96:97] op_sel:[1,1] op_sel_hi:[0,1]
	v_pk_fma_f32 v[100:101], v[92:93], v[96:97], v[98:99] op_sel_hi:[1,0,1]
	v_pk_fma_f32 v[92:93], v[92:93], v[96:97], v[98:99] neg_lo:[0,0,1] neg_hi:[0,0,1]
	s_delay_alu instid0(VALU_DEP_2)
	v_mov_b32_e32 v93, v101
	scratch_store_b64 off, v[92:93], off offset:160
.LBB43_630:
	s_wait_xcnt 0x0
	s_or_b32 exec_lo, exec_lo, s0
	scratch_load_b64 v[92:93], off, off offset:168
	s_mov_b32 s0, exec_lo
	s_wait_loadcnt 0x0
	ds_store_b64 v1, v[92:93]
	s_wait_storecnt_dscnt 0x0
	s_barrier_signal -1
	s_barrier_wait -1
	s_wait_xcnt 0x0
	v_cmpx_gt_u32_e32 21, v0
	s_cbranch_execz .LBB43_640
; %bb.631:
	v_cmp_ne_u32_e32 vcc_lo, 1, v94
	s_cbranch_vccnz .LBB43_633
; %bb.632:
	scratch_load_b64 v[92:93], v47, off
	ds_load_b64 v[96:97], v1
	s_wait_loadcnt_dscnt 0x0
	v_pk_mul_f32 v[98:99], v[96:97], v[92:93] op_sel:[1,1] op_sel_hi:[0,1]
	s_delay_alu instid0(VALU_DEP_1) | instskip(SKIP_1) | instid1(VALU_DEP_2)
	v_pk_fma_f32 v[100:101], v[96:97], v[92:93], v[98:99] op_sel_hi:[1,0,1]
	v_pk_fma_f32 v[92:93], v[96:97], v[92:93], v[98:99] neg_lo:[0,0,1] neg_hi:[0,0,1]
	v_mov_b32_e32 v93, v101
	s_cbranch_execz .LBB43_634
	s_branch .LBB43_635
.LBB43_633:
                                        ; implicit-def: $vgpr92_vgpr93
.LBB43_634:
	ds_load_b64 v[92:93], v1
.LBB43_635:
	s_mov_b32 s2, exec_lo
	v_cmpx_ne_u32_e32 20, v0
	s_cbranch_execz .LBB43_639
; %bb.636:
	v_add_nc_u32_e32 v95, 0x168, v46
	v_add3_u32 v96, 0, v46, 8
	v_mov_b32_e32 v97, v0
	s_mov_b32 s3, 0
.LBB43_637:                             ; =>This Inner Loop Header: Depth=1
	scratch_load_b64 v[98:99], v96, off
	ds_load_b64 v[100:101], v95
	s_wait_xcnt 0x0
	v_dual_add_nc_u32 v95, 8, v95 :: v_dual_add_nc_u32 v96, 8, v96
	s_wait_loadcnt_dscnt 0x0
	v_pk_mul_f32 v[102:103], v[100:101], v[98:99] op_sel:[1,1] op_sel_hi:[0,1]
	s_delay_alu instid0(VALU_DEP_1) | instskip(SKIP_2) | instid1(VALU_DEP_3)
	v_pk_fma_f32 v[104:105], v[100:101], v[98:99], v[102:103] op_sel_hi:[1,0,1]
	v_add_nc_u32_e32 v97, 1, v97
	v_pk_fma_f32 v[98:99], v[100:101], v[98:99], v[102:103] neg_lo:[0,0,1] neg_hi:[0,0,1]
	v_mov_b32_e32 v99, v105
	s_delay_alu instid0(VALU_DEP_3) | instskip(NEXT) | instid1(VALU_DEP_2)
	v_cmp_lt_u32_e32 vcc_lo, 19, v97
	v_pk_add_f32 v[92:93], v[92:93], v[98:99]
	s_or_b32 s3, vcc_lo, s3
	s_delay_alu instid0(SALU_CYCLE_1)
	s_and_not1_b32 exec_lo, exec_lo, s3
	s_cbranch_execnz .LBB43_637
; %bb.638:
	s_or_b32 exec_lo, exec_lo, s3
.LBB43_639:
	s_delay_alu instid0(SALU_CYCLE_1) | instskip(SKIP_4) | instid1(VALU_DEP_1)
	s_or_b32 exec_lo, exec_lo, s2
	v_mov_b32_e32 v95, 0
	ds_load_b64 v[96:97], v95 offset:168
	s_wait_dscnt 0x0
	v_pk_mul_f32 v[98:99], v[92:93], v[96:97] op_sel:[1,1] op_sel_hi:[0,1]
	v_pk_fma_f32 v[100:101], v[92:93], v[96:97], v[98:99] op_sel_hi:[1,0,1]
	v_pk_fma_f32 v[92:93], v[92:93], v[96:97], v[98:99] neg_lo:[0,0,1] neg_hi:[0,0,1]
	s_delay_alu instid0(VALU_DEP_2)
	v_mov_b32_e32 v93, v101
	scratch_store_b64 off, v[92:93], off offset:168
.LBB43_640:
	s_wait_xcnt 0x0
	s_or_b32 exec_lo, exec_lo, s0
	scratch_load_b64 v[92:93], off, off offset:176
	s_mov_b32 s0, exec_lo
	s_wait_loadcnt 0x0
	ds_store_b64 v1, v[92:93]
	s_wait_storecnt_dscnt 0x0
	s_barrier_signal -1
	s_barrier_wait -1
	s_wait_xcnt 0x0
	v_cmpx_gt_u32_e32 22, v0
	s_cbranch_execz .LBB43_650
; %bb.641:
	v_cmp_ne_u32_e32 vcc_lo, 1, v94
	s_cbranch_vccnz .LBB43_643
; %bb.642:
	scratch_load_b64 v[92:93], v47, off
	ds_load_b64 v[96:97], v1
	s_wait_loadcnt_dscnt 0x0
	v_pk_mul_f32 v[98:99], v[96:97], v[92:93] op_sel:[1,1] op_sel_hi:[0,1]
	s_delay_alu instid0(VALU_DEP_1) | instskip(SKIP_1) | instid1(VALU_DEP_2)
	v_pk_fma_f32 v[100:101], v[96:97], v[92:93], v[98:99] op_sel_hi:[1,0,1]
	v_pk_fma_f32 v[92:93], v[96:97], v[92:93], v[98:99] neg_lo:[0,0,1] neg_hi:[0,0,1]
	v_mov_b32_e32 v93, v101
	s_cbranch_execz .LBB43_644
	s_branch .LBB43_645
.LBB43_643:
                                        ; implicit-def: $vgpr92_vgpr93
.LBB43_644:
	ds_load_b64 v[92:93], v1
.LBB43_645:
	s_mov_b32 s2, exec_lo
	v_cmpx_ne_u32_e32 21, v0
	s_cbranch_execz .LBB43_649
; %bb.646:
	v_add_nc_u32_e32 v95, 0x168, v46
	v_add3_u32 v96, 0, v46, 8
	v_mov_b32_e32 v97, v0
	s_mov_b32 s3, 0
.LBB43_647:                             ; =>This Inner Loop Header: Depth=1
	scratch_load_b64 v[98:99], v96, off
	ds_load_b64 v[100:101], v95
	s_wait_xcnt 0x0
	v_dual_add_nc_u32 v95, 8, v95 :: v_dual_add_nc_u32 v96, 8, v96
	s_wait_loadcnt_dscnt 0x0
	v_pk_mul_f32 v[102:103], v[100:101], v[98:99] op_sel:[1,1] op_sel_hi:[0,1]
	s_delay_alu instid0(VALU_DEP_1) | instskip(SKIP_2) | instid1(VALU_DEP_3)
	v_pk_fma_f32 v[104:105], v[100:101], v[98:99], v[102:103] op_sel_hi:[1,0,1]
	v_add_nc_u32_e32 v97, 1, v97
	v_pk_fma_f32 v[98:99], v[100:101], v[98:99], v[102:103] neg_lo:[0,0,1] neg_hi:[0,0,1]
	v_mov_b32_e32 v99, v105
	s_delay_alu instid0(VALU_DEP_3) | instskip(NEXT) | instid1(VALU_DEP_2)
	v_cmp_lt_u32_e32 vcc_lo, 20, v97
	v_pk_add_f32 v[92:93], v[92:93], v[98:99]
	s_or_b32 s3, vcc_lo, s3
	s_delay_alu instid0(SALU_CYCLE_1)
	s_and_not1_b32 exec_lo, exec_lo, s3
	s_cbranch_execnz .LBB43_647
; %bb.648:
	s_or_b32 exec_lo, exec_lo, s3
.LBB43_649:
	s_delay_alu instid0(SALU_CYCLE_1) | instskip(SKIP_4) | instid1(VALU_DEP_1)
	s_or_b32 exec_lo, exec_lo, s2
	v_mov_b32_e32 v95, 0
	ds_load_b64 v[96:97], v95 offset:176
	s_wait_dscnt 0x0
	v_pk_mul_f32 v[98:99], v[92:93], v[96:97] op_sel:[1,1] op_sel_hi:[0,1]
	v_pk_fma_f32 v[100:101], v[92:93], v[96:97], v[98:99] op_sel_hi:[1,0,1]
	v_pk_fma_f32 v[92:93], v[92:93], v[96:97], v[98:99] neg_lo:[0,0,1] neg_hi:[0,0,1]
	s_delay_alu instid0(VALU_DEP_2)
	v_mov_b32_e32 v93, v101
	scratch_store_b64 off, v[92:93], off offset:176
.LBB43_650:
	s_wait_xcnt 0x0
	s_or_b32 exec_lo, exec_lo, s0
	scratch_load_b64 v[92:93], off, off offset:184
	s_mov_b32 s0, exec_lo
	s_wait_loadcnt 0x0
	ds_store_b64 v1, v[92:93]
	s_wait_storecnt_dscnt 0x0
	s_barrier_signal -1
	s_barrier_wait -1
	s_wait_xcnt 0x0
	v_cmpx_gt_u32_e32 23, v0
	s_cbranch_execz .LBB43_660
; %bb.651:
	v_cmp_ne_u32_e32 vcc_lo, 1, v94
	s_cbranch_vccnz .LBB43_653
; %bb.652:
	scratch_load_b64 v[92:93], v47, off
	ds_load_b64 v[96:97], v1
	s_wait_loadcnt_dscnt 0x0
	v_pk_mul_f32 v[98:99], v[96:97], v[92:93] op_sel:[1,1] op_sel_hi:[0,1]
	s_delay_alu instid0(VALU_DEP_1) | instskip(SKIP_1) | instid1(VALU_DEP_2)
	v_pk_fma_f32 v[100:101], v[96:97], v[92:93], v[98:99] op_sel_hi:[1,0,1]
	v_pk_fma_f32 v[92:93], v[96:97], v[92:93], v[98:99] neg_lo:[0,0,1] neg_hi:[0,0,1]
	v_mov_b32_e32 v93, v101
	s_cbranch_execz .LBB43_654
	s_branch .LBB43_655
.LBB43_653:
                                        ; implicit-def: $vgpr92_vgpr93
.LBB43_654:
	ds_load_b64 v[92:93], v1
.LBB43_655:
	s_mov_b32 s2, exec_lo
	v_cmpx_ne_u32_e32 22, v0
	s_cbranch_execz .LBB43_659
; %bb.656:
	v_add_nc_u32_e32 v95, 0x168, v46
	v_add3_u32 v96, 0, v46, 8
	v_mov_b32_e32 v97, v0
	s_mov_b32 s3, 0
.LBB43_657:                             ; =>This Inner Loop Header: Depth=1
	scratch_load_b64 v[98:99], v96, off
	ds_load_b64 v[100:101], v95
	s_wait_xcnt 0x0
	v_dual_add_nc_u32 v95, 8, v95 :: v_dual_add_nc_u32 v96, 8, v96
	s_wait_loadcnt_dscnt 0x0
	v_pk_mul_f32 v[102:103], v[100:101], v[98:99] op_sel:[1,1] op_sel_hi:[0,1]
	s_delay_alu instid0(VALU_DEP_1) | instskip(SKIP_2) | instid1(VALU_DEP_3)
	v_pk_fma_f32 v[104:105], v[100:101], v[98:99], v[102:103] op_sel_hi:[1,0,1]
	v_add_nc_u32_e32 v97, 1, v97
	v_pk_fma_f32 v[98:99], v[100:101], v[98:99], v[102:103] neg_lo:[0,0,1] neg_hi:[0,0,1]
	v_mov_b32_e32 v99, v105
	s_delay_alu instid0(VALU_DEP_3) | instskip(NEXT) | instid1(VALU_DEP_2)
	v_cmp_lt_u32_e32 vcc_lo, 21, v97
	v_pk_add_f32 v[92:93], v[92:93], v[98:99]
	s_or_b32 s3, vcc_lo, s3
	s_delay_alu instid0(SALU_CYCLE_1)
	s_and_not1_b32 exec_lo, exec_lo, s3
	s_cbranch_execnz .LBB43_657
; %bb.658:
	s_or_b32 exec_lo, exec_lo, s3
.LBB43_659:
	s_delay_alu instid0(SALU_CYCLE_1) | instskip(SKIP_4) | instid1(VALU_DEP_1)
	s_or_b32 exec_lo, exec_lo, s2
	v_mov_b32_e32 v95, 0
	ds_load_b64 v[96:97], v95 offset:184
	s_wait_dscnt 0x0
	v_pk_mul_f32 v[98:99], v[92:93], v[96:97] op_sel:[1,1] op_sel_hi:[0,1]
	v_pk_fma_f32 v[100:101], v[92:93], v[96:97], v[98:99] op_sel_hi:[1,0,1]
	v_pk_fma_f32 v[92:93], v[92:93], v[96:97], v[98:99] neg_lo:[0,0,1] neg_hi:[0,0,1]
	s_delay_alu instid0(VALU_DEP_2)
	v_mov_b32_e32 v93, v101
	scratch_store_b64 off, v[92:93], off offset:184
.LBB43_660:
	s_wait_xcnt 0x0
	s_or_b32 exec_lo, exec_lo, s0
	scratch_load_b64 v[92:93], off, off offset:192
	s_mov_b32 s0, exec_lo
	s_wait_loadcnt 0x0
	ds_store_b64 v1, v[92:93]
	s_wait_storecnt_dscnt 0x0
	s_barrier_signal -1
	s_barrier_wait -1
	s_wait_xcnt 0x0
	v_cmpx_gt_u32_e32 24, v0
	s_cbranch_execz .LBB43_670
; %bb.661:
	v_cmp_ne_u32_e32 vcc_lo, 1, v94
	s_cbranch_vccnz .LBB43_663
; %bb.662:
	scratch_load_b64 v[92:93], v47, off
	ds_load_b64 v[96:97], v1
	s_wait_loadcnt_dscnt 0x0
	v_pk_mul_f32 v[98:99], v[96:97], v[92:93] op_sel:[1,1] op_sel_hi:[0,1]
	s_delay_alu instid0(VALU_DEP_1) | instskip(SKIP_1) | instid1(VALU_DEP_2)
	v_pk_fma_f32 v[100:101], v[96:97], v[92:93], v[98:99] op_sel_hi:[1,0,1]
	v_pk_fma_f32 v[92:93], v[96:97], v[92:93], v[98:99] neg_lo:[0,0,1] neg_hi:[0,0,1]
	v_mov_b32_e32 v93, v101
	s_cbranch_execz .LBB43_664
	s_branch .LBB43_665
.LBB43_663:
                                        ; implicit-def: $vgpr92_vgpr93
.LBB43_664:
	ds_load_b64 v[92:93], v1
.LBB43_665:
	s_mov_b32 s2, exec_lo
	v_cmpx_ne_u32_e32 23, v0
	s_cbranch_execz .LBB43_669
; %bb.666:
	v_add_nc_u32_e32 v95, 0x168, v46
	v_add3_u32 v96, 0, v46, 8
	v_mov_b32_e32 v97, v0
	s_mov_b32 s3, 0
.LBB43_667:                             ; =>This Inner Loop Header: Depth=1
	scratch_load_b64 v[98:99], v96, off
	ds_load_b64 v[100:101], v95
	s_wait_xcnt 0x0
	v_dual_add_nc_u32 v95, 8, v95 :: v_dual_add_nc_u32 v96, 8, v96
	s_wait_loadcnt_dscnt 0x0
	v_pk_mul_f32 v[102:103], v[100:101], v[98:99] op_sel:[1,1] op_sel_hi:[0,1]
	s_delay_alu instid0(VALU_DEP_1) | instskip(SKIP_2) | instid1(VALU_DEP_3)
	v_pk_fma_f32 v[104:105], v[100:101], v[98:99], v[102:103] op_sel_hi:[1,0,1]
	v_add_nc_u32_e32 v97, 1, v97
	v_pk_fma_f32 v[98:99], v[100:101], v[98:99], v[102:103] neg_lo:[0,0,1] neg_hi:[0,0,1]
	v_mov_b32_e32 v99, v105
	s_delay_alu instid0(VALU_DEP_3) | instskip(NEXT) | instid1(VALU_DEP_2)
	v_cmp_lt_u32_e32 vcc_lo, 22, v97
	v_pk_add_f32 v[92:93], v[92:93], v[98:99]
	s_or_b32 s3, vcc_lo, s3
	s_delay_alu instid0(SALU_CYCLE_1)
	s_and_not1_b32 exec_lo, exec_lo, s3
	s_cbranch_execnz .LBB43_667
; %bb.668:
	s_or_b32 exec_lo, exec_lo, s3
.LBB43_669:
	s_delay_alu instid0(SALU_CYCLE_1) | instskip(SKIP_4) | instid1(VALU_DEP_1)
	s_or_b32 exec_lo, exec_lo, s2
	v_mov_b32_e32 v95, 0
	ds_load_b64 v[96:97], v95 offset:192
	s_wait_dscnt 0x0
	v_pk_mul_f32 v[98:99], v[92:93], v[96:97] op_sel:[1,1] op_sel_hi:[0,1]
	v_pk_fma_f32 v[100:101], v[92:93], v[96:97], v[98:99] op_sel_hi:[1,0,1]
	v_pk_fma_f32 v[92:93], v[92:93], v[96:97], v[98:99] neg_lo:[0,0,1] neg_hi:[0,0,1]
	s_delay_alu instid0(VALU_DEP_2)
	v_mov_b32_e32 v93, v101
	scratch_store_b64 off, v[92:93], off offset:192
.LBB43_670:
	s_wait_xcnt 0x0
	s_or_b32 exec_lo, exec_lo, s0
	scratch_load_b64 v[92:93], off, off offset:200
	s_mov_b32 s0, exec_lo
	s_wait_loadcnt 0x0
	ds_store_b64 v1, v[92:93]
	s_wait_storecnt_dscnt 0x0
	s_barrier_signal -1
	s_barrier_wait -1
	s_wait_xcnt 0x0
	v_cmpx_gt_u32_e32 25, v0
	s_cbranch_execz .LBB43_680
; %bb.671:
	v_cmp_ne_u32_e32 vcc_lo, 1, v94
	s_cbranch_vccnz .LBB43_673
; %bb.672:
	scratch_load_b64 v[92:93], v47, off
	ds_load_b64 v[96:97], v1
	s_wait_loadcnt_dscnt 0x0
	v_pk_mul_f32 v[98:99], v[96:97], v[92:93] op_sel:[1,1] op_sel_hi:[0,1]
	s_delay_alu instid0(VALU_DEP_1) | instskip(SKIP_1) | instid1(VALU_DEP_2)
	v_pk_fma_f32 v[100:101], v[96:97], v[92:93], v[98:99] op_sel_hi:[1,0,1]
	v_pk_fma_f32 v[92:93], v[96:97], v[92:93], v[98:99] neg_lo:[0,0,1] neg_hi:[0,0,1]
	v_mov_b32_e32 v93, v101
	s_cbranch_execz .LBB43_674
	s_branch .LBB43_675
.LBB43_673:
                                        ; implicit-def: $vgpr92_vgpr93
.LBB43_674:
	ds_load_b64 v[92:93], v1
.LBB43_675:
	s_mov_b32 s2, exec_lo
	v_cmpx_ne_u32_e32 24, v0
	s_cbranch_execz .LBB43_679
; %bb.676:
	v_add_nc_u32_e32 v95, 0x168, v46
	v_add3_u32 v96, 0, v46, 8
	v_mov_b32_e32 v97, v0
	s_mov_b32 s3, 0
.LBB43_677:                             ; =>This Inner Loop Header: Depth=1
	scratch_load_b64 v[98:99], v96, off
	ds_load_b64 v[100:101], v95
	s_wait_xcnt 0x0
	v_dual_add_nc_u32 v95, 8, v95 :: v_dual_add_nc_u32 v96, 8, v96
	s_wait_loadcnt_dscnt 0x0
	v_pk_mul_f32 v[102:103], v[100:101], v[98:99] op_sel:[1,1] op_sel_hi:[0,1]
	s_delay_alu instid0(VALU_DEP_1) | instskip(SKIP_2) | instid1(VALU_DEP_3)
	v_pk_fma_f32 v[104:105], v[100:101], v[98:99], v[102:103] op_sel_hi:[1,0,1]
	v_add_nc_u32_e32 v97, 1, v97
	v_pk_fma_f32 v[98:99], v[100:101], v[98:99], v[102:103] neg_lo:[0,0,1] neg_hi:[0,0,1]
	v_mov_b32_e32 v99, v105
	s_delay_alu instid0(VALU_DEP_3) | instskip(NEXT) | instid1(VALU_DEP_2)
	v_cmp_lt_u32_e32 vcc_lo, 23, v97
	v_pk_add_f32 v[92:93], v[92:93], v[98:99]
	s_or_b32 s3, vcc_lo, s3
	s_delay_alu instid0(SALU_CYCLE_1)
	s_and_not1_b32 exec_lo, exec_lo, s3
	s_cbranch_execnz .LBB43_677
; %bb.678:
	s_or_b32 exec_lo, exec_lo, s3
.LBB43_679:
	s_delay_alu instid0(SALU_CYCLE_1) | instskip(SKIP_4) | instid1(VALU_DEP_1)
	s_or_b32 exec_lo, exec_lo, s2
	v_mov_b32_e32 v95, 0
	ds_load_b64 v[96:97], v95 offset:200
	s_wait_dscnt 0x0
	v_pk_mul_f32 v[98:99], v[92:93], v[96:97] op_sel:[1,1] op_sel_hi:[0,1]
	v_pk_fma_f32 v[100:101], v[92:93], v[96:97], v[98:99] op_sel_hi:[1,0,1]
	v_pk_fma_f32 v[92:93], v[92:93], v[96:97], v[98:99] neg_lo:[0,0,1] neg_hi:[0,0,1]
	s_delay_alu instid0(VALU_DEP_2)
	v_mov_b32_e32 v93, v101
	scratch_store_b64 off, v[92:93], off offset:200
.LBB43_680:
	s_wait_xcnt 0x0
	s_or_b32 exec_lo, exec_lo, s0
	scratch_load_b64 v[92:93], off, off offset:208
	s_mov_b32 s0, exec_lo
	s_wait_loadcnt 0x0
	ds_store_b64 v1, v[92:93]
	s_wait_storecnt_dscnt 0x0
	s_barrier_signal -1
	s_barrier_wait -1
	s_wait_xcnt 0x0
	v_cmpx_gt_u32_e32 26, v0
	s_cbranch_execz .LBB43_690
; %bb.681:
	v_cmp_ne_u32_e32 vcc_lo, 1, v94
	s_cbranch_vccnz .LBB43_683
; %bb.682:
	scratch_load_b64 v[92:93], v47, off
	ds_load_b64 v[96:97], v1
	s_wait_loadcnt_dscnt 0x0
	v_pk_mul_f32 v[98:99], v[96:97], v[92:93] op_sel:[1,1] op_sel_hi:[0,1]
	s_delay_alu instid0(VALU_DEP_1) | instskip(SKIP_1) | instid1(VALU_DEP_2)
	v_pk_fma_f32 v[100:101], v[96:97], v[92:93], v[98:99] op_sel_hi:[1,0,1]
	v_pk_fma_f32 v[92:93], v[96:97], v[92:93], v[98:99] neg_lo:[0,0,1] neg_hi:[0,0,1]
	v_mov_b32_e32 v93, v101
	s_cbranch_execz .LBB43_684
	s_branch .LBB43_685
.LBB43_683:
                                        ; implicit-def: $vgpr92_vgpr93
.LBB43_684:
	ds_load_b64 v[92:93], v1
.LBB43_685:
	s_mov_b32 s2, exec_lo
	v_cmpx_ne_u32_e32 25, v0
	s_cbranch_execz .LBB43_689
; %bb.686:
	v_add_nc_u32_e32 v95, 0x168, v46
	v_add3_u32 v96, 0, v46, 8
	v_mov_b32_e32 v97, v0
	s_mov_b32 s3, 0
.LBB43_687:                             ; =>This Inner Loop Header: Depth=1
	scratch_load_b64 v[98:99], v96, off
	ds_load_b64 v[100:101], v95
	s_wait_xcnt 0x0
	v_dual_add_nc_u32 v95, 8, v95 :: v_dual_add_nc_u32 v96, 8, v96
	s_wait_loadcnt_dscnt 0x0
	v_pk_mul_f32 v[102:103], v[100:101], v[98:99] op_sel:[1,1] op_sel_hi:[0,1]
	s_delay_alu instid0(VALU_DEP_1) | instskip(SKIP_2) | instid1(VALU_DEP_3)
	v_pk_fma_f32 v[104:105], v[100:101], v[98:99], v[102:103] op_sel_hi:[1,0,1]
	v_add_nc_u32_e32 v97, 1, v97
	v_pk_fma_f32 v[98:99], v[100:101], v[98:99], v[102:103] neg_lo:[0,0,1] neg_hi:[0,0,1]
	v_mov_b32_e32 v99, v105
	s_delay_alu instid0(VALU_DEP_3) | instskip(NEXT) | instid1(VALU_DEP_2)
	v_cmp_lt_u32_e32 vcc_lo, 24, v97
	v_pk_add_f32 v[92:93], v[92:93], v[98:99]
	s_or_b32 s3, vcc_lo, s3
	s_delay_alu instid0(SALU_CYCLE_1)
	s_and_not1_b32 exec_lo, exec_lo, s3
	s_cbranch_execnz .LBB43_687
; %bb.688:
	s_or_b32 exec_lo, exec_lo, s3
.LBB43_689:
	s_delay_alu instid0(SALU_CYCLE_1) | instskip(SKIP_4) | instid1(VALU_DEP_1)
	s_or_b32 exec_lo, exec_lo, s2
	v_mov_b32_e32 v95, 0
	ds_load_b64 v[96:97], v95 offset:208
	s_wait_dscnt 0x0
	v_pk_mul_f32 v[98:99], v[92:93], v[96:97] op_sel:[1,1] op_sel_hi:[0,1]
	v_pk_fma_f32 v[100:101], v[92:93], v[96:97], v[98:99] op_sel_hi:[1,0,1]
	v_pk_fma_f32 v[92:93], v[92:93], v[96:97], v[98:99] neg_lo:[0,0,1] neg_hi:[0,0,1]
	s_delay_alu instid0(VALU_DEP_2)
	v_mov_b32_e32 v93, v101
	scratch_store_b64 off, v[92:93], off offset:208
.LBB43_690:
	s_wait_xcnt 0x0
	s_or_b32 exec_lo, exec_lo, s0
	scratch_load_b64 v[92:93], off, off offset:216
	s_mov_b32 s0, exec_lo
	s_wait_loadcnt 0x0
	ds_store_b64 v1, v[92:93]
	s_wait_storecnt_dscnt 0x0
	s_barrier_signal -1
	s_barrier_wait -1
	s_wait_xcnt 0x0
	v_cmpx_gt_u32_e32 27, v0
	s_cbranch_execz .LBB43_700
; %bb.691:
	v_cmp_ne_u32_e32 vcc_lo, 1, v94
	s_cbranch_vccnz .LBB43_693
; %bb.692:
	scratch_load_b64 v[92:93], v47, off
	ds_load_b64 v[96:97], v1
	s_wait_loadcnt_dscnt 0x0
	v_pk_mul_f32 v[98:99], v[96:97], v[92:93] op_sel:[1,1] op_sel_hi:[0,1]
	s_delay_alu instid0(VALU_DEP_1) | instskip(SKIP_1) | instid1(VALU_DEP_2)
	v_pk_fma_f32 v[100:101], v[96:97], v[92:93], v[98:99] op_sel_hi:[1,0,1]
	v_pk_fma_f32 v[92:93], v[96:97], v[92:93], v[98:99] neg_lo:[0,0,1] neg_hi:[0,0,1]
	v_mov_b32_e32 v93, v101
	s_cbranch_execz .LBB43_694
	s_branch .LBB43_695
.LBB43_693:
                                        ; implicit-def: $vgpr92_vgpr93
.LBB43_694:
	ds_load_b64 v[92:93], v1
.LBB43_695:
	s_mov_b32 s2, exec_lo
	v_cmpx_ne_u32_e32 26, v0
	s_cbranch_execz .LBB43_699
; %bb.696:
	v_add_nc_u32_e32 v95, 0x168, v46
	v_add3_u32 v96, 0, v46, 8
	v_mov_b32_e32 v97, v0
	s_mov_b32 s3, 0
.LBB43_697:                             ; =>This Inner Loop Header: Depth=1
	scratch_load_b64 v[98:99], v96, off
	ds_load_b64 v[100:101], v95
	s_wait_xcnt 0x0
	v_dual_add_nc_u32 v95, 8, v95 :: v_dual_add_nc_u32 v96, 8, v96
	s_wait_loadcnt_dscnt 0x0
	v_pk_mul_f32 v[102:103], v[100:101], v[98:99] op_sel:[1,1] op_sel_hi:[0,1]
	s_delay_alu instid0(VALU_DEP_1) | instskip(SKIP_2) | instid1(VALU_DEP_3)
	v_pk_fma_f32 v[104:105], v[100:101], v[98:99], v[102:103] op_sel_hi:[1,0,1]
	v_add_nc_u32_e32 v97, 1, v97
	v_pk_fma_f32 v[98:99], v[100:101], v[98:99], v[102:103] neg_lo:[0,0,1] neg_hi:[0,0,1]
	v_mov_b32_e32 v99, v105
	s_delay_alu instid0(VALU_DEP_3) | instskip(NEXT) | instid1(VALU_DEP_2)
	v_cmp_lt_u32_e32 vcc_lo, 25, v97
	v_pk_add_f32 v[92:93], v[92:93], v[98:99]
	s_or_b32 s3, vcc_lo, s3
	s_delay_alu instid0(SALU_CYCLE_1)
	s_and_not1_b32 exec_lo, exec_lo, s3
	s_cbranch_execnz .LBB43_697
; %bb.698:
	s_or_b32 exec_lo, exec_lo, s3
.LBB43_699:
	s_delay_alu instid0(SALU_CYCLE_1) | instskip(SKIP_4) | instid1(VALU_DEP_1)
	s_or_b32 exec_lo, exec_lo, s2
	v_mov_b32_e32 v95, 0
	ds_load_b64 v[96:97], v95 offset:216
	s_wait_dscnt 0x0
	v_pk_mul_f32 v[98:99], v[92:93], v[96:97] op_sel:[1,1] op_sel_hi:[0,1]
	v_pk_fma_f32 v[100:101], v[92:93], v[96:97], v[98:99] op_sel_hi:[1,0,1]
	v_pk_fma_f32 v[92:93], v[92:93], v[96:97], v[98:99] neg_lo:[0,0,1] neg_hi:[0,0,1]
	s_delay_alu instid0(VALU_DEP_2)
	v_mov_b32_e32 v93, v101
	scratch_store_b64 off, v[92:93], off offset:216
.LBB43_700:
	s_wait_xcnt 0x0
	s_or_b32 exec_lo, exec_lo, s0
	scratch_load_b64 v[92:93], off, off offset:224
	s_mov_b32 s0, exec_lo
	s_wait_loadcnt 0x0
	ds_store_b64 v1, v[92:93]
	s_wait_storecnt_dscnt 0x0
	s_barrier_signal -1
	s_barrier_wait -1
	s_wait_xcnt 0x0
	v_cmpx_gt_u32_e32 28, v0
	s_cbranch_execz .LBB43_710
; %bb.701:
	v_cmp_ne_u32_e32 vcc_lo, 1, v94
	s_cbranch_vccnz .LBB43_703
; %bb.702:
	scratch_load_b64 v[92:93], v47, off
	ds_load_b64 v[96:97], v1
	s_wait_loadcnt_dscnt 0x0
	v_pk_mul_f32 v[98:99], v[96:97], v[92:93] op_sel:[1,1] op_sel_hi:[0,1]
	s_delay_alu instid0(VALU_DEP_1) | instskip(SKIP_1) | instid1(VALU_DEP_2)
	v_pk_fma_f32 v[100:101], v[96:97], v[92:93], v[98:99] op_sel_hi:[1,0,1]
	v_pk_fma_f32 v[92:93], v[96:97], v[92:93], v[98:99] neg_lo:[0,0,1] neg_hi:[0,0,1]
	v_mov_b32_e32 v93, v101
	s_cbranch_execz .LBB43_704
	s_branch .LBB43_705
.LBB43_703:
                                        ; implicit-def: $vgpr92_vgpr93
.LBB43_704:
	ds_load_b64 v[92:93], v1
.LBB43_705:
	s_mov_b32 s2, exec_lo
	v_cmpx_ne_u32_e32 27, v0
	s_cbranch_execz .LBB43_709
; %bb.706:
	v_add_nc_u32_e32 v95, 0x168, v46
	v_add3_u32 v96, 0, v46, 8
	v_mov_b32_e32 v97, v0
	s_mov_b32 s3, 0
.LBB43_707:                             ; =>This Inner Loop Header: Depth=1
	scratch_load_b64 v[98:99], v96, off
	ds_load_b64 v[100:101], v95
	s_wait_xcnt 0x0
	v_dual_add_nc_u32 v95, 8, v95 :: v_dual_add_nc_u32 v96, 8, v96
	s_wait_loadcnt_dscnt 0x0
	v_pk_mul_f32 v[102:103], v[100:101], v[98:99] op_sel:[1,1] op_sel_hi:[0,1]
	s_delay_alu instid0(VALU_DEP_1) | instskip(SKIP_2) | instid1(VALU_DEP_3)
	v_pk_fma_f32 v[104:105], v[100:101], v[98:99], v[102:103] op_sel_hi:[1,0,1]
	v_add_nc_u32_e32 v97, 1, v97
	v_pk_fma_f32 v[98:99], v[100:101], v[98:99], v[102:103] neg_lo:[0,0,1] neg_hi:[0,0,1]
	v_mov_b32_e32 v99, v105
	s_delay_alu instid0(VALU_DEP_3) | instskip(NEXT) | instid1(VALU_DEP_2)
	v_cmp_lt_u32_e32 vcc_lo, 26, v97
	v_pk_add_f32 v[92:93], v[92:93], v[98:99]
	s_or_b32 s3, vcc_lo, s3
	s_delay_alu instid0(SALU_CYCLE_1)
	s_and_not1_b32 exec_lo, exec_lo, s3
	s_cbranch_execnz .LBB43_707
; %bb.708:
	s_or_b32 exec_lo, exec_lo, s3
.LBB43_709:
	s_delay_alu instid0(SALU_CYCLE_1) | instskip(SKIP_4) | instid1(VALU_DEP_1)
	s_or_b32 exec_lo, exec_lo, s2
	v_mov_b32_e32 v95, 0
	ds_load_b64 v[96:97], v95 offset:224
	s_wait_dscnt 0x0
	v_pk_mul_f32 v[98:99], v[92:93], v[96:97] op_sel:[1,1] op_sel_hi:[0,1]
	v_pk_fma_f32 v[100:101], v[92:93], v[96:97], v[98:99] op_sel_hi:[1,0,1]
	v_pk_fma_f32 v[92:93], v[92:93], v[96:97], v[98:99] neg_lo:[0,0,1] neg_hi:[0,0,1]
	s_delay_alu instid0(VALU_DEP_2)
	v_mov_b32_e32 v93, v101
	scratch_store_b64 off, v[92:93], off offset:224
.LBB43_710:
	s_wait_xcnt 0x0
	s_or_b32 exec_lo, exec_lo, s0
	scratch_load_b64 v[92:93], off, off offset:232
	s_mov_b32 s0, exec_lo
	s_wait_loadcnt 0x0
	ds_store_b64 v1, v[92:93]
	s_wait_storecnt_dscnt 0x0
	s_barrier_signal -1
	s_barrier_wait -1
	s_wait_xcnt 0x0
	v_cmpx_gt_u32_e32 29, v0
	s_cbranch_execz .LBB43_720
; %bb.711:
	v_cmp_ne_u32_e32 vcc_lo, 1, v94
	s_cbranch_vccnz .LBB43_713
; %bb.712:
	scratch_load_b64 v[92:93], v47, off
	ds_load_b64 v[96:97], v1
	s_wait_loadcnt_dscnt 0x0
	v_pk_mul_f32 v[98:99], v[96:97], v[92:93] op_sel:[1,1] op_sel_hi:[0,1]
	s_delay_alu instid0(VALU_DEP_1) | instskip(SKIP_1) | instid1(VALU_DEP_2)
	v_pk_fma_f32 v[100:101], v[96:97], v[92:93], v[98:99] op_sel_hi:[1,0,1]
	v_pk_fma_f32 v[92:93], v[96:97], v[92:93], v[98:99] neg_lo:[0,0,1] neg_hi:[0,0,1]
	v_mov_b32_e32 v93, v101
	s_cbranch_execz .LBB43_714
	s_branch .LBB43_715
.LBB43_713:
                                        ; implicit-def: $vgpr92_vgpr93
.LBB43_714:
	ds_load_b64 v[92:93], v1
.LBB43_715:
	s_mov_b32 s2, exec_lo
	v_cmpx_ne_u32_e32 28, v0
	s_cbranch_execz .LBB43_719
; %bb.716:
	v_add_nc_u32_e32 v95, 0x168, v46
	v_add3_u32 v96, 0, v46, 8
	v_mov_b32_e32 v97, v0
	s_mov_b32 s3, 0
.LBB43_717:                             ; =>This Inner Loop Header: Depth=1
	scratch_load_b64 v[98:99], v96, off
	ds_load_b64 v[100:101], v95
	s_wait_xcnt 0x0
	v_dual_add_nc_u32 v95, 8, v95 :: v_dual_add_nc_u32 v96, 8, v96
	s_wait_loadcnt_dscnt 0x0
	v_pk_mul_f32 v[102:103], v[100:101], v[98:99] op_sel:[1,1] op_sel_hi:[0,1]
	s_delay_alu instid0(VALU_DEP_1) | instskip(SKIP_2) | instid1(VALU_DEP_3)
	v_pk_fma_f32 v[104:105], v[100:101], v[98:99], v[102:103] op_sel_hi:[1,0,1]
	v_add_nc_u32_e32 v97, 1, v97
	v_pk_fma_f32 v[98:99], v[100:101], v[98:99], v[102:103] neg_lo:[0,0,1] neg_hi:[0,0,1]
	v_mov_b32_e32 v99, v105
	s_delay_alu instid0(VALU_DEP_3) | instskip(NEXT) | instid1(VALU_DEP_2)
	v_cmp_lt_u32_e32 vcc_lo, 27, v97
	v_pk_add_f32 v[92:93], v[92:93], v[98:99]
	s_or_b32 s3, vcc_lo, s3
	s_delay_alu instid0(SALU_CYCLE_1)
	s_and_not1_b32 exec_lo, exec_lo, s3
	s_cbranch_execnz .LBB43_717
; %bb.718:
	s_or_b32 exec_lo, exec_lo, s3
.LBB43_719:
	s_delay_alu instid0(SALU_CYCLE_1) | instskip(SKIP_4) | instid1(VALU_DEP_1)
	s_or_b32 exec_lo, exec_lo, s2
	v_mov_b32_e32 v95, 0
	ds_load_b64 v[96:97], v95 offset:232
	s_wait_dscnt 0x0
	v_pk_mul_f32 v[98:99], v[92:93], v[96:97] op_sel:[1,1] op_sel_hi:[0,1]
	v_pk_fma_f32 v[100:101], v[92:93], v[96:97], v[98:99] op_sel_hi:[1,0,1]
	v_pk_fma_f32 v[92:93], v[92:93], v[96:97], v[98:99] neg_lo:[0,0,1] neg_hi:[0,0,1]
	s_delay_alu instid0(VALU_DEP_2)
	v_mov_b32_e32 v93, v101
	scratch_store_b64 off, v[92:93], off offset:232
.LBB43_720:
	s_wait_xcnt 0x0
	s_or_b32 exec_lo, exec_lo, s0
	scratch_load_b64 v[92:93], off, off offset:240
	s_mov_b32 s0, exec_lo
	s_wait_loadcnt 0x0
	ds_store_b64 v1, v[92:93]
	s_wait_storecnt_dscnt 0x0
	s_barrier_signal -1
	s_barrier_wait -1
	s_wait_xcnt 0x0
	v_cmpx_gt_u32_e32 30, v0
	s_cbranch_execz .LBB43_730
; %bb.721:
	v_cmp_ne_u32_e32 vcc_lo, 1, v94
	s_cbranch_vccnz .LBB43_723
; %bb.722:
	scratch_load_b64 v[92:93], v47, off
	ds_load_b64 v[96:97], v1
	s_wait_loadcnt_dscnt 0x0
	v_pk_mul_f32 v[98:99], v[96:97], v[92:93] op_sel:[1,1] op_sel_hi:[0,1]
	s_delay_alu instid0(VALU_DEP_1) | instskip(SKIP_1) | instid1(VALU_DEP_2)
	v_pk_fma_f32 v[100:101], v[96:97], v[92:93], v[98:99] op_sel_hi:[1,0,1]
	v_pk_fma_f32 v[92:93], v[96:97], v[92:93], v[98:99] neg_lo:[0,0,1] neg_hi:[0,0,1]
	v_mov_b32_e32 v93, v101
	s_cbranch_execz .LBB43_724
	s_branch .LBB43_725
.LBB43_723:
                                        ; implicit-def: $vgpr92_vgpr93
.LBB43_724:
	ds_load_b64 v[92:93], v1
.LBB43_725:
	s_mov_b32 s2, exec_lo
	v_cmpx_ne_u32_e32 29, v0
	s_cbranch_execz .LBB43_729
; %bb.726:
	v_add_nc_u32_e32 v95, 0x168, v46
	v_add3_u32 v96, 0, v46, 8
	v_mov_b32_e32 v97, v0
	s_mov_b32 s3, 0
.LBB43_727:                             ; =>This Inner Loop Header: Depth=1
	scratch_load_b64 v[98:99], v96, off
	ds_load_b64 v[100:101], v95
	s_wait_xcnt 0x0
	v_dual_add_nc_u32 v95, 8, v95 :: v_dual_add_nc_u32 v96, 8, v96
	s_wait_loadcnt_dscnt 0x0
	v_pk_mul_f32 v[102:103], v[100:101], v[98:99] op_sel:[1,1] op_sel_hi:[0,1]
	s_delay_alu instid0(VALU_DEP_1) | instskip(SKIP_2) | instid1(VALU_DEP_3)
	v_pk_fma_f32 v[104:105], v[100:101], v[98:99], v[102:103] op_sel_hi:[1,0,1]
	v_add_nc_u32_e32 v97, 1, v97
	v_pk_fma_f32 v[98:99], v[100:101], v[98:99], v[102:103] neg_lo:[0,0,1] neg_hi:[0,0,1]
	v_mov_b32_e32 v99, v105
	s_delay_alu instid0(VALU_DEP_3) | instskip(NEXT) | instid1(VALU_DEP_2)
	v_cmp_lt_u32_e32 vcc_lo, 28, v97
	v_pk_add_f32 v[92:93], v[92:93], v[98:99]
	s_or_b32 s3, vcc_lo, s3
	s_delay_alu instid0(SALU_CYCLE_1)
	s_and_not1_b32 exec_lo, exec_lo, s3
	s_cbranch_execnz .LBB43_727
; %bb.728:
	s_or_b32 exec_lo, exec_lo, s3
.LBB43_729:
	s_delay_alu instid0(SALU_CYCLE_1) | instskip(SKIP_4) | instid1(VALU_DEP_1)
	s_or_b32 exec_lo, exec_lo, s2
	v_mov_b32_e32 v95, 0
	ds_load_b64 v[96:97], v95 offset:240
	s_wait_dscnt 0x0
	v_pk_mul_f32 v[98:99], v[92:93], v[96:97] op_sel:[1,1] op_sel_hi:[0,1]
	v_pk_fma_f32 v[100:101], v[92:93], v[96:97], v[98:99] op_sel_hi:[1,0,1]
	v_pk_fma_f32 v[92:93], v[92:93], v[96:97], v[98:99] neg_lo:[0,0,1] neg_hi:[0,0,1]
	s_delay_alu instid0(VALU_DEP_2)
	v_mov_b32_e32 v93, v101
	scratch_store_b64 off, v[92:93], off offset:240
.LBB43_730:
	s_wait_xcnt 0x0
	s_or_b32 exec_lo, exec_lo, s0
	scratch_load_b64 v[92:93], off, off offset:248
	s_mov_b32 s0, exec_lo
	s_wait_loadcnt 0x0
	ds_store_b64 v1, v[92:93]
	s_wait_storecnt_dscnt 0x0
	s_barrier_signal -1
	s_barrier_wait -1
	s_wait_xcnt 0x0
	v_cmpx_gt_u32_e32 31, v0
	s_cbranch_execz .LBB43_740
; %bb.731:
	v_cmp_ne_u32_e32 vcc_lo, 1, v94
	s_cbranch_vccnz .LBB43_733
; %bb.732:
	scratch_load_b64 v[92:93], v47, off
	ds_load_b64 v[96:97], v1
	s_wait_loadcnt_dscnt 0x0
	v_pk_mul_f32 v[98:99], v[96:97], v[92:93] op_sel:[1,1] op_sel_hi:[0,1]
	s_delay_alu instid0(VALU_DEP_1) | instskip(SKIP_1) | instid1(VALU_DEP_2)
	v_pk_fma_f32 v[100:101], v[96:97], v[92:93], v[98:99] op_sel_hi:[1,0,1]
	v_pk_fma_f32 v[92:93], v[96:97], v[92:93], v[98:99] neg_lo:[0,0,1] neg_hi:[0,0,1]
	v_mov_b32_e32 v93, v101
	s_cbranch_execz .LBB43_734
	s_branch .LBB43_735
.LBB43_733:
                                        ; implicit-def: $vgpr92_vgpr93
.LBB43_734:
	ds_load_b64 v[92:93], v1
.LBB43_735:
	s_mov_b32 s2, exec_lo
	v_cmpx_ne_u32_e32 30, v0
	s_cbranch_execz .LBB43_739
; %bb.736:
	v_add_nc_u32_e32 v95, 0x168, v46
	v_add3_u32 v96, 0, v46, 8
	v_mov_b32_e32 v97, v0
	s_mov_b32 s3, 0
.LBB43_737:                             ; =>This Inner Loop Header: Depth=1
	scratch_load_b64 v[98:99], v96, off
	ds_load_b64 v[100:101], v95
	s_wait_xcnt 0x0
	v_dual_add_nc_u32 v95, 8, v95 :: v_dual_add_nc_u32 v96, 8, v96
	s_wait_loadcnt_dscnt 0x0
	v_pk_mul_f32 v[102:103], v[100:101], v[98:99] op_sel:[1,1] op_sel_hi:[0,1]
	s_delay_alu instid0(VALU_DEP_1) | instskip(SKIP_2) | instid1(VALU_DEP_3)
	v_pk_fma_f32 v[104:105], v[100:101], v[98:99], v[102:103] op_sel_hi:[1,0,1]
	v_add_nc_u32_e32 v97, 1, v97
	v_pk_fma_f32 v[98:99], v[100:101], v[98:99], v[102:103] neg_lo:[0,0,1] neg_hi:[0,0,1]
	v_mov_b32_e32 v99, v105
	s_delay_alu instid0(VALU_DEP_3) | instskip(NEXT) | instid1(VALU_DEP_2)
	v_cmp_lt_u32_e32 vcc_lo, 29, v97
	v_pk_add_f32 v[92:93], v[92:93], v[98:99]
	s_or_b32 s3, vcc_lo, s3
	s_delay_alu instid0(SALU_CYCLE_1)
	s_and_not1_b32 exec_lo, exec_lo, s3
	s_cbranch_execnz .LBB43_737
; %bb.738:
	s_or_b32 exec_lo, exec_lo, s3
.LBB43_739:
	s_delay_alu instid0(SALU_CYCLE_1) | instskip(SKIP_4) | instid1(VALU_DEP_1)
	s_or_b32 exec_lo, exec_lo, s2
	v_mov_b32_e32 v95, 0
	ds_load_b64 v[96:97], v95 offset:248
	s_wait_dscnt 0x0
	v_pk_mul_f32 v[98:99], v[92:93], v[96:97] op_sel:[1,1] op_sel_hi:[0,1]
	v_pk_fma_f32 v[100:101], v[92:93], v[96:97], v[98:99] op_sel_hi:[1,0,1]
	v_pk_fma_f32 v[92:93], v[92:93], v[96:97], v[98:99] neg_lo:[0,0,1] neg_hi:[0,0,1]
	s_delay_alu instid0(VALU_DEP_2)
	v_mov_b32_e32 v93, v101
	scratch_store_b64 off, v[92:93], off offset:248
.LBB43_740:
	s_wait_xcnt 0x0
	s_or_b32 exec_lo, exec_lo, s0
	scratch_load_b64 v[92:93], off, off offset:256
	s_mov_b32 s0, exec_lo
	s_wait_loadcnt 0x0
	ds_store_b64 v1, v[92:93]
	s_wait_storecnt_dscnt 0x0
	s_barrier_signal -1
	s_barrier_wait -1
	s_wait_xcnt 0x0
	v_cmpx_gt_u32_e32 32, v0
	s_cbranch_execz .LBB43_750
; %bb.741:
	v_cmp_ne_u32_e32 vcc_lo, 1, v94
	s_cbranch_vccnz .LBB43_743
; %bb.742:
	scratch_load_b64 v[92:93], v47, off
	ds_load_b64 v[96:97], v1
	s_wait_loadcnt_dscnt 0x0
	v_pk_mul_f32 v[98:99], v[96:97], v[92:93] op_sel:[1,1] op_sel_hi:[0,1]
	s_delay_alu instid0(VALU_DEP_1) | instskip(SKIP_1) | instid1(VALU_DEP_2)
	v_pk_fma_f32 v[100:101], v[96:97], v[92:93], v[98:99] op_sel_hi:[1,0,1]
	v_pk_fma_f32 v[92:93], v[96:97], v[92:93], v[98:99] neg_lo:[0,0,1] neg_hi:[0,0,1]
	v_mov_b32_e32 v93, v101
	s_cbranch_execz .LBB43_744
	s_branch .LBB43_745
.LBB43_743:
                                        ; implicit-def: $vgpr92_vgpr93
.LBB43_744:
	ds_load_b64 v[92:93], v1
.LBB43_745:
	s_mov_b32 s2, exec_lo
	v_cmpx_ne_u32_e32 31, v0
	s_cbranch_execz .LBB43_749
; %bb.746:
	v_add_nc_u32_e32 v95, 0x168, v46
	v_add3_u32 v96, 0, v46, 8
	v_mov_b32_e32 v97, v0
	s_mov_b32 s3, 0
.LBB43_747:                             ; =>This Inner Loop Header: Depth=1
	scratch_load_b64 v[98:99], v96, off
	ds_load_b64 v[100:101], v95
	s_wait_xcnt 0x0
	v_dual_add_nc_u32 v95, 8, v95 :: v_dual_add_nc_u32 v96, 8, v96
	s_wait_loadcnt_dscnt 0x0
	v_pk_mul_f32 v[102:103], v[100:101], v[98:99] op_sel:[1,1] op_sel_hi:[0,1]
	s_delay_alu instid0(VALU_DEP_1) | instskip(SKIP_2) | instid1(VALU_DEP_3)
	v_pk_fma_f32 v[104:105], v[100:101], v[98:99], v[102:103] op_sel_hi:[1,0,1]
	v_add_nc_u32_e32 v97, 1, v97
	v_pk_fma_f32 v[98:99], v[100:101], v[98:99], v[102:103] neg_lo:[0,0,1] neg_hi:[0,0,1]
	v_mov_b32_e32 v99, v105
	s_delay_alu instid0(VALU_DEP_3) | instskip(NEXT) | instid1(VALU_DEP_2)
	v_cmp_lt_u32_e32 vcc_lo, 30, v97
	v_pk_add_f32 v[92:93], v[92:93], v[98:99]
	s_or_b32 s3, vcc_lo, s3
	s_delay_alu instid0(SALU_CYCLE_1)
	s_and_not1_b32 exec_lo, exec_lo, s3
	s_cbranch_execnz .LBB43_747
; %bb.748:
	s_or_b32 exec_lo, exec_lo, s3
.LBB43_749:
	s_delay_alu instid0(SALU_CYCLE_1) | instskip(SKIP_4) | instid1(VALU_DEP_1)
	s_or_b32 exec_lo, exec_lo, s2
	v_mov_b32_e32 v95, 0
	ds_load_b64 v[96:97], v95 offset:256
	s_wait_dscnt 0x0
	v_pk_mul_f32 v[98:99], v[92:93], v[96:97] op_sel:[1,1] op_sel_hi:[0,1]
	v_pk_fma_f32 v[100:101], v[92:93], v[96:97], v[98:99] op_sel_hi:[1,0,1]
	v_pk_fma_f32 v[92:93], v[92:93], v[96:97], v[98:99] neg_lo:[0,0,1] neg_hi:[0,0,1]
	s_delay_alu instid0(VALU_DEP_2)
	v_mov_b32_e32 v93, v101
	scratch_store_b64 off, v[92:93], off offset:256
.LBB43_750:
	s_wait_xcnt 0x0
	s_or_b32 exec_lo, exec_lo, s0
	scratch_load_b64 v[92:93], off, off offset:264
	s_mov_b32 s0, exec_lo
	s_wait_loadcnt 0x0
	ds_store_b64 v1, v[92:93]
	s_wait_storecnt_dscnt 0x0
	s_barrier_signal -1
	s_barrier_wait -1
	s_wait_xcnt 0x0
	v_cmpx_gt_u32_e32 33, v0
	s_cbranch_execz .LBB43_760
; %bb.751:
	v_cmp_ne_u32_e32 vcc_lo, 1, v94
	s_cbranch_vccnz .LBB43_753
; %bb.752:
	scratch_load_b64 v[92:93], v47, off
	ds_load_b64 v[96:97], v1
	s_wait_loadcnt_dscnt 0x0
	v_pk_mul_f32 v[98:99], v[96:97], v[92:93] op_sel:[1,1] op_sel_hi:[0,1]
	s_delay_alu instid0(VALU_DEP_1) | instskip(SKIP_1) | instid1(VALU_DEP_2)
	v_pk_fma_f32 v[100:101], v[96:97], v[92:93], v[98:99] op_sel_hi:[1,0,1]
	v_pk_fma_f32 v[92:93], v[96:97], v[92:93], v[98:99] neg_lo:[0,0,1] neg_hi:[0,0,1]
	v_mov_b32_e32 v93, v101
	s_cbranch_execz .LBB43_754
	s_branch .LBB43_755
.LBB43_753:
                                        ; implicit-def: $vgpr92_vgpr93
.LBB43_754:
	ds_load_b64 v[92:93], v1
.LBB43_755:
	s_mov_b32 s2, exec_lo
	v_cmpx_ne_u32_e32 32, v0
	s_cbranch_execz .LBB43_759
; %bb.756:
	v_add_nc_u32_e32 v95, 0x168, v46
	v_add3_u32 v96, 0, v46, 8
	v_mov_b32_e32 v97, v0
	s_mov_b32 s3, 0
.LBB43_757:                             ; =>This Inner Loop Header: Depth=1
	scratch_load_b64 v[98:99], v96, off
	ds_load_b64 v[100:101], v95
	s_wait_xcnt 0x0
	v_dual_add_nc_u32 v95, 8, v95 :: v_dual_add_nc_u32 v96, 8, v96
	s_wait_loadcnt_dscnt 0x0
	v_pk_mul_f32 v[102:103], v[100:101], v[98:99] op_sel:[1,1] op_sel_hi:[0,1]
	s_delay_alu instid0(VALU_DEP_1) | instskip(SKIP_2) | instid1(VALU_DEP_3)
	v_pk_fma_f32 v[104:105], v[100:101], v[98:99], v[102:103] op_sel_hi:[1,0,1]
	v_add_nc_u32_e32 v97, 1, v97
	v_pk_fma_f32 v[98:99], v[100:101], v[98:99], v[102:103] neg_lo:[0,0,1] neg_hi:[0,0,1]
	v_mov_b32_e32 v99, v105
	s_delay_alu instid0(VALU_DEP_3) | instskip(NEXT) | instid1(VALU_DEP_2)
	v_cmp_lt_u32_e32 vcc_lo, 31, v97
	v_pk_add_f32 v[92:93], v[92:93], v[98:99]
	s_or_b32 s3, vcc_lo, s3
	s_delay_alu instid0(SALU_CYCLE_1)
	s_and_not1_b32 exec_lo, exec_lo, s3
	s_cbranch_execnz .LBB43_757
; %bb.758:
	s_or_b32 exec_lo, exec_lo, s3
.LBB43_759:
	s_delay_alu instid0(SALU_CYCLE_1) | instskip(SKIP_4) | instid1(VALU_DEP_1)
	s_or_b32 exec_lo, exec_lo, s2
	v_mov_b32_e32 v95, 0
	ds_load_b64 v[96:97], v95 offset:264
	s_wait_dscnt 0x0
	v_pk_mul_f32 v[98:99], v[92:93], v[96:97] op_sel:[1,1] op_sel_hi:[0,1]
	v_pk_fma_f32 v[100:101], v[92:93], v[96:97], v[98:99] op_sel_hi:[1,0,1]
	v_pk_fma_f32 v[92:93], v[92:93], v[96:97], v[98:99] neg_lo:[0,0,1] neg_hi:[0,0,1]
	s_delay_alu instid0(VALU_DEP_2)
	v_mov_b32_e32 v93, v101
	scratch_store_b64 off, v[92:93], off offset:264
.LBB43_760:
	s_wait_xcnt 0x0
	s_or_b32 exec_lo, exec_lo, s0
	scratch_load_b64 v[92:93], off, off offset:272
	s_mov_b32 s0, exec_lo
	s_wait_loadcnt 0x0
	ds_store_b64 v1, v[92:93]
	s_wait_storecnt_dscnt 0x0
	s_barrier_signal -1
	s_barrier_wait -1
	s_wait_xcnt 0x0
	v_cmpx_gt_u32_e32 34, v0
	s_cbranch_execz .LBB43_770
; %bb.761:
	v_cmp_ne_u32_e32 vcc_lo, 1, v94
	s_cbranch_vccnz .LBB43_763
; %bb.762:
	scratch_load_b64 v[92:93], v47, off
	ds_load_b64 v[96:97], v1
	s_wait_loadcnt_dscnt 0x0
	v_pk_mul_f32 v[98:99], v[96:97], v[92:93] op_sel:[1,1] op_sel_hi:[0,1]
	s_delay_alu instid0(VALU_DEP_1) | instskip(SKIP_1) | instid1(VALU_DEP_2)
	v_pk_fma_f32 v[100:101], v[96:97], v[92:93], v[98:99] op_sel_hi:[1,0,1]
	v_pk_fma_f32 v[92:93], v[96:97], v[92:93], v[98:99] neg_lo:[0,0,1] neg_hi:[0,0,1]
	v_mov_b32_e32 v93, v101
	s_cbranch_execz .LBB43_764
	s_branch .LBB43_765
.LBB43_763:
                                        ; implicit-def: $vgpr92_vgpr93
.LBB43_764:
	ds_load_b64 v[92:93], v1
.LBB43_765:
	s_mov_b32 s2, exec_lo
	v_cmpx_ne_u32_e32 33, v0
	s_cbranch_execz .LBB43_769
; %bb.766:
	v_add_nc_u32_e32 v95, 0x168, v46
	v_add3_u32 v96, 0, v46, 8
	v_mov_b32_e32 v97, v0
	s_mov_b32 s3, 0
.LBB43_767:                             ; =>This Inner Loop Header: Depth=1
	scratch_load_b64 v[98:99], v96, off
	ds_load_b64 v[100:101], v95
	s_wait_xcnt 0x0
	v_dual_add_nc_u32 v95, 8, v95 :: v_dual_add_nc_u32 v96, 8, v96
	s_wait_loadcnt_dscnt 0x0
	v_pk_mul_f32 v[102:103], v[100:101], v[98:99] op_sel:[1,1] op_sel_hi:[0,1]
	s_delay_alu instid0(VALU_DEP_1) | instskip(SKIP_2) | instid1(VALU_DEP_3)
	v_pk_fma_f32 v[104:105], v[100:101], v[98:99], v[102:103] op_sel_hi:[1,0,1]
	v_add_nc_u32_e32 v97, 1, v97
	v_pk_fma_f32 v[98:99], v[100:101], v[98:99], v[102:103] neg_lo:[0,0,1] neg_hi:[0,0,1]
	v_mov_b32_e32 v99, v105
	s_delay_alu instid0(VALU_DEP_3) | instskip(NEXT) | instid1(VALU_DEP_2)
	v_cmp_lt_u32_e32 vcc_lo, 32, v97
	v_pk_add_f32 v[92:93], v[92:93], v[98:99]
	s_or_b32 s3, vcc_lo, s3
	s_delay_alu instid0(SALU_CYCLE_1)
	s_and_not1_b32 exec_lo, exec_lo, s3
	s_cbranch_execnz .LBB43_767
; %bb.768:
	s_or_b32 exec_lo, exec_lo, s3
.LBB43_769:
	s_delay_alu instid0(SALU_CYCLE_1) | instskip(SKIP_4) | instid1(VALU_DEP_1)
	s_or_b32 exec_lo, exec_lo, s2
	v_mov_b32_e32 v95, 0
	ds_load_b64 v[96:97], v95 offset:272
	s_wait_dscnt 0x0
	v_pk_mul_f32 v[98:99], v[92:93], v[96:97] op_sel:[1,1] op_sel_hi:[0,1]
	v_pk_fma_f32 v[100:101], v[92:93], v[96:97], v[98:99] op_sel_hi:[1,0,1]
	v_pk_fma_f32 v[92:93], v[92:93], v[96:97], v[98:99] neg_lo:[0,0,1] neg_hi:[0,0,1]
	s_delay_alu instid0(VALU_DEP_2)
	v_mov_b32_e32 v93, v101
	scratch_store_b64 off, v[92:93], off offset:272
.LBB43_770:
	s_wait_xcnt 0x0
	s_or_b32 exec_lo, exec_lo, s0
	scratch_load_b64 v[92:93], off, off offset:280
	s_mov_b32 s0, exec_lo
	s_wait_loadcnt 0x0
	ds_store_b64 v1, v[92:93]
	s_wait_storecnt_dscnt 0x0
	s_barrier_signal -1
	s_barrier_wait -1
	s_wait_xcnt 0x0
	v_cmpx_gt_u32_e32 35, v0
	s_cbranch_execz .LBB43_780
; %bb.771:
	v_cmp_ne_u32_e32 vcc_lo, 1, v94
	s_cbranch_vccnz .LBB43_773
; %bb.772:
	scratch_load_b64 v[92:93], v47, off
	ds_load_b64 v[96:97], v1
	s_wait_loadcnt_dscnt 0x0
	v_pk_mul_f32 v[98:99], v[96:97], v[92:93] op_sel:[1,1] op_sel_hi:[0,1]
	s_delay_alu instid0(VALU_DEP_1) | instskip(SKIP_1) | instid1(VALU_DEP_2)
	v_pk_fma_f32 v[100:101], v[96:97], v[92:93], v[98:99] op_sel_hi:[1,0,1]
	v_pk_fma_f32 v[92:93], v[96:97], v[92:93], v[98:99] neg_lo:[0,0,1] neg_hi:[0,0,1]
	v_mov_b32_e32 v93, v101
	s_cbranch_execz .LBB43_774
	s_branch .LBB43_775
.LBB43_773:
                                        ; implicit-def: $vgpr92_vgpr93
.LBB43_774:
	ds_load_b64 v[92:93], v1
.LBB43_775:
	s_mov_b32 s2, exec_lo
	v_cmpx_ne_u32_e32 34, v0
	s_cbranch_execz .LBB43_779
; %bb.776:
	v_add_nc_u32_e32 v95, 0x168, v46
	v_add3_u32 v96, 0, v46, 8
	v_mov_b32_e32 v97, v0
	s_mov_b32 s3, 0
.LBB43_777:                             ; =>This Inner Loop Header: Depth=1
	scratch_load_b64 v[98:99], v96, off
	ds_load_b64 v[100:101], v95
	s_wait_xcnt 0x0
	v_dual_add_nc_u32 v95, 8, v95 :: v_dual_add_nc_u32 v96, 8, v96
	s_wait_loadcnt_dscnt 0x0
	v_pk_mul_f32 v[102:103], v[100:101], v[98:99] op_sel:[1,1] op_sel_hi:[0,1]
	s_delay_alu instid0(VALU_DEP_1) | instskip(SKIP_2) | instid1(VALU_DEP_3)
	v_pk_fma_f32 v[104:105], v[100:101], v[98:99], v[102:103] op_sel_hi:[1,0,1]
	v_add_nc_u32_e32 v97, 1, v97
	v_pk_fma_f32 v[98:99], v[100:101], v[98:99], v[102:103] neg_lo:[0,0,1] neg_hi:[0,0,1]
	v_mov_b32_e32 v99, v105
	s_delay_alu instid0(VALU_DEP_3) | instskip(NEXT) | instid1(VALU_DEP_2)
	v_cmp_lt_u32_e32 vcc_lo, 33, v97
	v_pk_add_f32 v[92:93], v[92:93], v[98:99]
	s_or_b32 s3, vcc_lo, s3
	s_delay_alu instid0(SALU_CYCLE_1)
	s_and_not1_b32 exec_lo, exec_lo, s3
	s_cbranch_execnz .LBB43_777
; %bb.778:
	s_or_b32 exec_lo, exec_lo, s3
.LBB43_779:
	s_delay_alu instid0(SALU_CYCLE_1) | instskip(SKIP_4) | instid1(VALU_DEP_1)
	s_or_b32 exec_lo, exec_lo, s2
	v_mov_b32_e32 v95, 0
	ds_load_b64 v[96:97], v95 offset:280
	s_wait_dscnt 0x0
	v_pk_mul_f32 v[98:99], v[92:93], v[96:97] op_sel:[1,1] op_sel_hi:[0,1]
	v_pk_fma_f32 v[100:101], v[92:93], v[96:97], v[98:99] op_sel_hi:[1,0,1]
	v_pk_fma_f32 v[92:93], v[92:93], v[96:97], v[98:99] neg_lo:[0,0,1] neg_hi:[0,0,1]
	s_delay_alu instid0(VALU_DEP_2)
	v_mov_b32_e32 v93, v101
	scratch_store_b64 off, v[92:93], off offset:280
.LBB43_780:
	s_wait_xcnt 0x0
	s_or_b32 exec_lo, exec_lo, s0
	scratch_load_b64 v[92:93], off, off offset:288
	s_mov_b32 s0, exec_lo
	s_wait_loadcnt 0x0
	ds_store_b64 v1, v[92:93]
	s_wait_storecnt_dscnt 0x0
	s_barrier_signal -1
	s_barrier_wait -1
	s_wait_xcnt 0x0
	v_cmpx_gt_u32_e32 36, v0
	s_cbranch_execz .LBB43_790
; %bb.781:
	v_cmp_ne_u32_e32 vcc_lo, 1, v94
	s_cbranch_vccnz .LBB43_783
; %bb.782:
	scratch_load_b64 v[92:93], v47, off
	ds_load_b64 v[96:97], v1
	s_wait_loadcnt_dscnt 0x0
	v_pk_mul_f32 v[98:99], v[96:97], v[92:93] op_sel:[1,1] op_sel_hi:[0,1]
	s_delay_alu instid0(VALU_DEP_1) | instskip(SKIP_1) | instid1(VALU_DEP_2)
	v_pk_fma_f32 v[100:101], v[96:97], v[92:93], v[98:99] op_sel_hi:[1,0,1]
	v_pk_fma_f32 v[92:93], v[96:97], v[92:93], v[98:99] neg_lo:[0,0,1] neg_hi:[0,0,1]
	v_mov_b32_e32 v93, v101
	s_cbranch_execz .LBB43_784
	s_branch .LBB43_785
.LBB43_783:
                                        ; implicit-def: $vgpr92_vgpr93
.LBB43_784:
	ds_load_b64 v[92:93], v1
.LBB43_785:
	s_mov_b32 s2, exec_lo
	v_cmpx_ne_u32_e32 35, v0
	s_cbranch_execz .LBB43_789
; %bb.786:
	v_add_nc_u32_e32 v95, 0x168, v46
	v_add3_u32 v96, 0, v46, 8
	v_mov_b32_e32 v97, v0
	s_mov_b32 s3, 0
.LBB43_787:                             ; =>This Inner Loop Header: Depth=1
	scratch_load_b64 v[98:99], v96, off
	ds_load_b64 v[100:101], v95
	s_wait_xcnt 0x0
	v_dual_add_nc_u32 v95, 8, v95 :: v_dual_add_nc_u32 v96, 8, v96
	s_wait_loadcnt_dscnt 0x0
	v_pk_mul_f32 v[102:103], v[100:101], v[98:99] op_sel:[1,1] op_sel_hi:[0,1]
	s_delay_alu instid0(VALU_DEP_1) | instskip(SKIP_2) | instid1(VALU_DEP_3)
	v_pk_fma_f32 v[104:105], v[100:101], v[98:99], v[102:103] op_sel_hi:[1,0,1]
	v_add_nc_u32_e32 v97, 1, v97
	v_pk_fma_f32 v[98:99], v[100:101], v[98:99], v[102:103] neg_lo:[0,0,1] neg_hi:[0,0,1]
	v_mov_b32_e32 v99, v105
	s_delay_alu instid0(VALU_DEP_3) | instskip(NEXT) | instid1(VALU_DEP_2)
	v_cmp_lt_u32_e32 vcc_lo, 34, v97
	v_pk_add_f32 v[92:93], v[92:93], v[98:99]
	s_or_b32 s3, vcc_lo, s3
	s_delay_alu instid0(SALU_CYCLE_1)
	s_and_not1_b32 exec_lo, exec_lo, s3
	s_cbranch_execnz .LBB43_787
; %bb.788:
	s_or_b32 exec_lo, exec_lo, s3
.LBB43_789:
	s_delay_alu instid0(SALU_CYCLE_1) | instskip(SKIP_4) | instid1(VALU_DEP_1)
	s_or_b32 exec_lo, exec_lo, s2
	v_mov_b32_e32 v95, 0
	ds_load_b64 v[96:97], v95 offset:288
	s_wait_dscnt 0x0
	v_pk_mul_f32 v[98:99], v[92:93], v[96:97] op_sel:[1,1] op_sel_hi:[0,1]
	v_pk_fma_f32 v[100:101], v[92:93], v[96:97], v[98:99] op_sel_hi:[1,0,1]
	v_pk_fma_f32 v[92:93], v[92:93], v[96:97], v[98:99] neg_lo:[0,0,1] neg_hi:[0,0,1]
	s_delay_alu instid0(VALU_DEP_2)
	v_mov_b32_e32 v93, v101
	scratch_store_b64 off, v[92:93], off offset:288
.LBB43_790:
	s_wait_xcnt 0x0
	s_or_b32 exec_lo, exec_lo, s0
	scratch_load_b64 v[92:93], off, off offset:296
	s_mov_b32 s0, exec_lo
	s_wait_loadcnt 0x0
	ds_store_b64 v1, v[92:93]
	s_wait_storecnt_dscnt 0x0
	s_barrier_signal -1
	s_barrier_wait -1
	s_wait_xcnt 0x0
	v_cmpx_gt_u32_e32 37, v0
	s_cbranch_execz .LBB43_800
; %bb.791:
	v_cmp_ne_u32_e32 vcc_lo, 1, v94
	s_cbranch_vccnz .LBB43_793
; %bb.792:
	scratch_load_b64 v[92:93], v47, off
	ds_load_b64 v[96:97], v1
	s_wait_loadcnt_dscnt 0x0
	v_pk_mul_f32 v[98:99], v[96:97], v[92:93] op_sel:[1,1] op_sel_hi:[0,1]
	s_delay_alu instid0(VALU_DEP_1) | instskip(SKIP_1) | instid1(VALU_DEP_2)
	v_pk_fma_f32 v[100:101], v[96:97], v[92:93], v[98:99] op_sel_hi:[1,0,1]
	v_pk_fma_f32 v[92:93], v[96:97], v[92:93], v[98:99] neg_lo:[0,0,1] neg_hi:[0,0,1]
	v_mov_b32_e32 v93, v101
	s_cbranch_execz .LBB43_794
	s_branch .LBB43_795
.LBB43_793:
                                        ; implicit-def: $vgpr92_vgpr93
.LBB43_794:
	ds_load_b64 v[92:93], v1
.LBB43_795:
	s_mov_b32 s2, exec_lo
	v_cmpx_ne_u32_e32 36, v0
	s_cbranch_execz .LBB43_799
; %bb.796:
	v_add_nc_u32_e32 v95, 0x168, v46
	v_add3_u32 v96, 0, v46, 8
	v_mov_b32_e32 v97, v0
	s_mov_b32 s3, 0
.LBB43_797:                             ; =>This Inner Loop Header: Depth=1
	scratch_load_b64 v[98:99], v96, off
	ds_load_b64 v[100:101], v95
	s_wait_xcnt 0x0
	v_dual_add_nc_u32 v95, 8, v95 :: v_dual_add_nc_u32 v96, 8, v96
	s_wait_loadcnt_dscnt 0x0
	v_pk_mul_f32 v[102:103], v[100:101], v[98:99] op_sel:[1,1] op_sel_hi:[0,1]
	s_delay_alu instid0(VALU_DEP_1) | instskip(SKIP_2) | instid1(VALU_DEP_3)
	v_pk_fma_f32 v[104:105], v[100:101], v[98:99], v[102:103] op_sel_hi:[1,0,1]
	v_add_nc_u32_e32 v97, 1, v97
	v_pk_fma_f32 v[98:99], v[100:101], v[98:99], v[102:103] neg_lo:[0,0,1] neg_hi:[0,0,1]
	v_mov_b32_e32 v99, v105
	s_delay_alu instid0(VALU_DEP_3) | instskip(NEXT) | instid1(VALU_DEP_2)
	v_cmp_lt_u32_e32 vcc_lo, 35, v97
	v_pk_add_f32 v[92:93], v[92:93], v[98:99]
	s_or_b32 s3, vcc_lo, s3
	s_delay_alu instid0(SALU_CYCLE_1)
	s_and_not1_b32 exec_lo, exec_lo, s3
	s_cbranch_execnz .LBB43_797
; %bb.798:
	s_or_b32 exec_lo, exec_lo, s3
.LBB43_799:
	s_delay_alu instid0(SALU_CYCLE_1) | instskip(SKIP_4) | instid1(VALU_DEP_1)
	s_or_b32 exec_lo, exec_lo, s2
	v_mov_b32_e32 v95, 0
	ds_load_b64 v[96:97], v95 offset:296
	s_wait_dscnt 0x0
	v_pk_mul_f32 v[98:99], v[92:93], v[96:97] op_sel:[1,1] op_sel_hi:[0,1]
	v_pk_fma_f32 v[100:101], v[92:93], v[96:97], v[98:99] op_sel_hi:[1,0,1]
	v_pk_fma_f32 v[92:93], v[92:93], v[96:97], v[98:99] neg_lo:[0,0,1] neg_hi:[0,0,1]
	s_delay_alu instid0(VALU_DEP_2)
	v_mov_b32_e32 v93, v101
	scratch_store_b64 off, v[92:93], off offset:296
.LBB43_800:
	s_wait_xcnt 0x0
	s_or_b32 exec_lo, exec_lo, s0
	scratch_load_b64 v[92:93], off, off offset:304
	s_mov_b32 s0, exec_lo
	s_wait_loadcnt 0x0
	ds_store_b64 v1, v[92:93]
	s_wait_storecnt_dscnt 0x0
	s_barrier_signal -1
	s_barrier_wait -1
	s_wait_xcnt 0x0
	v_cmpx_gt_u32_e32 38, v0
	s_cbranch_execz .LBB43_810
; %bb.801:
	v_cmp_ne_u32_e32 vcc_lo, 1, v94
	s_cbranch_vccnz .LBB43_803
; %bb.802:
	scratch_load_b64 v[92:93], v47, off
	ds_load_b64 v[96:97], v1
	s_wait_loadcnt_dscnt 0x0
	v_pk_mul_f32 v[98:99], v[96:97], v[92:93] op_sel:[1,1] op_sel_hi:[0,1]
	s_delay_alu instid0(VALU_DEP_1) | instskip(SKIP_1) | instid1(VALU_DEP_2)
	v_pk_fma_f32 v[100:101], v[96:97], v[92:93], v[98:99] op_sel_hi:[1,0,1]
	v_pk_fma_f32 v[92:93], v[96:97], v[92:93], v[98:99] neg_lo:[0,0,1] neg_hi:[0,0,1]
	v_mov_b32_e32 v93, v101
	s_cbranch_execz .LBB43_804
	s_branch .LBB43_805
.LBB43_803:
                                        ; implicit-def: $vgpr92_vgpr93
.LBB43_804:
	ds_load_b64 v[92:93], v1
.LBB43_805:
	s_mov_b32 s2, exec_lo
	v_cmpx_ne_u32_e32 37, v0
	s_cbranch_execz .LBB43_809
; %bb.806:
	v_add_nc_u32_e32 v95, 0x168, v46
	v_add3_u32 v96, 0, v46, 8
	v_mov_b32_e32 v97, v0
	s_mov_b32 s3, 0
.LBB43_807:                             ; =>This Inner Loop Header: Depth=1
	scratch_load_b64 v[98:99], v96, off
	ds_load_b64 v[100:101], v95
	s_wait_xcnt 0x0
	v_dual_add_nc_u32 v95, 8, v95 :: v_dual_add_nc_u32 v96, 8, v96
	s_wait_loadcnt_dscnt 0x0
	v_pk_mul_f32 v[102:103], v[100:101], v[98:99] op_sel:[1,1] op_sel_hi:[0,1]
	s_delay_alu instid0(VALU_DEP_1) | instskip(SKIP_2) | instid1(VALU_DEP_3)
	v_pk_fma_f32 v[104:105], v[100:101], v[98:99], v[102:103] op_sel_hi:[1,0,1]
	v_add_nc_u32_e32 v97, 1, v97
	v_pk_fma_f32 v[98:99], v[100:101], v[98:99], v[102:103] neg_lo:[0,0,1] neg_hi:[0,0,1]
	v_mov_b32_e32 v99, v105
	s_delay_alu instid0(VALU_DEP_3) | instskip(NEXT) | instid1(VALU_DEP_2)
	v_cmp_lt_u32_e32 vcc_lo, 36, v97
	v_pk_add_f32 v[92:93], v[92:93], v[98:99]
	s_or_b32 s3, vcc_lo, s3
	s_delay_alu instid0(SALU_CYCLE_1)
	s_and_not1_b32 exec_lo, exec_lo, s3
	s_cbranch_execnz .LBB43_807
; %bb.808:
	s_or_b32 exec_lo, exec_lo, s3
.LBB43_809:
	s_delay_alu instid0(SALU_CYCLE_1) | instskip(SKIP_4) | instid1(VALU_DEP_1)
	s_or_b32 exec_lo, exec_lo, s2
	v_mov_b32_e32 v95, 0
	ds_load_b64 v[96:97], v95 offset:304
	s_wait_dscnt 0x0
	v_pk_mul_f32 v[98:99], v[92:93], v[96:97] op_sel:[1,1] op_sel_hi:[0,1]
	v_pk_fma_f32 v[100:101], v[92:93], v[96:97], v[98:99] op_sel_hi:[1,0,1]
	v_pk_fma_f32 v[92:93], v[92:93], v[96:97], v[98:99] neg_lo:[0,0,1] neg_hi:[0,0,1]
	s_delay_alu instid0(VALU_DEP_2)
	v_mov_b32_e32 v93, v101
	scratch_store_b64 off, v[92:93], off offset:304
.LBB43_810:
	s_wait_xcnt 0x0
	s_or_b32 exec_lo, exec_lo, s0
	scratch_load_b64 v[92:93], off, off offset:312
	s_mov_b32 s0, exec_lo
	s_wait_loadcnt 0x0
	ds_store_b64 v1, v[92:93]
	s_wait_storecnt_dscnt 0x0
	s_barrier_signal -1
	s_barrier_wait -1
	s_wait_xcnt 0x0
	v_cmpx_gt_u32_e32 39, v0
	s_cbranch_execz .LBB43_820
; %bb.811:
	v_cmp_ne_u32_e32 vcc_lo, 1, v94
	s_cbranch_vccnz .LBB43_813
; %bb.812:
	scratch_load_b64 v[92:93], v47, off
	ds_load_b64 v[96:97], v1
	s_wait_loadcnt_dscnt 0x0
	v_pk_mul_f32 v[98:99], v[96:97], v[92:93] op_sel:[1,1] op_sel_hi:[0,1]
	s_delay_alu instid0(VALU_DEP_1) | instskip(SKIP_1) | instid1(VALU_DEP_2)
	v_pk_fma_f32 v[100:101], v[96:97], v[92:93], v[98:99] op_sel_hi:[1,0,1]
	v_pk_fma_f32 v[92:93], v[96:97], v[92:93], v[98:99] neg_lo:[0,0,1] neg_hi:[0,0,1]
	v_mov_b32_e32 v93, v101
	s_cbranch_execz .LBB43_814
	s_branch .LBB43_815
.LBB43_813:
                                        ; implicit-def: $vgpr92_vgpr93
.LBB43_814:
	ds_load_b64 v[92:93], v1
.LBB43_815:
	s_mov_b32 s2, exec_lo
	v_cmpx_ne_u32_e32 38, v0
	s_cbranch_execz .LBB43_819
; %bb.816:
	v_add_nc_u32_e32 v95, 0x168, v46
	v_add3_u32 v96, 0, v46, 8
	v_mov_b32_e32 v97, v0
	s_mov_b32 s3, 0
.LBB43_817:                             ; =>This Inner Loop Header: Depth=1
	scratch_load_b64 v[98:99], v96, off
	ds_load_b64 v[100:101], v95
	s_wait_xcnt 0x0
	v_dual_add_nc_u32 v95, 8, v95 :: v_dual_add_nc_u32 v96, 8, v96
	s_wait_loadcnt_dscnt 0x0
	v_pk_mul_f32 v[102:103], v[100:101], v[98:99] op_sel:[1,1] op_sel_hi:[0,1]
	s_delay_alu instid0(VALU_DEP_1) | instskip(SKIP_2) | instid1(VALU_DEP_3)
	v_pk_fma_f32 v[104:105], v[100:101], v[98:99], v[102:103] op_sel_hi:[1,0,1]
	v_add_nc_u32_e32 v97, 1, v97
	v_pk_fma_f32 v[98:99], v[100:101], v[98:99], v[102:103] neg_lo:[0,0,1] neg_hi:[0,0,1]
	v_mov_b32_e32 v99, v105
	s_delay_alu instid0(VALU_DEP_3) | instskip(NEXT) | instid1(VALU_DEP_2)
	v_cmp_lt_u32_e32 vcc_lo, 37, v97
	v_pk_add_f32 v[92:93], v[92:93], v[98:99]
	s_or_b32 s3, vcc_lo, s3
	s_delay_alu instid0(SALU_CYCLE_1)
	s_and_not1_b32 exec_lo, exec_lo, s3
	s_cbranch_execnz .LBB43_817
; %bb.818:
	s_or_b32 exec_lo, exec_lo, s3
.LBB43_819:
	s_delay_alu instid0(SALU_CYCLE_1) | instskip(SKIP_4) | instid1(VALU_DEP_1)
	s_or_b32 exec_lo, exec_lo, s2
	v_mov_b32_e32 v95, 0
	ds_load_b64 v[96:97], v95 offset:312
	s_wait_dscnt 0x0
	v_pk_mul_f32 v[98:99], v[92:93], v[96:97] op_sel:[1,1] op_sel_hi:[0,1]
	v_pk_fma_f32 v[100:101], v[92:93], v[96:97], v[98:99] op_sel_hi:[1,0,1]
	v_pk_fma_f32 v[92:93], v[92:93], v[96:97], v[98:99] neg_lo:[0,0,1] neg_hi:[0,0,1]
	s_delay_alu instid0(VALU_DEP_2)
	v_mov_b32_e32 v93, v101
	scratch_store_b64 off, v[92:93], off offset:312
.LBB43_820:
	s_wait_xcnt 0x0
	s_or_b32 exec_lo, exec_lo, s0
	scratch_load_b64 v[92:93], off, off offset:320
	s_mov_b32 s0, exec_lo
	s_wait_loadcnt 0x0
	ds_store_b64 v1, v[92:93]
	s_wait_storecnt_dscnt 0x0
	s_barrier_signal -1
	s_barrier_wait -1
	s_wait_xcnt 0x0
	v_cmpx_gt_u32_e32 40, v0
	s_cbranch_execz .LBB43_830
; %bb.821:
	v_cmp_ne_u32_e32 vcc_lo, 1, v94
	s_cbranch_vccnz .LBB43_823
; %bb.822:
	scratch_load_b64 v[92:93], v47, off
	ds_load_b64 v[96:97], v1
	s_wait_loadcnt_dscnt 0x0
	v_pk_mul_f32 v[98:99], v[96:97], v[92:93] op_sel:[1,1] op_sel_hi:[0,1]
	s_delay_alu instid0(VALU_DEP_1) | instskip(SKIP_1) | instid1(VALU_DEP_2)
	v_pk_fma_f32 v[100:101], v[96:97], v[92:93], v[98:99] op_sel_hi:[1,0,1]
	v_pk_fma_f32 v[92:93], v[96:97], v[92:93], v[98:99] neg_lo:[0,0,1] neg_hi:[0,0,1]
	v_mov_b32_e32 v93, v101
	s_cbranch_execz .LBB43_824
	s_branch .LBB43_825
.LBB43_823:
                                        ; implicit-def: $vgpr92_vgpr93
.LBB43_824:
	ds_load_b64 v[92:93], v1
.LBB43_825:
	s_mov_b32 s2, exec_lo
	v_cmpx_ne_u32_e32 39, v0
	s_cbranch_execz .LBB43_829
; %bb.826:
	v_add_nc_u32_e32 v95, 0x168, v46
	v_add3_u32 v96, 0, v46, 8
	v_mov_b32_e32 v97, v0
	s_mov_b32 s3, 0
.LBB43_827:                             ; =>This Inner Loop Header: Depth=1
	scratch_load_b64 v[98:99], v96, off
	ds_load_b64 v[100:101], v95
	s_wait_xcnt 0x0
	v_dual_add_nc_u32 v95, 8, v95 :: v_dual_add_nc_u32 v96, 8, v96
	s_wait_loadcnt_dscnt 0x0
	v_pk_mul_f32 v[102:103], v[100:101], v[98:99] op_sel:[1,1] op_sel_hi:[0,1]
	s_delay_alu instid0(VALU_DEP_1) | instskip(SKIP_2) | instid1(VALU_DEP_3)
	v_pk_fma_f32 v[104:105], v[100:101], v[98:99], v[102:103] op_sel_hi:[1,0,1]
	v_add_nc_u32_e32 v97, 1, v97
	v_pk_fma_f32 v[98:99], v[100:101], v[98:99], v[102:103] neg_lo:[0,0,1] neg_hi:[0,0,1]
	v_mov_b32_e32 v99, v105
	s_delay_alu instid0(VALU_DEP_3) | instskip(NEXT) | instid1(VALU_DEP_2)
	v_cmp_lt_u32_e32 vcc_lo, 38, v97
	v_pk_add_f32 v[92:93], v[92:93], v[98:99]
	s_or_b32 s3, vcc_lo, s3
	s_delay_alu instid0(SALU_CYCLE_1)
	s_and_not1_b32 exec_lo, exec_lo, s3
	s_cbranch_execnz .LBB43_827
; %bb.828:
	s_or_b32 exec_lo, exec_lo, s3
.LBB43_829:
	s_delay_alu instid0(SALU_CYCLE_1) | instskip(SKIP_4) | instid1(VALU_DEP_1)
	s_or_b32 exec_lo, exec_lo, s2
	v_mov_b32_e32 v95, 0
	ds_load_b64 v[96:97], v95 offset:320
	s_wait_dscnt 0x0
	v_pk_mul_f32 v[98:99], v[92:93], v[96:97] op_sel:[1,1] op_sel_hi:[0,1]
	v_pk_fma_f32 v[100:101], v[92:93], v[96:97], v[98:99] op_sel_hi:[1,0,1]
	v_pk_fma_f32 v[92:93], v[92:93], v[96:97], v[98:99] neg_lo:[0,0,1] neg_hi:[0,0,1]
	s_delay_alu instid0(VALU_DEP_2)
	v_mov_b32_e32 v93, v101
	scratch_store_b64 off, v[92:93], off offset:320
.LBB43_830:
	s_wait_xcnt 0x0
	s_or_b32 exec_lo, exec_lo, s0
	scratch_load_b64 v[92:93], off, off offset:328
	s_mov_b32 s0, exec_lo
	s_wait_loadcnt 0x0
	ds_store_b64 v1, v[92:93]
	s_wait_storecnt_dscnt 0x0
	s_barrier_signal -1
	s_barrier_wait -1
	s_wait_xcnt 0x0
	v_cmpx_gt_u32_e32 41, v0
	s_cbranch_execz .LBB43_840
; %bb.831:
	v_cmp_ne_u32_e32 vcc_lo, 1, v94
	s_cbranch_vccnz .LBB43_833
; %bb.832:
	scratch_load_b64 v[92:93], v47, off
	ds_load_b64 v[96:97], v1
	s_wait_loadcnt_dscnt 0x0
	v_pk_mul_f32 v[98:99], v[96:97], v[92:93] op_sel:[1,1] op_sel_hi:[0,1]
	s_delay_alu instid0(VALU_DEP_1) | instskip(SKIP_1) | instid1(VALU_DEP_2)
	v_pk_fma_f32 v[100:101], v[96:97], v[92:93], v[98:99] op_sel_hi:[1,0,1]
	v_pk_fma_f32 v[92:93], v[96:97], v[92:93], v[98:99] neg_lo:[0,0,1] neg_hi:[0,0,1]
	v_mov_b32_e32 v93, v101
	s_cbranch_execz .LBB43_834
	s_branch .LBB43_835
.LBB43_833:
                                        ; implicit-def: $vgpr92_vgpr93
.LBB43_834:
	ds_load_b64 v[92:93], v1
.LBB43_835:
	s_mov_b32 s2, exec_lo
	v_cmpx_ne_u32_e32 40, v0
	s_cbranch_execz .LBB43_839
; %bb.836:
	v_add_nc_u32_e32 v95, 0x168, v46
	v_add3_u32 v96, 0, v46, 8
	v_mov_b32_e32 v97, v0
	s_mov_b32 s3, 0
.LBB43_837:                             ; =>This Inner Loop Header: Depth=1
	scratch_load_b64 v[98:99], v96, off
	ds_load_b64 v[100:101], v95
	s_wait_xcnt 0x0
	v_dual_add_nc_u32 v95, 8, v95 :: v_dual_add_nc_u32 v96, 8, v96
	s_wait_loadcnt_dscnt 0x0
	v_pk_mul_f32 v[102:103], v[100:101], v[98:99] op_sel:[1,1] op_sel_hi:[0,1]
	s_delay_alu instid0(VALU_DEP_1) | instskip(SKIP_2) | instid1(VALU_DEP_3)
	v_pk_fma_f32 v[104:105], v[100:101], v[98:99], v[102:103] op_sel_hi:[1,0,1]
	v_add_nc_u32_e32 v97, 1, v97
	v_pk_fma_f32 v[98:99], v[100:101], v[98:99], v[102:103] neg_lo:[0,0,1] neg_hi:[0,0,1]
	v_mov_b32_e32 v99, v105
	s_delay_alu instid0(VALU_DEP_3) | instskip(NEXT) | instid1(VALU_DEP_2)
	v_cmp_lt_u32_e32 vcc_lo, 39, v97
	v_pk_add_f32 v[92:93], v[92:93], v[98:99]
	s_or_b32 s3, vcc_lo, s3
	s_delay_alu instid0(SALU_CYCLE_1)
	s_and_not1_b32 exec_lo, exec_lo, s3
	s_cbranch_execnz .LBB43_837
; %bb.838:
	s_or_b32 exec_lo, exec_lo, s3
.LBB43_839:
	s_delay_alu instid0(SALU_CYCLE_1) | instskip(SKIP_4) | instid1(VALU_DEP_1)
	s_or_b32 exec_lo, exec_lo, s2
	v_mov_b32_e32 v95, 0
	ds_load_b64 v[96:97], v95 offset:328
	s_wait_dscnt 0x0
	v_pk_mul_f32 v[98:99], v[92:93], v[96:97] op_sel:[1,1] op_sel_hi:[0,1]
	v_pk_fma_f32 v[100:101], v[92:93], v[96:97], v[98:99] op_sel_hi:[1,0,1]
	v_pk_fma_f32 v[92:93], v[92:93], v[96:97], v[98:99] neg_lo:[0,0,1] neg_hi:[0,0,1]
	s_delay_alu instid0(VALU_DEP_2)
	v_mov_b32_e32 v93, v101
	scratch_store_b64 off, v[92:93], off offset:328
.LBB43_840:
	s_wait_xcnt 0x0
	s_or_b32 exec_lo, exec_lo, s0
	scratch_load_b64 v[92:93], off, off offset:336
	v_cmp_gt_u32_e64 s0, 42, v0
	s_wait_loadcnt 0x0
	ds_store_b64 v1, v[92:93]
	s_wait_storecnt_dscnt 0x0
	s_barrier_signal -1
	s_barrier_wait -1
	s_wait_xcnt 0x0
	s_and_saveexec_b32 s2, s0
	s_cbranch_execz .LBB43_850
; %bb.841:
	v_cmp_ne_u32_e32 vcc_lo, 1, v94
	s_cbranch_vccnz .LBB43_843
; %bb.842:
	scratch_load_b64 v[92:93], v47, off
	ds_load_b64 v[96:97], v1
	s_wait_loadcnt_dscnt 0x0
	v_pk_mul_f32 v[98:99], v[96:97], v[92:93] op_sel:[1,1] op_sel_hi:[0,1]
	s_delay_alu instid0(VALU_DEP_1) | instskip(SKIP_1) | instid1(VALU_DEP_2)
	v_pk_fma_f32 v[100:101], v[96:97], v[92:93], v[98:99] op_sel_hi:[1,0,1]
	v_pk_fma_f32 v[92:93], v[96:97], v[92:93], v[98:99] neg_lo:[0,0,1] neg_hi:[0,0,1]
	v_mov_b32_e32 v93, v101
	s_cbranch_execz .LBB43_844
	s_branch .LBB43_845
.LBB43_843:
                                        ; implicit-def: $vgpr92_vgpr93
.LBB43_844:
	ds_load_b64 v[92:93], v1
.LBB43_845:
	s_mov_b32 s3, exec_lo
	v_cmpx_ne_u32_e32 41, v0
	s_cbranch_execz .LBB43_849
; %bb.846:
	v_add_nc_u32_e32 v95, 0x168, v46
	v_add3_u32 v96, 0, v46, 8
	v_mov_b32_e32 v97, v0
	s_mov_b32 s4, 0
.LBB43_847:                             ; =>This Inner Loop Header: Depth=1
	scratch_load_b64 v[98:99], v96, off
	ds_load_b64 v[100:101], v95
	s_wait_xcnt 0x0
	v_dual_add_nc_u32 v95, 8, v95 :: v_dual_add_nc_u32 v96, 8, v96
	s_wait_loadcnt_dscnt 0x0
	v_pk_mul_f32 v[102:103], v[100:101], v[98:99] op_sel:[1,1] op_sel_hi:[0,1]
	s_delay_alu instid0(VALU_DEP_1) | instskip(SKIP_2) | instid1(VALU_DEP_3)
	v_pk_fma_f32 v[104:105], v[100:101], v[98:99], v[102:103] op_sel_hi:[1,0,1]
	v_add_nc_u32_e32 v97, 1, v97
	v_pk_fma_f32 v[98:99], v[100:101], v[98:99], v[102:103] neg_lo:[0,0,1] neg_hi:[0,0,1]
	v_mov_b32_e32 v99, v105
	s_delay_alu instid0(VALU_DEP_3) | instskip(NEXT) | instid1(VALU_DEP_2)
	v_cmp_lt_u32_e32 vcc_lo, 40, v97
	v_pk_add_f32 v[92:93], v[92:93], v[98:99]
	s_or_b32 s4, vcc_lo, s4
	s_delay_alu instid0(SALU_CYCLE_1)
	s_and_not1_b32 exec_lo, exec_lo, s4
	s_cbranch_execnz .LBB43_847
; %bb.848:
	s_or_b32 exec_lo, exec_lo, s4
.LBB43_849:
	s_delay_alu instid0(SALU_CYCLE_1) | instskip(SKIP_4) | instid1(VALU_DEP_1)
	s_or_b32 exec_lo, exec_lo, s3
	v_mov_b32_e32 v95, 0
	ds_load_b64 v[96:97], v95 offset:336
	s_wait_dscnt 0x0
	v_pk_mul_f32 v[98:99], v[92:93], v[96:97] op_sel:[1,1] op_sel_hi:[0,1]
	v_pk_fma_f32 v[100:101], v[92:93], v[96:97], v[98:99] op_sel_hi:[1,0,1]
	v_pk_fma_f32 v[92:93], v[92:93], v[96:97], v[98:99] neg_lo:[0,0,1] neg_hi:[0,0,1]
	s_delay_alu instid0(VALU_DEP_2)
	v_mov_b32_e32 v93, v101
	scratch_store_b64 off, v[92:93], off offset:336
.LBB43_850:
	s_wait_xcnt 0x0
	s_or_b32 exec_lo, exec_lo, s2
	scratch_load_b64 v[92:93], off, off offset:344
	s_mov_b32 s2, exec_lo
                                        ; implicit-def: $vgpr124
                                        ; implicit-def: $sgpr4
	s_wait_loadcnt 0x0
	ds_store_b64 v1, v[92:93]
	s_wait_storecnt_dscnt 0x0
	s_barrier_signal -1
	s_barrier_wait -1
	s_wait_xcnt 0x0
	v_cmpx_ne_u32_e32 43, v0
	s_cbranch_execz .LBB43_860
; %bb.851:
	v_cmp_ne_u32_e32 vcc_lo, 1, v94
	s_cbranch_vccnz .LBB43_853
; %bb.852:
	scratch_load_b64 v[94:95], v47, off
	ds_load_b64 v[96:97], v1
	s_wait_loadcnt_dscnt 0x0
	v_dual_mul_f32 v47, v97, v95 :: v_dual_mul_f32 v93, v96, v95
	s_delay_alu instid0(VALU_DEP_1)
	v_dual_fma_f32 v92, v96, v94, -v47 :: v_dual_fmac_f32 v93, v97, v94
	s_cbranch_execz .LBB43_854
	s_branch .LBB43_855
.LBB43_853:
                                        ; implicit-def: $vgpr93
.LBB43_854:
	ds_load_b64 v[92:93], v1
.LBB43_855:
	s_and_saveexec_b32 s3, s0
	s_cbranch_execz .LBB43_859
; %bb.856:
	v_add_nc_u32_e32 v1, 0x168, v46
	v_add3_u32 v46, 0, v46, 8
	s_mov_b32 s0, 0
.LBB43_857:                             ; =>This Inner Loop Header: Depth=1
	scratch_load_b64 v[94:95], v46, off
	ds_load_b64 v[96:97], v1
	s_wait_loadcnt_dscnt 0x0
	v_dual_add_nc_u32 v1, 8, v1 :: v_dual_mul_f32 v47, v97, v95
	v_dual_mul_f32 v95, v96, v95 :: v_dual_add_nc_u32 v0, 1, v0
	s_delay_alu instid0(VALU_DEP_2) | instskip(NEXT) | instid1(VALU_DEP_2)
	v_fma_f32 v47, v96, v94, -v47
	v_fmac_f32_e32 v95, v97, v94
	s_delay_alu instid0(VALU_DEP_3) | instskip(NEXT) | instid1(VALU_DEP_3)
	v_cmp_lt_u32_e32 vcc_lo, 41, v0
	v_dual_add_nc_u32 v46, 8, v46 :: v_dual_add_f32 v92, v92, v47
	s_delay_alu instid0(VALU_DEP_3) | instskip(SKIP_1) | instid1(SALU_CYCLE_1)
	v_add_f32_e32 v93, v93, v95
	s_or_b32 s0, vcc_lo, s0
	s_and_not1_b32 exec_lo, exec_lo, s0
	s_cbranch_execnz .LBB43_857
; %bb.858:
	s_or_b32 exec_lo, exec_lo, s0
.LBB43_859:
	s_delay_alu instid0(SALU_CYCLE_1)
	s_or_b32 exec_lo, exec_lo, s3
	v_mov_b32_e32 v0, 0
	s_movk_i32 s4, 0x15c
	s_or_b32 s1, s1, exec_lo
	ds_load_b64 v[0:1], v0 offset:344
	s_wait_dscnt 0x0
	v_dual_mul_f32 v46, v93, v1 :: v_dual_mul_f32 v124, v92, v1
	s_delay_alu instid0(VALU_DEP_1)
	v_dual_fma_f32 v1, v92, v0, -v46 :: v_dual_fmac_f32 v124, v93, v0
	scratch_store_b32 off, v1, off offset:344
.LBB43_860:
	s_wait_xcnt 0x0
	s_or_b32 exec_lo, exec_lo, s2
.LBB43_861:
	v_lshl_add_u64 v[120:121], v[2:3], 3, s[6:7]
	v_lshl_add_u64 v[122:123], v[4:5], 3, s[6:7]
	;; [unrolled: 1-line block ×42, first 2 shown]
	s_and_saveexec_b32 s0, s1
	s_cbranch_execz .LBB43_863
; %bb.862:
	scratch_store_b32 off, v124, s4
.LBB43_863:
	s_wait_xcnt 0x0
	s_or_b32 exec_lo, exec_lo, s0
	s_clause 0x4
	scratch_load_b128 v[56:59], off, off
	scratch_load_b128 v[60:63], off, off offset:16
	scratch_load_b128 v[64:67], off, off offset:32
	;; [unrolled: 1-line block ×4, first 2 shown]
	s_wait_loadcnt 0x4
	s_clause 0x1
	global_store_b64 v[6:7], v[56:57], off
	global_store_b64 v[8:9], v[58:59], off
	s_clause 0x1
	scratch_load_b128 v[6:9], off, off offset:80
	scratch_load_b128 v[56:59], off, off offset:96
	s_wait_loadcnt 0x5
	s_clause 0x1
	global_store_b64 v[120:121], v[60:61], off
	global_store_b64 v[122:123], v[62:63], off
	s_clause 0x1
	scratch_load_b128 v[60:63], off, off offset:112
	scratch_load_b128 v[76:79], off, off offset:128
	;; [unrolled: 7-line block ×8, first 2 shown]
	s_wait_loadcnt 0xc
	s_clause 0x1
	global_store_b64 v[92:93], v[76:77], off
	global_store_b64 v[94:95], v[78:79], off
	scratch_load_b128 v[76:79], off, off offset:336
	s_wait_loadcnt 0xc
	s_clause 0x1
	global_store_b64 v[4:5], v[64:65], off
	global_store_b64 v[10:11], v[66:67], off
	s_wait_loadcnt 0xb
	s_clause 0x1
	global_store_b64 v[12:13], v[80:81], off
	global_store_b64 v[14:15], v[82:83], off
	s_wait_loadcnt 0xa
	s_clause 0x1
	global_store_b64 v[16:17], v[68:69], off
	global_store_b64 v[18:19], v[70:71], off
	s_wait_loadcnt 0x9
	s_clause 0x1
	global_store_b64 v[20:21], v[84:85], off
	global_store_b64 v[22:23], v[86:87], off
	s_wait_loadcnt 0x8
	s_clause 0x1
	global_store_b64 v[24:25], v[72:73], off
	global_store_b64 v[26:27], v[74:75], off
	s_wait_loadcnt 0x7
	s_clause 0x1
	global_store_b64 v[28:29], v[88:89], off
	global_store_b64 v[30:31], v[90:91], off
	s_wait_loadcnt 0x6
	s_clause 0x1
	global_store_b64 v[32:33], v[6:7], off
	global_store_b64 v[34:35], v[8:9], off
	s_wait_loadcnt 0x5
	s_clause 0x1
	global_store_b64 v[36:37], v[104:105], off
	global_store_b64 v[38:39], v[106:107], off
	s_wait_loadcnt 0x4
	s_clause 0x1
	global_store_b64 v[40:41], v[56:57], off
	global_store_b64 v[42:43], v[58:59], off
	s_wait_loadcnt 0x3
	s_clause 0x1
	global_store_b64 v[44:45], v[100:101], off
	global_store_b64 v[46:47], v[102:103], off
	s_wait_loadcnt 0x2
	s_clause 0x1
	global_store_b64 v[48:49], v[60:61], off
	global_store_b64 v[50:51], v[62:63], off
	s_wait_loadcnt 0x1
	s_clause 0x1
	global_store_b64 v[52:53], v[96:97], off
	global_store_b64 v[54:55], v[98:99], off
	s_wait_loadcnt 0x0
	s_clause 0x1
	global_store_b64 v[0:1], v[76:77], off
	global_store_b64 v[2:3], v[78:79], off
.LBB43_864:
	s_sendmsg sendmsg(MSG_DEALLOC_VGPRS)
	s_endpgm
	.section	.rodata,"a",@progbits
	.p2align	6, 0x0
	.amdhsa_kernel _ZN9rocsolver6v33100L18trti2_kernel_smallILi44E19rocblas_complex_numIfEPS3_EEv13rocblas_fill_17rocblas_diagonal_T1_iil
		.amdhsa_group_segment_fixed_size 704
		.amdhsa_private_segment_fixed_size 368
		.amdhsa_kernarg_size 32
		.amdhsa_user_sgpr_count 2
		.amdhsa_user_sgpr_dispatch_ptr 0
		.amdhsa_user_sgpr_queue_ptr 0
		.amdhsa_user_sgpr_kernarg_segment_ptr 1
		.amdhsa_user_sgpr_dispatch_id 0
		.amdhsa_user_sgpr_kernarg_preload_length 0
		.amdhsa_user_sgpr_kernarg_preload_offset 0
		.amdhsa_user_sgpr_private_segment_size 0
		.amdhsa_wavefront_size32 1
		.amdhsa_uses_dynamic_stack 0
		.amdhsa_enable_private_segment 1
		.amdhsa_system_sgpr_workgroup_id_x 1
		.amdhsa_system_sgpr_workgroup_id_y 0
		.amdhsa_system_sgpr_workgroup_id_z 0
		.amdhsa_system_sgpr_workgroup_info 0
		.amdhsa_system_vgpr_workitem_id 0
		.amdhsa_next_free_vgpr 125
		.amdhsa_next_free_sgpr 29
		.amdhsa_named_barrier_count 0
		.amdhsa_reserve_vcc 1
		.amdhsa_float_round_mode_32 0
		.amdhsa_float_round_mode_16_64 0
		.amdhsa_float_denorm_mode_32 3
		.amdhsa_float_denorm_mode_16_64 3
		.amdhsa_fp16_overflow 0
		.amdhsa_memory_ordered 1
		.amdhsa_forward_progress 1
		.amdhsa_inst_pref_size 255
		.amdhsa_round_robin_scheduling 0
		.amdhsa_exception_fp_ieee_invalid_op 0
		.amdhsa_exception_fp_denorm_src 0
		.amdhsa_exception_fp_ieee_div_zero 0
		.amdhsa_exception_fp_ieee_overflow 0
		.amdhsa_exception_fp_ieee_underflow 0
		.amdhsa_exception_fp_ieee_inexact 0
		.amdhsa_exception_int_div_zero 0
	.end_amdhsa_kernel
	.section	.text._ZN9rocsolver6v33100L18trti2_kernel_smallILi44E19rocblas_complex_numIfEPS3_EEv13rocblas_fill_17rocblas_diagonal_T1_iil,"axG",@progbits,_ZN9rocsolver6v33100L18trti2_kernel_smallILi44E19rocblas_complex_numIfEPS3_EEv13rocblas_fill_17rocblas_diagonal_T1_iil,comdat
.Lfunc_end43:
	.size	_ZN9rocsolver6v33100L18trti2_kernel_smallILi44E19rocblas_complex_numIfEPS3_EEv13rocblas_fill_17rocblas_diagonal_T1_iil, .Lfunc_end43-_ZN9rocsolver6v33100L18trti2_kernel_smallILi44E19rocblas_complex_numIfEPS3_EEv13rocblas_fill_17rocblas_diagonal_T1_iil
                                        ; -- End function
	.set _ZN9rocsolver6v33100L18trti2_kernel_smallILi44E19rocblas_complex_numIfEPS3_EEv13rocblas_fill_17rocblas_diagonal_T1_iil.num_vgpr, 125
	.set _ZN9rocsolver6v33100L18trti2_kernel_smallILi44E19rocblas_complex_numIfEPS3_EEv13rocblas_fill_17rocblas_diagonal_T1_iil.num_agpr, 0
	.set _ZN9rocsolver6v33100L18trti2_kernel_smallILi44E19rocblas_complex_numIfEPS3_EEv13rocblas_fill_17rocblas_diagonal_T1_iil.numbered_sgpr, 29
	.set _ZN9rocsolver6v33100L18trti2_kernel_smallILi44E19rocblas_complex_numIfEPS3_EEv13rocblas_fill_17rocblas_diagonal_T1_iil.num_named_barrier, 0
	.set _ZN9rocsolver6v33100L18trti2_kernel_smallILi44E19rocblas_complex_numIfEPS3_EEv13rocblas_fill_17rocblas_diagonal_T1_iil.private_seg_size, 368
	.set _ZN9rocsolver6v33100L18trti2_kernel_smallILi44E19rocblas_complex_numIfEPS3_EEv13rocblas_fill_17rocblas_diagonal_T1_iil.uses_vcc, 1
	.set _ZN9rocsolver6v33100L18trti2_kernel_smallILi44E19rocblas_complex_numIfEPS3_EEv13rocblas_fill_17rocblas_diagonal_T1_iil.uses_flat_scratch, 1
	.set _ZN9rocsolver6v33100L18trti2_kernel_smallILi44E19rocblas_complex_numIfEPS3_EEv13rocblas_fill_17rocblas_diagonal_T1_iil.has_dyn_sized_stack, 0
	.set _ZN9rocsolver6v33100L18trti2_kernel_smallILi44E19rocblas_complex_numIfEPS3_EEv13rocblas_fill_17rocblas_diagonal_T1_iil.has_recursion, 0
	.set _ZN9rocsolver6v33100L18trti2_kernel_smallILi44E19rocblas_complex_numIfEPS3_EEv13rocblas_fill_17rocblas_diagonal_T1_iil.has_indirect_call, 0
	.section	.AMDGPU.csdata,"",@progbits
; Kernel info:
; codeLenInByte = 33304
; TotalNumSgprs: 31
; NumVgprs: 125
; ScratchSize: 368
; MemoryBound: 0
; FloatMode: 240
; IeeeMode: 1
; LDSByteSize: 704 bytes/workgroup (compile time only)
; SGPRBlocks: 0
; VGPRBlocks: 7
; NumSGPRsForWavesPerEU: 31
; NumVGPRsForWavesPerEU: 125
; NamedBarCnt: 0
; Occupancy: 8
; WaveLimiterHint : 0
; COMPUTE_PGM_RSRC2:SCRATCH_EN: 1
; COMPUTE_PGM_RSRC2:USER_SGPR: 2
; COMPUTE_PGM_RSRC2:TRAP_HANDLER: 0
; COMPUTE_PGM_RSRC2:TGID_X_EN: 1
; COMPUTE_PGM_RSRC2:TGID_Y_EN: 0
; COMPUTE_PGM_RSRC2:TGID_Z_EN: 0
; COMPUTE_PGM_RSRC2:TIDIG_COMP_CNT: 0
	.section	.text._ZN9rocsolver6v33100L18trti2_kernel_smallILi45E19rocblas_complex_numIfEPS3_EEv13rocblas_fill_17rocblas_diagonal_T1_iil,"axG",@progbits,_ZN9rocsolver6v33100L18trti2_kernel_smallILi45E19rocblas_complex_numIfEPS3_EEv13rocblas_fill_17rocblas_diagonal_T1_iil,comdat
	.globl	_ZN9rocsolver6v33100L18trti2_kernel_smallILi45E19rocblas_complex_numIfEPS3_EEv13rocblas_fill_17rocblas_diagonal_T1_iil ; -- Begin function _ZN9rocsolver6v33100L18trti2_kernel_smallILi45E19rocblas_complex_numIfEPS3_EEv13rocblas_fill_17rocblas_diagonal_T1_iil
	.p2align	8
	.type	_ZN9rocsolver6v33100L18trti2_kernel_smallILi45E19rocblas_complex_numIfEPS3_EEv13rocblas_fill_17rocblas_diagonal_T1_iil,@function
_ZN9rocsolver6v33100L18trti2_kernel_smallILi45E19rocblas_complex_numIfEPS3_EEv13rocblas_fill_17rocblas_diagonal_T1_iil: ; @_ZN9rocsolver6v33100L18trti2_kernel_smallILi45E19rocblas_complex_numIfEPS3_EEv13rocblas_fill_17rocblas_diagonal_T1_iil
; %bb.0:
	s_mov_b32 s2, exec_lo
	v_cmpx_gt_u32_e32 45, v0
	s_cbranch_execz .LBB44_884
; %bb.1:
	s_load_b256 s[4:11], s[0:1], 0x0
	s_wait_xcnt 0x0
	s_bfe_u32 s0, ttmp6, 0x4000c
	s_and_b32 s1, ttmp6, 15
	s_add_co_i32 s0, s0, 1
	s_getreg_b32 s2, hwreg(HW_REG_IB_STS2, 6, 4)
	s_mul_i32 s0, ttmp9, s0
	v_mov_b32_e32 v51, 0
	s_add_co_i32 s0, s1, s0
	v_lshlrev_b32_e32 v50, 3, v0
	s_wait_kmcnt 0x0
	v_add3_u32 v2, s9, s9, v0
	s_ashr_i32 s1, s8, 31
	s_cmp_eq_u32 s2, 0
	s_cselect_b32 s2, ttmp9, s0
	s_delay_alu instid0(VALU_DEP_1)
	v_add_nc_u32_e32 v4, s9, v2
	s_ashr_i32 s3, s2, 31
	s_mov_b32 s0, s8
	s_mul_u64 s[2:3], s[10:11], s[2:3]
	s_lshl_b64 s[0:1], s[0:1], 3
	v_add_nc_u32_e32 v8, s9, v4
	s_lshl_b64 s[2:3], s[2:3], 3
	s_delay_alu instid0(SALU_CYCLE_1) | instskip(NEXT) | instid1(VALU_DEP_1)
	s_add_nc_u64 s[2:3], s[6:7], s[2:3]
	v_add_nc_u32_e32 v10, s9, v8
	s_add_nc_u64 s[6:7], s[2:3], s[0:1]
	s_mov_b32 s0, s9
	s_ashr_i32 s1, s9, 31
	s_cmp_lg_u32 s5, 0x84
	v_add_nc_u32_e32 v14, s9, v10
	s_clause 0x1
	global_load_b64 v[60:61], v8, s[6:7] scale_offset
	global_load_b64 v[62:63], v10, s[6:7] scale_offset
	s_cselect_b32 s3, -1, 0
	v_add_nc_u64_e32 v[6:7], s[6:7], v[50:51]
	s_and_b32 vcc_lo, exec_lo, s3
	v_add_nc_u32_e32 v16, s9, v14
	s_delay_alu instid0(VALU_DEP_1) | instskip(NEXT) | instid1(VALU_DEP_3)
	v_add_nc_u32_e32 v18, s9, v16
	v_lshl_add_u64 v[12:13], s[0:1], 3, v[6:7]
	s_mov_b32 s0, -1
	s_clause 0x1
	global_load_b64 v[64:65], v0, s[6:7] scale_offset
	global_load_b64 v[66:67], v[12:13], off
	v_add_nc_u32_e32 v20, s9, v18
	s_delay_alu instid0(VALU_DEP_1)
	v_add_nc_u32_e32 v22, s9, v20
	s_clause 0x3
	global_load_b64 v[68:69], v2, s[6:7] scale_offset
	global_load_b64 v[70:71], v4, s[6:7] scale_offset
	;; [unrolled: 1-line block ×4, first 2 shown]
	v_add_nc_u32_e32 v24, s9, v22
	s_delay_alu instid0(VALU_DEP_1) | instskip(NEXT) | instid1(VALU_DEP_1)
	v_add_nc_u32_e32 v26, s9, v24
	v_add_nc_u32_e32 v28, s9, v26
	s_delay_alu instid0(VALU_DEP_1)
	v_add_nc_u32_e32 v30, s9, v28
	s_clause 0x3
	global_load_b64 v[76:77], v18, s[6:7] scale_offset
	global_load_b64 v[78:79], v20, s[6:7] scale_offset
	;; [unrolled: 1-line block ×4, first 2 shown]
	v_add_nc_u32_e32 v32, s9, v30
	s_delay_alu instid0(VALU_DEP_1)
	v_add_nc_u32_e32 v34, s9, v32
	s_clause 0x3
	global_load_b64 v[84:85], v26, s[6:7] scale_offset
	global_load_b64 v[86:87], v28, s[6:7] scale_offset
	;; [unrolled: 1-line block ×4, first 2 shown]
	v_add_nc_u32_e32 v36, s9, v34
	s_delay_alu instid0(VALU_DEP_1) | instskip(NEXT) | instid1(VALU_DEP_1)
	v_add_nc_u32_e32 v38, s9, v36
	v_add_nc_u32_e32 v40, s9, v38
	s_delay_alu instid0(VALU_DEP_1) | instskip(NEXT) | instid1(VALU_DEP_1)
	v_add_nc_u32_e32 v42, s9, v40
	v_add_nc_u32_e32 v44, s9, v42
	s_delay_alu instid0(VALU_DEP_1)
	v_add_nc_u32_e32 v46, s9, v44
	s_clause 0x3
	global_load_b64 v[92:93], v34, s[6:7] scale_offset
	global_load_b64 v[94:95], v36, s[6:7] scale_offset
	;; [unrolled: 1-line block ×4, first 2 shown]
	v_add_nc_u32_e32 v48, s9, v46
	s_delay_alu instid0(VALU_DEP_1) | instskip(NEXT) | instid1(VALU_DEP_1)
	v_add_nc_u32_e32 v52, s9, v48
	v_add_nc_u32_e32 v54, s9, v52
	s_clause 0x3
	global_load_b64 v[100:101], v42, s[6:7] scale_offset
	global_load_b64 v[102:103], v44, s[6:7] scale_offset
	;; [unrolled: 1-line block ×4, first 2 shown]
	v_add_nc_u32_e32 v56, s9, v54
	s_delay_alu instid0(VALU_DEP_1) | instskip(SKIP_4) | instid1(VALU_DEP_1)
	v_add_nc_u32_e32 v58, s9, v56
	s_wait_loadcnt 0x16
	scratch_store_b128 off, v[60:63], off offset:32
	s_wait_xcnt 0x0
	v_add_nc_u32_e32 v60, s9, v58
	v_add_nc_u32_e32 v62, s9, v60
	s_wait_loadcnt 0x14
	scratch_store_b128 off, v[64:67], off
	s_wait_xcnt 0x0
	v_add_nc_u32_e32 v64, s9, v62
	s_wait_loadcnt 0x12
	scratch_store_b128 off, v[68:71], off offset:16
	v_add_nc_u32_e32 v66, s9, v64
	s_wait_loadcnt 0x10
	scratch_store_b128 off, v[72:75], off offset:48
	s_clause 0x1
	global_load_b64 v[108:109], v52, s[6:7] scale_offset
	global_load_b64 v[110:111], v54, s[6:7] scale_offset
	s_wait_xcnt 0x3
	v_add_nc_u32_e32 v68, s9, v66
	s_delay_alu instid0(VALU_DEP_1) | instskip(SKIP_1) | instid1(VALU_DEP_1)
	v_add_nc_u32_e32 v70, s9, v68
	s_wait_xcnt 0x2
	v_add_nc_u32_e32 v72, s9, v70
	s_wait_loadcnt 0x10
	scratch_store_b128 off, v[76:79], off offset:64
	v_add_nc_u32_e32 v74, s9, v72
	s_wait_loadcnt 0xe
	scratch_store_b128 off, v[80:83], off offset:80
	s_clause 0x1
	global_load_b64 v[112:113], v56, s[6:7] scale_offset
	global_load_b64 v[114:115], v58, s[6:7] scale_offset
	s_wait_xcnt 0x3
	v_add_nc_u32_e32 v76, s9, v74
	s_wait_loadcnt 0xe
	scratch_store_b128 off, v[84:87], off offset:96
	v_add_nc_u32_e32 v78, s9, v76
	s_wait_loadcnt 0xc
	scratch_store_b128 off, v[88:91], off offset:112
	s_clause 0x1
	global_load_b64 v[88:89], v60, s[6:7] scale_offset
	global_load_b64 v[90:91], v62, s[6:7] scale_offset
	v_add_nc_u32_e32 v80, s9, v78
	s_delay_alu instid0(VALU_DEP_1) | instskip(NEXT) | instid1(VALU_DEP_1)
	v_add_nc_u32_e32 v82, s9, v80
	v_add_nc_u32_e32 v84, s9, v82
	s_delay_alu instid0(VALU_DEP_1)
	v_add_nc_u32_e32 v86, s9, v84
	s_wait_loadcnt 0xc
	scratch_store_b128 off, v[92:95], off offset:128
	s_clause 0x1
	global_load_b64 v[92:93], v64, s[6:7] scale_offset
	global_load_b64 v[94:95], v66, s[6:7] scale_offset
	s_wait_loadcnt 0xc
	scratch_store_b128 off, v[96:99], off offset:144
	s_wait_loadcnt 0xa
	scratch_store_b128 off, v[100:103], off offset:160
	s_clause 0x3
	global_load_b64 v[96:97], v68, s[6:7] scale_offset
	global_load_b64 v[98:99], v70, s[6:7] scale_offset
	;; [unrolled: 1-line block ×4, first 2 shown]
	s_wait_loadcnt 0xc
	scratch_store_b128 off, v[104:107], off offset:176
	s_clause 0x1
	global_load_b64 v[104:105], v76, s[6:7] scale_offset
	global_load_b64 v[106:107], v78, s[6:7] scale_offset
	s_wait_loadcnt 0xc
	scratch_store_b128 off, v[108:111], off offset:192
	s_wait_loadcnt 0xa
	scratch_store_b128 off, v[112:115], off offset:208
	;; [unrolled: 2-line block ×3, first 2 shown]
	s_wait_xcnt 0x0
	v_add_nc_u32_e32 v88, s9, v86
	s_delay_alu instid0(VALU_DEP_1)
	v_add_nc_u32_e32 v90, s9, v88
	s_wait_loadcnt 0x6
	scratch_store_b128 off, v[92:95], off offset:240
	s_clause 0x1
	global_load_b64 v[108:109], v80, s[6:7] scale_offset
	global_load_b64 v[110:111], v82, s[6:7] scale_offset
	s_wait_xcnt 0x2
	v_add_nc_u32_e32 v92, s9, v90
	s_wait_loadcnt 0x6
	scratch_store_b128 off, v[96:99], off offset:256
	s_wait_loadcnt 0x4
	scratch_store_b128 off, v[100:103], off offset:272
	;; [unrolled: 2-line block ×3, first 2 shown]
	s_clause 0x4
	global_load_b64 v[94:95], v84, s[6:7] scale_offset
	global_load_b64 v[96:97], v86, s[6:7] scale_offset
	global_load_b64 v[98:99], v88, s[6:7] scale_offset
	global_load_b64 v[100:101], v90, s[6:7] scale_offset
	global_load_b64 v[102:103], v92, s[6:7] scale_offset
	s_wait_loadcnt 0x5
	scratch_store_b128 off, v[108:111], off offset:304
	s_wait_loadcnt 0x3
	scratch_store_b128 off, v[94:97], off offset:320
	;; [unrolled: 2-line block ×3, first 2 shown]
	s_wait_loadcnt 0x0
	scratch_store_b64 off, v[102:103], off offset:352
	s_cbranch_vccz .LBB44_7
; %bb.2:
	scratch_load_b64 v[94:95], v0, off scale_offset
                                        ; implicit-def: $vgpr99
                                        ; implicit-def: $vgpr96
	s_wait_loadcnt 0x0
	v_cmp_ngt_f32_e64 s0, |v94|, |v95|
	s_wait_xcnt 0x0
	s_and_saveexec_b32 s1, s0
	s_delay_alu instid0(SALU_CYCLE_1)
	s_xor_b32 s0, exec_lo, s1
	s_cbranch_execz .LBB44_4
; %bb.3:
	v_div_scale_f32 v1, null, v95, v95, v94
	v_div_scale_f32 v9, vcc_lo, v94, v95, v94
	s_delay_alu instid0(VALU_DEP_2) | instskip(SKIP_1) | instid1(TRANS32_DEP_1)
	v_rcp_f32_e32 v3, v1
	v_nop
	v_fma_f32 v5, -v1, v3, 1.0
	s_delay_alu instid0(VALU_DEP_1) | instskip(NEXT) | instid1(VALU_DEP_1)
	v_fmac_f32_e32 v3, v5, v3
	v_mul_f32_e32 v5, v9, v3
	s_delay_alu instid0(VALU_DEP_1) | instskip(NEXT) | instid1(VALU_DEP_1)
	v_fma_f32 v11, -v1, v5, v9
	v_fmac_f32_e32 v5, v11, v3
	s_delay_alu instid0(VALU_DEP_1) | instskip(NEXT) | instid1(VALU_DEP_1)
	v_fma_f32 v1, -v1, v5, v9
	v_div_fmas_f32 v1, v1, v3, v5
	s_delay_alu instid0(VALU_DEP_1) | instskip(NEXT) | instid1(VALU_DEP_1)
	v_div_fixup_f32 v1, v1, v95, v94
	v_fmac_f32_e32 v95, v94, v1
	s_delay_alu instid0(VALU_DEP_1) | instskip(NEXT) | instid1(VALU_DEP_1)
	v_div_scale_f32 v3, null, v95, v95, -1.0
	v_rcp_f32_e32 v5, v3
	v_nop
	s_delay_alu instid0(TRANS32_DEP_1) | instskip(NEXT) | instid1(VALU_DEP_1)
	v_fma_f32 v9, -v3, v5, 1.0
	v_fmac_f32_e32 v5, v9, v5
	v_div_scale_f32 v9, vcc_lo, -1.0, v95, -1.0
	s_delay_alu instid0(VALU_DEP_1) | instskip(NEXT) | instid1(VALU_DEP_1)
	v_mul_f32_e32 v11, v9, v5
	v_fma_f32 v15, -v3, v11, v9
	s_delay_alu instid0(VALU_DEP_1) | instskip(NEXT) | instid1(VALU_DEP_1)
	v_fmac_f32_e32 v11, v15, v5
	v_fma_f32 v3, -v3, v11, v9
	s_delay_alu instid0(VALU_DEP_1) | instskip(NEXT) | instid1(VALU_DEP_1)
	v_div_fmas_f32 v3, v3, v5, v11
	v_div_fixup_f32 v99, v3, v95, -1.0
                                        ; implicit-def: $vgpr94_vgpr95
	s_delay_alu instid0(VALU_DEP_1) | instskip(NEXT) | instid1(VALU_DEP_1)
	v_mul_f32_e32 v96, v1, v99
	v_xor_b32_e32 v98, 0x80000000, v96
.LBB44_4:
	s_or_saveexec_b32 s0, s0
	v_lshl_add_u32 v1, v0, 3, 0
	s_xor_b32 exec_lo, exec_lo, s0
	s_cbranch_execz .LBB44_6
; %bb.5:
	v_div_scale_f32 v3, null, v94, v94, v95
	v_div_scale_f32 v11, vcc_lo, v95, v94, v95
	s_delay_alu instid0(VALU_DEP_2) | instskip(SKIP_1) | instid1(TRANS32_DEP_1)
	v_rcp_f32_e32 v5, v3
	v_nop
	v_fma_f32 v9, -v3, v5, 1.0
	s_delay_alu instid0(VALU_DEP_1) | instskip(NEXT) | instid1(VALU_DEP_1)
	v_fmac_f32_e32 v5, v9, v5
	v_mul_f32_e32 v9, v11, v5
	s_delay_alu instid0(VALU_DEP_1) | instskip(NEXT) | instid1(VALU_DEP_1)
	v_fma_f32 v15, -v3, v9, v11
	v_fmac_f32_e32 v9, v15, v5
	s_delay_alu instid0(VALU_DEP_1) | instskip(NEXT) | instid1(VALU_DEP_1)
	v_fma_f32 v3, -v3, v9, v11
	v_div_fmas_f32 v3, v3, v5, v9
	s_delay_alu instid0(VALU_DEP_1) | instskip(NEXT) | instid1(VALU_DEP_1)
	v_div_fixup_f32 v3, v3, v94, v95
	v_fmac_f32_e32 v94, v95, v3
	s_delay_alu instid0(VALU_DEP_1) | instskip(SKIP_1) | instid1(VALU_DEP_2)
	v_div_scale_f32 v5, null, v94, v94, 1.0
	v_div_scale_f32 v15, vcc_lo, 1.0, v94, 1.0
	v_rcp_f32_e32 v9, v5
	v_nop
	s_delay_alu instid0(TRANS32_DEP_1) | instskip(NEXT) | instid1(VALU_DEP_1)
	v_fma_f32 v11, -v5, v9, 1.0
	v_fmac_f32_e32 v9, v11, v9
	s_delay_alu instid0(VALU_DEP_1) | instskip(NEXT) | instid1(VALU_DEP_1)
	v_mul_f32_e32 v11, v15, v9
	v_fma_f32 v17, -v5, v11, v15
	s_delay_alu instid0(VALU_DEP_1) | instskip(NEXT) | instid1(VALU_DEP_1)
	v_fmac_f32_e32 v11, v17, v9
	v_fma_f32 v5, -v5, v11, v15
	s_delay_alu instid0(VALU_DEP_1) | instskip(NEXT) | instid1(VALU_DEP_1)
	v_div_fmas_f32 v5, v5, v9, v11
	v_div_fixup_f32 v98, v5, v94, 1.0
	s_delay_alu instid0(VALU_DEP_1)
	v_xor_b32_e32 v96, 0x80000000, v98
	v_mul_f32_e64 v99, v3, -v98
.LBB44_6:
	s_or_b32 exec_lo, exec_lo, s0
	s_delay_alu instid0(VALU_DEP_1)
	v_xor_b32_e32 v97, 0x80000000, v99
	s_mov_b32 s0, 0
	scratch_store_b64 v1, v[98:99], off
	ds_store_b64 v50, v[96:97]
.LBB44_7:
	s_and_b32 vcc_lo, exec_lo, s0
	s_cbranch_vccz .LBB44_9
; %bb.8:
	s_mov_b64 s[0:1], 0xbf800000
	s_wait_xcnt 0x2
	v_mov_b64_e32 v[94:95], s[0:1]
	ds_store_b64 v50, v[94:95]
.LBB44_9:
	v_dual_ashrrev_i32 v3, 31, v2 :: v_dual_ashrrev_i32 v5, 31, v4
	v_dual_ashrrev_i32 v9, 31, v8 :: v_dual_ashrrev_i32 v11, 31, v10
	v_dual_ashrrev_i32 v15, 31, v14 :: v_dual_ashrrev_i32 v17, 31, v16
	v_dual_ashrrev_i32 v19, 31, v18 :: v_dual_ashrrev_i32 v21, 31, v20
	v_dual_ashrrev_i32 v23, 31, v22 :: v_dual_ashrrev_i32 v25, 31, v24
	v_dual_ashrrev_i32 v27, 31, v26 :: v_dual_ashrrev_i32 v29, 31, v28
	v_dual_ashrrev_i32 v31, 31, v30 :: v_dual_ashrrev_i32 v33, 31, v32
	v_dual_ashrrev_i32 v35, 31, v34 :: v_dual_ashrrev_i32 v37, 31, v36
	v_dual_ashrrev_i32 v39, 31, v38 :: v_dual_ashrrev_i32 v41, 31, v40
	v_dual_ashrrev_i32 v43, 31, v42 :: v_dual_ashrrev_i32 v45, 31, v44
	v_dual_ashrrev_i32 v47, 31, v46 :: v_dual_ashrrev_i32 v49, 31, v48
	v_dual_ashrrev_i32 v53, 31, v52 :: v_dual_ashrrev_i32 v55, 31, v54
	v_dual_ashrrev_i32 v57, 31, v56 :: v_dual_ashrrev_i32 v59, 31, v58
	v_dual_ashrrev_i32 v61, 31, v60 :: v_dual_ashrrev_i32 v63, 31, v62
	v_dual_ashrrev_i32 v65, 31, v64 :: v_dual_ashrrev_i32 v67, 31, v66
	v_dual_ashrrev_i32 v69, 31, v68 :: v_dual_ashrrev_i32 v71, 31, v70
	v_dual_ashrrev_i32 v73, 31, v72 :: v_dual_ashrrev_i32 v75, 31, v74
	v_dual_ashrrev_i32 v77, 31, v76 :: v_dual_ashrrev_i32 v79, 31, v78
	v_dual_ashrrev_i32 v81, 31, v80 :: v_dual_ashrrev_i32 v83, 31, v82
	v_dual_ashrrev_i32 v85, 31, v84 :: v_dual_ashrrev_i32 v87, 31, v86
	v_dual_ashrrev_i32 v89, 31, v88 :: v_dual_ashrrev_i32 v91, 31, v90
	v_dual_ashrrev_i32 v93, 31, v92 :: v_dual_mov_b32 v51, v50
	s_wait_xcnt 0x0
	v_add_nc_u32_e32 v1, 0x170, v50
	s_cmp_eq_u32 s4, 0x79
	s_cbranch_scc1 .LBB44_13
; %bb.10:
	scratch_load_b64 v[94:95], off, off offset:344
	v_cmp_eq_u32_e64 s0, 44, v0
	s_movk_i32 s1, 0x50
	s_movk_i32 s2, 0x60
	;; [unrolled: 1-line block ×17, first 2 shown]
	s_wait_loadcnt 0x0
	ds_store_b64 v1, v[94:95]
	s_wait_storecnt_dscnt 0x0
	s_barrier_signal -1
	s_barrier_wait -1
	s_wait_xcnt 0x0
	s_and_saveexec_b32 s4, s0
	s_cbranch_execz .LBB44_17
; %bb.11:
	s_and_b32 vcc_lo, exec_lo, s3
	s_cbranch_vccz .LBB44_14
; %bb.12:
	scratch_load_b64 v[94:95], v51, off
	ds_load_b64 v[96:97], v1
	s_wait_loadcnt_dscnt 0x0
	v_pk_mul_f32 v[98:99], v[96:97], v[94:95] op_sel:[1,1] op_sel_hi:[0,1]
	v_pk_mul_f32 v[100:101], v[96:97], v[94:95] op_sel_hi:[1,0]
	s_delay_alu instid0(VALU_DEP_2) | instskip(NEXT) | instid1(VALU_DEP_2)
	v_pk_fma_f32 v[94:95], v[96:97], v[94:95], v[98:99] op_sel_hi:[1,0,1]
	v_sub_f32_e32 v94, v100, v98
	s_cbranch_execz .LBB44_15
	s_branch .LBB44_16
.LBB44_13:
	s_mov_b32 s1, 0
                                        ; implicit-def: $vgpr126
                                        ; implicit-def: $sgpr4
	s_cbranch_execnz .LBB44_446
	s_branch .LBB44_881
.LBB44_14:
                                        ; implicit-def: $vgpr95
.LBB44_15:
	ds_load_b64 v[94:95], v1
.LBB44_16:
	s_wait_dscnt 0x0
	v_dual_mov_b32 v96, 0 :: v_dual_mov_b32 v98, v95
	v_mov_b32_e32 v99, v94
	ds_load_b64 v[96:97], v96 offset:344
	s_wait_dscnt 0x0
	v_pk_mul_f32 v[98:99], v[98:99], v[96:97] op_sel:[0,1]
	s_delay_alu instid0(VALU_DEP_1) | instskip(SKIP_1) | instid1(VALU_DEP_2)
	v_pk_fma_f32 v[100:101], v[94:95], v[96:97], v[98:99] op_sel_hi:[1,0,1]
	v_pk_fma_f32 v[94:95], v[94:95], v[96:97], v[98:99] neg_lo:[0,0,1] neg_hi:[0,0,1]
	v_mov_b32_e32 v95, v101
	scratch_store_b64 off, v[94:95], off offset:344
.LBB44_17:
	s_wait_xcnt 0x0
	s_or_b32 exec_lo, exec_lo, s4
	scratch_load_b64 v[94:95], off, off offset:336
	s_mov_b32 s11, s2
	v_cmp_lt_u32_e64 s2, 42, v0
	s_mov_b32 s4, 16
	s_mov_b32 s5, 32
	s_mov_b32 s8, 48
	s_mov_b32 s9, 64
	s_mov_b32 s10, s1
	s_wait_loadcnt 0x0
	ds_store_b64 v1, v[94:95]
	s_wait_storecnt_dscnt 0x0
	s_barrier_signal -1
	s_barrier_wait -1
	s_wait_xcnt 0x0
	s_and_saveexec_b32 s1, s2
	s_cbranch_execz .LBB44_25
; %bb.18:
	s_and_not1_b32 vcc_lo, exec_lo, s3
	s_cbranch_vccnz .LBB44_20
; %bb.19:
	scratch_load_b64 v[94:95], v51, off
	ds_load_b64 v[96:97], v1
	s_wait_loadcnt_dscnt 0x0
	v_pk_mul_f32 v[98:99], v[96:97], v[94:95] op_sel:[1,1] op_sel_hi:[0,1]
	s_delay_alu instid0(VALU_DEP_1) | instskip(SKIP_1) | instid1(VALU_DEP_2)
	v_pk_fma_f32 v[100:101], v[96:97], v[94:95], v[98:99] op_sel_hi:[1,0,1]
	v_pk_fma_f32 v[94:95], v[96:97], v[94:95], v[98:99] neg_lo:[0,0,1] neg_hi:[0,0,1]
	v_mov_b32_e32 v95, v101
	s_cbranch_execz .LBB44_21
	s_branch .LBB44_22
.LBB44_20:
                                        ; implicit-def: $vgpr94_vgpr95
.LBB44_21:
	ds_load_b64 v[94:95], v1
.LBB44_22:
	s_and_saveexec_b32 s27, s0
	s_cbranch_execz .LBB44_24
; %bb.23:
	scratch_load_b64 v[96:97], off, off offset:344
	v_mov_b32_e32 v98, 0
	ds_load_b64 v[98:99], v98 offset:712
	s_wait_loadcnt_dscnt 0x0
	v_pk_mul_f32 v[100:101], v[98:99], v[96:97] op_sel:[1,1] op_sel_hi:[0,1]
	s_delay_alu instid0(VALU_DEP_1) | instskip(SKIP_1) | instid1(VALU_DEP_2)
	v_pk_fma_f32 v[102:103], v[98:99], v[96:97], v[100:101] op_sel_hi:[1,0,1]
	v_pk_fma_f32 v[96:97], v[98:99], v[96:97], v[100:101] neg_lo:[0,0,1] neg_hi:[0,0,1]
	v_mov_b32_e32 v97, v103
	s_delay_alu instid0(VALU_DEP_1)
	v_pk_add_f32 v[94:95], v[94:95], v[96:97]
.LBB44_24:
	s_or_b32 exec_lo, exec_lo, s27
	v_mov_b32_e32 v96, 0
	ds_load_b64 v[96:97], v96 offset:336
	s_wait_dscnt 0x0
	v_pk_mul_f32 v[98:99], v[94:95], v[96:97] op_sel:[1,1] op_sel_hi:[0,1]
	s_delay_alu instid0(VALU_DEP_1) | instskip(SKIP_1) | instid1(VALU_DEP_2)
	v_pk_fma_f32 v[100:101], v[94:95], v[96:97], v[98:99] op_sel_hi:[1,0,1]
	v_pk_fma_f32 v[94:95], v[94:95], v[96:97], v[98:99] neg_lo:[0,0,1] neg_hi:[0,0,1]
	v_mov_b32_e32 v95, v101
	scratch_store_b64 off, v[94:95], off offset:336
.LBB44_25:
	s_wait_xcnt 0x0
	s_or_b32 exec_lo, exec_lo, s1
	scratch_load_b64 v[94:95], off, off offset:328
	v_cmp_lt_u32_e64 s1, 41, v0
	s_wait_loadcnt 0x0
	ds_store_b64 v1, v[94:95]
	s_wait_storecnt_dscnt 0x0
	s_barrier_signal -1
	s_barrier_wait -1
	s_wait_xcnt 0x0
	s_and_saveexec_b32 s0, s1
	s_cbranch_execz .LBB44_35
; %bb.26:
	s_and_not1_b32 vcc_lo, exec_lo, s3
	s_cbranch_vccnz .LBB44_28
; %bb.27:
	scratch_load_b64 v[94:95], v51, off
	ds_load_b64 v[96:97], v1
	s_wait_loadcnt_dscnt 0x0
	v_pk_mul_f32 v[98:99], v[96:97], v[94:95] op_sel:[1,1] op_sel_hi:[0,1]
	s_delay_alu instid0(VALU_DEP_1) | instskip(SKIP_1) | instid1(VALU_DEP_2)
	v_pk_fma_f32 v[100:101], v[96:97], v[94:95], v[98:99] op_sel_hi:[1,0,1]
	v_pk_fma_f32 v[94:95], v[96:97], v[94:95], v[98:99] neg_lo:[0,0,1] neg_hi:[0,0,1]
	v_mov_b32_e32 v95, v101
	s_cbranch_execz .LBB44_29
	s_branch .LBB44_30
.LBB44_28:
                                        ; implicit-def: $vgpr94_vgpr95
.LBB44_29:
	ds_load_b64 v[94:95], v1
.LBB44_30:
	s_and_saveexec_b32 s27, s2
	s_cbranch_execz .LBB44_34
; %bb.31:
	v_subrev_nc_u32_e32 v96, 42, v0
	s_movk_i32 s28, 0x2c0
	s_mov_b32 s2, 0
.LBB44_32:                              ; =>This Inner Loop Header: Depth=1
	scratch_load_b64 v[98:99], off, s26
	v_dual_mov_b32 v97, s28 :: v_dual_add_nc_u32 v96, -1, v96
	s_add_co_i32 s28, s28, 8
	s_wait_xcnt 0x0
	s_add_co_i32 s26, s26, 8
	ds_load_b64 v[100:101], v97
	v_cmp_eq_u32_e32 vcc_lo, 0, v96
	s_or_b32 s2, vcc_lo, s2
	s_wait_loadcnt_dscnt 0x0
	v_pk_mul_f32 v[102:103], v[100:101], v[98:99] op_sel:[1,1] op_sel_hi:[0,1]
	s_delay_alu instid0(VALU_DEP_1) | instskip(SKIP_1) | instid1(VALU_DEP_2)
	v_pk_fma_f32 v[104:105], v[100:101], v[98:99], v[102:103] op_sel_hi:[1,0,1]
	v_pk_fma_f32 v[98:99], v[100:101], v[98:99], v[102:103] neg_lo:[0,0,1] neg_hi:[0,0,1]
	v_mov_b32_e32 v99, v105
	s_delay_alu instid0(VALU_DEP_1)
	v_pk_add_f32 v[94:95], v[94:95], v[98:99]
	s_and_not1_b32 exec_lo, exec_lo, s2
	s_cbranch_execnz .LBB44_32
; %bb.33:
	s_or_b32 exec_lo, exec_lo, s2
.LBB44_34:
	s_delay_alu instid0(SALU_CYCLE_1) | instskip(SKIP_4) | instid1(VALU_DEP_1)
	s_or_b32 exec_lo, exec_lo, s27
	v_mov_b32_e32 v96, 0
	ds_load_b64 v[96:97], v96 offset:328
	s_wait_dscnt 0x0
	v_pk_mul_f32 v[98:99], v[94:95], v[96:97] op_sel:[1,1] op_sel_hi:[0,1]
	v_pk_fma_f32 v[100:101], v[94:95], v[96:97], v[98:99] op_sel_hi:[1,0,1]
	v_pk_fma_f32 v[94:95], v[94:95], v[96:97], v[98:99] neg_lo:[0,0,1] neg_hi:[0,0,1]
	s_delay_alu instid0(VALU_DEP_2)
	v_mov_b32_e32 v95, v101
	scratch_store_b64 off, v[94:95], off offset:328
.LBB44_35:
	s_wait_xcnt 0x0
	s_or_b32 exec_lo, exec_lo, s0
	scratch_load_b64 v[94:95], off, off offset:320
	v_cmp_lt_u32_e64 s0, 40, v0
	s_wait_loadcnt 0x0
	ds_store_b64 v1, v[94:95]
	s_wait_storecnt_dscnt 0x0
	s_barrier_signal -1
	s_barrier_wait -1
	s_wait_xcnt 0x0
	s_and_saveexec_b32 s2, s0
	s_cbranch_execz .LBB44_45
; %bb.36:
	s_and_not1_b32 vcc_lo, exec_lo, s3
	s_cbranch_vccnz .LBB44_38
; %bb.37:
	scratch_load_b64 v[94:95], v51, off
	ds_load_b64 v[96:97], v1
	s_wait_loadcnt_dscnt 0x0
	v_pk_mul_f32 v[98:99], v[96:97], v[94:95] op_sel:[1,1] op_sel_hi:[0,1]
	s_delay_alu instid0(VALU_DEP_1) | instskip(SKIP_1) | instid1(VALU_DEP_2)
	v_pk_fma_f32 v[100:101], v[96:97], v[94:95], v[98:99] op_sel_hi:[1,0,1]
	v_pk_fma_f32 v[94:95], v[96:97], v[94:95], v[98:99] neg_lo:[0,0,1] neg_hi:[0,0,1]
	v_mov_b32_e32 v95, v101
	s_cbranch_execz .LBB44_39
	s_branch .LBB44_40
.LBB44_38:
                                        ; implicit-def: $vgpr94_vgpr95
.LBB44_39:
	ds_load_b64 v[94:95], v1
.LBB44_40:
	s_and_saveexec_b32 s26, s1
	s_cbranch_execz .LBB44_44
; %bb.41:
	v_subrev_nc_u32_e32 v96, 41, v0
	s_movk_i32 s1, 0x148
	s_movk_i32 s28, 0x2b8
	s_mov_b32 s27, 0
.LBB44_42:                              ; =>This Inner Loop Header: Depth=1
	scratch_load_b64 v[98:99], off, s1
	v_dual_mov_b32 v97, s28 :: v_dual_add_nc_u32 v96, -1, v96
	s_add_co_i32 s28, s28, 8
	s_wait_xcnt 0x0
	s_add_co_i32 s1, s1, 8
	ds_load_b64 v[100:101], v97
	v_cmp_eq_u32_e32 vcc_lo, 0, v96
	s_or_b32 s27, vcc_lo, s27
	s_wait_loadcnt_dscnt 0x0
	v_pk_mul_f32 v[102:103], v[100:101], v[98:99] op_sel:[1,1] op_sel_hi:[0,1]
	s_delay_alu instid0(VALU_DEP_1) | instskip(SKIP_1) | instid1(VALU_DEP_2)
	v_pk_fma_f32 v[104:105], v[100:101], v[98:99], v[102:103] op_sel_hi:[1,0,1]
	v_pk_fma_f32 v[98:99], v[100:101], v[98:99], v[102:103] neg_lo:[0,0,1] neg_hi:[0,0,1]
	v_mov_b32_e32 v99, v105
	s_delay_alu instid0(VALU_DEP_1)
	v_pk_add_f32 v[94:95], v[94:95], v[98:99]
	s_and_not1_b32 exec_lo, exec_lo, s27
	s_cbranch_execnz .LBB44_42
; %bb.43:
	s_or_b32 exec_lo, exec_lo, s27
.LBB44_44:
	s_delay_alu instid0(SALU_CYCLE_1) | instskip(SKIP_4) | instid1(VALU_DEP_1)
	s_or_b32 exec_lo, exec_lo, s26
	v_mov_b32_e32 v96, 0
	ds_load_b64 v[96:97], v96 offset:320
	s_wait_dscnt 0x0
	v_pk_mul_f32 v[98:99], v[94:95], v[96:97] op_sel:[1,1] op_sel_hi:[0,1]
	v_pk_fma_f32 v[100:101], v[94:95], v[96:97], v[98:99] op_sel_hi:[1,0,1]
	v_pk_fma_f32 v[94:95], v[94:95], v[96:97], v[98:99] neg_lo:[0,0,1] neg_hi:[0,0,1]
	s_delay_alu instid0(VALU_DEP_2)
	v_mov_b32_e32 v95, v101
	scratch_store_b64 off, v[94:95], off offset:320
.LBB44_45:
	s_wait_xcnt 0x0
	s_or_b32 exec_lo, exec_lo, s2
	scratch_load_b64 v[94:95], off, off offset:312
	v_cmp_lt_u32_e64 s1, 39, v0
	s_wait_loadcnt 0x0
	ds_store_b64 v1, v[94:95]
	s_wait_storecnt_dscnt 0x0
	s_barrier_signal -1
	s_barrier_wait -1
	s_wait_xcnt 0x0
	s_and_saveexec_b32 s2, s1
	s_cbranch_execz .LBB44_55
; %bb.46:
	s_and_not1_b32 vcc_lo, exec_lo, s3
	s_cbranch_vccnz .LBB44_48
; %bb.47:
	scratch_load_b64 v[94:95], v51, off
	ds_load_b64 v[96:97], v1
	s_wait_loadcnt_dscnt 0x0
	v_pk_mul_f32 v[98:99], v[96:97], v[94:95] op_sel:[1,1] op_sel_hi:[0,1]
	s_delay_alu instid0(VALU_DEP_1) | instskip(SKIP_1) | instid1(VALU_DEP_2)
	v_pk_fma_f32 v[100:101], v[96:97], v[94:95], v[98:99] op_sel_hi:[1,0,1]
	v_pk_fma_f32 v[94:95], v[96:97], v[94:95], v[98:99] neg_lo:[0,0,1] neg_hi:[0,0,1]
	v_mov_b32_e32 v95, v101
	s_cbranch_execz .LBB44_49
	s_branch .LBB44_50
.LBB44_48:
                                        ; implicit-def: $vgpr94_vgpr95
.LBB44_49:
	ds_load_b64 v[94:95], v1
.LBB44_50:
	s_and_saveexec_b32 s26, s0
	s_cbranch_execz .LBB44_54
; %bb.51:
	v_subrev_nc_u32_e32 v96, 40, v0
	s_movk_i32 s27, 0x2b0
	s_mov_b32 s0, 0
.LBB44_52:                              ; =>This Inner Loop Header: Depth=1
	scratch_load_b64 v[98:99], off, s25
	v_dual_mov_b32 v97, s27 :: v_dual_add_nc_u32 v96, -1, v96
	s_add_co_i32 s27, s27, 8
	s_wait_xcnt 0x0
	s_add_co_i32 s25, s25, 8
	ds_load_b64 v[100:101], v97
	v_cmp_eq_u32_e32 vcc_lo, 0, v96
	s_or_b32 s0, vcc_lo, s0
	s_wait_loadcnt_dscnt 0x0
	v_pk_mul_f32 v[102:103], v[100:101], v[98:99] op_sel:[1,1] op_sel_hi:[0,1]
	s_delay_alu instid0(VALU_DEP_1) | instskip(SKIP_1) | instid1(VALU_DEP_2)
	v_pk_fma_f32 v[104:105], v[100:101], v[98:99], v[102:103] op_sel_hi:[1,0,1]
	v_pk_fma_f32 v[98:99], v[100:101], v[98:99], v[102:103] neg_lo:[0,0,1] neg_hi:[0,0,1]
	v_mov_b32_e32 v99, v105
	s_delay_alu instid0(VALU_DEP_1)
	v_pk_add_f32 v[94:95], v[94:95], v[98:99]
	s_and_not1_b32 exec_lo, exec_lo, s0
	s_cbranch_execnz .LBB44_52
; %bb.53:
	s_or_b32 exec_lo, exec_lo, s0
.LBB44_54:
	s_delay_alu instid0(SALU_CYCLE_1) | instskip(SKIP_4) | instid1(VALU_DEP_1)
	s_or_b32 exec_lo, exec_lo, s26
	v_mov_b32_e32 v96, 0
	ds_load_b64 v[96:97], v96 offset:312
	s_wait_dscnt 0x0
	v_pk_mul_f32 v[98:99], v[94:95], v[96:97] op_sel:[1,1] op_sel_hi:[0,1]
	v_pk_fma_f32 v[100:101], v[94:95], v[96:97], v[98:99] op_sel_hi:[1,0,1]
	v_pk_fma_f32 v[94:95], v[94:95], v[96:97], v[98:99] neg_lo:[0,0,1] neg_hi:[0,0,1]
	s_delay_alu instid0(VALU_DEP_2)
	v_mov_b32_e32 v95, v101
	scratch_store_b64 off, v[94:95], off offset:312
.LBB44_55:
	s_wait_xcnt 0x0
	s_or_b32 exec_lo, exec_lo, s2
	scratch_load_b64 v[94:95], off, off offset:304
	v_cmp_lt_u32_e64 s0, 38, v0
	s_wait_loadcnt 0x0
	ds_store_b64 v1, v[94:95]
	s_wait_storecnt_dscnt 0x0
	s_barrier_signal -1
	s_barrier_wait -1
	s_wait_xcnt 0x0
	s_and_saveexec_b32 s2, s0
	s_cbranch_execz .LBB44_65
; %bb.56:
	s_and_not1_b32 vcc_lo, exec_lo, s3
	s_cbranch_vccnz .LBB44_58
; %bb.57:
	scratch_load_b64 v[94:95], v51, off
	ds_load_b64 v[96:97], v1
	s_wait_loadcnt_dscnt 0x0
	v_pk_mul_f32 v[98:99], v[96:97], v[94:95] op_sel:[1,1] op_sel_hi:[0,1]
	s_delay_alu instid0(VALU_DEP_1) | instskip(SKIP_1) | instid1(VALU_DEP_2)
	v_pk_fma_f32 v[100:101], v[96:97], v[94:95], v[98:99] op_sel_hi:[1,0,1]
	v_pk_fma_f32 v[94:95], v[96:97], v[94:95], v[98:99] neg_lo:[0,0,1] neg_hi:[0,0,1]
	v_mov_b32_e32 v95, v101
	s_cbranch_execz .LBB44_59
	s_branch .LBB44_60
.LBB44_58:
                                        ; implicit-def: $vgpr94_vgpr95
.LBB44_59:
	ds_load_b64 v[94:95], v1
.LBB44_60:
	s_and_saveexec_b32 s25, s1
	s_cbranch_execz .LBB44_64
; %bb.61:
	v_subrev_nc_u32_e32 v96, 39, v0
	s_movk_i32 s1, 0x138
	s_movk_i32 s27, 0x2a8
	s_mov_b32 s26, 0
.LBB44_62:                              ; =>This Inner Loop Header: Depth=1
	scratch_load_b64 v[98:99], off, s1
	v_dual_mov_b32 v97, s27 :: v_dual_add_nc_u32 v96, -1, v96
	s_add_co_i32 s27, s27, 8
	s_wait_xcnt 0x0
	s_add_co_i32 s1, s1, 8
	ds_load_b64 v[100:101], v97
	v_cmp_eq_u32_e32 vcc_lo, 0, v96
	s_or_b32 s26, vcc_lo, s26
	s_wait_loadcnt_dscnt 0x0
	v_pk_mul_f32 v[102:103], v[100:101], v[98:99] op_sel:[1,1] op_sel_hi:[0,1]
	s_delay_alu instid0(VALU_DEP_1) | instskip(SKIP_1) | instid1(VALU_DEP_2)
	v_pk_fma_f32 v[104:105], v[100:101], v[98:99], v[102:103] op_sel_hi:[1,0,1]
	v_pk_fma_f32 v[98:99], v[100:101], v[98:99], v[102:103] neg_lo:[0,0,1] neg_hi:[0,0,1]
	v_mov_b32_e32 v99, v105
	s_delay_alu instid0(VALU_DEP_1)
	v_pk_add_f32 v[94:95], v[94:95], v[98:99]
	s_and_not1_b32 exec_lo, exec_lo, s26
	s_cbranch_execnz .LBB44_62
; %bb.63:
	s_or_b32 exec_lo, exec_lo, s26
.LBB44_64:
	s_delay_alu instid0(SALU_CYCLE_1) | instskip(SKIP_4) | instid1(VALU_DEP_1)
	s_or_b32 exec_lo, exec_lo, s25
	v_mov_b32_e32 v96, 0
	ds_load_b64 v[96:97], v96 offset:304
	s_wait_dscnt 0x0
	v_pk_mul_f32 v[98:99], v[94:95], v[96:97] op_sel:[1,1] op_sel_hi:[0,1]
	v_pk_fma_f32 v[100:101], v[94:95], v[96:97], v[98:99] op_sel_hi:[1,0,1]
	v_pk_fma_f32 v[94:95], v[94:95], v[96:97], v[98:99] neg_lo:[0,0,1] neg_hi:[0,0,1]
	s_delay_alu instid0(VALU_DEP_2)
	v_mov_b32_e32 v95, v101
	scratch_store_b64 off, v[94:95], off offset:304
.LBB44_65:
	s_wait_xcnt 0x0
	s_or_b32 exec_lo, exec_lo, s2
	scratch_load_b64 v[94:95], off, off offset:296
	v_cmp_lt_u32_e64 s1, 37, v0
	s_wait_loadcnt 0x0
	ds_store_b64 v1, v[94:95]
	s_wait_storecnt_dscnt 0x0
	s_barrier_signal -1
	s_barrier_wait -1
	s_wait_xcnt 0x0
	s_and_saveexec_b32 s2, s1
	s_cbranch_execz .LBB44_75
; %bb.66:
	s_and_not1_b32 vcc_lo, exec_lo, s3
	s_cbranch_vccnz .LBB44_68
; %bb.67:
	scratch_load_b64 v[94:95], v51, off
	ds_load_b64 v[96:97], v1
	s_wait_loadcnt_dscnt 0x0
	v_pk_mul_f32 v[98:99], v[96:97], v[94:95] op_sel:[1,1] op_sel_hi:[0,1]
	s_delay_alu instid0(VALU_DEP_1) | instskip(SKIP_1) | instid1(VALU_DEP_2)
	v_pk_fma_f32 v[100:101], v[96:97], v[94:95], v[98:99] op_sel_hi:[1,0,1]
	v_pk_fma_f32 v[94:95], v[96:97], v[94:95], v[98:99] neg_lo:[0,0,1] neg_hi:[0,0,1]
	v_mov_b32_e32 v95, v101
	s_cbranch_execz .LBB44_69
	s_branch .LBB44_70
.LBB44_68:
                                        ; implicit-def: $vgpr94_vgpr95
.LBB44_69:
	ds_load_b64 v[94:95], v1
.LBB44_70:
	s_and_saveexec_b32 s25, s0
	s_cbranch_execz .LBB44_74
; %bb.71:
	v_subrev_nc_u32_e32 v96, 38, v0
	s_movk_i32 s26, 0x2a0
	s_mov_b32 s0, 0
.LBB44_72:                              ; =>This Inner Loop Header: Depth=1
	scratch_load_b64 v[98:99], off, s24
	v_dual_mov_b32 v97, s26 :: v_dual_add_nc_u32 v96, -1, v96
	s_add_co_i32 s26, s26, 8
	s_wait_xcnt 0x0
	s_add_co_i32 s24, s24, 8
	ds_load_b64 v[100:101], v97
	v_cmp_eq_u32_e32 vcc_lo, 0, v96
	s_or_b32 s0, vcc_lo, s0
	s_wait_loadcnt_dscnt 0x0
	v_pk_mul_f32 v[102:103], v[100:101], v[98:99] op_sel:[1,1] op_sel_hi:[0,1]
	s_delay_alu instid0(VALU_DEP_1) | instskip(SKIP_1) | instid1(VALU_DEP_2)
	v_pk_fma_f32 v[104:105], v[100:101], v[98:99], v[102:103] op_sel_hi:[1,0,1]
	v_pk_fma_f32 v[98:99], v[100:101], v[98:99], v[102:103] neg_lo:[0,0,1] neg_hi:[0,0,1]
	v_mov_b32_e32 v99, v105
	s_delay_alu instid0(VALU_DEP_1)
	v_pk_add_f32 v[94:95], v[94:95], v[98:99]
	s_and_not1_b32 exec_lo, exec_lo, s0
	s_cbranch_execnz .LBB44_72
; %bb.73:
	s_or_b32 exec_lo, exec_lo, s0
.LBB44_74:
	s_delay_alu instid0(SALU_CYCLE_1) | instskip(SKIP_4) | instid1(VALU_DEP_1)
	s_or_b32 exec_lo, exec_lo, s25
	v_mov_b32_e32 v96, 0
	ds_load_b64 v[96:97], v96 offset:296
	s_wait_dscnt 0x0
	v_pk_mul_f32 v[98:99], v[94:95], v[96:97] op_sel:[1,1] op_sel_hi:[0,1]
	v_pk_fma_f32 v[100:101], v[94:95], v[96:97], v[98:99] op_sel_hi:[1,0,1]
	v_pk_fma_f32 v[94:95], v[94:95], v[96:97], v[98:99] neg_lo:[0,0,1] neg_hi:[0,0,1]
	s_delay_alu instid0(VALU_DEP_2)
	v_mov_b32_e32 v95, v101
	scratch_store_b64 off, v[94:95], off offset:296
.LBB44_75:
	s_wait_xcnt 0x0
	s_or_b32 exec_lo, exec_lo, s2
	scratch_load_b64 v[94:95], off, off offset:288
	v_cmp_lt_u32_e64 s0, 36, v0
	s_wait_loadcnt 0x0
	ds_store_b64 v1, v[94:95]
	s_wait_storecnt_dscnt 0x0
	s_barrier_signal -1
	s_barrier_wait -1
	s_wait_xcnt 0x0
	s_and_saveexec_b32 s2, s0
	s_cbranch_execz .LBB44_85
; %bb.76:
	s_and_not1_b32 vcc_lo, exec_lo, s3
	s_cbranch_vccnz .LBB44_78
; %bb.77:
	scratch_load_b64 v[94:95], v51, off
	ds_load_b64 v[96:97], v1
	s_wait_loadcnt_dscnt 0x0
	v_pk_mul_f32 v[98:99], v[96:97], v[94:95] op_sel:[1,1] op_sel_hi:[0,1]
	s_delay_alu instid0(VALU_DEP_1) | instskip(SKIP_1) | instid1(VALU_DEP_2)
	v_pk_fma_f32 v[100:101], v[96:97], v[94:95], v[98:99] op_sel_hi:[1,0,1]
	v_pk_fma_f32 v[94:95], v[96:97], v[94:95], v[98:99] neg_lo:[0,0,1] neg_hi:[0,0,1]
	v_mov_b32_e32 v95, v101
	s_cbranch_execz .LBB44_79
	s_branch .LBB44_80
.LBB44_78:
                                        ; implicit-def: $vgpr94_vgpr95
.LBB44_79:
	ds_load_b64 v[94:95], v1
.LBB44_80:
	s_and_saveexec_b32 s24, s1
	s_cbranch_execz .LBB44_84
; %bb.81:
	v_subrev_nc_u32_e32 v96, 37, v0
	s_movk_i32 s1, 0x128
	s_movk_i32 s26, 0x298
	s_mov_b32 s25, 0
.LBB44_82:                              ; =>This Inner Loop Header: Depth=1
	scratch_load_b64 v[98:99], off, s1
	v_dual_mov_b32 v97, s26 :: v_dual_add_nc_u32 v96, -1, v96
	s_add_co_i32 s26, s26, 8
	s_wait_xcnt 0x0
	s_add_co_i32 s1, s1, 8
	ds_load_b64 v[100:101], v97
	v_cmp_eq_u32_e32 vcc_lo, 0, v96
	s_or_b32 s25, vcc_lo, s25
	s_wait_loadcnt_dscnt 0x0
	v_pk_mul_f32 v[102:103], v[100:101], v[98:99] op_sel:[1,1] op_sel_hi:[0,1]
	s_delay_alu instid0(VALU_DEP_1) | instskip(SKIP_1) | instid1(VALU_DEP_2)
	v_pk_fma_f32 v[104:105], v[100:101], v[98:99], v[102:103] op_sel_hi:[1,0,1]
	v_pk_fma_f32 v[98:99], v[100:101], v[98:99], v[102:103] neg_lo:[0,0,1] neg_hi:[0,0,1]
	v_mov_b32_e32 v99, v105
	s_delay_alu instid0(VALU_DEP_1)
	v_pk_add_f32 v[94:95], v[94:95], v[98:99]
	s_and_not1_b32 exec_lo, exec_lo, s25
	s_cbranch_execnz .LBB44_82
; %bb.83:
	s_or_b32 exec_lo, exec_lo, s25
.LBB44_84:
	s_delay_alu instid0(SALU_CYCLE_1) | instskip(SKIP_4) | instid1(VALU_DEP_1)
	s_or_b32 exec_lo, exec_lo, s24
	v_mov_b32_e32 v96, 0
	ds_load_b64 v[96:97], v96 offset:288
	s_wait_dscnt 0x0
	v_pk_mul_f32 v[98:99], v[94:95], v[96:97] op_sel:[1,1] op_sel_hi:[0,1]
	v_pk_fma_f32 v[100:101], v[94:95], v[96:97], v[98:99] op_sel_hi:[1,0,1]
	v_pk_fma_f32 v[94:95], v[94:95], v[96:97], v[98:99] neg_lo:[0,0,1] neg_hi:[0,0,1]
	s_delay_alu instid0(VALU_DEP_2)
	v_mov_b32_e32 v95, v101
	scratch_store_b64 off, v[94:95], off offset:288
.LBB44_85:
	s_wait_xcnt 0x0
	s_or_b32 exec_lo, exec_lo, s2
	scratch_load_b64 v[94:95], off, off offset:280
	v_cmp_lt_u32_e64 s1, 35, v0
	s_wait_loadcnt 0x0
	ds_store_b64 v1, v[94:95]
	s_wait_storecnt_dscnt 0x0
	s_barrier_signal -1
	s_barrier_wait -1
	s_wait_xcnt 0x0
	s_and_saveexec_b32 s2, s1
	s_cbranch_execz .LBB44_95
; %bb.86:
	s_and_not1_b32 vcc_lo, exec_lo, s3
	s_cbranch_vccnz .LBB44_88
; %bb.87:
	scratch_load_b64 v[94:95], v51, off
	ds_load_b64 v[96:97], v1
	s_wait_loadcnt_dscnt 0x0
	v_pk_mul_f32 v[98:99], v[96:97], v[94:95] op_sel:[1,1] op_sel_hi:[0,1]
	s_delay_alu instid0(VALU_DEP_1) | instskip(SKIP_1) | instid1(VALU_DEP_2)
	v_pk_fma_f32 v[100:101], v[96:97], v[94:95], v[98:99] op_sel_hi:[1,0,1]
	v_pk_fma_f32 v[94:95], v[96:97], v[94:95], v[98:99] neg_lo:[0,0,1] neg_hi:[0,0,1]
	v_mov_b32_e32 v95, v101
	s_cbranch_execz .LBB44_89
	s_branch .LBB44_90
.LBB44_88:
                                        ; implicit-def: $vgpr94_vgpr95
.LBB44_89:
	ds_load_b64 v[94:95], v1
.LBB44_90:
	s_and_saveexec_b32 s24, s0
	s_cbranch_execz .LBB44_94
; %bb.91:
	v_subrev_nc_u32_e32 v96, 36, v0
	s_movk_i32 s25, 0x290
	s_mov_b32 s0, 0
.LBB44_92:                              ; =>This Inner Loop Header: Depth=1
	scratch_load_b64 v[98:99], off, s23
	v_dual_mov_b32 v97, s25 :: v_dual_add_nc_u32 v96, -1, v96
	s_add_co_i32 s25, s25, 8
	s_wait_xcnt 0x0
	s_add_co_i32 s23, s23, 8
	ds_load_b64 v[100:101], v97
	v_cmp_eq_u32_e32 vcc_lo, 0, v96
	s_or_b32 s0, vcc_lo, s0
	s_wait_loadcnt_dscnt 0x0
	v_pk_mul_f32 v[102:103], v[100:101], v[98:99] op_sel:[1,1] op_sel_hi:[0,1]
	s_delay_alu instid0(VALU_DEP_1) | instskip(SKIP_1) | instid1(VALU_DEP_2)
	v_pk_fma_f32 v[104:105], v[100:101], v[98:99], v[102:103] op_sel_hi:[1,0,1]
	v_pk_fma_f32 v[98:99], v[100:101], v[98:99], v[102:103] neg_lo:[0,0,1] neg_hi:[0,0,1]
	v_mov_b32_e32 v99, v105
	s_delay_alu instid0(VALU_DEP_1)
	v_pk_add_f32 v[94:95], v[94:95], v[98:99]
	s_and_not1_b32 exec_lo, exec_lo, s0
	s_cbranch_execnz .LBB44_92
; %bb.93:
	s_or_b32 exec_lo, exec_lo, s0
.LBB44_94:
	s_delay_alu instid0(SALU_CYCLE_1) | instskip(SKIP_4) | instid1(VALU_DEP_1)
	s_or_b32 exec_lo, exec_lo, s24
	v_mov_b32_e32 v96, 0
	ds_load_b64 v[96:97], v96 offset:280
	s_wait_dscnt 0x0
	v_pk_mul_f32 v[98:99], v[94:95], v[96:97] op_sel:[1,1] op_sel_hi:[0,1]
	v_pk_fma_f32 v[100:101], v[94:95], v[96:97], v[98:99] op_sel_hi:[1,0,1]
	v_pk_fma_f32 v[94:95], v[94:95], v[96:97], v[98:99] neg_lo:[0,0,1] neg_hi:[0,0,1]
	s_delay_alu instid0(VALU_DEP_2)
	v_mov_b32_e32 v95, v101
	scratch_store_b64 off, v[94:95], off offset:280
.LBB44_95:
	s_wait_xcnt 0x0
	s_or_b32 exec_lo, exec_lo, s2
	scratch_load_b64 v[94:95], off, off offset:272
	v_cmp_lt_u32_e64 s0, 34, v0
	s_wait_loadcnt 0x0
	ds_store_b64 v1, v[94:95]
	s_wait_storecnt_dscnt 0x0
	s_barrier_signal -1
	s_barrier_wait -1
	s_wait_xcnt 0x0
	s_and_saveexec_b32 s2, s0
	s_cbranch_execz .LBB44_105
; %bb.96:
	s_and_not1_b32 vcc_lo, exec_lo, s3
	s_cbranch_vccnz .LBB44_98
; %bb.97:
	scratch_load_b64 v[94:95], v51, off
	ds_load_b64 v[96:97], v1
	s_wait_loadcnt_dscnt 0x0
	v_pk_mul_f32 v[98:99], v[96:97], v[94:95] op_sel:[1,1] op_sel_hi:[0,1]
	s_delay_alu instid0(VALU_DEP_1) | instskip(SKIP_1) | instid1(VALU_DEP_2)
	v_pk_fma_f32 v[100:101], v[96:97], v[94:95], v[98:99] op_sel_hi:[1,0,1]
	v_pk_fma_f32 v[94:95], v[96:97], v[94:95], v[98:99] neg_lo:[0,0,1] neg_hi:[0,0,1]
	v_mov_b32_e32 v95, v101
	s_cbranch_execz .LBB44_99
	s_branch .LBB44_100
.LBB44_98:
                                        ; implicit-def: $vgpr94_vgpr95
.LBB44_99:
	ds_load_b64 v[94:95], v1
.LBB44_100:
	s_and_saveexec_b32 s23, s1
	s_cbranch_execz .LBB44_104
; %bb.101:
	v_subrev_nc_u32_e32 v96, 35, v0
	s_movk_i32 s1, 0x118
	s_movk_i32 s25, 0x288
	s_mov_b32 s24, 0
.LBB44_102:                             ; =>This Inner Loop Header: Depth=1
	scratch_load_b64 v[98:99], off, s1
	v_dual_mov_b32 v97, s25 :: v_dual_add_nc_u32 v96, -1, v96
	s_add_co_i32 s25, s25, 8
	s_wait_xcnt 0x0
	s_add_co_i32 s1, s1, 8
	ds_load_b64 v[100:101], v97
	v_cmp_eq_u32_e32 vcc_lo, 0, v96
	s_or_b32 s24, vcc_lo, s24
	s_wait_loadcnt_dscnt 0x0
	v_pk_mul_f32 v[102:103], v[100:101], v[98:99] op_sel:[1,1] op_sel_hi:[0,1]
	s_delay_alu instid0(VALU_DEP_1) | instskip(SKIP_1) | instid1(VALU_DEP_2)
	v_pk_fma_f32 v[104:105], v[100:101], v[98:99], v[102:103] op_sel_hi:[1,0,1]
	v_pk_fma_f32 v[98:99], v[100:101], v[98:99], v[102:103] neg_lo:[0,0,1] neg_hi:[0,0,1]
	v_mov_b32_e32 v99, v105
	s_delay_alu instid0(VALU_DEP_1)
	v_pk_add_f32 v[94:95], v[94:95], v[98:99]
	s_and_not1_b32 exec_lo, exec_lo, s24
	s_cbranch_execnz .LBB44_102
; %bb.103:
	s_or_b32 exec_lo, exec_lo, s24
.LBB44_104:
	s_delay_alu instid0(SALU_CYCLE_1) | instskip(SKIP_4) | instid1(VALU_DEP_1)
	s_or_b32 exec_lo, exec_lo, s23
	v_mov_b32_e32 v96, 0
	ds_load_b64 v[96:97], v96 offset:272
	s_wait_dscnt 0x0
	v_pk_mul_f32 v[98:99], v[94:95], v[96:97] op_sel:[1,1] op_sel_hi:[0,1]
	v_pk_fma_f32 v[100:101], v[94:95], v[96:97], v[98:99] op_sel_hi:[1,0,1]
	v_pk_fma_f32 v[94:95], v[94:95], v[96:97], v[98:99] neg_lo:[0,0,1] neg_hi:[0,0,1]
	s_delay_alu instid0(VALU_DEP_2)
	v_mov_b32_e32 v95, v101
	scratch_store_b64 off, v[94:95], off offset:272
.LBB44_105:
	s_wait_xcnt 0x0
	s_or_b32 exec_lo, exec_lo, s2
	scratch_load_b64 v[94:95], off, off offset:264
	v_cmp_lt_u32_e64 s1, 33, v0
	s_wait_loadcnt 0x0
	ds_store_b64 v1, v[94:95]
	s_wait_storecnt_dscnt 0x0
	s_barrier_signal -1
	s_barrier_wait -1
	s_wait_xcnt 0x0
	s_and_saveexec_b32 s2, s1
	s_cbranch_execz .LBB44_115
; %bb.106:
	s_and_not1_b32 vcc_lo, exec_lo, s3
	s_cbranch_vccnz .LBB44_108
; %bb.107:
	scratch_load_b64 v[94:95], v51, off
	ds_load_b64 v[96:97], v1
	s_wait_loadcnt_dscnt 0x0
	v_pk_mul_f32 v[98:99], v[96:97], v[94:95] op_sel:[1,1] op_sel_hi:[0,1]
	s_delay_alu instid0(VALU_DEP_1) | instskip(SKIP_1) | instid1(VALU_DEP_2)
	v_pk_fma_f32 v[100:101], v[96:97], v[94:95], v[98:99] op_sel_hi:[1,0,1]
	v_pk_fma_f32 v[94:95], v[96:97], v[94:95], v[98:99] neg_lo:[0,0,1] neg_hi:[0,0,1]
	v_mov_b32_e32 v95, v101
	s_cbranch_execz .LBB44_109
	s_branch .LBB44_110
.LBB44_108:
                                        ; implicit-def: $vgpr94_vgpr95
.LBB44_109:
	ds_load_b64 v[94:95], v1
.LBB44_110:
	s_and_saveexec_b32 s23, s0
	s_cbranch_execz .LBB44_114
; %bb.111:
	v_subrev_nc_u32_e32 v96, 34, v0
	s_movk_i32 s24, 0x280
	s_mov_b32 s0, 0
.LBB44_112:                             ; =>This Inner Loop Header: Depth=1
	scratch_load_b64 v[98:99], off, s22
	v_dual_mov_b32 v97, s24 :: v_dual_add_nc_u32 v96, -1, v96
	s_add_co_i32 s24, s24, 8
	s_wait_xcnt 0x0
	s_add_co_i32 s22, s22, 8
	ds_load_b64 v[100:101], v97
	v_cmp_eq_u32_e32 vcc_lo, 0, v96
	s_or_b32 s0, vcc_lo, s0
	s_wait_loadcnt_dscnt 0x0
	v_pk_mul_f32 v[102:103], v[100:101], v[98:99] op_sel:[1,1] op_sel_hi:[0,1]
	s_delay_alu instid0(VALU_DEP_1) | instskip(SKIP_1) | instid1(VALU_DEP_2)
	v_pk_fma_f32 v[104:105], v[100:101], v[98:99], v[102:103] op_sel_hi:[1,0,1]
	v_pk_fma_f32 v[98:99], v[100:101], v[98:99], v[102:103] neg_lo:[0,0,1] neg_hi:[0,0,1]
	v_mov_b32_e32 v99, v105
	s_delay_alu instid0(VALU_DEP_1)
	v_pk_add_f32 v[94:95], v[94:95], v[98:99]
	s_and_not1_b32 exec_lo, exec_lo, s0
	s_cbranch_execnz .LBB44_112
; %bb.113:
	s_or_b32 exec_lo, exec_lo, s0
.LBB44_114:
	s_delay_alu instid0(SALU_CYCLE_1) | instskip(SKIP_4) | instid1(VALU_DEP_1)
	s_or_b32 exec_lo, exec_lo, s23
	v_mov_b32_e32 v96, 0
	ds_load_b64 v[96:97], v96 offset:264
	s_wait_dscnt 0x0
	v_pk_mul_f32 v[98:99], v[94:95], v[96:97] op_sel:[1,1] op_sel_hi:[0,1]
	v_pk_fma_f32 v[100:101], v[94:95], v[96:97], v[98:99] op_sel_hi:[1,0,1]
	v_pk_fma_f32 v[94:95], v[94:95], v[96:97], v[98:99] neg_lo:[0,0,1] neg_hi:[0,0,1]
	s_delay_alu instid0(VALU_DEP_2)
	v_mov_b32_e32 v95, v101
	scratch_store_b64 off, v[94:95], off offset:264
.LBB44_115:
	s_wait_xcnt 0x0
	s_or_b32 exec_lo, exec_lo, s2
	scratch_load_b64 v[94:95], off, off offset:256
	v_cmp_lt_u32_e64 s0, 32, v0
	s_wait_loadcnt 0x0
	ds_store_b64 v1, v[94:95]
	s_wait_storecnt_dscnt 0x0
	s_barrier_signal -1
	s_barrier_wait -1
	s_wait_xcnt 0x0
	s_and_saveexec_b32 s2, s0
	s_cbranch_execz .LBB44_125
; %bb.116:
	s_and_not1_b32 vcc_lo, exec_lo, s3
	s_cbranch_vccnz .LBB44_118
; %bb.117:
	scratch_load_b64 v[94:95], v51, off
	ds_load_b64 v[96:97], v1
	s_wait_loadcnt_dscnt 0x0
	v_pk_mul_f32 v[98:99], v[96:97], v[94:95] op_sel:[1,1] op_sel_hi:[0,1]
	s_delay_alu instid0(VALU_DEP_1) | instskip(SKIP_1) | instid1(VALU_DEP_2)
	v_pk_fma_f32 v[100:101], v[96:97], v[94:95], v[98:99] op_sel_hi:[1,0,1]
	v_pk_fma_f32 v[94:95], v[96:97], v[94:95], v[98:99] neg_lo:[0,0,1] neg_hi:[0,0,1]
	v_mov_b32_e32 v95, v101
	s_cbranch_execz .LBB44_119
	s_branch .LBB44_120
.LBB44_118:
                                        ; implicit-def: $vgpr94_vgpr95
.LBB44_119:
	ds_load_b64 v[94:95], v1
.LBB44_120:
	s_and_saveexec_b32 s22, s1
	s_cbranch_execz .LBB44_124
; %bb.121:
	v_subrev_nc_u32_e32 v96, 33, v0
	s_movk_i32 s1, 0x108
	s_movk_i32 s24, 0x278
	s_mov_b32 s23, 0
.LBB44_122:                             ; =>This Inner Loop Header: Depth=1
	scratch_load_b64 v[98:99], off, s1
	v_dual_mov_b32 v97, s24 :: v_dual_add_nc_u32 v96, -1, v96
	s_add_co_i32 s24, s24, 8
	s_wait_xcnt 0x0
	s_add_co_i32 s1, s1, 8
	ds_load_b64 v[100:101], v97
	v_cmp_eq_u32_e32 vcc_lo, 0, v96
	s_or_b32 s23, vcc_lo, s23
	s_wait_loadcnt_dscnt 0x0
	v_pk_mul_f32 v[102:103], v[100:101], v[98:99] op_sel:[1,1] op_sel_hi:[0,1]
	s_delay_alu instid0(VALU_DEP_1) | instskip(SKIP_1) | instid1(VALU_DEP_2)
	v_pk_fma_f32 v[104:105], v[100:101], v[98:99], v[102:103] op_sel_hi:[1,0,1]
	v_pk_fma_f32 v[98:99], v[100:101], v[98:99], v[102:103] neg_lo:[0,0,1] neg_hi:[0,0,1]
	v_mov_b32_e32 v99, v105
	s_delay_alu instid0(VALU_DEP_1)
	v_pk_add_f32 v[94:95], v[94:95], v[98:99]
	s_and_not1_b32 exec_lo, exec_lo, s23
	s_cbranch_execnz .LBB44_122
; %bb.123:
	s_or_b32 exec_lo, exec_lo, s23
.LBB44_124:
	s_delay_alu instid0(SALU_CYCLE_1) | instskip(SKIP_4) | instid1(VALU_DEP_1)
	s_or_b32 exec_lo, exec_lo, s22
	v_mov_b32_e32 v96, 0
	ds_load_b64 v[96:97], v96 offset:256
	s_wait_dscnt 0x0
	v_pk_mul_f32 v[98:99], v[94:95], v[96:97] op_sel:[1,1] op_sel_hi:[0,1]
	v_pk_fma_f32 v[100:101], v[94:95], v[96:97], v[98:99] op_sel_hi:[1,0,1]
	v_pk_fma_f32 v[94:95], v[94:95], v[96:97], v[98:99] neg_lo:[0,0,1] neg_hi:[0,0,1]
	s_delay_alu instid0(VALU_DEP_2)
	v_mov_b32_e32 v95, v101
	scratch_store_b64 off, v[94:95], off offset:256
.LBB44_125:
	s_wait_xcnt 0x0
	s_or_b32 exec_lo, exec_lo, s2
	scratch_load_b64 v[94:95], off, off offset:248
	v_cmp_lt_u32_e64 s1, 31, v0
	s_wait_loadcnt 0x0
	ds_store_b64 v1, v[94:95]
	s_wait_storecnt_dscnt 0x0
	s_barrier_signal -1
	s_barrier_wait -1
	s_wait_xcnt 0x0
	s_and_saveexec_b32 s2, s1
	s_cbranch_execz .LBB44_135
; %bb.126:
	s_and_not1_b32 vcc_lo, exec_lo, s3
	s_cbranch_vccnz .LBB44_128
; %bb.127:
	scratch_load_b64 v[94:95], v51, off
	ds_load_b64 v[96:97], v1
	s_wait_loadcnt_dscnt 0x0
	v_pk_mul_f32 v[98:99], v[96:97], v[94:95] op_sel:[1,1] op_sel_hi:[0,1]
	s_delay_alu instid0(VALU_DEP_1) | instskip(SKIP_1) | instid1(VALU_DEP_2)
	v_pk_fma_f32 v[100:101], v[96:97], v[94:95], v[98:99] op_sel_hi:[1,0,1]
	v_pk_fma_f32 v[94:95], v[96:97], v[94:95], v[98:99] neg_lo:[0,0,1] neg_hi:[0,0,1]
	v_mov_b32_e32 v95, v101
	s_cbranch_execz .LBB44_129
	s_branch .LBB44_130
.LBB44_128:
                                        ; implicit-def: $vgpr94_vgpr95
.LBB44_129:
	ds_load_b64 v[94:95], v1
.LBB44_130:
	s_and_saveexec_b32 s22, s0
	s_cbranch_execz .LBB44_134
; %bb.131:
	v_subrev_nc_u32_e32 v96, 32, v0
	s_movk_i32 s23, 0x270
	s_mov_b32 s0, 0
.LBB44_132:                             ; =>This Inner Loop Header: Depth=1
	scratch_load_b64 v[98:99], off, s21
	v_dual_mov_b32 v97, s23 :: v_dual_add_nc_u32 v96, -1, v96
	s_add_co_i32 s23, s23, 8
	s_wait_xcnt 0x0
	s_add_co_i32 s21, s21, 8
	ds_load_b64 v[100:101], v97
	v_cmp_eq_u32_e32 vcc_lo, 0, v96
	s_or_b32 s0, vcc_lo, s0
	s_wait_loadcnt_dscnt 0x0
	v_pk_mul_f32 v[102:103], v[100:101], v[98:99] op_sel:[1,1] op_sel_hi:[0,1]
	s_delay_alu instid0(VALU_DEP_1) | instskip(SKIP_1) | instid1(VALU_DEP_2)
	v_pk_fma_f32 v[104:105], v[100:101], v[98:99], v[102:103] op_sel_hi:[1,0,1]
	v_pk_fma_f32 v[98:99], v[100:101], v[98:99], v[102:103] neg_lo:[0,0,1] neg_hi:[0,0,1]
	v_mov_b32_e32 v99, v105
	s_delay_alu instid0(VALU_DEP_1)
	v_pk_add_f32 v[94:95], v[94:95], v[98:99]
	s_and_not1_b32 exec_lo, exec_lo, s0
	s_cbranch_execnz .LBB44_132
; %bb.133:
	s_or_b32 exec_lo, exec_lo, s0
.LBB44_134:
	s_delay_alu instid0(SALU_CYCLE_1) | instskip(SKIP_4) | instid1(VALU_DEP_1)
	s_or_b32 exec_lo, exec_lo, s22
	v_mov_b32_e32 v96, 0
	ds_load_b64 v[96:97], v96 offset:248
	s_wait_dscnt 0x0
	v_pk_mul_f32 v[98:99], v[94:95], v[96:97] op_sel:[1,1] op_sel_hi:[0,1]
	v_pk_fma_f32 v[100:101], v[94:95], v[96:97], v[98:99] op_sel_hi:[1,0,1]
	v_pk_fma_f32 v[94:95], v[94:95], v[96:97], v[98:99] neg_lo:[0,0,1] neg_hi:[0,0,1]
	s_delay_alu instid0(VALU_DEP_2)
	v_mov_b32_e32 v95, v101
	scratch_store_b64 off, v[94:95], off offset:248
.LBB44_135:
	s_wait_xcnt 0x0
	s_or_b32 exec_lo, exec_lo, s2
	scratch_load_b64 v[94:95], off, off offset:240
	v_cmp_lt_u32_e64 s0, 30, v0
	s_wait_loadcnt 0x0
	ds_store_b64 v1, v[94:95]
	s_wait_storecnt_dscnt 0x0
	s_barrier_signal -1
	s_barrier_wait -1
	s_wait_xcnt 0x0
	s_and_saveexec_b32 s2, s0
	s_cbranch_execz .LBB44_145
; %bb.136:
	s_and_not1_b32 vcc_lo, exec_lo, s3
	s_cbranch_vccnz .LBB44_138
; %bb.137:
	scratch_load_b64 v[94:95], v51, off
	ds_load_b64 v[96:97], v1
	s_wait_loadcnt_dscnt 0x0
	v_pk_mul_f32 v[98:99], v[96:97], v[94:95] op_sel:[1,1] op_sel_hi:[0,1]
	s_delay_alu instid0(VALU_DEP_1) | instskip(SKIP_1) | instid1(VALU_DEP_2)
	v_pk_fma_f32 v[100:101], v[96:97], v[94:95], v[98:99] op_sel_hi:[1,0,1]
	v_pk_fma_f32 v[94:95], v[96:97], v[94:95], v[98:99] neg_lo:[0,0,1] neg_hi:[0,0,1]
	v_mov_b32_e32 v95, v101
	s_cbranch_execz .LBB44_139
	s_branch .LBB44_140
.LBB44_138:
                                        ; implicit-def: $vgpr94_vgpr95
.LBB44_139:
	ds_load_b64 v[94:95], v1
.LBB44_140:
	s_and_saveexec_b32 s21, s1
	s_cbranch_execz .LBB44_144
; %bb.141:
	v_subrev_nc_u32_e32 v96, 31, v0
	s_movk_i32 s1, 0xf8
	s_movk_i32 s23, 0x268
	s_mov_b32 s22, 0
.LBB44_142:                             ; =>This Inner Loop Header: Depth=1
	scratch_load_b64 v[98:99], off, s1
	v_dual_mov_b32 v97, s23 :: v_dual_add_nc_u32 v96, -1, v96
	s_add_co_i32 s23, s23, 8
	s_wait_xcnt 0x0
	s_add_co_i32 s1, s1, 8
	ds_load_b64 v[100:101], v97
	v_cmp_eq_u32_e32 vcc_lo, 0, v96
	s_or_b32 s22, vcc_lo, s22
	s_wait_loadcnt_dscnt 0x0
	v_pk_mul_f32 v[102:103], v[100:101], v[98:99] op_sel:[1,1] op_sel_hi:[0,1]
	s_delay_alu instid0(VALU_DEP_1) | instskip(SKIP_1) | instid1(VALU_DEP_2)
	v_pk_fma_f32 v[104:105], v[100:101], v[98:99], v[102:103] op_sel_hi:[1,0,1]
	v_pk_fma_f32 v[98:99], v[100:101], v[98:99], v[102:103] neg_lo:[0,0,1] neg_hi:[0,0,1]
	v_mov_b32_e32 v99, v105
	s_delay_alu instid0(VALU_DEP_1)
	v_pk_add_f32 v[94:95], v[94:95], v[98:99]
	s_and_not1_b32 exec_lo, exec_lo, s22
	s_cbranch_execnz .LBB44_142
; %bb.143:
	s_or_b32 exec_lo, exec_lo, s22
.LBB44_144:
	s_delay_alu instid0(SALU_CYCLE_1) | instskip(SKIP_4) | instid1(VALU_DEP_1)
	s_or_b32 exec_lo, exec_lo, s21
	v_mov_b32_e32 v96, 0
	ds_load_b64 v[96:97], v96 offset:240
	s_wait_dscnt 0x0
	v_pk_mul_f32 v[98:99], v[94:95], v[96:97] op_sel:[1,1] op_sel_hi:[0,1]
	v_pk_fma_f32 v[100:101], v[94:95], v[96:97], v[98:99] op_sel_hi:[1,0,1]
	v_pk_fma_f32 v[94:95], v[94:95], v[96:97], v[98:99] neg_lo:[0,0,1] neg_hi:[0,0,1]
	s_delay_alu instid0(VALU_DEP_2)
	v_mov_b32_e32 v95, v101
	scratch_store_b64 off, v[94:95], off offset:240
.LBB44_145:
	s_wait_xcnt 0x0
	s_or_b32 exec_lo, exec_lo, s2
	scratch_load_b64 v[94:95], off, off offset:232
	v_cmp_lt_u32_e64 s1, 29, v0
	s_wait_loadcnt 0x0
	ds_store_b64 v1, v[94:95]
	s_wait_storecnt_dscnt 0x0
	s_barrier_signal -1
	s_barrier_wait -1
	s_wait_xcnt 0x0
	s_and_saveexec_b32 s2, s1
	s_cbranch_execz .LBB44_155
; %bb.146:
	s_and_not1_b32 vcc_lo, exec_lo, s3
	s_cbranch_vccnz .LBB44_148
; %bb.147:
	scratch_load_b64 v[94:95], v51, off
	ds_load_b64 v[96:97], v1
	s_wait_loadcnt_dscnt 0x0
	v_pk_mul_f32 v[98:99], v[96:97], v[94:95] op_sel:[1,1] op_sel_hi:[0,1]
	s_delay_alu instid0(VALU_DEP_1) | instskip(SKIP_1) | instid1(VALU_DEP_2)
	v_pk_fma_f32 v[100:101], v[96:97], v[94:95], v[98:99] op_sel_hi:[1,0,1]
	v_pk_fma_f32 v[94:95], v[96:97], v[94:95], v[98:99] neg_lo:[0,0,1] neg_hi:[0,0,1]
	v_mov_b32_e32 v95, v101
	s_cbranch_execz .LBB44_149
	s_branch .LBB44_150
.LBB44_148:
                                        ; implicit-def: $vgpr94_vgpr95
.LBB44_149:
	ds_load_b64 v[94:95], v1
.LBB44_150:
	s_and_saveexec_b32 s21, s0
	s_cbranch_execz .LBB44_154
; %bb.151:
	v_subrev_nc_u32_e32 v96, 30, v0
	s_movk_i32 s22, 0x260
	s_mov_b32 s0, 0
.LBB44_152:                             ; =>This Inner Loop Header: Depth=1
	scratch_load_b64 v[98:99], off, s20
	v_dual_mov_b32 v97, s22 :: v_dual_add_nc_u32 v96, -1, v96
	s_add_co_i32 s22, s22, 8
	s_wait_xcnt 0x0
	s_add_co_i32 s20, s20, 8
	ds_load_b64 v[100:101], v97
	v_cmp_eq_u32_e32 vcc_lo, 0, v96
	s_or_b32 s0, vcc_lo, s0
	s_wait_loadcnt_dscnt 0x0
	v_pk_mul_f32 v[102:103], v[100:101], v[98:99] op_sel:[1,1] op_sel_hi:[0,1]
	s_delay_alu instid0(VALU_DEP_1) | instskip(SKIP_1) | instid1(VALU_DEP_2)
	v_pk_fma_f32 v[104:105], v[100:101], v[98:99], v[102:103] op_sel_hi:[1,0,1]
	v_pk_fma_f32 v[98:99], v[100:101], v[98:99], v[102:103] neg_lo:[0,0,1] neg_hi:[0,0,1]
	v_mov_b32_e32 v99, v105
	s_delay_alu instid0(VALU_DEP_1)
	v_pk_add_f32 v[94:95], v[94:95], v[98:99]
	s_and_not1_b32 exec_lo, exec_lo, s0
	s_cbranch_execnz .LBB44_152
; %bb.153:
	s_or_b32 exec_lo, exec_lo, s0
.LBB44_154:
	s_delay_alu instid0(SALU_CYCLE_1) | instskip(SKIP_4) | instid1(VALU_DEP_1)
	s_or_b32 exec_lo, exec_lo, s21
	v_mov_b32_e32 v96, 0
	ds_load_b64 v[96:97], v96 offset:232
	s_wait_dscnt 0x0
	v_pk_mul_f32 v[98:99], v[94:95], v[96:97] op_sel:[1,1] op_sel_hi:[0,1]
	v_pk_fma_f32 v[100:101], v[94:95], v[96:97], v[98:99] op_sel_hi:[1,0,1]
	v_pk_fma_f32 v[94:95], v[94:95], v[96:97], v[98:99] neg_lo:[0,0,1] neg_hi:[0,0,1]
	s_delay_alu instid0(VALU_DEP_2)
	v_mov_b32_e32 v95, v101
	scratch_store_b64 off, v[94:95], off offset:232
.LBB44_155:
	s_wait_xcnt 0x0
	s_or_b32 exec_lo, exec_lo, s2
	scratch_load_b64 v[94:95], off, off offset:224
	v_cmp_lt_u32_e64 s0, 28, v0
	s_wait_loadcnt 0x0
	ds_store_b64 v1, v[94:95]
	s_wait_storecnt_dscnt 0x0
	s_barrier_signal -1
	s_barrier_wait -1
	s_wait_xcnt 0x0
	s_and_saveexec_b32 s2, s0
	s_cbranch_execz .LBB44_165
; %bb.156:
	s_and_not1_b32 vcc_lo, exec_lo, s3
	s_cbranch_vccnz .LBB44_158
; %bb.157:
	scratch_load_b64 v[94:95], v51, off
	ds_load_b64 v[96:97], v1
	s_wait_loadcnt_dscnt 0x0
	v_pk_mul_f32 v[98:99], v[96:97], v[94:95] op_sel:[1,1] op_sel_hi:[0,1]
	s_delay_alu instid0(VALU_DEP_1) | instskip(SKIP_1) | instid1(VALU_DEP_2)
	v_pk_fma_f32 v[100:101], v[96:97], v[94:95], v[98:99] op_sel_hi:[1,0,1]
	v_pk_fma_f32 v[94:95], v[96:97], v[94:95], v[98:99] neg_lo:[0,0,1] neg_hi:[0,0,1]
	v_mov_b32_e32 v95, v101
	s_cbranch_execz .LBB44_159
	s_branch .LBB44_160
.LBB44_158:
                                        ; implicit-def: $vgpr94_vgpr95
.LBB44_159:
	ds_load_b64 v[94:95], v1
.LBB44_160:
	s_and_saveexec_b32 s20, s1
	s_cbranch_execz .LBB44_164
; %bb.161:
	v_subrev_nc_u32_e32 v96, 29, v0
	s_movk_i32 s1, 0xe8
	s_movk_i32 s22, 0x258
	s_mov_b32 s21, 0
.LBB44_162:                             ; =>This Inner Loop Header: Depth=1
	scratch_load_b64 v[98:99], off, s1
	v_dual_mov_b32 v97, s22 :: v_dual_add_nc_u32 v96, -1, v96
	s_add_co_i32 s22, s22, 8
	s_wait_xcnt 0x0
	s_add_co_i32 s1, s1, 8
	ds_load_b64 v[100:101], v97
	v_cmp_eq_u32_e32 vcc_lo, 0, v96
	s_or_b32 s21, vcc_lo, s21
	s_wait_loadcnt_dscnt 0x0
	v_pk_mul_f32 v[102:103], v[100:101], v[98:99] op_sel:[1,1] op_sel_hi:[0,1]
	s_delay_alu instid0(VALU_DEP_1) | instskip(SKIP_1) | instid1(VALU_DEP_2)
	v_pk_fma_f32 v[104:105], v[100:101], v[98:99], v[102:103] op_sel_hi:[1,0,1]
	v_pk_fma_f32 v[98:99], v[100:101], v[98:99], v[102:103] neg_lo:[0,0,1] neg_hi:[0,0,1]
	v_mov_b32_e32 v99, v105
	s_delay_alu instid0(VALU_DEP_1)
	v_pk_add_f32 v[94:95], v[94:95], v[98:99]
	s_and_not1_b32 exec_lo, exec_lo, s21
	s_cbranch_execnz .LBB44_162
; %bb.163:
	s_or_b32 exec_lo, exec_lo, s21
.LBB44_164:
	s_delay_alu instid0(SALU_CYCLE_1) | instskip(SKIP_4) | instid1(VALU_DEP_1)
	s_or_b32 exec_lo, exec_lo, s20
	v_mov_b32_e32 v96, 0
	ds_load_b64 v[96:97], v96 offset:224
	s_wait_dscnt 0x0
	v_pk_mul_f32 v[98:99], v[94:95], v[96:97] op_sel:[1,1] op_sel_hi:[0,1]
	v_pk_fma_f32 v[100:101], v[94:95], v[96:97], v[98:99] op_sel_hi:[1,0,1]
	v_pk_fma_f32 v[94:95], v[94:95], v[96:97], v[98:99] neg_lo:[0,0,1] neg_hi:[0,0,1]
	s_delay_alu instid0(VALU_DEP_2)
	v_mov_b32_e32 v95, v101
	scratch_store_b64 off, v[94:95], off offset:224
.LBB44_165:
	s_wait_xcnt 0x0
	s_or_b32 exec_lo, exec_lo, s2
	scratch_load_b64 v[94:95], off, off offset:216
	v_cmp_lt_u32_e64 s1, 27, v0
	s_wait_loadcnt 0x0
	ds_store_b64 v1, v[94:95]
	s_wait_storecnt_dscnt 0x0
	s_barrier_signal -1
	s_barrier_wait -1
	s_wait_xcnt 0x0
	s_and_saveexec_b32 s2, s1
	s_cbranch_execz .LBB44_175
; %bb.166:
	s_and_not1_b32 vcc_lo, exec_lo, s3
	s_cbranch_vccnz .LBB44_168
; %bb.167:
	scratch_load_b64 v[94:95], v51, off
	ds_load_b64 v[96:97], v1
	s_wait_loadcnt_dscnt 0x0
	v_pk_mul_f32 v[98:99], v[96:97], v[94:95] op_sel:[1,1] op_sel_hi:[0,1]
	s_delay_alu instid0(VALU_DEP_1) | instskip(SKIP_1) | instid1(VALU_DEP_2)
	v_pk_fma_f32 v[100:101], v[96:97], v[94:95], v[98:99] op_sel_hi:[1,0,1]
	v_pk_fma_f32 v[94:95], v[96:97], v[94:95], v[98:99] neg_lo:[0,0,1] neg_hi:[0,0,1]
	v_mov_b32_e32 v95, v101
	s_cbranch_execz .LBB44_169
	s_branch .LBB44_170
.LBB44_168:
                                        ; implicit-def: $vgpr94_vgpr95
.LBB44_169:
	ds_load_b64 v[94:95], v1
.LBB44_170:
	s_and_saveexec_b32 s20, s0
	s_cbranch_execz .LBB44_174
; %bb.171:
	v_subrev_nc_u32_e32 v96, 28, v0
	s_movk_i32 s21, 0x250
	s_mov_b32 s0, 0
.LBB44_172:                             ; =>This Inner Loop Header: Depth=1
	scratch_load_b64 v[98:99], off, s19
	v_dual_mov_b32 v97, s21 :: v_dual_add_nc_u32 v96, -1, v96
	s_add_co_i32 s21, s21, 8
	s_wait_xcnt 0x0
	s_add_co_i32 s19, s19, 8
	ds_load_b64 v[100:101], v97
	v_cmp_eq_u32_e32 vcc_lo, 0, v96
	s_or_b32 s0, vcc_lo, s0
	s_wait_loadcnt_dscnt 0x0
	v_pk_mul_f32 v[102:103], v[100:101], v[98:99] op_sel:[1,1] op_sel_hi:[0,1]
	s_delay_alu instid0(VALU_DEP_1) | instskip(SKIP_1) | instid1(VALU_DEP_2)
	v_pk_fma_f32 v[104:105], v[100:101], v[98:99], v[102:103] op_sel_hi:[1,0,1]
	v_pk_fma_f32 v[98:99], v[100:101], v[98:99], v[102:103] neg_lo:[0,0,1] neg_hi:[0,0,1]
	v_mov_b32_e32 v99, v105
	s_delay_alu instid0(VALU_DEP_1)
	v_pk_add_f32 v[94:95], v[94:95], v[98:99]
	s_and_not1_b32 exec_lo, exec_lo, s0
	s_cbranch_execnz .LBB44_172
; %bb.173:
	s_or_b32 exec_lo, exec_lo, s0
.LBB44_174:
	s_delay_alu instid0(SALU_CYCLE_1) | instskip(SKIP_4) | instid1(VALU_DEP_1)
	s_or_b32 exec_lo, exec_lo, s20
	v_mov_b32_e32 v96, 0
	ds_load_b64 v[96:97], v96 offset:216
	s_wait_dscnt 0x0
	v_pk_mul_f32 v[98:99], v[94:95], v[96:97] op_sel:[1,1] op_sel_hi:[0,1]
	v_pk_fma_f32 v[100:101], v[94:95], v[96:97], v[98:99] op_sel_hi:[1,0,1]
	v_pk_fma_f32 v[94:95], v[94:95], v[96:97], v[98:99] neg_lo:[0,0,1] neg_hi:[0,0,1]
	s_delay_alu instid0(VALU_DEP_2)
	v_mov_b32_e32 v95, v101
	scratch_store_b64 off, v[94:95], off offset:216
.LBB44_175:
	s_wait_xcnt 0x0
	s_or_b32 exec_lo, exec_lo, s2
	scratch_load_b64 v[94:95], off, off offset:208
	v_cmp_lt_u32_e64 s0, 26, v0
	s_wait_loadcnt 0x0
	ds_store_b64 v1, v[94:95]
	s_wait_storecnt_dscnt 0x0
	s_barrier_signal -1
	s_barrier_wait -1
	s_wait_xcnt 0x0
	s_and_saveexec_b32 s2, s0
	s_cbranch_execz .LBB44_185
; %bb.176:
	s_and_not1_b32 vcc_lo, exec_lo, s3
	s_cbranch_vccnz .LBB44_178
; %bb.177:
	scratch_load_b64 v[94:95], v51, off
	ds_load_b64 v[96:97], v1
	s_wait_loadcnt_dscnt 0x0
	v_pk_mul_f32 v[98:99], v[96:97], v[94:95] op_sel:[1,1] op_sel_hi:[0,1]
	s_delay_alu instid0(VALU_DEP_1) | instskip(SKIP_1) | instid1(VALU_DEP_2)
	v_pk_fma_f32 v[100:101], v[96:97], v[94:95], v[98:99] op_sel_hi:[1,0,1]
	v_pk_fma_f32 v[94:95], v[96:97], v[94:95], v[98:99] neg_lo:[0,0,1] neg_hi:[0,0,1]
	v_mov_b32_e32 v95, v101
	s_cbranch_execz .LBB44_179
	s_branch .LBB44_180
.LBB44_178:
                                        ; implicit-def: $vgpr94_vgpr95
.LBB44_179:
	ds_load_b64 v[94:95], v1
.LBB44_180:
	s_and_saveexec_b32 s19, s1
	s_cbranch_execz .LBB44_184
; %bb.181:
	v_subrev_nc_u32_e32 v96, 27, v0
	s_movk_i32 s1, 0xd8
	s_movk_i32 s21, 0x248
	s_mov_b32 s20, 0
.LBB44_182:                             ; =>This Inner Loop Header: Depth=1
	scratch_load_b64 v[98:99], off, s1
	v_dual_mov_b32 v97, s21 :: v_dual_add_nc_u32 v96, -1, v96
	s_add_co_i32 s21, s21, 8
	s_wait_xcnt 0x0
	s_add_co_i32 s1, s1, 8
	ds_load_b64 v[100:101], v97
	v_cmp_eq_u32_e32 vcc_lo, 0, v96
	s_or_b32 s20, vcc_lo, s20
	s_wait_loadcnt_dscnt 0x0
	v_pk_mul_f32 v[102:103], v[100:101], v[98:99] op_sel:[1,1] op_sel_hi:[0,1]
	s_delay_alu instid0(VALU_DEP_1) | instskip(SKIP_1) | instid1(VALU_DEP_2)
	v_pk_fma_f32 v[104:105], v[100:101], v[98:99], v[102:103] op_sel_hi:[1,0,1]
	v_pk_fma_f32 v[98:99], v[100:101], v[98:99], v[102:103] neg_lo:[0,0,1] neg_hi:[0,0,1]
	v_mov_b32_e32 v99, v105
	s_delay_alu instid0(VALU_DEP_1)
	v_pk_add_f32 v[94:95], v[94:95], v[98:99]
	s_and_not1_b32 exec_lo, exec_lo, s20
	s_cbranch_execnz .LBB44_182
; %bb.183:
	s_or_b32 exec_lo, exec_lo, s20
.LBB44_184:
	s_delay_alu instid0(SALU_CYCLE_1) | instskip(SKIP_4) | instid1(VALU_DEP_1)
	s_or_b32 exec_lo, exec_lo, s19
	v_mov_b32_e32 v96, 0
	ds_load_b64 v[96:97], v96 offset:208
	s_wait_dscnt 0x0
	v_pk_mul_f32 v[98:99], v[94:95], v[96:97] op_sel:[1,1] op_sel_hi:[0,1]
	v_pk_fma_f32 v[100:101], v[94:95], v[96:97], v[98:99] op_sel_hi:[1,0,1]
	v_pk_fma_f32 v[94:95], v[94:95], v[96:97], v[98:99] neg_lo:[0,0,1] neg_hi:[0,0,1]
	s_delay_alu instid0(VALU_DEP_2)
	v_mov_b32_e32 v95, v101
	scratch_store_b64 off, v[94:95], off offset:208
.LBB44_185:
	s_wait_xcnt 0x0
	s_or_b32 exec_lo, exec_lo, s2
	scratch_load_b64 v[94:95], off, off offset:200
	v_cmp_lt_u32_e64 s1, 25, v0
	s_wait_loadcnt 0x0
	ds_store_b64 v1, v[94:95]
	s_wait_storecnt_dscnt 0x0
	s_barrier_signal -1
	s_barrier_wait -1
	s_wait_xcnt 0x0
	s_and_saveexec_b32 s2, s1
	s_cbranch_execz .LBB44_195
; %bb.186:
	s_and_not1_b32 vcc_lo, exec_lo, s3
	s_cbranch_vccnz .LBB44_188
; %bb.187:
	scratch_load_b64 v[94:95], v51, off
	ds_load_b64 v[96:97], v1
	s_wait_loadcnt_dscnt 0x0
	v_pk_mul_f32 v[98:99], v[96:97], v[94:95] op_sel:[1,1] op_sel_hi:[0,1]
	s_delay_alu instid0(VALU_DEP_1) | instskip(SKIP_1) | instid1(VALU_DEP_2)
	v_pk_fma_f32 v[100:101], v[96:97], v[94:95], v[98:99] op_sel_hi:[1,0,1]
	v_pk_fma_f32 v[94:95], v[96:97], v[94:95], v[98:99] neg_lo:[0,0,1] neg_hi:[0,0,1]
	v_mov_b32_e32 v95, v101
	s_cbranch_execz .LBB44_189
	s_branch .LBB44_190
.LBB44_188:
                                        ; implicit-def: $vgpr94_vgpr95
.LBB44_189:
	ds_load_b64 v[94:95], v1
.LBB44_190:
	s_and_saveexec_b32 s19, s0
	s_cbranch_execz .LBB44_194
; %bb.191:
	v_subrev_nc_u32_e32 v96, 26, v0
	s_movk_i32 s20, 0x240
	s_mov_b32 s0, 0
.LBB44_192:                             ; =>This Inner Loop Header: Depth=1
	scratch_load_b64 v[98:99], off, s18
	v_dual_mov_b32 v97, s20 :: v_dual_add_nc_u32 v96, -1, v96
	s_add_co_i32 s20, s20, 8
	s_wait_xcnt 0x0
	s_add_co_i32 s18, s18, 8
	ds_load_b64 v[100:101], v97
	v_cmp_eq_u32_e32 vcc_lo, 0, v96
	s_or_b32 s0, vcc_lo, s0
	s_wait_loadcnt_dscnt 0x0
	v_pk_mul_f32 v[102:103], v[100:101], v[98:99] op_sel:[1,1] op_sel_hi:[0,1]
	s_delay_alu instid0(VALU_DEP_1) | instskip(SKIP_1) | instid1(VALU_DEP_2)
	v_pk_fma_f32 v[104:105], v[100:101], v[98:99], v[102:103] op_sel_hi:[1,0,1]
	v_pk_fma_f32 v[98:99], v[100:101], v[98:99], v[102:103] neg_lo:[0,0,1] neg_hi:[0,0,1]
	v_mov_b32_e32 v99, v105
	s_delay_alu instid0(VALU_DEP_1)
	v_pk_add_f32 v[94:95], v[94:95], v[98:99]
	s_and_not1_b32 exec_lo, exec_lo, s0
	s_cbranch_execnz .LBB44_192
; %bb.193:
	s_or_b32 exec_lo, exec_lo, s0
.LBB44_194:
	s_delay_alu instid0(SALU_CYCLE_1) | instskip(SKIP_4) | instid1(VALU_DEP_1)
	s_or_b32 exec_lo, exec_lo, s19
	v_mov_b32_e32 v96, 0
	ds_load_b64 v[96:97], v96 offset:200
	s_wait_dscnt 0x0
	v_pk_mul_f32 v[98:99], v[94:95], v[96:97] op_sel:[1,1] op_sel_hi:[0,1]
	v_pk_fma_f32 v[100:101], v[94:95], v[96:97], v[98:99] op_sel_hi:[1,0,1]
	v_pk_fma_f32 v[94:95], v[94:95], v[96:97], v[98:99] neg_lo:[0,0,1] neg_hi:[0,0,1]
	s_delay_alu instid0(VALU_DEP_2)
	v_mov_b32_e32 v95, v101
	scratch_store_b64 off, v[94:95], off offset:200
.LBB44_195:
	s_wait_xcnt 0x0
	s_or_b32 exec_lo, exec_lo, s2
	scratch_load_b64 v[94:95], off, off offset:192
	v_cmp_lt_u32_e64 s0, 24, v0
	s_wait_loadcnt 0x0
	ds_store_b64 v1, v[94:95]
	s_wait_storecnt_dscnt 0x0
	s_barrier_signal -1
	s_barrier_wait -1
	s_wait_xcnt 0x0
	s_and_saveexec_b32 s2, s0
	s_cbranch_execz .LBB44_205
; %bb.196:
	s_and_not1_b32 vcc_lo, exec_lo, s3
	s_cbranch_vccnz .LBB44_198
; %bb.197:
	scratch_load_b64 v[94:95], v51, off
	ds_load_b64 v[96:97], v1
	s_wait_loadcnt_dscnt 0x0
	v_pk_mul_f32 v[98:99], v[96:97], v[94:95] op_sel:[1,1] op_sel_hi:[0,1]
	s_delay_alu instid0(VALU_DEP_1) | instskip(SKIP_1) | instid1(VALU_DEP_2)
	v_pk_fma_f32 v[100:101], v[96:97], v[94:95], v[98:99] op_sel_hi:[1,0,1]
	v_pk_fma_f32 v[94:95], v[96:97], v[94:95], v[98:99] neg_lo:[0,0,1] neg_hi:[0,0,1]
	v_mov_b32_e32 v95, v101
	s_cbranch_execz .LBB44_199
	s_branch .LBB44_200
.LBB44_198:
                                        ; implicit-def: $vgpr94_vgpr95
.LBB44_199:
	ds_load_b64 v[94:95], v1
.LBB44_200:
	s_and_saveexec_b32 s18, s1
	s_cbranch_execz .LBB44_204
; %bb.201:
	v_subrev_nc_u32_e32 v96, 25, v0
	s_movk_i32 s1, 0xc8
	s_movk_i32 s20, 0x238
	s_mov_b32 s19, 0
.LBB44_202:                             ; =>This Inner Loop Header: Depth=1
	scratch_load_b64 v[98:99], off, s1
	v_dual_mov_b32 v97, s20 :: v_dual_add_nc_u32 v96, -1, v96
	s_add_co_i32 s20, s20, 8
	s_wait_xcnt 0x0
	s_add_co_i32 s1, s1, 8
	ds_load_b64 v[100:101], v97
	v_cmp_eq_u32_e32 vcc_lo, 0, v96
	s_or_b32 s19, vcc_lo, s19
	s_wait_loadcnt_dscnt 0x0
	v_pk_mul_f32 v[102:103], v[100:101], v[98:99] op_sel:[1,1] op_sel_hi:[0,1]
	s_delay_alu instid0(VALU_DEP_1) | instskip(SKIP_1) | instid1(VALU_DEP_2)
	v_pk_fma_f32 v[104:105], v[100:101], v[98:99], v[102:103] op_sel_hi:[1,0,1]
	v_pk_fma_f32 v[98:99], v[100:101], v[98:99], v[102:103] neg_lo:[0,0,1] neg_hi:[0,0,1]
	v_mov_b32_e32 v99, v105
	s_delay_alu instid0(VALU_DEP_1)
	v_pk_add_f32 v[94:95], v[94:95], v[98:99]
	s_and_not1_b32 exec_lo, exec_lo, s19
	s_cbranch_execnz .LBB44_202
; %bb.203:
	s_or_b32 exec_lo, exec_lo, s19
.LBB44_204:
	s_delay_alu instid0(SALU_CYCLE_1) | instskip(SKIP_4) | instid1(VALU_DEP_1)
	s_or_b32 exec_lo, exec_lo, s18
	v_mov_b32_e32 v96, 0
	ds_load_b64 v[96:97], v96 offset:192
	s_wait_dscnt 0x0
	v_pk_mul_f32 v[98:99], v[94:95], v[96:97] op_sel:[1,1] op_sel_hi:[0,1]
	v_pk_fma_f32 v[100:101], v[94:95], v[96:97], v[98:99] op_sel_hi:[1,0,1]
	v_pk_fma_f32 v[94:95], v[94:95], v[96:97], v[98:99] neg_lo:[0,0,1] neg_hi:[0,0,1]
	s_delay_alu instid0(VALU_DEP_2)
	v_mov_b32_e32 v95, v101
	scratch_store_b64 off, v[94:95], off offset:192
.LBB44_205:
	s_wait_xcnt 0x0
	s_or_b32 exec_lo, exec_lo, s2
	scratch_load_b64 v[94:95], off, off offset:184
	v_cmp_lt_u32_e64 s1, 23, v0
	s_wait_loadcnt 0x0
	ds_store_b64 v1, v[94:95]
	s_wait_storecnt_dscnt 0x0
	s_barrier_signal -1
	s_barrier_wait -1
	s_wait_xcnt 0x0
	s_and_saveexec_b32 s2, s1
	s_cbranch_execz .LBB44_215
; %bb.206:
	s_and_not1_b32 vcc_lo, exec_lo, s3
	s_cbranch_vccnz .LBB44_208
; %bb.207:
	scratch_load_b64 v[94:95], v51, off
	ds_load_b64 v[96:97], v1
	s_wait_loadcnt_dscnt 0x0
	v_pk_mul_f32 v[98:99], v[96:97], v[94:95] op_sel:[1,1] op_sel_hi:[0,1]
	s_delay_alu instid0(VALU_DEP_1) | instskip(SKIP_1) | instid1(VALU_DEP_2)
	v_pk_fma_f32 v[100:101], v[96:97], v[94:95], v[98:99] op_sel_hi:[1,0,1]
	v_pk_fma_f32 v[94:95], v[96:97], v[94:95], v[98:99] neg_lo:[0,0,1] neg_hi:[0,0,1]
	v_mov_b32_e32 v95, v101
	s_cbranch_execz .LBB44_209
	s_branch .LBB44_210
.LBB44_208:
                                        ; implicit-def: $vgpr94_vgpr95
.LBB44_209:
	ds_load_b64 v[94:95], v1
.LBB44_210:
	s_and_saveexec_b32 s18, s0
	s_cbranch_execz .LBB44_214
; %bb.211:
	v_subrev_nc_u32_e32 v96, 24, v0
	s_movk_i32 s19, 0x230
	s_mov_b32 s0, 0
.LBB44_212:                             ; =>This Inner Loop Header: Depth=1
	scratch_load_b64 v[98:99], off, s17
	v_dual_mov_b32 v97, s19 :: v_dual_add_nc_u32 v96, -1, v96
	s_add_co_i32 s19, s19, 8
	s_wait_xcnt 0x0
	s_add_co_i32 s17, s17, 8
	ds_load_b64 v[100:101], v97
	v_cmp_eq_u32_e32 vcc_lo, 0, v96
	s_or_b32 s0, vcc_lo, s0
	s_wait_loadcnt_dscnt 0x0
	v_pk_mul_f32 v[102:103], v[100:101], v[98:99] op_sel:[1,1] op_sel_hi:[0,1]
	s_delay_alu instid0(VALU_DEP_1) | instskip(SKIP_1) | instid1(VALU_DEP_2)
	v_pk_fma_f32 v[104:105], v[100:101], v[98:99], v[102:103] op_sel_hi:[1,0,1]
	v_pk_fma_f32 v[98:99], v[100:101], v[98:99], v[102:103] neg_lo:[0,0,1] neg_hi:[0,0,1]
	v_mov_b32_e32 v99, v105
	s_delay_alu instid0(VALU_DEP_1)
	v_pk_add_f32 v[94:95], v[94:95], v[98:99]
	s_and_not1_b32 exec_lo, exec_lo, s0
	s_cbranch_execnz .LBB44_212
; %bb.213:
	s_or_b32 exec_lo, exec_lo, s0
.LBB44_214:
	s_delay_alu instid0(SALU_CYCLE_1) | instskip(SKIP_4) | instid1(VALU_DEP_1)
	s_or_b32 exec_lo, exec_lo, s18
	v_mov_b32_e32 v96, 0
	ds_load_b64 v[96:97], v96 offset:184
	s_wait_dscnt 0x0
	v_pk_mul_f32 v[98:99], v[94:95], v[96:97] op_sel:[1,1] op_sel_hi:[0,1]
	v_pk_fma_f32 v[100:101], v[94:95], v[96:97], v[98:99] op_sel_hi:[1,0,1]
	v_pk_fma_f32 v[94:95], v[94:95], v[96:97], v[98:99] neg_lo:[0,0,1] neg_hi:[0,0,1]
	s_delay_alu instid0(VALU_DEP_2)
	v_mov_b32_e32 v95, v101
	scratch_store_b64 off, v[94:95], off offset:184
.LBB44_215:
	s_wait_xcnt 0x0
	s_or_b32 exec_lo, exec_lo, s2
	scratch_load_b64 v[94:95], off, off offset:176
	v_cmp_lt_u32_e64 s0, 22, v0
	s_wait_loadcnt 0x0
	ds_store_b64 v1, v[94:95]
	s_wait_storecnt_dscnt 0x0
	s_barrier_signal -1
	s_barrier_wait -1
	s_wait_xcnt 0x0
	s_and_saveexec_b32 s2, s0
	s_cbranch_execz .LBB44_225
; %bb.216:
	s_and_not1_b32 vcc_lo, exec_lo, s3
	s_cbranch_vccnz .LBB44_218
; %bb.217:
	scratch_load_b64 v[94:95], v51, off
	ds_load_b64 v[96:97], v1
	s_wait_loadcnt_dscnt 0x0
	v_pk_mul_f32 v[98:99], v[96:97], v[94:95] op_sel:[1,1] op_sel_hi:[0,1]
	s_delay_alu instid0(VALU_DEP_1) | instskip(SKIP_1) | instid1(VALU_DEP_2)
	v_pk_fma_f32 v[100:101], v[96:97], v[94:95], v[98:99] op_sel_hi:[1,0,1]
	v_pk_fma_f32 v[94:95], v[96:97], v[94:95], v[98:99] neg_lo:[0,0,1] neg_hi:[0,0,1]
	v_mov_b32_e32 v95, v101
	s_cbranch_execz .LBB44_219
	s_branch .LBB44_220
.LBB44_218:
                                        ; implicit-def: $vgpr94_vgpr95
.LBB44_219:
	ds_load_b64 v[94:95], v1
.LBB44_220:
	s_and_saveexec_b32 s17, s1
	s_cbranch_execz .LBB44_224
; %bb.221:
	v_subrev_nc_u32_e32 v96, 23, v0
	s_movk_i32 s1, 0xb8
	s_movk_i32 s19, 0x228
	s_mov_b32 s18, 0
.LBB44_222:                             ; =>This Inner Loop Header: Depth=1
	scratch_load_b64 v[98:99], off, s1
	v_dual_mov_b32 v97, s19 :: v_dual_add_nc_u32 v96, -1, v96
	s_add_co_i32 s19, s19, 8
	s_wait_xcnt 0x0
	s_add_co_i32 s1, s1, 8
	ds_load_b64 v[100:101], v97
	v_cmp_eq_u32_e32 vcc_lo, 0, v96
	s_or_b32 s18, vcc_lo, s18
	s_wait_loadcnt_dscnt 0x0
	v_pk_mul_f32 v[102:103], v[100:101], v[98:99] op_sel:[1,1] op_sel_hi:[0,1]
	s_delay_alu instid0(VALU_DEP_1) | instskip(SKIP_1) | instid1(VALU_DEP_2)
	v_pk_fma_f32 v[104:105], v[100:101], v[98:99], v[102:103] op_sel_hi:[1,0,1]
	v_pk_fma_f32 v[98:99], v[100:101], v[98:99], v[102:103] neg_lo:[0,0,1] neg_hi:[0,0,1]
	v_mov_b32_e32 v99, v105
	s_delay_alu instid0(VALU_DEP_1)
	v_pk_add_f32 v[94:95], v[94:95], v[98:99]
	s_and_not1_b32 exec_lo, exec_lo, s18
	s_cbranch_execnz .LBB44_222
; %bb.223:
	s_or_b32 exec_lo, exec_lo, s18
.LBB44_224:
	s_delay_alu instid0(SALU_CYCLE_1) | instskip(SKIP_4) | instid1(VALU_DEP_1)
	s_or_b32 exec_lo, exec_lo, s17
	v_mov_b32_e32 v96, 0
	ds_load_b64 v[96:97], v96 offset:176
	s_wait_dscnt 0x0
	v_pk_mul_f32 v[98:99], v[94:95], v[96:97] op_sel:[1,1] op_sel_hi:[0,1]
	v_pk_fma_f32 v[100:101], v[94:95], v[96:97], v[98:99] op_sel_hi:[1,0,1]
	v_pk_fma_f32 v[94:95], v[94:95], v[96:97], v[98:99] neg_lo:[0,0,1] neg_hi:[0,0,1]
	s_delay_alu instid0(VALU_DEP_2)
	v_mov_b32_e32 v95, v101
	scratch_store_b64 off, v[94:95], off offset:176
.LBB44_225:
	s_wait_xcnt 0x0
	s_or_b32 exec_lo, exec_lo, s2
	scratch_load_b64 v[94:95], off, off offset:168
	v_cmp_lt_u32_e64 s1, 21, v0
	s_wait_loadcnt 0x0
	ds_store_b64 v1, v[94:95]
	s_wait_storecnt_dscnt 0x0
	s_barrier_signal -1
	s_barrier_wait -1
	s_wait_xcnt 0x0
	s_and_saveexec_b32 s2, s1
	s_cbranch_execz .LBB44_235
; %bb.226:
	s_and_not1_b32 vcc_lo, exec_lo, s3
	s_cbranch_vccnz .LBB44_228
; %bb.227:
	scratch_load_b64 v[94:95], v51, off
	ds_load_b64 v[96:97], v1
	s_wait_loadcnt_dscnt 0x0
	v_pk_mul_f32 v[98:99], v[96:97], v[94:95] op_sel:[1,1] op_sel_hi:[0,1]
	s_delay_alu instid0(VALU_DEP_1) | instskip(SKIP_1) | instid1(VALU_DEP_2)
	v_pk_fma_f32 v[100:101], v[96:97], v[94:95], v[98:99] op_sel_hi:[1,0,1]
	v_pk_fma_f32 v[94:95], v[96:97], v[94:95], v[98:99] neg_lo:[0,0,1] neg_hi:[0,0,1]
	v_mov_b32_e32 v95, v101
	s_cbranch_execz .LBB44_229
	s_branch .LBB44_230
.LBB44_228:
                                        ; implicit-def: $vgpr94_vgpr95
.LBB44_229:
	ds_load_b64 v[94:95], v1
.LBB44_230:
	s_and_saveexec_b32 s17, s0
	s_cbranch_execz .LBB44_234
; %bb.231:
	v_subrev_nc_u32_e32 v96, 22, v0
	s_movk_i32 s18, 0x220
	s_mov_b32 s0, 0
.LBB44_232:                             ; =>This Inner Loop Header: Depth=1
	scratch_load_b64 v[98:99], off, s16
	v_dual_mov_b32 v97, s18 :: v_dual_add_nc_u32 v96, -1, v96
	s_add_co_i32 s18, s18, 8
	s_wait_xcnt 0x0
	s_add_co_i32 s16, s16, 8
	ds_load_b64 v[100:101], v97
	v_cmp_eq_u32_e32 vcc_lo, 0, v96
	s_or_b32 s0, vcc_lo, s0
	s_wait_loadcnt_dscnt 0x0
	v_pk_mul_f32 v[102:103], v[100:101], v[98:99] op_sel:[1,1] op_sel_hi:[0,1]
	s_delay_alu instid0(VALU_DEP_1) | instskip(SKIP_1) | instid1(VALU_DEP_2)
	v_pk_fma_f32 v[104:105], v[100:101], v[98:99], v[102:103] op_sel_hi:[1,0,1]
	v_pk_fma_f32 v[98:99], v[100:101], v[98:99], v[102:103] neg_lo:[0,0,1] neg_hi:[0,0,1]
	v_mov_b32_e32 v99, v105
	s_delay_alu instid0(VALU_DEP_1)
	v_pk_add_f32 v[94:95], v[94:95], v[98:99]
	s_and_not1_b32 exec_lo, exec_lo, s0
	s_cbranch_execnz .LBB44_232
; %bb.233:
	s_or_b32 exec_lo, exec_lo, s0
.LBB44_234:
	s_delay_alu instid0(SALU_CYCLE_1) | instskip(SKIP_4) | instid1(VALU_DEP_1)
	s_or_b32 exec_lo, exec_lo, s17
	v_mov_b32_e32 v96, 0
	ds_load_b64 v[96:97], v96 offset:168
	s_wait_dscnt 0x0
	v_pk_mul_f32 v[98:99], v[94:95], v[96:97] op_sel:[1,1] op_sel_hi:[0,1]
	v_pk_fma_f32 v[100:101], v[94:95], v[96:97], v[98:99] op_sel_hi:[1,0,1]
	v_pk_fma_f32 v[94:95], v[94:95], v[96:97], v[98:99] neg_lo:[0,0,1] neg_hi:[0,0,1]
	s_delay_alu instid0(VALU_DEP_2)
	v_mov_b32_e32 v95, v101
	scratch_store_b64 off, v[94:95], off offset:168
.LBB44_235:
	s_wait_xcnt 0x0
	s_or_b32 exec_lo, exec_lo, s2
	scratch_load_b64 v[94:95], off, off offset:160
	v_cmp_lt_u32_e64 s0, 20, v0
	s_wait_loadcnt 0x0
	ds_store_b64 v1, v[94:95]
	s_wait_storecnt_dscnt 0x0
	s_barrier_signal -1
	s_barrier_wait -1
	s_wait_xcnt 0x0
	s_and_saveexec_b32 s2, s0
	s_cbranch_execz .LBB44_245
; %bb.236:
	s_and_not1_b32 vcc_lo, exec_lo, s3
	s_cbranch_vccnz .LBB44_238
; %bb.237:
	scratch_load_b64 v[94:95], v51, off
	ds_load_b64 v[96:97], v1
	s_wait_loadcnt_dscnt 0x0
	v_pk_mul_f32 v[98:99], v[96:97], v[94:95] op_sel:[1,1] op_sel_hi:[0,1]
	s_delay_alu instid0(VALU_DEP_1) | instskip(SKIP_1) | instid1(VALU_DEP_2)
	v_pk_fma_f32 v[100:101], v[96:97], v[94:95], v[98:99] op_sel_hi:[1,0,1]
	v_pk_fma_f32 v[94:95], v[96:97], v[94:95], v[98:99] neg_lo:[0,0,1] neg_hi:[0,0,1]
	v_mov_b32_e32 v95, v101
	s_cbranch_execz .LBB44_239
	s_branch .LBB44_240
.LBB44_238:
                                        ; implicit-def: $vgpr94_vgpr95
.LBB44_239:
	ds_load_b64 v[94:95], v1
.LBB44_240:
	s_and_saveexec_b32 s16, s1
	s_cbranch_execz .LBB44_244
; %bb.241:
	v_subrev_nc_u32_e32 v96, 21, v0
	s_movk_i32 s1, 0xa8
	s_movk_i32 s18, 0x218
	s_mov_b32 s17, 0
.LBB44_242:                             ; =>This Inner Loop Header: Depth=1
	scratch_load_b64 v[98:99], off, s1
	v_dual_mov_b32 v97, s18 :: v_dual_add_nc_u32 v96, -1, v96
	s_add_co_i32 s18, s18, 8
	s_wait_xcnt 0x0
	s_add_co_i32 s1, s1, 8
	ds_load_b64 v[100:101], v97
	v_cmp_eq_u32_e32 vcc_lo, 0, v96
	s_or_b32 s17, vcc_lo, s17
	s_wait_loadcnt_dscnt 0x0
	v_pk_mul_f32 v[102:103], v[100:101], v[98:99] op_sel:[1,1] op_sel_hi:[0,1]
	s_delay_alu instid0(VALU_DEP_1) | instskip(SKIP_1) | instid1(VALU_DEP_2)
	v_pk_fma_f32 v[104:105], v[100:101], v[98:99], v[102:103] op_sel_hi:[1,0,1]
	v_pk_fma_f32 v[98:99], v[100:101], v[98:99], v[102:103] neg_lo:[0,0,1] neg_hi:[0,0,1]
	v_mov_b32_e32 v99, v105
	s_delay_alu instid0(VALU_DEP_1)
	v_pk_add_f32 v[94:95], v[94:95], v[98:99]
	s_and_not1_b32 exec_lo, exec_lo, s17
	s_cbranch_execnz .LBB44_242
; %bb.243:
	s_or_b32 exec_lo, exec_lo, s17
.LBB44_244:
	s_delay_alu instid0(SALU_CYCLE_1) | instskip(SKIP_4) | instid1(VALU_DEP_1)
	s_or_b32 exec_lo, exec_lo, s16
	v_mov_b32_e32 v96, 0
	ds_load_b64 v[96:97], v96 offset:160
	s_wait_dscnt 0x0
	v_pk_mul_f32 v[98:99], v[94:95], v[96:97] op_sel:[1,1] op_sel_hi:[0,1]
	v_pk_fma_f32 v[100:101], v[94:95], v[96:97], v[98:99] op_sel_hi:[1,0,1]
	v_pk_fma_f32 v[94:95], v[94:95], v[96:97], v[98:99] neg_lo:[0,0,1] neg_hi:[0,0,1]
	s_delay_alu instid0(VALU_DEP_2)
	v_mov_b32_e32 v95, v101
	scratch_store_b64 off, v[94:95], off offset:160
.LBB44_245:
	s_wait_xcnt 0x0
	s_or_b32 exec_lo, exec_lo, s2
	scratch_load_b64 v[94:95], off, off offset:152
	v_cmp_lt_u32_e64 s1, 19, v0
	s_wait_loadcnt 0x0
	ds_store_b64 v1, v[94:95]
	s_wait_storecnt_dscnt 0x0
	s_barrier_signal -1
	s_barrier_wait -1
	s_wait_xcnt 0x0
	s_and_saveexec_b32 s2, s1
	s_cbranch_execz .LBB44_255
; %bb.246:
	s_and_not1_b32 vcc_lo, exec_lo, s3
	s_cbranch_vccnz .LBB44_248
; %bb.247:
	scratch_load_b64 v[94:95], v51, off
	ds_load_b64 v[96:97], v1
	s_wait_loadcnt_dscnt 0x0
	v_pk_mul_f32 v[98:99], v[96:97], v[94:95] op_sel:[1,1] op_sel_hi:[0,1]
	s_delay_alu instid0(VALU_DEP_1) | instskip(SKIP_1) | instid1(VALU_DEP_2)
	v_pk_fma_f32 v[100:101], v[96:97], v[94:95], v[98:99] op_sel_hi:[1,0,1]
	v_pk_fma_f32 v[94:95], v[96:97], v[94:95], v[98:99] neg_lo:[0,0,1] neg_hi:[0,0,1]
	v_mov_b32_e32 v95, v101
	s_cbranch_execz .LBB44_249
	s_branch .LBB44_250
.LBB44_248:
                                        ; implicit-def: $vgpr94_vgpr95
.LBB44_249:
	ds_load_b64 v[94:95], v1
.LBB44_250:
	s_and_saveexec_b32 s16, s0
	s_cbranch_execz .LBB44_254
; %bb.251:
	v_subrev_nc_u32_e32 v96, 20, v0
	s_movk_i32 s17, 0x210
	s_mov_b32 s0, 0
.LBB44_252:                             ; =>This Inner Loop Header: Depth=1
	scratch_load_b64 v[98:99], off, s15
	v_dual_mov_b32 v97, s17 :: v_dual_add_nc_u32 v96, -1, v96
	s_add_co_i32 s17, s17, 8
	s_wait_xcnt 0x0
	s_add_co_i32 s15, s15, 8
	ds_load_b64 v[100:101], v97
	v_cmp_eq_u32_e32 vcc_lo, 0, v96
	s_or_b32 s0, vcc_lo, s0
	s_wait_loadcnt_dscnt 0x0
	v_pk_mul_f32 v[102:103], v[100:101], v[98:99] op_sel:[1,1] op_sel_hi:[0,1]
	s_delay_alu instid0(VALU_DEP_1) | instskip(SKIP_1) | instid1(VALU_DEP_2)
	v_pk_fma_f32 v[104:105], v[100:101], v[98:99], v[102:103] op_sel_hi:[1,0,1]
	v_pk_fma_f32 v[98:99], v[100:101], v[98:99], v[102:103] neg_lo:[0,0,1] neg_hi:[0,0,1]
	v_mov_b32_e32 v99, v105
	s_delay_alu instid0(VALU_DEP_1)
	v_pk_add_f32 v[94:95], v[94:95], v[98:99]
	s_and_not1_b32 exec_lo, exec_lo, s0
	s_cbranch_execnz .LBB44_252
; %bb.253:
	s_or_b32 exec_lo, exec_lo, s0
.LBB44_254:
	s_delay_alu instid0(SALU_CYCLE_1) | instskip(SKIP_4) | instid1(VALU_DEP_1)
	s_or_b32 exec_lo, exec_lo, s16
	v_mov_b32_e32 v96, 0
	ds_load_b64 v[96:97], v96 offset:152
	s_wait_dscnt 0x0
	v_pk_mul_f32 v[98:99], v[94:95], v[96:97] op_sel:[1,1] op_sel_hi:[0,1]
	v_pk_fma_f32 v[100:101], v[94:95], v[96:97], v[98:99] op_sel_hi:[1,0,1]
	v_pk_fma_f32 v[94:95], v[94:95], v[96:97], v[98:99] neg_lo:[0,0,1] neg_hi:[0,0,1]
	s_delay_alu instid0(VALU_DEP_2)
	v_mov_b32_e32 v95, v101
	scratch_store_b64 off, v[94:95], off offset:152
.LBB44_255:
	s_wait_xcnt 0x0
	s_or_b32 exec_lo, exec_lo, s2
	scratch_load_b64 v[94:95], off, off offset:144
	v_cmp_lt_u32_e64 s0, 18, v0
	s_wait_loadcnt 0x0
	ds_store_b64 v1, v[94:95]
	s_wait_storecnt_dscnt 0x0
	s_barrier_signal -1
	s_barrier_wait -1
	s_wait_xcnt 0x0
	s_and_saveexec_b32 s2, s0
	s_cbranch_execz .LBB44_265
; %bb.256:
	s_and_not1_b32 vcc_lo, exec_lo, s3
	s_cbranch_vccnz .LBB44_258
; %bb.257:
	scratch_load_b64 v[94:95], v51, off
	ds_load_b64 v[96:97], v1
	s_wait_loadcnt_dscnt 0x0
	v_pk_mul_f32 v[98:99], v[96:97], v[94:95] op_sel:[1,1] op_sel_hi:[0,1]
	s_delay_alu instid0(VALU_DEP_1) | instskip(SKIP_1) | instid1(VALU_DEP_2)
	v_pk_fma_f32 v[100:101], v[96:97], v[94:95], v[98:99] op_sel_hi:[1,0,1]
	v_pk_fma_f32 v[94:95], v[96:97], v[94:95], v[98:99] neg_lo:[0,0,1] neg_hi:[0,0,1]
	v_mov_b32_e32 v95, v101
	s_cbranch_execz .LBB44_259
	s_branch .LBB44_260
.LBB44_258:
                                        ; implicit-def: $vgpr94_vgpr95
.LBB44_259:
	ds_load_b64 v[94:95], v1
.LBB44_260:
	s_and_saveexec_b32 s15, s1
	s_cbranch_execz .LBB44_264
; %bb.261:
	v_subrev_nc_u32_e32 v96, 19, v0
	s_movk_i32 s1, 0x98
	s_movk_i32 s17, 0x208
	s_mov_b32 s16, 0
.LBB44_262:                             ; =>This Inner Loop Header: Depth=1
	scratch_load_b64 v[98:99], off, s1
	v_dual_mov_b32 v97, s17 :: v_dual_add_nc_u32 v96, -1, v96
	s_add_co_i32 s17, s17, 8
	s_wait_xcnt 0x0
	s_add_co_i32 s1, s1, 8
	ds_load_b64 v[100:101], v97
	v_cmp_eq_u32_e32 vcc_lo, 0, v96
	s_or_b32 s16, vcc_lo, s16
	s_wait_loadcnt_dscnt 0x0
	v_pk_mul_f32 v[102:103], v[100:101], v[98:99] op_sel:[1,1] op_sel_hi:[0,1]
	s_delay_alu instid0(VALU_DEP_1) | instskip(SKIP_1) | instid1(VALU_DEP_2)
	v_pk_fma_f32 v[104:105], v[100:101], v[98:99], v[102:103] op_sel_hi:[1,0,1]
	v_pk_fma_f32 v[98:99], v[100:101], v[98:99], v[102:103] neg_lo:[0,0,1] neg_hi:[0,0,1]
	v_mov_b32_e32 v99, v105
	s_delay_alu instid0(VALU_DEP_1)
	v_pk_add_f32 v[94:95], v[94:95], v[98:99]
	s_and_not1_b32 exec_lo, exec_lo, s16
	s_cbranch_execnz .LBB44_262
; %bb.263:
	s_or_b32 exec_lo, exec_lo, s16
.LBB44_264:
	s_delay_alu instid0(SALU_CYCLE_1) | instskip(SKIP_4) | instid1(VALU_DEP_1)
	s_or_b32 exec_lo, exec_lo, s15
	v_mov_b32_e32 v96, 0
	ds_load_b64 v[96:97], v96 offset:144
	s_wait_dscnt 0x0
	v_pk_mul_f32 v[98:99], v[94:95], v[96:97] op_sel:[1,1] op_sel_hi:[0,1]
	v_pk_fma_f32 v[100:101], v[94:95], v[96:97], v[98:99] op_sel_hi:[1,0,1]
	v_pk_fma_f32 v[94:95], v[94:95], v[96:97], v[98:99] neg_lo:[0,0,1] neg_hi:[0,0,1]
	s_delay_alu instid0(VALU_DEP_2)
	v_mov_b32_e32 v95, v101
	scratch_store_b64 off, v[94:95], off offset:144
.LBB44_265:
	s_wait_xcnt 0x0
	s_or_b32 exec_lo, exec_lo, s2
	scratch_load_b64 v[94:95], off, off offset:136
	v_cmp_lt_u32_e64 s1, 17, v0
	s_wait_loadcnt 0x0
	ds_store_b64 v1, v[94:95]
	s_wait_storecnt_dscnt 0x0
	s_barrier_signal -1
	s_barrier_wait -1
	s_wait_xcnt 0x0
	s_and_saveexec_b32 s2, s1
	s_cbranch_execz .LBB44_275
; %bb.266:
	s_and_not1_b32 vcc_lo, exec_lo, s3
	s_cbranch_vccnz .LBB44_268
; %bb.267:
	scratch_load_b64 v[94:95], v51, off
	ds_load_b64 v[96:97], v1
	s_wait_loadcnt_dscnt 0x0
	v_pk_mul_f32 v[98:99], v[96:97], v[94:95] op_sel:[1,1] op_sel_hi:[0,1]
	s_delay_alu instid0(VALU_DEP_1) | instskip(SKIP_1) | instid1(VALU_DEP_2)
	v_pk_fma_f32 v[100:101], v[96:97], v[94:95], v[98:99] op_sel_hi:[1,0,1]
	v_pk_fma_f32 v[94:95], v[96:97], v[94:95], v[98:99] neg_lo:[0,0,1] neg_hi:[0,0,1]
	v_mov_b32_e32 v95, v101
	s_cbranch_execz .LBB44_269
	s_branch .LBB44_270
.LBB44_268:
                                        ; implicit-def: $vgpr94_vgpr95
.LBB44_269:
	ds_load_b64 v[94:95], v1
.LBB44_270:
	s_and_saveexec_b32 s15, s0
	s_cbranch_execz .LBB44_274
; %bb.271:
	v_subrev_nc_u32_e32 v96, 18, v0
	s_movk_i32 s16, 0x200
	s_mov_b32 s0, 0
.LBB44_272:                             ; =>This Inner Loop Header: Depth=1
	scratch_load_b64 v[98:99], off, s14
	v_dual_mov_b32 v97, s16 :: v_dual_add_nc_u32 v96, -1, v96
	s_add_co_i32 s16, s16, 8
	s_wait_xcnt 0x0
	s_add_co_i32 s14, s14, 8
	ds_load_b64 v[100:101], v97
	v_cmp_eq_u32_e32 vcc_lo, 0, v96
	s_or_b32 s0, vcc_lo, s0
	s_wait_loadcnt_dscnt 0x0
	v_pk_mul_f32 v[102:103], v[100:101], v[98:99] op_sel:[1,1] op_sel_hi:[0,1]
	s_delay_alu instid0(VALU_DEP_1) | instskip(SKIP_1) | instid1(VALU_DEP_2)
	v_pk_fma_f32 v[104:105], v[100:101], v[98:99], v[102:103] op_sel_hi:[1,0,1]
	v_pk_fma_f32 v[98:99], v[100:101], v[98:99], v[102:103] neg_lo:[0,0,1] neg_hi:[0,0,1]
	v_mov_b32_e32 v99, v105
	s_delay_alu instid0(VALU_DEP_1)
	v_pk_add_f32 v[94:95], v[94:95], v[98:99]
	s_and_not1_b32 exec_lo, exec_lo, s0
	s_cbranch_execnz .LBB44_272
; %bb.273:
	s_or_b32 exec_lo, exec_lo, s0
.LBB44_274:
	s_delay_alu instid0(SALU_CYCLE_1) | instskip(SKIP_4) | instid1(VALU_DEP_1)
	s_or_b32 exec_lo, exec_lo, s15
	v_mov_b32_e32 v96, 0
	ds_load_b64 v[96:97], v96 offset:136
	s_wait_dscnt 0x0
	v_pk_mul_f32 v[98:99], v[94:95], v[96:97] op_sel:[1,1] op_sel_hi:[0,1]
	v_pk_fma_f32 v[100:101], v[94:95], v[96:97], v[98:99] op_sel_hi:[1,0,1]
	v_pk_fma_f32 v[94:95], v[94:95], v[96:97], v[98:99] neg_lo:[0,0,1] neg_hi:[0,0,1]
	s_delay_alu instid0(VALU_DEP_2)
	v_mov_b32_e32 v95, v101
	scratch_store_b64 off, v[94:95], off offset:136
.LBB44_275:
	s_wait_xcnt 0x0
	s_or_b32 exec_lo, exec_lo, s2
	scratch_load_b64 v[94:95], off, off offset:128
	v_cmp_lt_u32_e64 s0, 16, v0
	s_wait_loadcnt 0x0
	ds_store_b64 v1, v[94:95]
	s_wait_storecnt_dscnt 0x0
	s_barrier_signal -1
	s_barrier_wait -1
	s_wait_xcnt 0x0
	s_and_saveexec_b32 s2, s0
	s_cbranch_execz .LBB44_285
; %bb.276:
	s_and_not1_b32 vcc_lo, exec_lo, s3
	s_cbranch_vccnz .LBB44_278
; %bb.277:
	scratch_load_b64 v[94:95], v51, off
	ds_load_b64 v[96:97], v1
	s_wait_loadcnt_dscnt 0x0
	v_pk_mul_f32 v[98:99], v[96:97], v[94:95] op_sel:[1,1] op_sel_hi:[0,1]
	s_delay_alu instid0(VALU_DEP_1) | instskip(SKIP_1) | instid1(VALU_DEP_2)
	v_pk_fma_f32 v[100:101], v[96:97], v[94:95], v[98:99] op_sel_hi:[1,0,1]
	v_pk_fma_f32 v[94:95], v[96:97], v[94:95], v[98:99] neg_lo:[0,0,1] neg_hi:[0,0,1]
	v_mov_b32_e32 v95, v101
	s_cbranch_execz .LBB44_279
	s_branch .LBB44_280
.LBB44_278:
                                        ; implicit-def: $vgpr94_vgpr95
.LBB44_279:
	ds_load_b64 v[94:95], v1
.LBB44_280:
	s_and_saveexec_b32 s14, s1
	s_cbranch_execz .LBB44_284
; %bb.281:
	v_subrev_nc_u32_e32 v96, 17, v0
	s_movk_i32 s1, 0x88
	s_movk_i32 s16, 0x1f8
	s_mov_b32 s15, 0
.LBB44_282:                             ; =>This Inner Loop Header: Depth=1
	scratch_load_b64 v[98:99], off, s1
	v_dual_mov_b32 v97, s16 :: v_dual_add_nc_u32 v96, -1, v96
	s_add_co_i32 s16, s16, 8
	s_wait_xcnt 0x0
	s_add_co_i32 s1, s1, 8
	ds_load_b64 v[100:101], v97
	v_cmp_eq_u32_e32 vcc_lo, 0, v96
	s_or_b32 s15, vcc_lo, s15
	s_wait_loadcnt_dscnt 0x0
	v_pk_mul_f32 v[102:103], v[100:101], v[98:99] op_sel:[1,1] op_sel_hi:[0,1]
	s_delay_alu instid0(VALU_DEP_1) | instskip(SKIP_1) | instid1(VALU_DEP_2)
	v_pk_fma_f32 v[104:105], v[100:101], v[98:99], v[102:103] op_sel_hi:[1,0,1]
	v_pk_fma_f32 v[98:99], v[100:101], v[98:99], v[102:103] neg_lo:[0,0,1] neg_hi:[0,0,1]
	v_mov_b32_e32 v99, v105
	s_delay_alu instid0(VALU_DEP_1)
	v_pk_add_f32 v[94:95], v[94:95], v[98:99]
	s_and_not1_b32 exec_lo, exec_lo, s15
	s_cbranch_execnz .LBB44_282
; %bb.283:
	s_or_b32 exec_lo, exec_lo, s15
.LBB44_284:
	s_delay_alu instid0(SALU_CYCLE_1) | instskip(SKIP_4) | instid1(VALU_DEP_1)
	s_or_b32 exec_lo, exec_lo, s14
	v_mov_b32_e32 v96, 0
	ds_load_b64 v[96:97], v96 offset:128
	s_wait_dscnt 0x0
	v_pk_mul_f32 v[98:99], v[94:95], v[96:97] op_sel:[1,1] op_sel_hi:[0,1]
	v_pk_fma_f32 v[100:101], v[94:95], v[96:97], v[98:99] op_sel_hi:[1,0,1]
	v_pk_fma_f32 v[94:95], v[94:95], v[96:97], v[98:99] neg_lo:[0,0,1] neg_hi:[0,0,1]
	s_delay_alu instid0(VALU_DEP_2)
	v_mov_b32_e32 v95, v101
	scratch_store_b64 off, v[94:95], off offset:128
.LBB44_285:
	s_wait_xcnt 0x0
	s_or_b32 exec_lo, exec_lo, s2
	scratch_load_b64 v[94:95], off, off offset:120
	v_cmp_lt_u32_e64 s1, 15, v0
	s_wait_loadcnt 0x0
	ds_store_b64 v1, v[94:95]
	s_wait_storecnt_dscnt 0x0
	s_barrier_signal -1
	s_barrier_wait -1
	s_wait_xcnt 0x0
	s_and_saveexec_b32 s2, s1
	s_cbranch_execz .LBB44_295
; %bb.286:
	s_and_not1_b32 vcc_lo, exec_lo, s3
	s_cbranch_vccnz .LBB44_288
; %bb.287:
	scratch_load_b64 v[94:95], v51, off
	ds_load_b64 v[96:97], v1
	s_wait_loadcnt_dscnt 0x0
	v_pk_mul_f32 v[98:99], v[96:97], v[94:95] op_sel:[1,1] op_sel_hi:[0,1]
	s_delay_alu instid0(VALU_DEP_1) | instskip(SKIP_1) | instid1(VALU_DEP_2)
	v_pk_fma_f32 v[100:101], v[96:97], v[94:95], v[98:99] op_sel_hi:[1,0,1]
	v_pk_fma_f32 v[94:95], v[96:97], v[94:95], v[98:99] neg_lo:[0,0,1] neg_hi:[0,0,1]
	v_mov_b32_e32 v95, v101
	s_cbranch_execz .LBB44_289
	s_branch .LBB44_290
.LBB44_288:
                                        ; implicit-def: $vgpr94_vgpr95
.LBB44_289:
	ds_load_b64 v[94:95], v1
.LBB44_290:
	s_and_saveexec_b32 s14, s0
	s_cbranch_execz .LBB44_294
; %bb.291:
	v_add_nc_u32_e32 v96, -16, v0
	s_movk_i32 s15, 0x1f0
	s_mov_b32 s0, 0
.LBB44_292:                             ; =>This Inner Loop Header: Depth=1
	scratch_load_b64 v[98:99], off, s13
	v_dual_mov_b32 v97, s15 :: v_dual_add_nc_u32 v96, -1, v96
	s_add_co_i32 s15, s15, 8
	s_wait_xcnt 0x0
	s_add_co_i32 s13, s13, 8
	ds_load_b64 v[100:101], v97
	v_cmp_eq_u32_e32 vcc_lo, 0, v96
	s_or_b32 s0, vcc_lo, s0
	s_wait_loadcnt_dscnt 0x0
	v_pk_mul_f32 v[102:103], v[100:101], v[98:99] op_sel:[1,1] op_sel_hi:[0,1]
	s_delay_alu instid0(VALU_DEP_1) | instskip(SKIP_1) | instid1(VALU_DEP_2)
	v_pk_fma_f32 v[104:105], v[100:101], v[98:99], v[102:103] op_sel_hi:[1,0,1]
	v_pk_fma_f32 v[98:99], v[100:101], v[98:99], v[102:103] neg_lo:[0,0,1] neg_hi:[0,0,1]
	v_mov_b32_e32 v99, v105
	s_delay_alu instid0(VALU_DEP_1)
	v_pk_add_f32 v[94:95], v[94:95], v[98:99]
	s_and_not1_b32 exec_lo, exec_lo, s0
	s_cbranch_execnz .LBB44_292
; %bb.293:
	s_or_b32 exec_lo, exec_lo, s0
.LBB44_294:
	s_delay_alu instid0(SALU_CYCLE_1) | instskip(SKIP_4) | instid1(VALU_DEP_1)
	s_or_b32 exec_lo, exec_lo, s14
	v_mov_b32_e32 v96, 0
	ds_load_b64 v[96:97], v96 offset:120
	s_wait_dscnt 0x0
	v_pk_mul_f32 v[98:99], v[94:95], v[96:97] op_sel:[1,1] op_sel_hi:[0,1]
	v_pk_fma_f32 v[100:101], v[94:95], v[96:97], v[98:99] op_sel_hi:[1,0,1]
	v_pk_fma_f32 v[94:95], v[94:95], v[96:97], v[98:99] neg_lo:[0,0,1] neg_hi:[0,0,1]
	s_delay_alu instid0(VALU_DEP_2)
	v_mov_b32_e32 v95, v101
	scratch_store_b64 off, v[94:95], off offset:120
.LBB44_295:
	s_wait_xcnt 0x0
	s_or_b32 exec_lo, exec_lo, s2
	scratch_load_b64 v[94:95], off, off offset:112
	v_cmp_lt_u32_e64 s0, 14, v0
	s_wait_loadcnt 0x0
	ds_store_b64 v1, v[94:95]
	s_wait_storecnt_dscnt 0x0
	s_barrier_signal -1
	s_barrier_wait -1
	s_wait_xcnt 0x0
	s_and_saveexec_b32 s2, s0
	s_cbranch_execz .LBB44_305
; %bb.296:
	s_and_not1_b32 vcc_lo, exec_lo, s3
	s_cbranch_vccnz .LBB44_298
; %bb.297:
	scratch_load_b64 v[94:95], v51, off
	ds_load_b64 v[96:97], v1
	s_wait_loadcnt_dscnt 0x0
	v_pk_mul_f32 v[98:99], v[96:97], v[94:95] op_sel:[1,1] op_sel_hi:[0,1]
	s_delay_alu instid0(VALU_DEP_1) | instskip(SKIP_1) | instid1(VALU_DEP_2)
	v_pk_fma_f32 v[100:101], v[96:97], v[94:95], v[98:99] op_sel_hi:[1,0,1]
	v_pk_fma_f32 v[94:95], v[96:97], v[94:95], v[98:99] neg_lo:[0,0,1] neg_hi:[0,0,1]
	v_mov_b32_e32 v95, v101
	s_cbranch_execz .LBB44_299
	s_branch .LBB44_300
.LBB44_298:
                                        ; implicit-def: $vgpr94_vgpr95
.LBB44_299:
	ds_load_b64 v[94:95], v1
.LBB44_300:
	s_and_saveexec_b32 s13, s1
	s_cbranch_execz .LBB44_304
; %bb.301:
	v_add_nc_u32_e32 v96, -15, v0
	s_movk_i32 s1, 0x78
	s_movk_i32 s15, 0x1e8
	s_mov_b32 s14, 0
.LBB44_302:                             ; =>This Inner Loop Header: Depth=1
	scratch_load_b64 v[98:99], off, s1
	v_dual_mov_b32 v97, s15 :: v_dual_add_nc_u32 v96, -1, v96
	s_add_co_i32 s15, s15, 8
	s_wait_xcnt 0x0
	s_add_co_i32 s1, s1, 8
	ds_load_b64 v[100:101], v97
	v_cmp_eq_u32_e32 vcc_lo, 0, v96
	s_or_b32 s14, vcc_lo, s14
	s_wait_loadcnt_dscnt 0x0
	v_pk_mul_f32 v[102:103], v[100:101], v[98:99] op_sel:[1,1] op_sel_hi:[0,1]
	s_delay_alu instid0(VALU_DEP_1) | instskip(SKIP_1) | instid1(VALU_DEP_2)
	v_pk_fma_f32 v[104:105], v[100:101], v[98:99], v[102:103] op_sel_hi:[1,0,1]
	v_pk_fma_f32 v[98:99], v[100:101], v[98:99], v[102:103] neg_lo:[0,0,1] neg_hi:[0,0,1]
	v_mov_b32_e32 v99, v105
	s_delay_alu instid0(VALU_DEP_1)
	v_pk_add_f32 v[94:95], v[94:95], v[98:99]
	s_and_not1_b32 exec_lo, exec_lo, s14
	s_cbranch_execnz .LBB44_302
; %bb.303:
	s_or_b32 exec_lo, exec_lo, s14
.LBB44_304:
	s_delay_alu instid0(SALU_CYCLE_1) | instskip(SKIP_4) | instid1(VALU_DEP_1)
	s_or_b32 exec_lo, exec_lo, s13
	v_mov_b32_e32 v96, 0
	ds_load_b64 v[96:97], v96 offset:112
	s_wait_dscnt 0x0
	v_pk_mul_f32 v[98:99], v[94:95], v[96:97] op_sel:[1,1] op_sel_hi:[0,1]
	v_pk_fma_f32 v[100:101], v[94:95], v[96:97], v[98:99] op_sel_hi:[1,0,1]
	v_pk_fma_f32 v[94:95], v[94:95], v[96:97], v[98:99] neg_lo:[0,0,1] neg_hi:[0,0,1]
	s_delay_alu instid0(VALU_DEP_2)
	v_mov_b32_e32 v95, v101
	scratch_store_b64 off, v[94:95], off offset:112
.LBB44_305:
	s_wait_xcnt 0x0
	s_or_b32 exec_lo, exec_lo, s2
	scratch_load_b64 v[94:95], off, off offset:104
	v_cmp_lt_u32_e64 s1, 13, v0
	s_wait_loadcnt 0x0
	ds_store_b64 v1, v[94:95]
	s_wait_storecnt_dscnt 0x0
	s_barrier_signal -1
	s_barrier_wait -1
	s_wait_xcnt 0x0
	s_and_saveexec_b32 s2, s1
	s_cbranch_execz .LBB44_315
; %bb.306:
	s_and_not1_b32 vcc_lo, exec_lo, s3
	s_cbranch_vccnz .LBB44_308
; %bb.307:
	scratch_load_b64 v[94:95], v51, off
	ds_load_b64 v[96:97], v1
	s_wait_loadcnt_dscnt 0x0
	v_pk_mul_f32 v[98:99], v[96:97], v[94:95] op_sel:[1,1] op_sel_hi:[0,1]
	s_delay_alu instid0(VALU_DEP_1) | instskip(SKIP_1) | instid1(VALU_DEP_2)
	v_pk_fma_f32 v[100:101], v[96:97], v[94:95], v[98:99] op_sel_hi:[1,0,1]
	v_pk_fma_f32 v[94:95], v[96:97], v[94:95], v[98:99] neg_lo:[0,0,1] neg_hi:[0,0,1]
	v_mov_b32_e32 v95, v101
	s_cbranch_execz .LBB44_309
	s_branch .LBB44_310
.LBB44_308:
                                        ; implicit-def: $vgpr94_vgpr95
.LBB44_309:
	ds_load_b64 v[94:95], v1
.LBB44_310:
	s_and_saveexec_b32 s13, s0
	s_cbranch_execz .LBB44_314
; %bb.311:
	v_add_nc_u32_e32 v96, -14, v0
	s_movk_i32 s14, 0x1e0
	s_mov_b32 s0, 0
.LBB44_312:                             ; =>This Inner Loop Header: Depth=1
	scratch_load_b64 v[98:99], off, s12
	v_dual_mov_b32 v97, s14 :: v_dual_add_nc_u32 v96, -1, v96
	s_add_co_i32 s14, s14, 8
	s_wait_xcnt 0x0
	s_add_co_i32 s12, s12, 8
	ds_load_b64 v[100:101], v97
	v_cmp_eq_u32_e32 vcc_lo, 0, v96
	s_or_b32 s0, vcc_lo, s0
	s_wait_loadcnt_dscnt 0x0
	v_pk_mul_f32 v[102:103], v[100:101], v[98:99] op_sel:[1,1] op_sel_hi:[0,1]
	s_delay_alu instid0(VALU_DEP_1) | instskip(SKIP_1) | instid1(VALU_DEP_2)
	v_pk_fma_f32 v[104:105], v[100:101], v[98:99], v[102:103] op_sel_hi:[1,0,1]
	v_pk_fma_f32 v[98:99], v[100:101], v[98:99], v[102:103] neg_lo:[0,0,1] neg_hi:[0,0,1]
	v_mov_b32_e32 v99, v105
	s_delay_alu instid0(VALU_DEP_1)
	v_pk_add_f32 v[94:95], v[94:95], v[98:99]
	s_and_not1_b32 exec_lo, exec_lo, s0
	s_cbranch_execnz .LBB44_312
; %bb.313:
	s_or_b32 exec_lo, exec_lo, s0
.LBB44_314:
	s_delay_alu instid0(SALU_CYCLE_1) | instskip(SKIP_4) | instid1(VALU_DEP_1)
	s_or_b32 exec_lo, exec_lo, s13
	v_mov_b32_e32 v96, 0
	ds_load_b64 v[96:97], v96 offset:104
	s_wait_dscnt 0x0
	v_pk_mul_f32 v[98:99], v[94:95], v[96:97] op_sel:[1,1] op_sel_hi:[0,1]
	v_pk_fma_f32 v[100:101], v[94:95], v[96:97], v[98:99] op_sel_hi:[1,0,1]
	v_pk_fma_f32 v[94:95], v[94:95], v[96:97], v[98:99] neg_lo:[0,0,1] neg_hi:[0,0,1]
	s_delay_alu instid0(VALU_DEP_2)
	v_mov_b32_e32 v95, v101
	scratch_store_b64 off, v[94:95], off offset:104
.LBB44_315:
	s_wait_xcnt 0x0
	s_or_b32 exec_lo, exec_lo, s2
	scratch_load_b64 v[94:95], off, off offset:96
	v_cmp_lt_u32_e64 s0, 12, v0
	s_wait_loadcnt 0x0
	ds_store_b64 v1, v[94:95]
	s_wait_storecnt_dscnt 0x0
	s_barrier_signal -1
	s_barrier_wait -1
	s_wait_xcnt 0x0
	s_and_saveexec_b32 s2, s0
	s_cbranch_execz .LBB44_325
; %bb.316:
	s_and_not1_b32 vcc_lo, exec_lo, s3
	s_cbranch_vccnz .LBB44_318
; %bb.317:
	scratch_load_b64 v[94:95], v51, off
	ds_load_b64 v[96:97], v1
	s_wait_loadcnt_dscnt 0x0
	v_pk_mul_f32 v[98:99], v[96:97], v[94:95] op_sel:[1,1] op_sel_hi:[0,1]
	s_delay_alu instid0(VALU_DEP_1) | instskip(SKIP_1) | instid1(VALU_DEP_2)
	v_pk_fma_f32 v[100:101], v[96:97], v[94:95], v[98:99] op_sel_hi:[1,0,1]
	v_pk_fma_f32 v[94:95], v[96:97], v[94:95], v[98:99] neg_lo:[0,0,1] neg_hi:[0,0,1]
	v_mov_b32_e32 v95, v101
	s_cbranch_execz .LBB44_319
	s_branch .LBB44_320
.LBB44_318:
                                        ; implicit-def: $vgpr94_vgpr95
.LBB44_319:
	ds_load_b64 v[94:95], v1
.LBB44_320:
	s_and_saveexec_b32 s12, s1
	s_cbranch_execz .LBB44_324
; %bb.321:
	v_add_nc_u32_e32 v96, -13, v0
	s_movk_i32 s1, 0x68
	s_movk_i32 s14, 0x1d8
	s_mov_b32 s13, 0
.LBB44_322:                             ; =>This Inner Loop Header: Depth=1
	scratch_load_b64 v[98:99], off, s1
	v_dual_mov_b32 v97, s14 :: v_dual_add_nc_u32 v96, -1, v96
	s_add_co_i32 s14, s14, 8
	s_wait_xcnt 0x0
	s_add_co_i32 s1, s1, 8
	ds_load_b64 v[100:101], v97
	v_cmp_eq_u32_e32 vcc_lo, 0, v96
	s_or_b32 s13, vcc_lo, s13
	s_wait_loadcnt_dscnt 0x0
	v_pk_mul_f32 v[102:103], v[100:101], v[98:99] op_sel:[1,1] op_sel_hi:[0,1]
	s_delay_alu instid0(VALU_DEP_1) | instskip(SKIP_1) | instid1(VALU_DEP_2)
	v_pk_fma_f32 v[104:105], v[100:101], v[98:99], v[102:103] op_sel_hi:[1,0,1]
	v_pk_fma_f32 v[98:99], v[100:101], v[98:99], v[102:103] neg_lo:[0,0,1] neg_hi:[0,0,1]
	v_mov_b32_e32 v99, v105
	s_delay_alu instid0(VALU_DEP_1)
	v_pk_add_f32 v[94:95], v[94:95], v[98:99]
	s_and_not1_b32 exec_lo, exec_lo, s13
	s_cbranch_execnz .LBB44_322
; %bb.323:
	s_or_b32 exec_lo, exec_lo, s13
.LBB44_324:
	s_delay_alu instid0(SALU_CYCLE_1) | instskip(SKIP_4) | instid1(VALU_DEP_1)
	s_or_b32 exec_lo, exec_lo, s12
	v_mov_b32_e32 v96, 0
	ds_load_b64 v[96:97], v96 offset:96
	s_wait_dscnt 0x0
	v_pk_mul_f32 v[98:99], v[94:95], v[96:97] op_sel:[1,1] op_sel_hi:[0,1]
	v_pk_fma_f32 v[100:101], v[94:95], v[96:97], v[98:99] op_sel_hi:[1,0,1]
	v_pk_fma_f32 v[94:95], v[94:95], v[96:97], v[98:99] neg_lo:[0,0,1] neg_hi:[0,0,1]
	s_delay_alu instid0(VALU_DEP_2)
	v_mov_b32_e32 v95, v101
	scratch_store_b64 off, v[94:95], off offset:96
.LBB44_325:
	s_wait_xcnt 0x0
	s_or_b32 exec_lo, exec_lo, s2
	scratch_load_b64 v[94:95], off, off offset:88
	v_cmp_lt_u32_e64 s1, 11, v0
	s_wait_loadcnt 0x0
	ds_store_b64 v1, v[94:95]
	s_wait_storecnt_dscnt 0x0
	s_barrier_signal -1
	s_barrier_wait -1
	s_wait_xcnt 0x0
	s_and_saveexec_b32 s2, s1
	s_cbranch_execz .LBB44_335
; %bb.326:
	s_and_not1_b32 vcc_lo, exec_lo, s3
	s_cbranch_vccnz .LBB44_328
; %bb.327:
	scratch_load_b64 v[94:95], v51, off
	ds_load_b64 v[96:97], v1
	s_wait_loadcnt_dscnt 0x0
	v_pk_mul_f32 v[98:99], v[96:97], v[94:95] op_sel:[1,1] op_sel_hi:[0,1]
	s_delay_alu instid0(VALU_DEP_1) | instskip(SKIP_1) | instid1(VALU_DEP_2)
	v_pk_fma_f32 v[100:101], v[96:97], v[94:95], v[98:99] op_sel_hi:[1,0,1]
	v_pk_fma_f32 v[94:95], v[96:97], v[94:95], v[98:99] neg_lo:[0,0,1] neg_hi:[0,0,1]
	v_mov_b32_e32 v95, v101
	s_cbranch_execz .LBB44_329
	s_branch .LBB44_330
.LBB44_328:
                                        ; implicit-def: $vgpr94_vgpr95
.LBB44_329:
	ds_load_b64 v[94:95], v1
.LBB44_330:
	s_and_saveexec_b32 s12, s0
	s_cbranch_execz .LBB44_334
; %bb.331:
	v_add_nc_u32_e32 v96, -12, v0
	s_movk_i32 s13, 0x1d0
	s_mov_b32 s0, 0
.LBB44_332:                             ; =>This Inner Loop Header: Depth=1
	scratch_load_b64 v[98:99], off, s11
	v_dual_mov_b32 v97, s13 :: v_dual_add_nc_u32 v96, -1, v96
	s_add_co_i32 s13, s13, 8
	s_wait_xcnt 0x0
	s_add_co_i32 s11, s11, 8
	ds_load_b64 v[100:101], v97
	v_cmp_eq_u32_e32 vcc_lo, 0, v96
	s_or_b32 s0, vcc_lo, s0
	s_wait_loadcnt_dscnt 0x0
	v_pk_mul_f32 v[102:103], v[100:101], v[98:99] op_sel:[1,1] op_sel_hi:[0,1]
	s_delay_alu instid0(VALU_DEP_1) | instskip(SKIP_1) | instid1(VALU_DEP_2)
	v_pk_fma_f32 v[104:105], v[100:101], v[98:99], v[102:103] op_sel_hi:[1,0,1]
	v_pk_fma_f32 v[98:99], v[100:101], v[98:99], v[102:103] neg_lo:[0,0,1] neg_hi:[0,0,1]
	v_mov_b32_e32 v99, v105
	s_delay_alu instid0(VALU_DEP_1)
	v_pk_add_f32 v[94:95], v[94:95], v[98:99]
	s_and_not1_b32 exec_lo, exec_lo, s0
	s_cbranch_execnz .LBB44_332
; %bb.333:
	s_or_b32 exec_lo, exec_lo, s0
.LBB44_334:
	s_delay_alu instid0(SALU_CYCLE_1) | instskip(SKIP_4) | instid1(VALU_DEP_1)
	s_or_b32 exec_lo, exec_lo, s12
	v_mov_b32_e32 v96, 0
	ds_load_b64 v[96:97], v96 offset:88
	s_wait_dscnt 0x0
	v_pk_mul_f32 v[98:99], v[94:95], v[96:97] op_sel:[1,1] op_sel_hi:[0,1]
	v_pk_fma_f32 v[100:101], v[94:95], v[96:97], v[98:99] op_sel_hi:[1,0,1]
	v_pk_fma_f32 v[94:95], v[94:95], v[96:97], v[98:99] neg_lo:[0,0,1] neg_hi:[0,0,1]
	s_delay_alu instid0(VALU_DEP_2)
	v_mov_b32_e32 v95, v101
	scratch_store_b64 off, v[94:95], off offset:88
.LBB44_335:
	s_wait_xcnt 0x0
	s_or_b32 exec_lo, exec_lo, s2
	scratch_load_b64 v[94:95], off, off offset:80
	v_cmp_lt_u32_e64 s0, 10, v0
	s_wait_loadcnt 0x0
	ds_store_b64 v1, v[94:95]
	s_wait_storecnt_dscnt 0x0
	s_barrier_signal -1
	s_barrier_wait -1
	s_wait_xcnt 0x0
	s_and_saveexec_b32 s2, s0
	s_cbranch_execz .LBB44_345
; %bb.336:
	s_and_not1_b32 vcc_lo, exec_lo, s3
	s_cbranch_vccnz .LBB44_338
; %bb.337:
	scratch_load_b64 v[94:95], v51, off
	ds_load_b64 v[96:97], v1
	s_wait_loadcnt_dscnt 0x0
	v_pk_mul_f32 v[98:99], v[96:97], v[94:95] op_sel:[1,1] op_sel_hi:[0,1]
	s_delay_alu instid0(VALU_DEP_1) | instskip(SKIP_1) | instid1(VALU_DEP_2)
	v_pk_fma_f32 v[100:101], v[96:97], v[94:95], v[98:99] op_sel_hi:[1,0,1]
	v_pk_fma_f32 v[94:95], v[96:97], v[94:95], v[98:99] neg_lo:[0,0,1] neg_hi:[0,0,1]
	v_mov_b32_e32 v95, v101
	s_cbranch_execz .LBB44_339
	s_branch .LBB44_340
.LBB44_338:
                                        ; implicit-def: $vgpr94_vgpr95
.LBB44_339:
	ds_load_b64 v[94:95], v1
.LBB44_340:
	s_and_saveexec_b32 s11, s1
	s_cbranch_execz .LBB44_344
; %bb.341:
	v_add_nc_u32_e32 v96, -11, v0
	s_movk_i32 s1, 0x58
	s_movk_i32 s13, 0x1c8
	s_mov_b32 s12, 0
.LBB44_342:                             ; =>This Inner Loop Header: Depth=1
	scratch_load_b64 v[98:99], off, s1
	v_dual_mov_b32 v97, s13 :: v_dual_add_nc_u32 v96, -1, v96
	s_add_co_i32 s13, s13, 8
	s_wait_xcnt 0x0
	s_add_co_i32 s1, s1, 8
	ds_load_b64 v[100:101], v97
	v_cmp_eq_u32_e32 vcc_lo, 0, v96
	s_or_b32 s12, vcc_lo, s12
	s_wait_loadcnt_dscnt 0x0
	v_pk_mul_f32 v[102:103], v[100:101], v[98:99] op_sel:[1,1] op_sel_hi:[0,1]
	s_delay_alu instid0(VALU_DEP_1) | instskip(SKIP_1) | instid1(VALU_DEP_2)
	v_pk_fma_f32 v[104:105], v[100:101], v[98:99], v[102:103] op_sel_hi:[1,0,1]
	v_pk_fma_f32 v[98:99], v[100:101], v[98:99], v[102:103] neg_lo:[0,0,1] neg_hi:[0,0,1]
	v_mov_b32_e32 v99, v105
	s_delay_alu instid0(VALU_DEP_1)
	v_pk_add_f32 v[94:95], v[94:95], v[98:99]
	s_and_not1_b32 exec_lo, exec_lo, s12
	s_cbranch_execnz .LBB44_342
; %bb.343:
	s_or_b32 exec_lo, exec_lo, s12
.LBB44_344:
	s_delay_alu instid0(SALU_CYCLE_1) | instskip(SKIP_4) | instid1(VALU_DEP_1)
	s_or_b32 exec_lo, exec_lo, s11
	v_mov_b32_e32 v96, 0
	ds_load_b64 v[96:97], v96 offset:80
	s_wait_dscnt 0x0
	v_pk_mul_f32 v[98:99], v[94:95], v[96:97] op_sel:[1,1] op_sel_hi:[0,1]
	v_pk_fma_f32 v[100:101], v[94:95], v[96:97], v[98:99] op_sel_hi:[1,0,1]
	v_pk_fma_f32 v[94:95], v[94:95], v[96:97], v[98:99] neg_lo:[0,0,1] neg_hi:[0,0,1]
	s_delay_alu instid0(VALU_DEP_2)
	v_mov_b32_e32 v95, v101
	scratch_store_b64 off, v[94:95], off offset:80
.LBB44_345:
	s_wait_xcnt 0x0
	s_or_b32 exec_lo, exec_lo, s2
	scratch_load_b64 v[94:95], off, off offset:72
	v_cmp_lt_u32_e64 s1, 9, v0
	s_wait_loadcnt 0x0
	ds_store_b64 v1, v[94:95]
	s_wait_storecnt_dscnt 0x0
	s_barrier_signal -1
	s_barrier_wait -1
	s_wait_xcnt 0x0
	s_and_saveexec_b32 s2, s1
	s_cbranch_execz .LBB44_355
; %bb.346:
	s_and_not1_b32 vcc_lo, exec_lo, s3
	s_cbranch_vccnz .LBB44_348
; %bb.347:
	scratch_load_b64 v[94:95], v51, off
	ds_load_b64 v[96:97], v1
	s_wait_loadcnt_dscnt 0x0
	v_pk_mul_f32 v[98:99], v[96:97], v[94:95] op_sel:[1,1] op_sel_hi:[0,1]
	s_delay_alu instid0(VALU_DEP_1) | instskip(SKIP_1) | instid1(VALU_DEP_2)
	v_pk_fma_f32 v[100:101], v[96:97], v[94:95], v[98:99] op_sel_hi:[1,0,1]
	v_pk_fma_f32 v[94:95], v[96:97], v[94:95], v[98:99] neg_lo:[0,0,1] neg_hi:[0,0,1]
	v_mov_b32_e32 v95, v101
	s_cbranch_execz .LBB44_349
	s_branch .LBB44_350
.LBB44_348:
                                        ; implicit-def: $vgpr94_vgpr95
.LBB44_349:
	ds_load_b64 v[94:95], v1
.LBB44_350:
	s_and_saveexec_b32 s11, s0
	s_cbranch_execz .LBB44_354
; %bb.351:
	v_add_nc_u32_e32 v96, -10, v0
	s_movk_i32 s12, 0x1c0
	s_mov_b32 s0, 0
.LBB44_352:                             ; =>This Inner Loop Header: Depth=1
	scratch_load_b64 v[98:99], off, s10
	v_dual_mov_b32 v97, s12 :: v_dual_add_nc_u32 v96, -1, v96
	s_add_co_i32 s12, s12, 8
	s_wait_xcnt 0x0
	s_add_co_i32 s10, s10, 8
	ds_load_b64 v[100:101], v97
	v_cmp_eq_u32_e32 vcc_lo, 0, v96
	s_or_b32 s0, vcc_lo, s0
	s_wait_loadcnt_dscnt 0x0
	v_pk_mul_f32 v[102:103], v[100:101], v[98:99] op_sel:[1,1] op_sel_hi:[0,1]
	s_delay_alu instid0(VALU_DEP_1) | instskip(SKIP_1) | instid1(VALU_DEP_2)
	v_pk_fma_f32 v[104:105], v[100:101], v[98:99], v[102:103] op_sel_hi:[1,0,1]
	v_pk_fma_f32 v[98:99], v[100:101], v[98:99], v[102:103] neg_lo:[0,0,1] neg_hi:[0,0,1]
	v_mov_b32_e32 v99, v105
	s_delay_alu instid0(VALU_DEP_1)
	v_pk_add_f32 v[94:95], v[94:95], v[98:99]
	s_and_not1_b32 exec_lo, exec_lo, s0
	s_cbranch_execnz .LBB44_352
; %bb.353:
	s_or_b32 exec_lo, exec_lo, s0
.LBB44_354:
	s_delay_alu instid0(SALU_CYCLE_1) | instskip(SKIP_4) | instid1(VALU_DEP_1)
	s_or_b32 exec_lo, exec_lo, s11
	v_mov_b32_e32 v96, 0
	ds_load_b64 v[96:97], v96 offset:72
	s_wait_dscnt 0x0
	v_pk_mul_f32 v[98:99], v[94:95], v[96:97] op_sel:[1,1] op_sel_hi:[0,1]
	v_pk_fma_f32 v[100:101], v[94:95], v[96:97], v[98:99] op_sel_hi:[1,0,1]
	v_pk_fma_f32 v[94:95], v[94:95], v[96:97], v[98:99] neg_lo:[0,0,1] neg_hi:[0,0,1]
	s_delay_alu instid0(VALU_DEP_2)
	v_mov_b32_e32 v95, v101
	scratch_store_b64 off, v[94:95], off offset:72
.LBB44_355:
	s_wait_xcnt 0x0
	s_or_b32 exec_lo, exec_lo, s2
	scratch_load_b64 v[94:95], off, off offset:64
	v_cmp_lt_u32_e64 s0, 8, v0
	s_wait_loadcnt 0x0
	ds_store_b64 v1, v[94:95]
	s_wait_storecnt_dscnt 0x0
	s_barrier_signal -1
	s_barrier_wait -1
	s_wait_xcnt 0x0
	s_and_saveexec_b32 s2, s0
	s_cbranch_execz .LBB44_365
; %bb.356:
	s_and_not1_b32 vcc_lo, exec_lo, s3
	s_cbranch_vccnz .LBB44_358
; %bb.357:
	scratch_load_b64 v[94:95], v51, off
	ds_load_b64 v[96:97], v1
	s_wait_loadcnt_dscnt 0x0
	v_pk_mul_f32 v[98:99], v[96:97], v[94:95] op_sel:[1,1] op_sel_hi:[0,1]
	s_delay_alu instid0(VALU_DEP_1) | instskip(SKIP_1) | instid1(VALU_DEP_2)
	v_pk_fma_f32 v[100:101], v[96:97], v[94:95], v[98:99] op_sel_hi:[1,0,1]
	v_pk_fma_f32 v[94:95], v[96:97], v[94:95], v[98:99] neg_lo:[0,0,1] neg_hi:[0,0,1]
	v_mov_b32_e32 v95, v101
	s_cbranch_execz .LBB44_359
	s_branch .LBB44_360
.LBB44_358:
                                        ; implicit-def: $vgpr94_vgpr95
.LBB44_359:
	ds_load_b64 v[94:95], v1
.LBB44_360:
	s_and_saveexec_b32 s10, s1
	s_cbranch_execz .LBB44_364
; %bb.361:
	v_add_nc_u32_e32 v96, -9, v0
	s_movk_i32 s1, 0x48
	s_movk_i32 s12, 0x1b8
	s_mov_b32 s11, 0
.LBB44_362:                             ; =>This Inner Loop Header: Depth=1
	scratch_load_b64 v[98:99], off, s1
	v_dual_mov_b32 v97, s12 :: v_dual_add_nc_u32 v96, -1, v96
	s_add_co_i32 s12, s12, 8
	s_wait_xcnt 0x0
	s_add_co_i32 s1, s1, 8
	ds_load_b64 v[100:101], v97
	v_cmp_eq_u32_e32 vcc_lo, 0, v96
	s_or_b32 s11, vcc_lo, s11
	s_wait_loadcnt_dscnt 0x0
	v_pk_mul_f32 v[102:103], v[100:101], v[98:99] op_sel:[1,1] op_sel_hi:[0,1]
	s_delay_alu instid0(VALU_DEP_1) | instskip(SKIP_1) | instid1(VALU_DEP_2)
	v_pk_fma_f32 v[104:105], v[100:101], v[98:99], v[102:103] op_sel_hi:[1,0,1]
	v_pk_fma_f32 v[98:99], v[100:101], v[98:99], v[102:103] neg_lo:[0,0,1] neg_hi:[0,0,1]
	v_mov_b32_e32 v99, v105
	s_delay_alu instid0(VALU_DEP_1)
	v_pk_add_f32 v[94:95], v[94:95], v[98:99]
	s_and_not1_b32 exec_lo, exec_lo, s11
	s_cbranch_execnz .LBB44_362
; %bb.363:
	s_or_b32 exec_lo, exec_lo, s11
.LBB44_364:
	s_delay_alu instid0(SALU_CYCLE_1) | instskip(SKIP_4) | instid1(VALU_DEP_1)
	s_or_b32 exec_lo, exec_lo, s10
	v_mov_b32_e32 v96, 0
	ds_load_b64 v[96:97], v96 offset:64
	s_wait_dscnt 0x0
	v_pk_mul_f32 v[98:99], v[94:95], v[96:97] op_sel:[1,1] op_sel_hi:[0,1]
	v_pk_fma_f32 v[100:101], v[94:95], v[96:97], v[98:99] op_sel_hi:[1,0,1]
	v_pk_fma_f32 v[94:95], v[94:95], v[96:97], v[98:99] neg_lo:[0,0,1] neg_hi:[0,0,1]
	s_delay_alu instid0(VALU_DEP_2)
	v_mov_b32_e32 v95, v101
	scratch_store_b64 off, v[94:95], off offset:64
.LBB44_365:
	s_wait_xcnt 0x0
	s_or_b32 exec_lo, exec_lo, s2
	scratch_load_b64 v[94:95], off, off offset:56
	v_cmp_lt_u32_e64 s1, 7, v0
	s_wait_loadcnt 0x0
	ds_store_b64 v1, v[94:95]
	s_wait_storecnt_dscnt 0x0
	s_barrier_signal -1
	s_barrier_wait -1
	s_wait_xcnt 0x0
	s_and_saveexec_b32 s2, s1
	s_cbranch_execz .LBB44_375
; %bb.366:
	s_and_not1_b32 vcc_lo, exec_lo, s3
	s_cbranch_vccnz .LBB44_368
; %bb.367:
	scratch_load_b64 v[94:95], v51, off
	ds_load_b64 v[96:97], v1
	s_wait_loadcnt_dscnt 0x0
	v_pk_mul_f32 v[98:99], v[96:97], v[94:95] op_sel:[1,1] op_sel_hi:[0,1]
	s_delay_alu instid0(VALU_DEP_1) | instskip(SKIP_1) | instid1(VALU_DEP_2)
	v_pk_fma_f32 v[100:101], v[96:97], v[94:95], v[98:99] op_sel_hi:[1,0,1]
	v_pk_fma_f32 v[94:95], v[96:97], v[94:95], v[98:99] neg_lo:[0,0,1] neg_hi:[0,0,1]
	v_mov_b32_e32 v95, v101
	s_cbranch_execz .LBB44_369
	s_branch .LBB44_370
.LBB44_368:
                                        ; implicit-def: $vgpr94_vgpr95
.LBB44_369:
	ds_load_b64 v[94:95], v1
.LBB44_370:
	s_and_saveexec_b32 s10, s0
	s_cbranch_execz .LBB44_374
; %bb.371:
	v_add_nc_u32_e32 v96, -8, v0
	s_movk_i32 s11, 0x1b0
	s_mov_b32 s0, 0
.LBB44_372:                             ; =>This Inner Loop Header: Depth=1
	scratch_load_b64 v[98:99], off, s9
	v_dual_mov_b32 v97, s11 :: v_dual_add_nc_u32 v96, -1, v96
	s_add_co_i32 s11, s11, 8
	s_wait_xcnt 0x0
	s_add_co_i32 s9, s9, 8
	ds_load_b64 v[100:101], v97
	v_cmp_eq_u32_e32 vcc_lo, 0, v96
	s_or_b32 s0, vcc_lo, s0
	s_wait_loadcnt_dscnt 0x0
	v_pk_mul_f32 v[102:103], v[100:101], v[98:99] op_sel:[1,1] op_sel_hi:[0,1]
	s_delay_alu instid0(VALU_DEP_1) | instskip(SKIP_1) | instid1(VALU_DEP_2)
	v_pk_fma_f32 v[104:105], v[100:101], v[98:99], v[102:103] op_sel_hi:[1,0,1]
	v_pk_fma_f32 v[98:99], v[100:101], v[98:99], v[102:103] neg_lo:[0,0,1] neg_hi:[0,0,1]
	v_mov_b32_e32 v99, v105
	s_delay_alu instid0(VALU_DEP_1)
	v_pk_add_f32 v[94:95], v[94:95], v[98:99]
	s_and_not1_b32 exec_lo, exec_lo, s0
	s_cbranch_execnz .LBB44_372
; %bb.373:
	s_or_b32 exec_lo, exec_lo, s0
.LBB44_374:
	s_delay_alu instid0(SALU_CYCLE_1) | instskip(SKIP_4) | instid1(VALU_DEP_1)
	s_or_b32 exec_lo, exec_lo, s10
	v_mov_b32_e32 v96, 0
	ds_load_b64 v[96:97], v96 offset:56
	s_wait_dscnt 0x0
	v_pk_mul_f32 v[98:99], v[94:95], v[96:97] op_sel:[1,1] op_sel_hi:[0,1]
	v_pk_fma_f32 v[100:101], v[94:95], v[96:97], v[98:99] op_sel_hi:[1,0,1]
	v_pk_fma_f32 v[94:95], v[94:95], v[96:97], v[98:99] neg_lo:[0,0,1] neg_hi:[0,0,1]
	s_delay_alu instid0(VALU_DEP_2)
	v_mov_b32_e32 v95, v101
	scratch_store_b64 off, v[94:95], off offset:56
.LBB44_375:
	s_wait_xcnt 0x0
	s_or_b32 exec_lo, exec_lo, s2
	scratch_load_b64 v[94:95], off, off offset:48
	v_cmp_lt_u32_e64 s0, 6, v0
	s_wait_loadcnt 0x0
	ds_store_b64 v1, v[94:95]
	s_wait_storecnt_dscnt 0x0
	s_barrier_signal -1
	s_barrier_wait -1
	s_wait_xcnt 0x0
	s_and_saveexec_b32 s2, s0
	s_cbranch_execz .LBB44_385
; %bb.376:
	s_and_not1_b32 vcc_lo, exec_lo, s3
	s_cbranch_vccnz .LBB44_378
; %bb.377:
	scratch_load_b64 v[94:95], v51, off
	ds_load_b64 v[96:97], v1
	s_wait_loadcnt_dscnt 0x0
	v_pk_mul_f32 v[98:99], v[96:97], v[94:95] op_sel:[1,1] op_sel_hi:[0,1]
	s_delay_alu instid0(VALU_DEP_1) | instskip(SKIP_1) | instid1(VALU_DEP_2)
	v_pk_fma_f32 v[100:101], v[96:97], v[94:95], v[98:99] op_sel_hi:[1,0,1]
	v_pk_fma_f32 v[94:95], v[96:97], v[94:95], v[98:99] neg_lo:[0,0,1] neg_hi:[0,0,1]
	v_mov_b32_e32 v95, v101
	s_cbranch_execz .LBB44_379
	s_branch .LBB44_380
.LBB44_378:
                                        ; implicit-def: $vgpr94_vgpr95
.LBB44_379:
	ds_load_b64 v[94:95], v1
.LBB44_380:
	s_and_saveexec_b32 s9, s1
	s_cbranch_execz .LBB44_384
; %bb.381:
	v_add_nc_u32_e32 v96, -7, v0
	s_mov_b32 s1, 56
	s_movk_i32 s11, 0x1a8
	s_mov_b32 s10, 0
.LBB44_382:                             ; =>This Inner Loop Header: Depth=1
	scratch_load_b64 v[98:99], off, s1
	v_dual_mov_b32 v97, s11 :: v_dual_add_nc_u32 v96, -1, v96
	s_add_co_i32 s11, s11, 8
	s_wait_xcnt 0x0
	s_add_co_i32 s1, s1, 8
	ds_load_b64 v[100:101], v97
	v_cmp_eq_u32_e32 vcc_lo, 0, v96
	s_or_b32 s10, vcc_lo, s10
	s_wait_loadcnt_dscnt 0x0
	v_pk_mul_f32 v[102:103], v[100:101], v[98:99] op_sel:[1,1] op_sel_hi:[0,1]
	s_delay_alu instid0(VALU_DEP_1) | instskip(SKIP_1) | instid1(VALU_DEP_2)
	v_pk_fma_f32 v[104:105], v[100:101], v[98:99], v[102:103] op_sel_hi:[1,0,1]
	v_pk_fma_f32 v[98:99], v[100:101], v[98:99], v[102:103] neg_lo:[0,0,1] neg_hi:[0,0,1]
	v_mov_b32_e32 v99, v105
	s_delay_alu instid0(VALU_DEP_1)
	v_pk_add_f32 v[94:95], v[94:95], v[98:99]
	s_and_not1_b32 exec_lo, exec_lo, s10
	s_cbranch_execnz .LBB44_382
; %bb.383:
	s_or_b32 exec_lo, exec_lo, s10
.LBB44_384:
	s_delay_alu instid0(SALU_CYCLE_1) | instskip(SKIP_4) | instid1(VALU_DEP_1)
	s_or_b32 exec_lo, exec_lo, s9
	v_mov_b32_e32 v96, 0
	ds_load_b64 v[96:97], v96 offset:48
	s_wait_dscnt 0x0
	v_pk_mul_f32 v[98:99], v[94:95], v[96:97] op_sel:[1,1] op_sel_hi:[0,1]
	v_pk_fma_f32 v[100:101], v[94:95], v[96:97], v[98:99] op_sel_hi:[1,0,1]
	v_pk_fma_f32 v[94:95], v[94:95], v[96:97], v[98:99] neg_lo:[0,0,1] neg_hi:[0,0,1]
	s_delay_alu instid0(VALU_DEP_2)
	v_mov_b32_e32 v95, v101
	scratch_store_b64 off, v[94:95], off offset:48
.LBB44_385:
	s_wait_xcnt 0x0
	s_or_b32 exec_lo, exec_lo, s2
	scratch_load_b64 v[94:95], off, off offset:40
	v_cmp_lt_u32_e64 s1, 5, v0
	s_wait_loadcnt 0x0
	ds_store_b64 v1, v[94:95]
	s_wait_storecnt_dscnt 0x0
	s_barrier_signal -1
	s_barrier_wait -1
	s_wait_xcnt 0x0
	s_and_saveexec_b32 s2, s1
	s_cbranch_execz .LBB44_395
; %bb.386:
	s_and_not1_b32 vcc_lo, exec_lo, s3
	s_cbranch_vccnz .LBB44_388
; %bb.387:
	scratch_load_b64 v[94:95], v51, off
	ds_load_b64 v[96:97], v1
	s_wait_loadcnt_dscnt 0x0
	v_pk_mul_f32 v[98:99], v[96:97], v[94:95] op_sel:[1,1] op_sel_hi:[0,1]
	s_delay_alu instid0(VALU_DEP_1) | instskip(SKIP_1) | instid1(VALU_DEP_2)
	v_pk_fma_f32 v[100:101], v[96:97], v[94:95], v[98:99] op_sel_hi:[1,0,1]
	v_pk_fma_f32 v[94:95], v[96:97], v[94:95], v[98:99] neg_lo:[0,0,1] neg_hi:[0,0,1]
	v_mov_b32_e32 v95, v101
	s_cbranch_execz .LBB44_389
	s_branch .LBB44_390
.LBB44_388:
                                        ; implicit-def: $vgpr94_vgpr95
.LBB44_389:
	ds_load_b64 v[94:95], v1
.LBB44_390:
	s_and_saveexec_b32 s9, s0
	s_cbranch_execz .LBB44_394
; %bb.391:
	v_add_nc_u32_e32 v96, -6, v0
	s_movk_i32 s10, 0x1a0
	s_mov_b32 s0, 0
.LBB44_392:                             ; =>This Inner Loop Header: Depth=1
	scratch_load_b64 v[98:99], off, s8
	v_dual_mov_b32 v97, s10 :: v_dual_add_nc_u32 v96, -1, v96
	s_add_co_i32 s10, s10, 8
	s_wait_xcnt 0x0
	s_add_co_i32 s8, s8, 8
	ds_load_b64 v[100:101], v97
	v_cmp_eq_u32_e32 vcc_lo, 0, v96
	s_or_b32 s0, vcc_lo, s0
	s_wait_loadcnt_dscnt 0x0
	v_pk_mul_f32 v[102:103], v[100:101], v[98:99] op_sel:[1,1] op_sel_hi:[0,1]
	s_delay_alu instid0(VALU_DEP_1) | instskip(SKIP_1) | instid1(VALU_DEP_2)
	v_pk_fma_f32 v[104:105], v[100:101], v[98:99], v[102:103] op_sel_hi:[1,0,1]
	v_pk_fma_f32 v[98:99], v[100:101], v[98:99], v[102:103] neg_lo:[0,0,1] neg_hi:[0,0,1]
	v_mov_b32_e32 v99, v105
	s_delay_alu instid0(VALU_DEP_1)
	v_pk_add_f32 v[94:95], v[94:95], v[98:99]
	s_and_not1_b32 exec_lo, exec_lo, s0
	s_cbranch_execnz .LBB44_392
; %bb.393:
	s_or_b32 exec_lo, exec_lo, s0
.LBB44_394:
	s_delay_alu instid0(SALU_CYCLE_1) | instskip(SKIP_4) | instid1(VALU_DEP_1)
	s_or_b32 exec_lo, exec_lo, s9
	v_mov_b32_e32 v96, 0
	ds_load_b64 v[96:97], v96 offset:40
	s_wait_dscnt 0x0
	v_pk_mul_f32 v[98:99], v[94:95], v[96:97] op_sel:[1,1] op_sel_hi:[0,1]
	v_pk_fma_f32 v[100:101], v[94:95], v[96:97], v[98:99] op_sel_hi:[1,0,1]
	v_pk_fma_f32 v[94:95], v[94:95], v[96:97], v[98:99] neg_lo:[0,0,1] neg_hi:[0,0,1]
	s_delay_alu instid0(VALU_DEP_2)
	v_mov_b32_e32 v95, v101
	scratch_store_b64 off, v[94:95], off offset:40
.LBB44_395:
	s_wait_xcnt 0x0
	s_or_b32 exec_lo, exec_lo, s2
	scratch_load_b64 v[94:95], off, off offset:32
	v_cmp_lt_u32_e64 s0, 4, v0
	s_wait_loadcnt 0x0
	ds_store_b64 v1, v[94:95]
	s_wait_storecnt_dscnt 0x0
	s_barrier_signal -1
	s_barrier_wait -1
	s_wait_xcnt 0x0
	s_and_saveexec_b32 s2, s0
	s_cbranch_execz .LBB44_405
; %bb.396:
	s_and_not1_b32 vcc_lo, exec_lo, s3
	s_cbranch_vccnz .LBB44_398
; %bb.397:
	scratch_load_b64 v[94:95], v51, off
	ds_load_b64 v[96:97], v1
	s_wait_loadcnt_dscnt 0x0
	v_pk_mul_f32 v[98:99], v[96:97], v[94:95] op_sel:[1,1] op_sel_hi:[0,1]
	s_delay_alu instid0(VALU_DEP_1) | instskip(SKIP_1) | instid1(VALU_DEP_2)
	v_pk_fma_f32 v[100:101], v[96:97], v[94:95], v[98:99] op_sel_hi:[1,0,1]
	v_pk_fma_f32 v[94:95], v[96:97], v[94:95], v[98:99] neg_lo:[0,0,1] neg_hi:[0,0,1]
	v_mov_b32_e32 v95, v101
	s_cbranch_execz .LBB44_399
	s_branch .LBB44_400
.LBB44_398:
                                        ; implicit-def: $vgpr94_vgpr95
.LBB44_399:
	ds_load_b64 v[94:95], v1
.LBB44_400:
	s_and_saveexec_b32 s8, s1
	s_cbranch_execz .LBB44_404
; %bb.401:
	v_add_nc_u32_e32 v96, -5, v0
	s_mov_b32 s1, 40
	s_movk_i32 s10, 0x198
	s_mov_b32 s9, 0
.LBB44_402:                             ; =>This Inner Loop Header: Depth=1
	scratch_load_b64 v[98:99], off, s1
	v_dual_mov_b32 v97, s10 :: v_dual_add_nc_u32 v96, -1, v96
	s_add_co_i32 s10, s10, 8
	s_wait_xcnt 0x0
	s_add_co_i32 s1, s1, 8
	ds_load_b64 v[100:101], v97
	v_cmp_eq_u32_e32 vcc_lo, 0, v96
	s_or_b32 s9, vcc_lo, s9
	s_wait_loadcnt_dscnt 0x0
	v_pk_mul_f32 v[102:103], v[100:101], v[98:99] op_sel:[1,1] op_sel_hi:[0,1]
	s_delay_alu instid0(VALU_DEP_1) | instskip(SKIP_1) | instid1(VALU_DEP_2)
	v_pk_fma_f32 v[104:105], v[100:101], v[98:99], v[102:103] op_sel_hi:[1,0,1]
	v_pk_fma_f32 v[98:99], v[100:101], v[98:99], v[102:103] neg_lo:[0,0,1] neg_hi:[0,0,1]
	v_mov_b32_e32 v99, v105
	s_delay_alu instid0(VALU_DEP_1)
	v_pk_add_f32 v[94:95], v[94:95], v[98:99]
	s_and_not1_b32 exec_lo, exec_lo, s9
	s_cbranch_execnz .LBB44_402
; %bb.403:
	s_or_b32 exec_lo, exec_lo, s9
.LBB44_404:
	s_delay_alu instid0(SALU_CYCLE_1) | instskip(SKIP_4) | instid1(VALU_DEP_1)
	s_or_b32 exec_lo, exec_lo, s8
	v_mov_b32_e32 v96, 0
	ds_load_b64 v[96:97], v96 offset:32
	s_wait_dscnt 0x0
	v_pk_mul_f32 v[98:99], v[94:95], v[96:97] op_sel:[1,1] op_sel_hi:[0,1]
	v_pk_fma_f32 v[100:101], v[94:95], v[96:97], v[98:99] op_sel_hi:[1,0,1]
	v_pk_fma_f32 v[94:95], v[94:95], v[96:97], v[98:99] neg_lo:[0,0,1] neg_hi:[0,0,1]
	s_delay_alu instid0(VALU_DEP_2)
	v_mov_b32_e32 v95, v101
	scratch_store_b64 off, v[94:95], off offset:32
.LBB44_405:
	s_wait_xcnt 0x0
	s_or_b32 exec_lo, exec_lo, s2
	scratch_load_b64 v[94:95], off, off offset:24
	v_cmp_lt_u32_e64 s2, 3, v0
	s_wait_loadcnt 0x0
	ds_store_b64 v1, v[94:95]
	s_wait_storecnt_dscnt 0x0
	s_barrier_signal -1
	s_barrier_wait -1
	s_wait_xcnt 0x0
	s_and_saveexec_b32 s1, s2
	s_cbranch_execz .LBB44_415
; %bb.406:
	s_and_not1_b32 vcc_lo, exec_lo, s3
	s_cbranch_vccnz .LBB44_408
; %bb.407:
	scratch_load_b64 v[94:95], v51, off
	ds_load_b64 v[96:97], v1
	s_wait_loadcnt_dscnt 0x0
	v_pk_mul_f32 v[98:99], v[96:97], v[94:95] op_sel:[1,1] op_sel_hi:[0,1]
	s_delay_alu instid0(VALU_DEP_1) | instskip(SKIP_1) | instid1(VALU_DEP_2)
	v_pk_fma_f32 v[100:101], v[96:97], v[94:95], v[98:99] op_sel_hi:[1,0,1]
	v_pk_fma_f32 v[94:95], v[96:97], v[94:95], v[98:99] neg_lo:[0,0,1] neg_hi:[0,0,1]
	v_mov_b32_e32 v95, v101
	s_cbranch_execz .LBB44_409
	s_branch .LBB44_410
.LBB44_408:
                                        ; implicit-def: $vgpr94_vgpr95
.LBB44_409:
	ds_load_b64 v[94:95], v1
.LBB44_410:
	s_and_saveexec_b32 s8, s0
	s_cbranch_execz .LBB44_414
; %bb.411:
	v_add_nc_u32_e32 v96, -4, v0
	s_movk_i32 s9, 0x190
	s_mov_b32 s0, 0
.LBB44_412:                             ; =>This Inner Loop Header: Depth=1
	scratch_load_b64 v[98:99], off, s5
	v_dual_mov_b32 v97, s9 :: v_dual_add_nc_u32 v96, -1, v96
	s_add_co_i32 s9, s9, 8
	s_wait_xcnt 0x0
	s_add_co_i32 s5, s5, 8
	ds_load_b64 v[100:101], v97
	v_cmp_eq_u32_e32 vcc_lo, 0, v96
	s_or_b32 s0, vcc_lo, s0
	s_wait_loadcnt_dscnt 0x0
	v_pk_mul_f32 v[102:103], v[100:101], v[98:99] op_sel:[1,1] op_sel_hi:[0,1]
	s_delay_alu instid0(VALU_DEP_1) | instskip(SKIP_1) | instid1(VALU_DEP_2)
	v_pk_fma_f32 v[104:105], v[100:101], v[98:99], v[102:103] op_sel_hi:[1,0,1]
	v_pk_fma_f32 v[98:99], v[100:101], v[98:99], v[102:103] neg_lo:[0,0,1] neg_hi:[0,0,1]
	v_mov_b32_e32 v99, v105
	s_delay_alu instid0(VALU_DEP_1)
	v_pk_add_f32 v[94:95], v[94:95], v[98:99]
	s_and_not1_b32 exec_lo, exec_lo, s0
	s_cbranch_execnz .LBB44_412
; %bb.413:
	s_or_b32 exec_lo, exec_lo, s0
.LBB44_414:
	s_delay_alu instid0(SALU_CYCLE_1) | instskip(SKIP_4) | instid1(VALU_DEP_1)
	s_or_b32 exec_lo, exec_lo, s8
	v_mov_b32_e32 v96, 0
	ds_load_b64 v[96:97], v96 offset:24
	s_wait_dscnt 0x0
	v_pk_mul_f32 v[98:99], v[94:95], v[96:97] op_sel:[1,1] op_sel_hi:[0,1]
	v_pk_fma_f32 v[100:101], v[94:95], v[96:97], v[98:99] op_sel_hi:[1,0,1]
	v_pk_fma_f32 v[94:95], v[94:95], v[96:97], v[98:99] neg_lo:[0,0,1] neg_hi:[0,0,1]
	s_delay_alu instid0(VALU_DEP_2)
	v_mov_b32_e32 v95, v101
	scratch_store_b64 off, v[94:95], off offset:24
.LBB44_415:
	s_wait_xcnt 0x0
	s_or_b32 exec_lo, exec_lo, s1
	scratch_load_b64 v[94:95], off, off offset:16
	v_cmp_lt_u32_e64 s1, 2, v0
	s_wait_loadcnt 0x0
	ds_store_b64 v1, v[94:95]
	s_wait_storecnt_dscnt 0x0
	s_barrier_signal -1
	s_barrier_wait -1
	s_wait_xcnt 0x0
	s_and_saveexec_b32 s0, s1
	s_cbranch_execz .LBB44_425
; %bb.416:
	s_and_not1_b32 vcc_lo, exec_lo, s3
	s_cbranch_vccnz .LBB44_418
; %bb.417:
	scratch_load_b64 v[94:95], v51, off
	ds_load_b64 v[96:97], v1
	s_wait_loadcnt_dscnt 0x0
	v_pk_mul_f32 v[98:99], v[96:97], v[94:95] op_sel:[1,1] op_sel_hi:[0,1]
	s_delay_alu instid0(VALU_DEP_1) | instskip(SKIP_1) | instid1(VALU_DEP_2)
	v_pk_fma_f32 v[100:101], v[96:97], v[94:95], v[98:99] op_sel_hi:[1,0,1]
	v_pk_fma_f32 v[94:95], v[96:97], v[94:95], v[98:99] neg_lo:[0,0,1] neg_hi:[0,0,1]
	v_mov_b32_e32 v95, v101
	s_cbranch_execz .LBB44_419
	s_branch .LBB44_420
.LBB44_418:
                                        ; implicit-def: $vgpr94_vgpr95
.LBB44_419:
	ds_load_b64 v[94:95], v1
.LBB44_420:
	s_and_saveexec_b32 s5, s2
	s_cbranch_execz .LBB44_424
; %bb.421:
	v_add_nc_u32_e32 v96, -3, v0
	s_mov_b32 s2, 24
	s_movk_i32 s9, 0x188
	s_mov_b32 s8, 0
.LBB44_422:                             ; =>This Inner Loop Header: Depth=1
	scratch_load_b64 v[98:99], off, s2
	v_dual_mov_b32 v97, s9 :: v_dual_add_nc_u32 v96, -1, v96
	s_add_co_i32 s9, s9, 8
	s_wait_xcnt 0x0
	s_add_co_i32 s2, s2, 8
	ds_load_b64 v[100:101], v97
	v_cmp_eq_u32_e32 vcc_lo, 0, v96
	s_or_b32 s8, vcc_lo, s8
	s_wait_loadcnt_dscnt 0x0
	v_pk_mul_f32 v[102:103], v[100:101], v[98:99] op_sel:[1,1] op_sel_hi:[0,1]
	s_delay_alu instid0(VALU_DEP_1) | instskip(SKIP_1) | instid1(VALU_DEP_2)
	v_pk_fma_f32 v[104:105], v[100:101], v[98:99], v[102:103] op_sel_hi:[1,0,1]
	v_pk_fma_f32 v[98:99], v[100:101], v[98:99], v[102:103] neg_lo:[0,0,1] neg_hi:[0,0,1]
	v_mov_b32_e32 v99, v105
	s_delay_alu instid0(VALU_DEP_1)
	v_pk_add_f32 v[94:95], v[94:95], v[98:99]
	s_and_not1_b32 exec_lo, exec_lo, s8
	s_cbranch_execnz .LBB44_422
; %bb.423:
	s_or_b32 exec_lo, exec_lo, s8
.LBB44_424:
	s_delay_alu instid0(SALU_CYCLE_1) | instskip(SKIP_4) | instid1(VALU_DEP_1)
	s_or_b32 exec_lo, exec_lo, s5
	v_mov_b32_e32 v96, 0
	ds_load_b64 v[96:97], v96 offset:16
	s_wait_dscnt 0x0
	v_pk_mul_f32 v[98:99], v[94:95], v[96:97] op_sel:[1,1] op_sel_hi:[0,1]
	v_pk_fma_f32 v[100:101], v[94:95], v[96:97], v[98:99] op_sel_hi:[1,0,1]
	v_pk_fma_f32 v[94:95], v[94:95], v[96:97], v[98:99] neg_lo:[0,0,1] neg_hi:[0,0,1]
	s_delay_alu instid0(VALU_DEP_2)
	v_mov_b32_e32 v95, v101
	scratch_store_b64 off, v[94:95], off offset:16
.LBB44_425:
	s_wait_xcnt 0x0
	s_or_b32 exec_lo, exec_lo, s0
	scratch_load_b64 v[94:95], off, off offset:8
	v_cmp_lt_u32_e64 s0, 1, v0
	s_wait_loadcnt 0x0
	ds_store_b64 v1, v[94:95]
	s_wait_storecnt_dscnt 0x0
	s_barrier_signal -1
	s_barrier_wait -1
	s_wait_xcnt 0x0
	s_and_saveexec_b32 s2, s0
	s_cbranch_execz .LBB44_435
; %bb.426:
	s_and_not1_b32 vcc_lo, exec_lo, s3
	s_cbranch_vccnz .LBB44_428
; %bb.427:
	scratch_load_b64 v[94:95], v51, off
	ds_load_b64 v[96:97], v1
	s_wait_loadcnt_dscnt 0x0
	v_pk_mul_f32 v[98:99], v[96:97], v[94:95] op_sel:[1,1] op_sel_hi:[0,1]
	s_delay_alu instid0(VALU_DEP_1) | instskip(SKIP_1) | instid1(VALU_DEP_2)
	v_pk_fma_f32 v[100:101], v[96:97], v[94:95], v[98:99] op_sel_hi:[1,0,1]
	v_pk_fma_f32 v[94:95], v[96:97], v[94:95], v[98:99] neg_lo:[0,0,1] neg_hi:[0,0,1]
	v_mov_b32_e32 v95, v101
	s_cbranch_execz .LBB44_429
	s_branch .LBB44_430
.LBB44_428:
                                        ; implicit-def: $vgpr94_vgpr95
.LBB44_429:
	ds_load_b64 v[94:95], v1
.LBB44_430:
	s_and_saveexec_b32 s5, s1
	s_cbranch_execz .LBB44_434
; %bb.431:
	v_add_nc_u32_e32 v96, -2, v0
	s_movk_i32 s8, 0x180
	s_mov_b32 s1, 0
.LBB44_432:                             ; =>This Inner Loop Header: Depth=1
	scratch_load_b64 v[98:99], off, s4
	v_dual_mov_b32 v97, s8 :: v_dual_add_nc_u32 v96, -1, v96
	s_add_co_i32 s8, s8, 8
	s_wait_xcnt 0x0
	s_add_co_i32 s4, s4, 8
	ds_load_b64 v[100:101], v97
	v_cmp_eq_u32_e32 vcc_lo, 0, v96
	s_or_b32 s1, vcc_lo, s1
	s_wait_loadcnt_dscnt 0x0
	v_pk_mul_f32 v[102:103], v[100:101], v[98:99] op_sel:[1,1] op_sel_hi:[0,1]
	s_delay_alu instid0(VALU_DEP_1) | instskip(SKIP_1) | instid1(VALU_DEP_2)
	v_pk_fma_f32 v[104:105], v[100:101], v[98:99], v[102:103] op_sel_hi:[1,0,1]
	v_pk_fma_f32 v[98:99], v[100:101], v[98:99], v[102:103] neg_lo:[0,0,1] neg_hi:[0,0,1]
	v_mov_b32_e32 v99, v105
	s_delay_alu instid0(VALU_DEP_1)
	v_pk_add_f32 v[94:95], v[94:95], v[98:99]
	s_and_not1_b32 exec_lo, exec_lo, s1
	s_cbranch_execnz .LBB44_432
; %bb.433:
	s_or_b32 exec_lo, exec_lo, s1
.LBB44_434:
	s_delay_alu instid0(SALU_CYCLE_1) | instskip(SKIP_4) | instid1(VALU_DEP_1)
	s_or_b32 exec_lo, exec_lo, s5
	v_mov_b32_e32 v96, 0
	ds_load_b64 v[96:97], v96 offset:8
	s_wait_dscnt 0x0
	v_pk_mul_f32 v[98:99], v[94:95], v[96:97] op_sel:[1,1] op_sel_hi:[0,1]
	v_pk_fma_f32 v[100:101], v[94:95], v[96:97], v[98:99] op_sel_hi:[1,0,1]
	v_pk_fma_f32 v[94:95], v[94:95], v[96:97], v[98:99] neg_lo:[0,0,1] neg_hi:[0,0,1]
	s_delay_alu instid0(VALU_DEP_2)
	v_mov_b32_e32 v95, v101
	scratch_store_b64 off, v[94:95], off offset:8
.LBB44_435:
	s_wait_xcnt 0x0
	s_or_b32 exec_lo, exec_lo, s2
	scratch_load_b64 v[94:95], off, off
	s_mov_b32 s2, 0
	s_mov_b32 s1, 0
	s_mov_b32 s5, exec_lo
                                        ; implicit-def: $vgpr126
                                        ; implicit-def: $sgpr4
	s_wait_loadcnt 0x0
	ds_store_b64 v1, v[94:95]
	s_wait_storecnt_dscnt 0x0
	s_barrier_signal -1
	s_barrier_wait -1
	s_wait_xcnt 0x0
	v_cmpx_ne_u32_e32 0, v0
	s_cbranch_execz .LBB44_445
; %bb.436:
	s_and_not1_b32 vcc_lo, exec_lo, s3
	s_cbranch_vccnz .LBB44_438
; %bb.437:
	scratch_load_b64 v[96:97], v51, off
	ds_load_b64 v[98:99], v1
	s_wait_loadcnt_dscnt 0x0
	v_dual_mul_f32 v94, v99, v97 :: v_dual_mul_f32 v95, v98, v97
	s_delay_alu instid0(VALU_DEP_1)
	v_dual_fma_f32 v94, v98, v96, -v94 :: v_dual_fmac_f32 v95, v99, v96
	s_and_not1_b32 vcc_lo, exec_lo, s1
	s_cbranch_vccz .LBB44_439
	s_branch .LBB44_440
.LBB44_438:
                                        ; implicit-def: $vgpr94
.LBB44_439:
	ds_load_b64 v[94:95], v1
.LBB44_440:
	s_and_saveexec_b32 s1, s0
	s_cbranch_execz .LBB44_444
; %bb.441:
	v_add_nc_u32_e32 v96, -1, v0
	s_or_b32 s0, 0, 8
	s_movk_i32 s8, 0x178
	s_mov_b32 s4, 0
.LBB44_442:                             ; =>This Inner Loop Header: Depth=1
	scratch_load_b64 v[98:99], off, s0
	v_mov_b32_e32 v97, s8
	s_add_co_i32 s8, s8, 8
	s_wait_xcnt 0x0
	s_add_co_i32 s0, s0, 8
	v_add_nc_u32_e32 v96, -1, v96
	ds_load_b64 v[100:101], v97
	v_cmp_eq_u32_e32 vcc_lo, 0, v96
	s_or_b32 s4, vcc_lo, s4
	s_wait_loadcnt_dscnt 0x0
	v_dual_mul_f32 v97, v101, v99 :: v_dual_mul_f32 v99, v100, v99
	s_delay_alu instid0(VALU_DEP_1) | instskip(NEXT) | instid1(VALU_DEP_1)
	v_dual_fma_f32 v97, v100, v98, -v97 :: v_dual_fmac_f32 v99, v101, v98
	v_dual_add_f32 v94, v94, v97 :: v_dual_add_f32 v95, v95, v99
	s_and_not1_b32 exec_lo, exec_lo, s4
	s_cbranch_execnz .LBB44_442
; %bb.443:
	s_or_b32 exec_lo, exec_lo, s4
.LBB44_444:
	s_delay_alu instid0(SALU_CYCLE_1)
	s_or_b32 exec_lo, exec_lo, s1
	v_mov_b32_e32 v96, 0
	s_mov_b32 s1, exec_lo
	s_or_b32 s4, 0, 4
	ds_load_b64 v[96:97], v96
	s_wait_dscnt 0x0
	v_dual_mul_f32 v98, v95, v97 :: v_dual_mul_f32 v126, v94, v97
	s_delay_alu instid0(VALU_DEP_1) | instskip(NEXT) | instid1(VALU_DEP_2)
	v_fma_f32 v94, v94, v96, -v98
	v_fmac_f32_e32 v126, v95, v96
	scratch_store_b32 off, v94, off
.LBB44_445:
	s_wait_xcnt 0x0
	s_or_b32 exec_lo, exec_lo, s5
	s_delay_alu instid0(SALU_CYCLE_1)
	s_and_b32 vcc_lo, exec_lo, s2
	s_cbranch_vccz .LBB44_881
.LBB44_446:
	scratch_load_b64 v[94:95], off, off offset:8
	v_cmp_eq_u32_e64 s0, 0, v0
	s_wait_loadcnt 0x0
	ds_store_b64 v1, v[94:95]
	s_wait_storecnt_dscnt 0x0
	s_barrier_signal -1
	s_barrier_wait -1
	s_wait_xcnt 0x0
	s_and_saveexec_b32 s2, s0
	s_cbranch_execz .LBB44_452
; %bb.447:
	s_and_b32 vcc_lo, exec_lo, s3
	s_cbranch_vccz .LBB44_449
; %bb.448:
	scratch_load_b64 v[94:95], v51, off
	ds_load_b64 v[96:97], v1
	s_wait_loadcnt_dscnt 0x0
	v_pk_mul_f32 v[98:99], v[96:97], v[94:95] op_sel:[1,1] op_sel_hi:[0,1]
	v_pk_mul_f32 v[100:101], v[96:97], v[94:95] op_sel_hi:[1,0]
	s_delay_alu instid0(VALU_DEP_2) | instskip(NEXT) | instid1(VALU_DEP_2)
	v_pk_fma_f32 v[94:95], v[96:97], v[94:95], v[98:99] op_sel_hi:[1,0,1]
	v_sub_f32_e32 v94, v100, v98
	s_cbranch_execz .LBB44_450
	s_branch .LBB44_451
.LBB44_449:
                                        ; implicit-def: $vgpr95
.LBB44_450:
	ds_load_b64 v[94:95], v1
.LBB44_451:
	s_wait_dscnt 0x0
	v_dual_mov_b32 v96, 0 :: v_dual_mov_b32 v98, v95
	v_mov_b32_e32 v99, v94
	ds_load_b64 v[96:97], v96 offset:8
	s_wait_dscnt 0x0
	v_pk_mul_f32 v[98:99], v[98:99], v[96:97] op_sel:[0,1]
	s_delay_alu instid0(VALU_DEP_1) | instskip(SKIP_1) | instid1(VALU_DEP_2)
	v_pk_fma_f32 v[100:101], v[94:95], v[96:97], v[98:99] op_sel_hi:[1,0,1]
	v_pk_fma_f32 v[94:95], v[94:95], v[96:97], v[98:99] neg_lo:[0,0,1] neg_hi:[0,0,1]
	v_mov_b32_e32 v95, v101
	scratch_store_b64 off, v[94:95], off offset:8
.LBB44_452:
	s_wait_xcnt 0x0
	s_or_b32 exec_lo, exec_lo, s2
	scratch_load_b64 v[94:95], off, off offset:16
	v_cndmask_b32_e64 v96, 0, 1, s3
	s_mov_b32 s2, exec_lo
	s_wait_loadcnt 0x0
	ds_store_b64 v1, v[94:95]
	s_wait_storecnt_dscnt 0x0
	s_barrier_signal -1
	s_barrier_wait -1
	s_wait_xcnt 0x0
	v_cmpx_gt_u32_e32 2, v0
	s_cbranch_execz .LBB44_460
; %bb.453:
	s_and_not1_b32 vcc_lo, exec_lo, s3
	s_cbranch_vccnz .LBB44_455
; %bb.454:
	scratch_load_b64 v[94:95], v51, off
	ds_load_b64 v[98:99], v1
	s_wait_loadcnt_dscnt 0x0
	v_pk_mul_f32 v[100:101], v[98:99], v[94:95] op_sel:[1,1] op_sel_hi:[0,1]
	s_delay_alu instid0(VALU_DEP_1) | instskip(SKIP_1) | instid1(VALU_DEP_2)
	v_pk_fma_f32 v[102:103], v[98:99], v[94:95], v[100:101] op_sel_hi:[1,0,1]
	v_pk_fma_f32 v[94:95], v[98:99], v[94:95], v[100:101] neg_lo:[0,0,1] neg_hi:[0,0,1]
	v_mov_b32_e32 v95, v103
	s_cbranch_execz .LBB44_456
	s_branch .LBB44_457
.LBB44_455:
                                        ; implicit-def: $vgpr94_vgpr95
.LBB44_456:
	ds_load_b64 v[94:95], v1
.LBB44_457:
	s_and_saveexec_b32 s3, s0
	s_cbranch_execz .LBB44_459
; %bb.458:
	scratch_load_b64 v[98:99], off, off offset:8
	v_mov_b32_e32 v97, 0
	ds_load_b64 v[100:101], v97 offset:376
	s_wait_loadcnt_dscnt 0x0
	v_pk_mul_f32 v[102:103], v[100:101], v[98:99] op_sel:[1,1] op_sel_hi:[0,1]
	s_delay_alu instid0(VALU_DEP_1) | instskip(SKIP_1) | instid1(VALU_DEP_2)
	v_pk_fma_f32 v[104:105], v[100:101], v[98:99], v[102:103] op_sel_hi:[1,0,1]
	v_pk_fma_f32 v[98:99], v[100:101], v[98:99], v[102:103] neg_lo:[0,0,1] neg_hi:[0,0,1]
	v_mov_b32_e32 v99, v105
	s_delay_alu instid0(VALU_DEP_1)
	v_pk_add_f32 v[94:95], v[94:95], v[98:99]
.LBB44_459:
	s_or_b32 exec_lo, exec_lo, s3
	v_mov_b32_e32 v97, 0
	ds_load_b64 v[98:99], v97 offset:16
	s_wait_dscnt 0x0
	v_pk_mul_f32 v[100:101], v[94:95], v[98:99] op_sel:[1,1] op_sel_hi:[0,1]
	s_delay_alu instid0(VALU_DEP_1) | instskip(SKIP_1) | instid1(VALU_DEP_2)
	v_pk_fma_f32 v[102:103], v[94:95], v[98:99], v[100:101] op_sel_hi:[1,0,1]
	v_pk_fma_f32 v[94:95], v[94:95], v[98:99], v[100:101] neg_lo:[0,0,1] neg_hi:[0,0,1]
	v_mov_b32_e32 v95, v103
	scratch_store_b64 off, v[94:95], off offset:16
.LBB44_460:
	s_wait_xcnt 0x0
	s_or_b32 exec_lo, exec_lo, s2
	scratch_load_b64 v[94:95], off, off offset:24
	s_mov_b32 s2, exec_lo
	s_wait_loadcnt 0x0
	ds_store_b64 v1, v[94:95]
	s_wait_storecnt_dscnt 0x0
	s_barrier_signal -1
	s_barrier_wait -1
	s_wait_xcnt 0x0
	v_cmpx_gt_u32_e32 3, v0
	s_cbranch_execz .LBB44_470
; %bb.461:
	v_cmp_ne_u32_e32 vcc_lo, 1, v96
	s_cbranch_vccnz .LBB44_463
; %bb.462:
	scratch_load_b64 v[94:95], v51, off
	ds_load_b64 v[98:99], v1
	s_wait_loadcnt_dscnt 0x0
	v_pk_mul_f32 v[100:101], v[98:99], v[94:95] op_sel:[1,1] op_sel_hi:[0,1]
	s_delay_alu instid0(VALU_DEP_1) | instskip(SKIP_1) | instid1(VALU_DEP_2)
	v_pk_fma_f32 v[102:103], v[98:99], v[94:95], v[100:101] op_sel_hi:[1,0,1]
	v_pk_fma_f32 v[94:95], v[98:99], v[94:95], v[100:101] neg_lo:[0,0,1] neg_hi:[0,0,1]
	v_mov_b32_e32 v95, v103
	s_cbranch_execz .LBB44_464
	s_branch .LBB44_465
.LBB44_463:
                                        ; implicit-def: $vgpr94_vgpr95
.LBB44_464:
	ds_load_b64 v[94:95], v1
.LBB44_465:
	s_mov_b32 s3, exec_lo
	v_cmpx_ne_u32_e32 2, v0
	s_cbranch_execz .LBB44_469
; %bb.466:
	scratch_load_b64 v[98:99], v51, off offset:8
	ds_load_b64 v[100:101], v1 offset:8
	s_wait_loadcnt_dscnt 0x0
	v_pk_mul_f32 v[102:103], v[100:101], v[98:99] op_sel:[1,1] op_sel_hi:[0,1]
	s_delay_alu instid0(VALU_DEP_1) | instskip(SKIP_1) | instid1(VALU_DEP_2)
	v_pk_fma_f32 v[104:105], v[100:101], v[98:99], v[102:103] op_sel_hi:[1,0,1]
	v_pk_fma_f32 v[98:99], v[100:101], v[98:99], v[102:103] neg_lo:[0,0,1] neg_hi:[0,0,1]
	v_mov_b32_e32 v99, v105
	s_delay_alu instid0(VALU_DEP_1)
	v_pk_add_f32 v[94:95], v[94:95], v[98:99]
	s_and_saveexec_b32 s4, s0
	s_cbranch_execz .LBB44_468
; %bb.467:
	scratch_load_b64 v[98:99], off, off offset:16
	v_mov_b32_e32 v97, 0
	ds_load_b64 v[100:101], v97 offset:384
	s_wait_loadcnt_dscnt 0x0
	v_pk_mul_f32 v[102:103], v[100:101], v[98:99] op_sel:[1,1] op_sel_hi:[0,1]
	s_delay_alu instid0(VALU_DEP_1) | instskip(SKIP_1) | instid1(VALU_DEP_2)
	v_pk_fma_f32 v[104:105], v[100:101], v[98:99], v[102:103] op_sel_hi:[1,0,1]
	v_pk_fma_f32 v[98:99], v[100:101], v[98:99], v[102:103] neg_lo:[0,0,1] neg_hi:[0,0,1]
	v_mov_b32_e32 v99, v105
	s_delay_alu instid0(VALU_DEP_1)
	v_pk_add_f32 v[94:95], v[94:95], v[98:99]
.LBB44_468:
	s_or_b32 exec_lo, exec_lo, s4
.LBB44_469:
	s_delay_alu instid0(SALU_CYCLE_1) | instskip(SKIP_4) | instid1(VALU_DEP_1)
	s_or_b32 exec_lo, exec_lo, s3
	v_mov_b32_e32 v97, 0
	ds_load_b64 v[98:99], v97 offset:24
	s_wait_dscnt 0x0
	v_pk_mul_f32 v[100:101], v[94:95], v[98:99] op_sel:[1,1] op_sel_hi:[0,1]
	v_pk_fma_f32 v[102:103], v[94:95], v[98:99], v[100:101] op_sel_hi:[1,0,1]
	v_pk_fma_f32 v[94:95], v[94:95], v[98:99], v[100:101] neg_lo:[0,0,1] neg_hi:[0,0,1]
	s_delay_alu instid0(VALU_DEP_2)
	v_mov_b32_e32 v95, v103
	scratch_store_b64 off, v[94:95], off offset:24
.LBB44_470:
	s_wait_xcnt 0x0
	s_or_b32 exec_lo, exec_lo, s2
	scratch_load_b64 v[94:95], off, off offset:32
	s_mov_b32 s0, exec_lo
	s_wait_loadcnt 0x0
	ds_store_b64 v1, v[94:95]
	s_wait_storecnt_dscnt 0x0
	s_barrier_signal -1
	s_barrier_wait -1
	s_wait_xcnt 0x0
	v_cmpx_gt_u32_e32 4, v0
	s_cbranch_execz .LBB44_480
; %bb.471:
	v_cmp_ne_u32_e32 vcc_lo, 1, v96
	s_cbranch_vccnz .LBB44_473
; %bb.472:
	scratch_load_b64 v[94:95], v51, off
	ds_load_b64 v[98:99], v1
	s_wait_loadcnt_dscnt 0x0
	v_pk_mul_f32 v[100:101], v[98:99], v[94:95] op_sel:[1,1] op_sel_hi:[0,1]
	s_delay_alu instid0(VALU_DEP_1) | instskip(SKIP_1) | instid1(VALU_DEP_2)
	v_pk_fma_f32 v[102:103], v[98:99], v[94:95], v[100:101] op_sel_hi:[1,0,1]
	v_pk_fma_f32 v[94:95], v[98:99], v[94:95], v[100:101] neg_lo:[0,0,1] neg_hi:[0,0,1]
	v_mov_b32_e32 v95, v103
	s_cbranch_execz .LBB44_474
	s_branch .LBB44_475
.LBB44_473:
                                        ; implicit-def: $vgpr94_vgpr95
.LBB44_474:
	ds_load_b64 v[94:95], v1
.LBB44_475:
	s_mov_b32 s2, exec_lo
	v_cmpx_ne_u32_e32 3, v0
	s_cbranch_execz .LBB44_479
; %bb.476:
	v_add_nc_u32_e32 v97, 0x178, v50
	v_add3_u32 v98, 0, v50, 8
	v_mov_b32_e32 v99, v0
	s_mov_b32 s3, 0
.LBB44_477:                             ; =>This Inner Loop Header: Depth=1
	scratch_load_b64 v[100:101], v98, off
	ds_load_b64 v[102:103], v97
	s_wait_xcnt 0x0
	v_dual_add_nc_u32 v97, 8, v97 :: v_dual_add_nc_u32 v98, 8, v98
	s_wait_loadcnt_dscnt 0x0
	v_pk_mul_f32 v[104:105], v[102:103], v[100:101] op_sel:[1,1] op_sel_hi:[0,1]
	s_delay_alu instid0(VALU_DEP_1) | instskip(SKIP_2) | instid1(VALU_DEP_3)
	v_pk_fma_f32 v[106:107], v[102:103], v[100:101], v[104:105] op_sel_hi:[1,0,1]
	v_add_nc_u32_e32 v99, 1, v99
	v_pk_fma_f32 v[100:101], v[102:103], v[100:101], v[104:105] neg_lo:[0,0,1] neg_hi:[0,0,1]
	v_mov_b32_e32 v101, v107
	s_delay_alu instid0(VALU_DEP_3) | instskip(NEXT) | instid1(VALU_DEP_2)
	v_cmp_lt_u32_e32 vcc_lo, 2, v99
	v_pk_add_f32 v[94:95], v[94:95], v[100:101]
	s_or_b32 s3, vcc_lo, s3
	s_delay_alu instid0(SALU_CYCLE_1)
	s_and_not1_b32 exec_lo, exec_lo, s3
	s_cbranch_execnz .LBB44_477
; %bb.478:
	s_or_b32 exec_lo, exec_lo, s3
.LBB44_479:
	s_delay_alu instid0(SALU_CYCLE_1) | instskip(SKIP_4) | instid1(VALU_DEP_1)
	s_or_b32 exec_lo, exec_lo, s2
	v_mov_b32_e32 v97, 0
	ds_load_b64 v[98:99], v97 offset:32
	s_wait_dscnt 0x0
	v_pk_mul_f32 v[100:101], v[94:95], v[98:99] op_sel:[1,1] op_sel_hi:[0,1]
	v_pk_fma_f32 v[102:103], v[94:95], v[98:99], v[100:101] op_sel_hi:[1,0,1]
	v_pk_fma_f32 v[94:95], v[94:95], v[98:99], v[100:101] neg_lo:[0,0,1] neg_hi:[0,0,1]
	s_delay_alu instid0(VALU_DEP_2)
	v_mov_b32_e32 v95, v103
	scratch_store_b64 off, v[94:95], off offset:32
.LBB44_480:
	s_wait_xcnt 0x0
	s_or_b32 exec_lo, exec_lo, s0
	scratch_load_b64 v[94:95], off, off offset:40
	s_mov_b32 s0, exec_lo
	s_wait_loadcnt 0x0
	ds_store_b64 v1, v[94:95]
	s_wait_storecnt_dscnt 0x0
	s_barrier_signal -1
	s_barrier_wait -1
	s_wait_xcnt 0x0
	v_cmpx_gt_u32_e32 5, v0
	s_cbranch_execz .LBB44_490
; %bb.481:
	v_cmp_ne_u32_e32 vcc_lo, 1, v96
	s_cbranch_vccnz .LBB44_483
; %bb.482:
	scratch_load_b64 v[94:95], v51, off
	ds_load_b64 v[98:99], v1
	s_wait_loadcnt_dscnt 0x0
	v_pk_mul_f32 v[100:101], v[98:99], v[94:95] op_sel:[1,1] op_sel_hi:[0,1]
	s_delay_alu instid0(VALU_DEP_1) | instskip(SKIP_1) | instid1(VALU_DEP_2)
	v_pk_fma_f32 v[102:103], v[98:99], v[94:95], v[100:101] op_sel_hi:[1,0,1]
	v_pk_fma_f32 v[94:95], v[98:99], v[94:95], v[100:101] neg_lo:[0,0,1] neg_hi:[0,0,1]
	v_mov_b32_e32 v95, v103
	s_cbranch_execz .LBB44_484
	s_branch .LBB44_485
.LBB44_483:
                                        ; implicit-def: $vgpr94_vgpr95
.LBB44_484:
	ds_load_b64 v[94:95], v1
.LBB44_485:
	s_mov_b32 s2, exec_lo
	v_cmpx_ne_u32_e32 4, v0
	s_cbranch_execz .LBB44_489
; %bb.486:
	v_add_nc_u32_e32 v97, 0x178, v50
	v_add3_u32 v98, 0, v50, 8
	v_mov_b32_e32 v99, v0
	s_mov_b32 s3, 0
.LBB44_487:                             ; =>This Inner Loop Header: Depth=1
	scratch_load_b64 v[100:101], v98, off
	ds_load_b64 v[102:103], v97
	s_wait_xcnt 0x0
	v_dual_add_nc_u32 v97, 8, v97 :: v_dual_add_nc_u32 v98, 8, v98
	s_wait_loadcnt_dscnt 0x0
	v_pk_mul_f32 v[104:105], v[102:103], v[100:101] op_sel:[1,1] op_sel_hi:[0,1]
	s_delay_alu instid0(VALU_DEP_1) | instskip(SKIP_2) | instid1(VALU_DEP_3)
	v_pk_fma_f32 v[106:107], v[102:103], v[100:101], v[104:105] op_sel_hi:[1,0,1]
	v_add_nc_u32_e32 v99, 1, v99
	v_pk_fma_f32 v[100:101], v[102:103], v[100:101], v[104:105] neg_lo:[0,0,1] neg_hi:[0,0,1]
	v_mov_b32_e32 v101, v107
	s_delay_alu instid0(VALU_DEP_3) | instskip(NEXT) | instid1(VALU_DEP_2)
	v_cmp_lt_u32_e32 vcc_lo, 3, v99
	v_pk_add_f32 v[94:95], v[94:95], v[100:101]
	s_or_b32 s3, vcc_lo, s3
	s_delay_alu instid0(SALU_CYCLE_1)
	s_and_not1_b32 exec_lo, exec_lo, s3
	s_cbranch_execnz .LBB44_487
; %bb.488:
	s_or_b32 exec_lo, exec_lo, s3
.LBB44_489:
	s_delay_alu instid0(SALU_CYCLE_1) | instskip(SKIP_4) | instid1(VALU_DEP_1)
	s_or_b32 exec_lo, exec_lo, s2
	v_mov_b32_e32 v97, 0
	ds_load_b64 v[98:99], v97 offset:40
	s_wait_dscnt 0x0
	v_pk_mul_f32 v[100:101], v[94:95], v[98:99] op_sel:[1,1] op_sel_hi:[0,1]
	v_pk_fma_f32 v[102:103], v[94:95], v[98:99], v[100:101] op_sel_hi:[1,0,1]
	v_pk_fma_f32 v[94:95], v[94:95], v[98:99], v[100:101] neg_lo:[0,0,1] neg_hi:[0,0,1]
	s_delay_alu instid0(VALU_DEP_2)
	v_mov_b32_e32 v95, v103
	scratch_store_b64 off, v[94:95], off offset:40
.LBB44_490:
	s_wait_xcnt 0x0
	s_or_b32 exec_lo, exec_lo, s0
	scratch_load_b64 v[94:95], off, off offset:48
	s_mov_b32 s0, exec_lo
	s_wait_loadcnt 0x0
	ds_store_b64 v1, v[94:95]
	s_wait_storecnt_dscnt 0x0
	s_barrier_signal -1
	s_barrier_wait -1
	s_wait_xcnt 0x0
	v_cmpx_gt_u32_e32 6, v0
	s_cbranch_execz .LBB44_500
; %bb.491:
	v_cmp_ne_u32_e32 vcc_lo, 1, v96
	s_cbranch_vccnz .LBB44_493
; %bb.492:
	scratch_load_b64 v[94:95], v51, off
	ds_load_b64 v[98:99], v1
	s_wait_loadcnt_dscnt 0x0
	v_pk_mul_f32 v[100:101], v[98:99], v[94:95] op_sel:[1,1] op_sel_hi:[0,1]
	s_delay_alu instid0(VALU_DEP_1) | instskip(SKIP_1) | instid1(VALU_DEP_2)
	v_pk_fma_f32 v[102:103], v[98:99], v[94:95], v[100:101] op_sel_hi:[1,0,1]
	v_pk_fma_f32 v[94:95], v[98:99], v[94:95], v[100:101] neg_lo:[0,0,1] neg_hi:[0,0,1]
	v_mov_b32_e32 v95, v103
	s_cbranch_execz .LBB44_494
	s_branch .LBB44_495
.LBB44_493:
                                        ; implicit-def: $vgpr94_vgpr95
.LBB44_494:
	ds_load_b64 v[94:95], v1
.LBB44_495:
	s_mov_b32 s2, exec_lo
	v_cmpx_ne_u32_e32 5, v0
	s_cbranch_execz .LBB44_499
; %bb.496:
	v_add_nc_u32_e32 v97, 0x178, v50
	v_add3_u32 v98, 0, v50, 8
	v_mov_b32_e32 v99, v0
	s_mov_b32 s3, 0
.LBB44_497:                             ; =>This Inner Loop Header: Depth=1
	scratch_load_b64 v[100:101], v98, off
	ds_load_b64 v[102:103], v97
	s_wait_xcnt 0x0
	v_dual_add_nc_u32 v97, 8, v97 :: v_dual_add_nc_u32 v98, 8, v98
	s_wait_loadcnt_dscnt 0x0
	v_pk_mul_f32 v[104:105], v[102:103], v[100:101] op_sel:[1,1] op_sel_hi:[0,1]
	s_delay_alu instid0(VALU_DEP_1) | instskip(SKIP_2) | instid1(VALU_DEP_3)
	v_pk_fma_f32 v[106:107], v[102:103], v[100:101], v[104:105] op_sel_hi:[1,0,1]
	v_add_nc_u32_e32 v99, 1, v99
	v_pk_fma_f32 v[100:101], v[102:103], v[100:101], v[104:105] neg_lo:[0,0,1] neg_hi:[0,0,1]
	v_mov_b32_e32 v101, v107
	s_delay_alu instid0(VALU_DEP_3) | instskip(NEXT) | instid1(VALU_DEP_2)
	v_cmp_lt_u32_e32 vcc_lo, 4, v99
	v_pk_add_f32 v[94:95], v[94:95], v[100:101]
	s_or_b32 s3, vcc_lo, s3
	s_delay_alu instid0(SALU_CYCLE_1)
	s_and_not1_b32 exec_lo, exec_lo, s3
	s_cbranch_execnz .LBB44_497
; %bb.498:
	s_or_b32 exec_lo, exec_lo, s3
.LBB44_499:
	s_delay_alu instid0(SALU_CYCLE_1) | instskip(SKIP_4) | instid1(VALU_DEP_1)
	s_or_b32 exec_lo, exec_lo, s2
	v_mov_b32_e32 v97, 0
	ds_load_b64 v[98:99], v97 offset:48
	s_wait_dscnt 0x0
	v_pk_mul_f32 v[100:101], v[94:95], v[98:99] op_sel:[1,1] op_sel_hi:[0,1]
	v_pk_fma_f32 v[102:103], v[94:95], v[98:99], v[100:101] op_sel_hi:[1,0,1]
	v_pk_fma_f32 v[94:95], v[94:95], v[98:99], v[100:101] neg_lo:[0,0,1] neg_hi:[0,0,1]
	s_delay_alu instid0(VALU_DEP_2)
	v_mov_b32_e32 v95, v103
	scratch_store_b64 off, v[94:95], off offset:48
.LBB44_500:
	s_wait_xcnt 0x0
	s_or_b32 exec_lo, exec_lo, s0
	scratch_load_b64 v[94:95], off, off offset:56
	s_mov_b32 s0, exec_lo
	s_wait_loadcnt 0x0
	ds_store_b64 v1, v[94:95]
	s_wait_storecnt_dscnt 0x0
	s_barrier_signal -1
	s_barrier_wait -1
	s_wait_xcnt 0x0
	v_cmpx_gt_u32_e32 7, v0
	s_cbranch_execz .LBB44_510
; %bb.501:
	v_cmp_ne_u32_e32 vcc_lo, 1, v96
	s_cbranch_vccnz .LBB44_503
; %bb.502:
	scratch_load_b64 v[94:95], v51, off
	ds_load_b64 v[98:99], v1
	s_wait_loadcnt_dscnt 0x0
	v_pk_mul_f32 v[100:101], v[98:99], v[94:95] op_sel:[1,1] op_sel_hi:[0,1]
	s_delay_alu instid0(VALU_DEP_1) | instskip(SKIP_1) | instid1(VALU_DEP_2)
	v_pk_fma_f32 v[102:103], v[98:99], v[94:95], v[100:101] op_sel_hi:[1,0,1]
	v_pk_fma_f32 v[94:95], v[98:99], v[94:95], v[100:101] neg_lo:[0,0,1] neg_hi:[0,0,1]
	v_mov_b32_e32 v95, v103
	s_cbranch_execz .LBB44_504
	s_branch .LBB44_505
.LBB44_503:
                                        ; implicit-def: $vgpr94_vgpr95
.LBB44_504:
	ds_load_b64 v[94:95], v1
.LBB44_505:
	s_mov_b32 s2, exec_lo
	v_cmpx_ne_u32_e32 6, v0
	s_cbranch_execz .LBB44_509
; %bb.506:
	v_add_nc_u32_e32 v97, 0x178, v50
	v_add3_u32 v98, 0, v50, 8
	v_mov_b32_e32 v99, v0
	s_mov_b32 s3, 0
.LBB44_507:                             ; =>This Inner Loop Header: Depth=1
	scratch_load_b64 v[100:101], v98, off
	ds_load_b64 v[102:103], v97
	s_wait_xcnt 0x0
	v_dual_add_nc_u32 v97, 8, v97 :: v_dual_add_nc_u32 v98, 8, v98
	s_wait_loadcnt_dscnt 0x0
	v_pk_mul_f32 v[104:105], v[102:103], v[100:101] op_sel:[1,1] op_sel_hi:[0,1]
	s_delay_alu instid0(VALU_DEP_1) | instskip(SKIP_2) | instid1(VALU_DEP_3)
	v_pk_fma_f32 v[106:107], v[102:103], v[100:101], v[104:105] op_sel_hi:[1,0,1]
	v_add_nc_u32_e32 v99, 1, v99
	v_pk_fma_f32 v[100:101], v[102:103], v[100:101], v[104:105] neg_lo:[0,0,1] neg_hi:[0,0,1]
	v_mov_b32_e32 v101, v107
	s_delay_alu instid0(VALU_DEP_3) | instskip(NEXT) | instid1(VALU_DEP_2)
	v_cmp_lt_u32_e32 vcc_lo, 5, v99
	v_pk_add_f32 v[94:95], v[94:95], v[100:101]
	s_or_b32 s3, vcc_lo, s3
	s_delay_alu instid0(SALU_CYCLE_1)
	s_and_not1_b32 exec_lo, exec_lo, s3
	s_cbranch_execnz .LBB44_507
; %bb.508:
	s_or_b32 exec_lo, exec_lo, s3
.LBB44_509:
	s_delay_alu instid0(SALU_CYCLE_1) | instskip(SKIP_4) | instid1(VALU_DEP_1)
	s_or_b32 exec_lo, exec_lo, s2
	v_mov_b32_e32 v97, 0
	ds_load_b64 v[98:99], v97 offset:56
	s_wait_dscnt 0x0
	v_pk_mul_f32 v[100:101], v[94:95], v[98:99] op_sel:[1,1] op_sel_hi:[0,1]
	v_pk_fma_f32 v[102:103], v[94:95], v[98:99], v[100:101] op_sel_hi:[1,0,1]
	v_pk_fma_f32 v[94:95], v[94:95], v[98:99], v[100:101] neg_lo:[0,0,1] neg_hi:[0,0,1]
	s_delay_alu instid0(VALU_DEP_2)
	v_mov_b32_e32 v95, v103
	scratch_store_b64 off, v[94:95], off offset:56
.LBB44_510:
	s_wait_xcnt 0x0
	s_or_b32 exec_lo, exec_lo, s0
	scratch_load_b64 v[94:95], off, off offset:64
	s_mov_b32 s0, exec_lo
	s_wait_loadcnt 0x0
	ds_store_b64 v1, v[94:95]
	s_wait_storecnt_dscnt 0x0
	s_barrier_signal -1
	s_barrier_wait -1
	s_wait_xcnt 0x0
	v_cmpx_gt_u32_e32 8, v0
	s_cbranch_execz .LBB44_520
; %bb.511:
	v_cmp_ne_u32_e32 vcc_lo, 1, v96
	s_cbranch_vccnz .LBB44_513
; %bb.512:
	scratch_load_b64 v[94:95], v51, off
	ds_load_b64 v[98:99], v1
	s_wait_loadcnt_dscnt 0x0
	v_pk_mul_f32 v[100:101], v[98:99], v[94:95] op_sel:[1,1] op_sel_hi:[0,1]
	s_delay_alu instid0(VALU_DEP_1) | instskip(SKIP_1) | instid1(VALU_DEP_2)
	v_pk_fma_f32 v[102:103], v[98:99], v[94:95], v[100:101] op_sel_hi:[1,0,1]
	v_pk_fma_f32 v[94:95], v[98:99], v[94:95], v[100:101] neg_lo:[0,0,1] neg_hi:[0,0,1]
	v_mov_b32_e32 v95, v103
	s_cbranch_execz .LBB44_514
	s_branch .LBB44_515
.LBB44_513:
                                        ; implicit-def: $vgpr94_vgpr95
.LBB44_514:
	ds_load_b64 v[94:95], v1
.LBB44_515:
	s_mov_b32 s2, exec_lo
	v_cmpx_ne_u32_e32 7, v0
	s_cbranch_execz .LBB44_519
; %bb.516:
	v_add_nc_u32_e32 v97, 0x178, v50
	v_add3_u32 v98, 0, v50, 8
	v_mov_b32_e32 v99, v0
	s_mov_b32 s3, 0
.LBB44_517:                             ; =>This Inner Loop Header: Depth=1
	scratch_load_b64 v[100:101], v98, off
	ds_load_b64 v[102:103], v97
	s_wait_xcnt 0x0
	v_dual_add_nc_u32 v97, 8, v97 :: v_dual_add_nc_u32 v98, 8, v98
	s_wait_loadcnt_dscnt 0x0
	v_pk_mul_f32 v[104:105], v[102:103], v[100:101] op_sel:[1,1] op_sel_hi:[0,1]
	s_delay_alu instid0(VALU_DEP_1) | instskip(SKIP_2) | instid1(VALU_DEP_3)
	v_pk_fma_f32 v[106:107], v[102:103], v[100:101], v[104:105] op_sel_hi:[1,0,1]
	v_add_nc_u32_e32 v99, 1, v99
	v_pk_fma_f32 v[100:101], v[102:103], v[100:101], v[104:105] neg_lo:[0,0,1] neg_hi:[0,0,1]
	v_mov_b32_e32 v101, v107
	s_delay_alu instid0(VALU_DEP_3) | instskip(NEXT) | instid1(VALU_DEP_2)
	v_cmp_lt_u32_e32 vcc_lo, 6, v99
	v_pk_add_f32 v[94:95], v[94:95], v[100:101]
	s_or_b32 s3, vcc_lo, s3
	s_delay_alu instid0(SALU_CYCLE_1)
	s_and_not1_b32 exec_lo, exec_lo, s3
	s_cbranch_execnz .LBB44_517
; %bb.518:
	s_or_b32 exec_lo, exec_lo, s3
.LBB44_519:
	s_delay_alu instid0(SALU_CYCLE_1) | instskip(SKIP_4) | instid1(VALU_DEP_1)
	s_or_b32 exec_lo, exec_lo, s2
	v_mov_b32_e32 v97, 0
	ds_load_b64 v[98:99], v97 offset:64
	s_wait_dscnt 0x0
	v_pk_mul_f32 v[100:101], v[94:95], v[98:99] op_sel:[1,1] op_sel_hi:[0,1]
	v_pk_fma_f32 v[102:103], v[94:95], v[98:99], v[100:101] op_sel_hi:[1,0,1]
	v_pk_fma_f32 v[94:95], v[94:95], v[98:99], v[100:101] neg_lo:[0,0,1] neg_hi:[0,0,1]
	s_delay_alu instid0(VALU_DEP_2)
	v_mov_b32_e32 v95, v103
	scratch_store_b64 off, v[94:95], off offset:64
.LBB44_520:
	s_wait_xcnt 0x0
	s_or_b32 exec_lo, exec_lo, s0
	scratch_load_b64 v[94:95], off, off offset:72
	s_mov_b32 s0, exec_lo
	s_wait_loadcnt 0x0
	ds_store_b64 v1, v[94:95]
	s_wait_storecnt_dscnt 0x0
	s_barrier_signal -1
	s_barrier_wait -1
	s_wait_xcnt 0x0
	v_cmpx_gt_u32_e32 9, v0
	s_cbranch_execz .LBB44_530
; %bb.521:
	v_cmp_ne_u32_e32 vcc_lo, 1, v96
	s_cbranch_vccnz .LBB44_523
; %bb.522:
	scratch_load_b64 v[94:95], v51, off
	ds_load_b64 v[98:99], v1
	s_wait_loadcnt_dscnt 0x0
	v_pk_mul_f32 v[100:101], v[98:99], v[94:95] op_sel:[1,1] op_sel_hi:[0,1]
	s_delay_alu instid0(VALU_DEP_1) | instskip(SKIP_1) | instid1(VALU_DEP_2)
	v_pk_fma_f32 v[102:103], v[98:99], v[94:95], v[100:101] op_sel_hi:[1,0,1]
	v_pk_fma_f32 v[94:95], v[98:99], v[94:95], v[100:101] neg_lo:[0,0,1] neg_hi:[0,0,1]
	v_mov_b32_e32 v95, v103
	s_cbranch_execz .LBB44_524
	s_branch .LBB44_525
.LBB44_523:
                                        ; implicit-def: $vgpr94_vgpr95
.LBB44_524:
	ds_load_b64 v[94:95], v1
.LBB44_525:
	s_mov_b32 s2, exec_lo
	v_cmpx_ne_u32_e32 8, v0
	s_cbranch_execz .LBB44_529
; %bb.526:
	v_add_nc_u32_e32 v97, 0x178, v50
	v_add3_u32 v98, 0, v50, 8
	v_mov_b32_e32 v99, v0
	s_mov_b32 s3, 0
.LBB44_527:                             ; =>This Inner Loop Header: Depth=1
	scratch_load_b64 v[100:101], v98, off
	ds_load_b64 v[102:103], v97
	s_wait_xcnt 0x0
	v_dual_add_nc_u32 v97, 8, v97 :: v_dual_add_nc_u32 v98, 8, v98
	s_wait_loadcnt_dscnt 0x0
	v_pk_mul_f32 v[104:105], v[102:103], v[100:101] op_sel:[1,1] op_sel_hi:[0,1]
	s_delay_alu instid0(VALU_DEP_1) | instskip(SKIP_2) | instid1(VALU_DEP_3)
	v_pk_fma_f32 v[106:107], v[102:103], v[100:101], v[104:105] op_sel_hi:[1,0,1]
	v_add_nc_u32_e32 v99, 1, v99
	v_pk_fma_f32 v[100:101], v[102:103], v[100:101], v[104:105] neg_lo:[0,0,1] neg_hi:[0,0,1]
	v_mov_b32_e32 v101, v107
	s_delay_alu instid0(VALU_DEP_3) | instskip(NEXT) | instid1(VALU_DEP_2)
	v_cmp_lt_u32_e32 vcc_lo, 7, v99
	v_pk_add_f32 v[94:95], v[94:95], v[100:101]
	s_or_b32 s3, vcc_lo, s3
	s_delay_alu instid0(SALU_CYCLE_1)
	s_and_not1_b32 exec_lo, exec_lo, s3
	s_cbranch_execnz .LBB44_527
; %bb.528:
	s_or_b32 exec_lo, exec_lo, s3
.LBB44_529:
	s_delay_alu instid0(SALU_CYCLE_1) | instskip(SKIP_4) | instid1(VALU_DEP_1)
	s_or_b32 exec_lo, exec_lo, s2
	v_mov_b32_e32 v97, 0
	ds_load_b64 v[98:99], v97 offset:72
	s_wait_dscnt 0x0
	v_pk_mul_f32 v[100:101], v[94:95], v[98:99] op_sel:[1,1] op_sel_hi:[0,1]
	v_pk_fma_f32 v[102:103], v[94:95], v[98:99], v[100:101] op_sel_hi:[1,0,1]
	v_pk_fma_f32 v[94:95], v[94:95], v[98:99], v[100:101] neg_lo:[0,0,1] neg_hi:[0,0,1]
	s_delay_alu instid0(VALU_DEP_2)
	v_mov_b32_e32 v95, v103
	scratch_store_b64 off, v[94:95], off offset:72
.LBB44_530:
	s_wait_xcnt 0x0
	s_or_b32 exec_lo, exec_lo, s0
	scratch_load_b64 v[94:95], off, off offset:80
	s_mov_b32 s0, exec_lo
	s_wait_loadcnt 0x0
	ds_store_b64 v1, v[94:95]
	s_wait_storecnt_dscnt 0x0
	s_barrier_signal -1
	s_barrier_wait -1
	s_wait_xcnt 0x0
	v_cmpx_gt_u32_e32 10, v0
	s_cbranch_execz .LBB44_540
; %bb.531:
	v_cmp_ne_u32_e32 vcc_lo, 1, v96
	s_cbranch_vccnz .LBB44_533
; %bb.532:
	scratch_load_b64 v[94:95], v51, off
	ds_load_b64 v[98:99], v1
	s_wait_loadcnt_dscnt 0x0
	v_pk_mul_f32 v[100:101], v[98:99], v[94:95] op_sel:[1,1] op_sel_hi:[0,1]
	s_delay_alu instid0(VALU_DEP_1) | instskip(SKIP_1) | instid1(VALU_DEP_2)
	v_pk_fma_f32 v[102:103], v[98:99], v[94:95], v[100:101] op_sel_hi:[1,0,1]
	v_pk_fma_f32 v[94:95], v[98:99], v[94:95], v[100:101] neg_lo:[0,0,1] neg_hi:[0,0,1]
	v_mov_b32_e32 v95, v103
	s_cbranch_execz .LBB44_534
	s_branch .LBB44_535
.LBB44_533:
                                        ; implicit-def: $vgpr94_vgpr95
.LBB44_534:
	ds_load_b64 v[94:95], v1
.LBB44_535:
	s_mov_b32 s2, exec_lo
	v_cmpx_ne_u32_e32 9, v0
	s_cbranch_execz .LBB44_539
; %bb.536:
	v_add_nc_u32_e32 v97, 0x178, v50
	v_add3_u32 v98, 0, v50, 8
	v_mov_b32_e32 v99, v0
	s_mov_b32 s3, 0
.LBB44_537:                             ; =>This Inner Loop Header: Depth=1
	scratch_load_b64 v[100:101], v98, off
	ds_load_b64 v[102:103], v97
	s_wait_xcnt 0x0
	v_dual_add_nc_u32 v97, 8, v97 :: v_dual_add_nc_u32 v98, 8, v98
	s_wait_loadcnt_dscnt 0x0
	v_pk_mul_f32 v[104:105], v[102:103], v[100:101] op_sel:[1,1] op_sel_hi:[0,1]
	s_delay_alu instid0(VALU_DEP_1) | instskip(SKIP_2) | instid1(VALU_DEP_3)
	v_pk_fma_f32 v[106:107], v[102:103], v[100:101], v[104:105] op_sel_hi:[1,0,1]
	v_add_nc_u32_e32 v99, 1, v99
	v_pk_fma_f32 v[100:101], v[102:103], v[100:101], v[104:105] neg_lo:[0,0,1] neg_hi:[0,0,1]
	v_mov_b32_e32 v101, v107
	s_delay_alu instid0(VALU_DEP_3) | instskip(NEXT) | instid1(VALU_DEP_2)
	v_cmp_lt_u32_e32 vcc_lo, 8, v99
	v_pk_add_f32 v[94:95], v[94:95], v[100:101]
	s_or_b32 s3, vcc_lo, s3
	s_delay_alu instid0(SALU_CYCLE_1)
	s_and_not1_b32 exec_lo, exec_lo, s3
	s_cbranch_execnz .LBB44_537
; %bb.538:
	s_or_b32 exec_lo, exec_lo, s3
.LBB44_539:
	s_delay_alu instid0(SALU_CYCLE_1) | instskip(SKIP_4) | instid1(VALU_DEP_1)
	s_or_b32 exec_lo, exec_lo, s2
	v_mov_b32_e32 v97, 0
	ds_load_b64 v[98:99], v97 offset:80
	s_wait_dscnt 0x0
	v_pk_mul_f32 v[100:101], v[94:95], v[98:99] op_sel:[1,1] op_sel_hi:[0,1]
	v_pk_fma_f32 v[102:103], v[94:95], v[98:99], v[100:101] op_sel_hi:[1,0,1]
	v_pk_fma_f32 v[94:95], v[94:95], v[98:99], v[100:101] neg_lo:[0,0,1] neg_hi:[0,0,1]
	s_delay_alu instid0(VALU_DEP_2)
	v_mov_b32_e32 v95, v103
	scratch_store_b64 off, v[94:95], off offset:80
.LBB44_540:
	s_wait_xcnt 0x0
	s_or_b32 exec_lo, exec_lo, s0
	scratch_load_b64 v[94:95], off, off offset:88
	s_mov_b32 s0, exec_lo
	s_wait_loadcnt 0x0
	ds_store_b64 v1, v[94:95]
	s_wait_storecnt_dscnt 0x0
	s_barrier_signal -1
	s_barrier_wait -1
	s_wait_xcnt 0x0
	v_cmpx_gt_u32_e32 11, v0
	s_cbranch_execz .LBB44_550
; %bb.541:
	v_cmp_ne_u32_e32 vcc_lo, 1, v96
	s_cbranch_vccnz .LBB44_543
; %bb.542:
	scratch_load_b64 v[94:95], v51, off
	ds_load_b64 v[98:99], v1
	s_wait_loadcnt_dscnt 0x0
	v_pk_mul_f32 v[100:101], v[98:99], v[94:95] op_sel:[1,1] op_sel_hi:[0,1]
	s_delay_alu instid0(VALU_DEP_1) | instskip(SKIP_1) | instid1(VALU_DEP_2)
	v_pk_fma_f32 v[102:103], v[98:99], v[94:95], v[100:101] op_sel_hi:[1,0,1]
	v_pk_fma_f32 v[94:95], v[98:99], v[94:95], v[100:101] neg_lo:[0,0,1] neg_hi:[0,0,1]
	v_mov_b32_e32 v95, v103
	s_cbranch_execz .LBB44_544
	s_branch .LBB44_545
.LBB44_543:
                                        ; implicit-def: $vgpr94_vgpr95
.LBB44_544:
	ds_load_b64 v[94:95], v1
.LBB44_545:
	s_mov_b32 s2, exec_lo
	v_cmpx_ne_u32_e32 10, v0
	s_cbranch_execz .LBB44_549
; %bb.546:
	v_add_nc_u32_e32 v97, 0x178, v50
	v_add3_u32 v98, 0, v50, 8
	v_mov_b32_e32 v99, v0
	s_mov_b32 s3, 0
.LBB44_547:                             ; =>This Inner Loop Header: Depth=1
	scratch_load_b64 v[100:101], v98, off
	ds_load_b64 v[102:103], v97
	s_wait_xcnt 0x0
	v_dual_add_nc_u32 v97, 8, v97 :: v_dual_add_nc_u32 v98, 8, v98
	s_wait_loadcnt_dscnt 0x0
	v_pk_mul_f32 v[104:105], v[102:103], v[100:101] op_sel:[1,1] op_sel_hi:[0,1]
	s_delay_alu instid0(VALU_DEP_1) | instskip(SKIP_2) | instid1(VALU_DEP_3)
	v_pk_fma_f32 v[106:107], v[102:103], v[100:101], v[104:105] op_sel_hi:[1,0,1]
	v_add_nc_u32_e32 v99, 1, v99
	v_pk_fma_f32 v[100:101], v[102:103], v[100:101], v[104:105] neg_lo:[0,0,1] neg_hi:[0,0,1]
	v_mov_b32_e32 v101, v107
	s_delay_alu instid0(VALU_DEP_3) | instskip(NEXT) | instid1(VALU_DEP_2)
	v_cmp_lt_u32_e32 vcc_lo, 9, v99
	v_pk_add_f32 v[94:95], v[94:95], v[100:101]
	s_or_b32 s3, vcc_lo, s3
	s_delay_alu instid0(SALU_CYCLE_1)
	s_and_not1_b32 exec_lo, exec_lo, s3
	s_cbranch_execnz .LBB44_547
; %bb.548:
	s_or_b32 exec_lo, exec_lo, s3
.LBB44_549:
	s_delay_alu instid0(SALU_CYCLE_1) | instskip(SKIP_4) | instid1(VALU_DEP_1)
	s_or_b32 exec_lo, exec_lo, s2
	v_mov_b32_e32 v97, 0
	ds_load_b64 v[98:99], v97 offset:88
	s_wait_dscnt 0x0
	v_pk_mul_f32 v[100:101], v[94:95], v[98:99] op_sel:[1,1] op_sel_hi:[0,1]
	v_pk_fma_f32 v[102:103], v[94:95], v[98:99], v[100:101] op_sel_hi:[1,0,1]
	v_pk_fma_f32 v[94:95], v[94:95], v[98:99], v[100:101] neg_lo:[0,0,1] neg_hi:[0,0,1]
	s_delay_alu instid0(VALU_DEP_2)
	v_mov_b32_e32 v95, v103
	scratch_store_b64 off, v[94:95], off offset:88
.LBB44_550:
	s_wait_xcnt 0x0
	s_or_b32 exec_lo, exec_lo, s0
	scratch_load_b64 v[94:95], off, off offset:96
	s_mov_b32 s0, exec_lo
	s_wait_loadcnt 0x0
	ds_store_b64 v1, v[94:95]
	s_wait_storecnt_dscnt 0x0
	s_barrier_signal -1
	s_barrier_wait -1
	s_wait_xcnt 0x0
	v_cmpx_gt_u32_e32 12, v0
	s_cbranch_execz .LBB44_560
; %bb.551:
	v_cmp_ne_u32_e32 vcc_lo, 1, v96
	s_cbranch_vccnz .LBB44_553
; %bb.552:
	scratch_load_b64 v[94:95], v51, off
	ds_load_b64 v[98:99], v1
	s_wait_loadcnt_dscnt 0x0
	v_pk_mul_f32 v[100:101], v[98:99], v[94:95] op_sel:[1,1] op_sel_hi:[0,1]
	s_delay_alu instid0(VALU_DEP_1) | instskip(SKIP_1) | instid1(VALU_DEP_2)
	v_pk_fma_f32 v[102:103], v[98:99], v[94:95], v[100:101] op_sel_hi:[1,0,1]
	v_pk_fma_f32 v[94:95], v[98:99], v[94:95], v[100:101] neg_lo:[0,0,1] neg_hi:[0,0,1]
	v_mov_b32_e32 v95, v103
	s_cbranch_execz .LBB44_554
	s_branch .LBB44_555
.LBB44_553:
                                        ; implicit-def: $vgpr94_vgpr95
.LBB44_554:
	ds_load_b64 v[94:95], v1
.LBB44_555:
	s_mov_b32 s2, exec_lo
	v_cmpx_ne_u32_e32 11, v0
	s_cbranch_execz .LBB44_559
; %bb.556:
	v_add_nc_u32_e32 v97, 0x178, v50
	v_add3_u32 v98, 0, v50, 8
	v_mov_b32_e32 v99, v0
	s_mov_b32 s3, 0
.LBB44_557:                             ; =>This Inner Loop Header: Depth=1
	scratch_load_b64 v[100:101], v98, off
	ds_load_b64 v[102:103], v97
	s_wait_xcnt 0x0
	v_dual_add_nc_u32 v97, 8, v97 :: v_dual_add_nc_u32 v98, 8, v98
	s_wait_loadcnt_dscnt 0x0
	v_pk_mul_f32 v[104:105], v[102:103], v[100:101] op_sel:[1,1] op_sel_hi:[0,1]
	s_delay_alu instid0(VALU_DEP_1) | instskip(SKIP_2) | instid1(VALU_DEP_3)
	v_pk_fma_f32 v[106:107], v[102:103], v[100:101], v[104:105] op_sel_hi:[1,0,1]
	v_add_nc_u32_e32 v99, 1, v99
	v_pk_fma_f32 v[100:101], v[102:103], v[100:101], v[104:105] neg_lo:[0,0,1] neg_hi:[0,0,1]
	v_mov_b32_e32 v101, v107
	s_delay_alu instid0(VALU_DEP_3) | instskip(NEXT) | instid1(VALU_DEP_2)
	v_cmp_lt_u32_e32 vcc_lo, 10, v99
	v_pk_add_f32 v[94:95], v[94:95], v[100:101]
	s_or_b32 s3, vcc_lo, s3
	s_delay_alu instid0(SALU_CYCLE_1)
	s_and_not1_b32 exec_lo, exec_lo, s3
	s_cbranch_execnz .LBB44_557
; %bb.558:
	s_or_b32 exec_lo, exec_lo, s3
.LBB44_559:
	s_delay_alu instid0(SALU_CYCLE_1) | instskip(SKIP_4) | instid1(VALU_DEP_1)
	s_or_b32 exec_lo, exec_lo, s2
	v_mov_b32_e32 v97, 0
	ds_load_b64 v[98:99], v97 offset:96
	s_wait_dscnt 0x0
	v_pk_mul_f32 v[100:101], v[94:95], v[98:99] op_sel:[1,1] op_sel_hi:[0,1]
	v_pk_fma_f32 v[102:103], v[94:95], v[98:99], v[100:101] op_sel_hi:[1,0,1]
	v_pk_fma_f32 v[94:95], v[94:95], v[98:99], v[100:101] neg_lo:[0,0,1] neg_hi:[0,0,1]
	s_delay_alu instid0(VALU_DEP_2)
	v_mov_b32_e32 v95, v103
	scratch_store_b64 off, v[94:95], off offset:96
.LBB44_560:
	s_wait_xcnt 0x0
	s_or_b32 exec_lo, exec_lo, s0
	scratch_load_b64 v[94:95], off, off offset:104
	s_mov_b32 s0, exec_lo
	s_wait_loadcnt 0x0
	ds_store_b64 v1, v[94:95]
	s_wait_storecnt_dscnt 0x0
	s_barrier_signal -1
	s_barrier_wait -1
	s_wait_xcnt 0x0
	v_cmpx_gt_u32_e32 13, v0
	s_cbranch_execz .LBB44_570
; %bb.561:
	v_cmp_ne_u32_e32 vcc_lo, 1, v96
	s_cbranch_vccnz .LBB44_563
; %bb.562:
	scratch_load_b64 v[94:95], v51, off
	ds_load_b64 v[98:99], v1
	s_wait_loadcnt_dscnt 0x0
	v_pk_mul_f32 v[100:101], v[98:99], v[94:95] op_sel:[1,1] op_sel_hi:[0,1]
	s_delay_alu instid0(VALU_DEP_1) | instskip(SKIP_1) | instid1(VALU_DEP_2)
	v_pk_fma_f32 v[102:103], v[98:99], v[94:95], v[100:101] op_sel_hi:[1,0,1]
	v_pk_fma_f32 v[94:95], v[98:99], v[94:95], v[100:101] neg_lo:[0,0,1] neg_hi:[0,0,1]
	v_mov_b32_e32 v95, v103
	s_cbranch_execz .LBB44_564
	s_branch .LBB44_565
.LBB44_563:
                                        ; implicit-def: $vgpr94_vgpr95
.LBB44_564:
	ds_load_b64 v[94:95], v1
.LBB44_565:
	s_mov_b32 s2, exec_lo
	v_cmpx_ne_u32_e32 12, v0
	s_cbranch_execz .LBB44_569
; %bb.566:
	v_add_nc_u32_e32 v97, 0x178, v50
	v_add3_u32 v98, 0, v50, 8
	v_mov_b32_e32 v99, v0
	s_mov_b32 s3, 0
.LBB44_567:                             ; =>This Inner Loop Header: Depth=1
	scratch_load_b64 v[100:101], v98, off
	ds_load_b64 v[102:103], v97
	s_wait_xcnt 0x0
	v_dual_add_nc_u32 v97, 8, v97 :: v_dual_add_nc_u32 v98, 8, v98
	s_wait_loadcnt_dscnt 0x0
	v_pk_mul_f32 v[104:105], v[102:103], v[100:101] op_sel:[1,1] op_sel_hi:[0,1]
	s_delay_alu instid0(VALU_DEP_1) | instskip(SKIP_2) | instid1(VALU_DEP_3)
	v_pk_fma_f32 v[106:107], v[102:103], v[100:101], v[104:105] op_sel_hi:[1,0,1]
	v_add_nc_u32_e32 v99, 1, v99
	v_pk_fma_f32 v[100:101], v[102:103], v[100:101], v[104:105] neg_lo:[0,0,1] neg_hi:[0,0,1]
	v_mov_b32_e32 v101, v107
	s_delay_alu instid0(VALU_DEP_3) | instskip(NEXT) | instid1(VALU_DEP_2)
	v_cmp_lt_u32_e32 vcc_lo, 11, v99
	v_pk_add_f32 v[94:95], v[94:95], v[100:101]
	s_or_b32 s3, vcc_lo, s3
	s_delay_alu instid0(SALU_CYCLE_1)
	s_and_not1_b32 exec_lo, exec_lo, s3
	s_cbranch_execnz .LBB44_567
; %bb.568:
	s_or_b32 exec_lo, exec_lo, s3
.LBB44_569:
	s_delay_alu instid0(SALU_CYCLE_1) | instskip(SKIP_4) | instid1(VALU_DEP_1)
	s_or_b32 exec_lo, exec_lo, s2
	v_mov_b32_e32 v97, 0
	ds_load_b64 v[98:99], v97 offset:104
	s_wait_dscnt 0x0
	v_pk_mul_f32 v[100:101], v[94:95], v[98:99] op_sel:[1,1] op_sel_hi:[0,1]
	v_pk_fma_f32 v[102:103], v[94:95], v[98:99], v[100:101] op_sel_hi:[1,0,1]
	v_pk_fma_f32 v[94:95], v[94:95], v[98:99], v[100:101] neg_lo:[0,0,1] neg_hi:[0,0,1]
	s_delay_alu instid0(VALU_DEP_2)
	v_mov_b32_e32 v95, v103
	scratch_store_b64 off, v[94:95], off offset:104
.LBB44_570:
	s_wait_xcnt 0x0
	s_or_b32 exec_lo, exec_lo, s0
	scratch_load_b64 v[94:95], off, off offset:112
	s_mov_b32 s0, exec_lo
	s_wait_loadcnt 0x0
	ds_store_b64 v1, v[94:95]
	s_wait_storecnt_dscnt 0x0
	s_barrier_signal -1
	s_barrier_wait -1
	s_wait_xcnt 0x0
	v_cmpx_gt_u32_e32 14, v0
	s_cbranch_execz .LBB44_580
; %bb.571:
	v_cmp_ne_u32_e32 vcc_lo, 1, v96
	s_cbranch_vccnz .LBB44_573
; %bb.572:
	scratch_load_b64 v[94:95], v51, off
	ds_load_b64 v[98:99], v1
	s_wait_loadcnt_dscnt 0x0
	v_pk_mul_f32 v[100:101], v[98:99], v[94:95] op_sel:[1,1] op_sel_hi:[0,1]
	s_delay_alu instid0(VALU_DEP_1) | instskip(SKIP_1) | instid1(VALU_DEP_2)
	v_pk_fma_f32 v[102:103], v[98:99], v[94:95], v[100:101] op_sel_hi:[1,0,1]
	v_pk_fma_f32 v[94:95], v[98:99], v[94:95], v[100:101] neg_lo:[0,0,1] neg_hi:[0,0,1]
	v_mov_b32_e32 v95, v103
	s_cbranch_execz .LBB44_574
	s_branch .LBB44_575
.LBB44_573:
                                        ; implicit-def: $vgpr94_vgpr95
.LBB44_574:
	ds_load_b64 v[94:95], v1
.LBB44_575:
	s_mov_b32 s2, exec_lo
	v_cmpx_ne_u32_e32 13, v0
	s_cbranch_execz .LBB44_579
; %bb.576:
	v_add_nc_u32_e32 v97, 0x178, v50
	v_add3_u32 v98, 0, v50, 8
	v_mov_b32_e32 v99, v0
	s_mov_b32 s3, 0
.LBB44_577:                             ; =>This Inner Loop Header: Depth=1
	scratch_load_b64 v[100:101], v98, off
	ds_load_b64 v[102:103], v97
	s_wait_xcnt 0x0
	v_dual_add_nc_u32 v97, 8, v97 :: v_dual_add_nc_u32 v98, 8, v98
	s_wait_loadcnt_dscnt 0x0
	v_pk_mul_f32 v[104:105], v[102:103], v[100:101] op_sel:[1,1] op_sel_hi:[0,1]
	s_delay_alu instid0(VALU_DEP_1) | instskip(SKIP_2) | instid1(VALU_DEP_3)
	v_pk_fma_f32 v[106:107], v[102:103], v[100:101], v[104:105] op_sel_hi:[1,0,1]
	v_add_nc_u32_e32 v99, 1, v99
	v_pk_fma_f32 v[100:101], v[102:103], v[100:101], v[104:105] neg_lo:[0,0,1] neg_hi:[0,0,1]
	v_mov_b32_e32 v101, v107
	s_delay_alu instid0(VALU_DEP_3) | instskip(NEXT) | instid1(VALU_DEP_2)
	v_cmp_lt_u32_e32 vcc_lo, 12, v99
	v_pk_add_f32 v[94:95], v[94:95], v[100:101]
	s_or_b32 s3, vcc_lo, s3
	s_delay_alu instid0(SALU_CYCLE_1)
	s_and_not1_b32 exec_lo, exec_lo, s3
	s_cbranch_execnz .LBB44_577
; %bb.578:
	s_or_b32 exec_lo, exec_lo, s3
.LBB44_579:
	s_delay_alu instid0(SALU_CYCLE_1) | instskip(SKIP_4) | instid1(VALU_DEP_1)
	s_or_b32 exec_lo, exec_lo, s2
	v_mov_b32_e32 v97, 0
	ds_load_b64 v[98:99], v97 offset:112
	s_wait_dscnt 0x0
	v_pk_mul_f32 v[100:101], v[94:95], v[98:99] op_sel:[1,1] op_sel_hi:[0,1]
	v_pk_fma_f32 v[102:103], v[94:95], v[98:99], v[100:101] op_sel_hi:[1,0,1]
	v_pk_fma_f32 v[94:95], v[94:95], v[98:99], v[100:101] neg_lo:[0,0,1] neg_hi:[0,0,1]
	s_delay_alu instid0(VALU_DEP_2)
	v_mov_b32_e32 v95, v103
	scratch_store_b64 off, v[94:95], off offset:112
.LBB44_580:
	s_wait_xcnt 0x0
	s_or_b32 exec_lo, exec_lo, s0
	scratch_load_b64 v[94:95], off, off offset:120
	s_mov_b32 s0, exec_lo
	s_wait_loadcnt 0x0
	ds_store_b64 v1, v[94:95]
	s_wait_storecnt_dscnt 0x0
	s_barrier_signal -1
	s_barrier_wait -1
	s_wait_xcnt 0x0
	v_cmpx_gt_u32_e32 15, v0
	s_cbranch_execz .LBB44_590
; %bb.581:
	v_cmp_ne_u32_e32 vcc_lo, 1, v96
	s_cbranch_vccnz .LBB44_583
; %bb.582:
	scratch_load_b64 v[94:95], v51, off
	ds_load_b64 v[98:99], v1
	s_wait_loadcnt_dscnt 0x0
	v_pk_mul_f32 v[100:101], v[98:99], v[94:95] op_sel:[1,1] op_sel_hi:[0,1]
	s_delay_alu instid0(VALU_DEP_1) | instskip(SKIP_1) | instid1(VALU_DEP_2)
	v_pk_fma_f32 v[102:103], v[98:99], v[94:95], v[100:101] op_sel_hi:[1,0,1]
	v_pk_fma_f32 v[94:95], v[98:99], v[94:95], v[100:101] neg_lo:[0,0,1] neg_hi:[0,0,1]
	v_mov_b32_e32 v95, v103
	s_cbranch_execz .LBB44_584
	s_branch .LBB44_585
.LBB44_583:
                                        ; implicit-def: $vgpr94_vgpr95
.LBB44_584:
	ds_load_b64 v[94:95], v1
.LBB44_585:
	s_mov_b32 s2, exec_lo
	v_cmpx_ne_u32_e32 14, v0
	s_cbranch_execz .LBB44_589
; %bb.586:
	v_add_nc_u32_e32 v97, 0x178, v50
	v_add3_u32 v98, 0, v50, 8
	v_mov_b32_e32 v99, v0
	s_mov_b32 s3, 0
.LBB44_587:                             ; =>This Inner Loop Header: Depth=1
	scratch_load_b64 v[100:101], v98, off
	ds_load_b64 v[102:103], v97
	s_wait_xcnt 0x0
	v_dual_add_nc_u32 v97, 8, v97 :: v_dual_add_nc_u32 v98, 8, v98
	s_wait_loadcnt_dscnt 0x0
	v_pk_mul_f32 v[104:105], v[102:103], v[100:101] op_sel:[1,1] op_sel_hi:[0,1]
	s_delay_alu instid0(VALU_DEP_1) | instskip(SKIP_2) | instid1(VALU_DEP_3)
	v_pk_fma_f32 v[106:107], v[102:103], v[100:101], v[104:105] op_sel_hi:[1,0,1]
	v_add_nc_u32_e32 v99, 1, v99
	v_pk_fma_f32 v[100:101], v[102:103], v[100:101], v[104:105] neg_lo:[0,0,1] neg_hi:[0,0,1]
	v_mov_b32_e32 v101, v107
	s_delay_alu instid0(VALU_DEP_3) | instskip(NEXT) | instid1(VALU_DEP_2)
	v_cmp_lt_u32_e32 vcc_lo, 13, v99
	v_pk_add_f32 v[94:95], v[94:95], v[100:101]
	s_or_b32 s3, vcc_lo, s3
	s_delay_alu instid0(SALU_CYCLE_1)
	s_and_not1_b32 exec_lo, exec_lo, s3
	s_cbranch_execnz .LBB44_587
; %bb.588:
	s_or_b32 exec_lo, exec_lo, s3
.LBB44_589:
	s_delay_alu instid0(SALU_CYCLE_1) | instskip(SKIP_4) | instid1(VALU_DEP_1)
	s_or_b32 exec_lo, exec_lo, s2
	v_mov_b32_e32 v97, 0
	ds_load_b64 v[98:99], v97 offset:120
	s_wait_dscnt 0x0
	v_pk_mul_f32 v[100:101], v[94:95], v[98:99] op_sel:[1,1] op_sel_hi:[0,1]
	v_pk_fma_f32 v[102:103], v[94:95], v[98:99], v[100:101] op_sel_hi:[1,0,1]
	v_pk_fma_f32 v[94:95], v[94:95], v[98:99], v[100:101] neg_lo:[0,0,1] neg_hi:[0,0,1]
	s_delay_alu instid0(VALU_DEP_2)
	v_mov_b32_e32 v95, v103
	scratch_store_b64 off, v[94:95], off offset:120
.LBB44_590:
	s_wait_xcnt 0x0
	s_or_b32 exec_lo, exec_lo, s0
	scratch_load_b64 v[94:95], off, off offset:128
	s_mov_b32 s0, exec_lo
	s_wait_loadcnt 0x0
	ds_store_b64 v1, v[94:95]
	s_wait_storecnt_dscnt 0x0
	s_barrier_signal -1
	s_barrier_wait -1
	s_wait_xcnt 0x0
	v_cmpx_gt_u32_e32 16, v0
	s_cbranch_execz .LBB44_600
; %bb.591:
	v_cmp_ne_u32_e32 vcc_lo, 1, v96
	s_cbranch_vccnz .LBB44_593
; %bb.592:
	scratch_load_b64 v[94:95], v51, off
	ds_load_b64 v[98:99], v1
	s_wait_loadcnt_dscnt 0x0
	v_pk_mul_f32 v[100:101], v[98:99], v[94:95] op_sel:[1,1] op_sel_hi:[0,1]
	s_delay_alu instid0(VALU_DEP_1) | instskip(SKIP_1) | instid1(VALU_DEP_2)
	v_pk_fma_f32 v[102:103], v[98:99], v[94:95], v[100:101] op_sel_hi:[1,0,1]
	v_pk_fma_f32 v[94:95], v[98:99], v[94:95], v[100:101] neg_lo:[0,0,1] neg_hi:[0,0,1]
	v_mov_b32_e32 v95, v103
	s_cbranch_execz .LBB44_594
	s_branch .LBB44_595
.LBB44_593:
                                        ; implicit-def: $vgpr94_vgpr95
.LBB44_594:
	ds_load_b64 v[94:95], v1
.LBB44_595:
	s_mov_b32 s2, exec_lo
	v_cmpx_ne_u32_e32 15, v0
	s_cbranch_execz .LBB44_599
; %bb.596:
	v_add_nc_u32_e32 v97, 0x178, v50
	v_add3_u32 v98, 0, v50, 8
	v_mov_b32_e32 v99, v0
	s_mov_b32 s3, 0
.LBB44_597:                             ; =>This Inner Loop Header: Depth=1
	scratch_load_b64 v[100:101], v98, off
	ds_load_b64 v[102:103], v97
	s_wait_xcnt 0x0
	v_dual_add_nc_u32 v97, 8, v97 :: v_dual_add_nc_u32 v98, 8, v98
	s_wait_loadcnt_dscnt 0x0
	v_pk_mul_f32 v[104:105], v[102:103], v[100:101] op_sel:[1,1] op_sel_hi:[0,1]
	s_delay_alu instid0(VALU_DEP_1) | instskip(SKIP_2) | instid1(VALU_DEP_3)
	v_pk_fma_f32 v[106:107], v[102:103], v[100:101], v[104:105] op_sel_hi:[1,0,1]
	v_add_nc_u32_e32 v99, 1, v99
	v_pk_fma_f32 v[100:101], v[102:103], v[100:101], v[104:105] neg_lo:[0,0,1] neg_hi:[0,0,1]
	v_mov_b32_e32 v101, v107
	s_delay_alu instid0(VALU_DEP_3) | instskip(NEXT) | instid1(VALU_DEP_2)
	v_cmp_lt_u32_e32 vcc_lo, 14, v99
	v_pk_add_f32 v[94:95], v[94:95], v[100:101]
	s_or_b32 s3, vcc_lo, s3
	s_delay_alu instid0(SALU_CYCLE_1)
	s_and_not1_b32 exec_lo, exec_lo, s3
	s_cbranch_execnz .LBB44_597
; %bb.598:
	s_or_b32 exec_lo, exec_lo, s3
.LBB44_599:
	s_delay_alu instid0(SALU_CYCLE_1) | instskip(SKIP_4) | instid1(VALU_DEP_1)
	s_or_b32 exec_lo, exec_lo, s2
	v_mov_b32_e32 v97, 0
	ds_load_b64 v[98:99], v97 offset:128
	s_wait_dscnt 0x0
	v_pk_mul_f32 v[100:101], v[94:95], v[98:99] op_sel:[1,1] op_sel_hi:[0,1]
	v_pk_fma_f32 v[102:103], v[94:95], v[98:99], v[100:101] op_sel_hi:[1,0,1]
	v_pk_fma_f32 v[94:95], v[94:95], v[98:99], v[100:101] neg_lo:[0,0,1] neg_hi:[0,0,1]
	s_delay_alu instid0(VALU_DEP_2)
	v_mov_b32_e32 v95, v103
	scratch_store_b64 off, v[94:95], off offset:128
.LBB44_600:
	s_wait_xcnt 0x0
	s_or_b32 exec_lo, exec_lo, s0
	scratch_load_b64 v[94:95], off, off offset:136
	s_mov_b32 s0, exec_lo
	s_wait_loadcnt 0x0
	ds_store_b64 v1, v[94:95]
	s_wait_storecnt_dscnt 0x0
	s_barrier_signal -1
	s_barrier_wait -1
	s_wait_xcnt 0x0
	v_cmpx_gt_u32_e32 17, v0
	s_cbranch_execz .LBB44_610
; %bb.601:
	v_cmp_ne_u32_e32 vcc_lo, 1, v96
	s_cbranch_vccnz .LBB44_603
; %bb.602:
	scratch_load_b64 v[94:95], v51, off
	ds_load_b64 v[98:99], v1
	s_wait_loadcnt_dscnt 0x0
	v_pk_mul_f32 v[100:101], v[98:99], v[94:95] op_sel:[1,1] op_sel_hi:[0,1]
	s_delay_alu instid0(VALU_DEP_1) | instskip(SKIP_1) | instid1(VALU_DEP_2)
	v_pk_fma_f32 v[102:103], v[98:99], v[94:95], v[100:101] op_sel_hi:[1,0,1]
	v_pk_fma_f32 v[94:95], v[98:99], v[94:95], v[100:101] neg_lo:[0,0,1] neg_hi:[0,0,1]
	v_mov_b32_e32 v95, v103
	s_cbranch_execz .LBB44_604
	s_branch .LBB44_605
.LBB44_603:
                                        ; implicit-def: $vgpr94_vgpr95
.LBB44_604:
	ds_load_b64 v[94:95], v1
.LBB44_605:
	s_mov_b32 s2, exec_lo
	v_cmpx_ne_u32_e32 16, v0
	s_cbranch_execz .LBB44_609
; %bb.606:
	v_add_nc_u32_e32 v97, 0x178, v50
	v_add3_u32 v98, 0, v50, 8
	v_mov_b32_e32 v99, v0
	s_mov_b32 s3, 0
.LBB44_607:                             ; =>This Inner Loop Header: Depth=1
	scratch_load_b64 v[100:101], v98, off
	ds_load_b64 v[102:103], v97
	s_wait_xcnt 0x0
	v_dual_add_nc_u32 v97, 8, v97 :: v_dual_add_nc_u32 v98, 8, v98
	s_wait_loadcnt_dscnt 0x0
	v_pk_mul_f32 v[104:105], v[102:103], v[100:101] op_sel:[1,1] op_sel_hi:[0,1]
	s_delay_alu instid0(VALU_DEP_1) | instskip(SKIP_2) | instid1(VALU_DEP_3)
	v_pk_fma_f32 v[106:107], v[102:103], v[100:101], v[104:105] op_sel_hi:[1,0,1]
	v_add_nc_u32_e32 v99, 1, v99
	v_pk_fma_f32 v[100:101], v[102:103], v[100:101], v[104:105] neg_lo:[0,0,1] neg_hi:[0,0,1]
	v_mov_b32_e32 v101, v107
	s_delay_alu instid0(VALU_DEP_3) | instskip(NEXT) | instid1(VALU_DEP_2)
	v_cmp_lt_u32_e32 vcc_lo, 15, v99
	v_pk_add_f32 v[94:95], v[94:95], v[100:101]
	s_or_b32 s3, vcc_lo, s3
	s_delay_alu instid0(SALU_CYCLE_1)
	s_and_not1_b32 exec_lo, exec_lo, s3
	s_cbranch_execnz .LBB44_607
; %bb.608:
	s_or_b32 exec_lo, exec_lo, s3
.LBB44_609:
	s_delay_alu instid0(SALU_CYCLE_1) | instskip(SKIP_4) | instid1(VALU_DEP_1)
	s_or_b32 exec_lo, exec_lo, s2
	v_mov_b32_e32 v97, 0
	ds_load_b64 v[98:99], v97 offset:136
	s_wait_dscnt 0x0
	v_pk_mul_f32 v[100:101], v[94:95], v[98:99] op_sel:[1,1] op_sel_hi:[0,1]
	v_pk_fma_f32 v[102:103], v[94:95], v[98:99], v[100:101] op_sel_hi:[1,0,1]
	v_pk_fma_f32 v[94:95], v[94:95], v[98:99], v[100:101] neg_lo:[0,0,1] neg_hi:[0,0,1]
	s_delay_alu instid0(VALU_DEP_2)
	v_mov_b32_e32 v95, v103
	scratch_store_b64 off, v[94:95], off offset:136
.LBB44_610:
	s_wait_xcnt 0x0
	s_or_b32 exec_lo, exec_lo, s0
	scratch_load_b64 v[94:95], off, off offset:144
	s_mov_b32 s0, exec_lo
	s_wait_loadcnt 0x0
	ds_store_b64 v1, v[94:95]
	s_wait_storecnt_dscnt 0x0
	s_barrier_signal -1
	s_barrier_wait -1
	s_wait_xcnt 0x0
	v_cmpx_gt_u32_e32 18, v0
	s_cbranch_execz .LBB44_620
; %bb.611:
	v_cmp_ne_u32_e32 vcc_lo, 1, v96
	s_cbranch_vccnz .LBB44_613
; %bb.612:
	scratch_load_b64 v[94:95], v51, off
	ds_load_b64 v[98:99], v1
	s_wait_loadcnt_dscnt 0x0
	v_pk_mul_f32 v[100:101], v[98:99], v[94:95] op_sel:[1,1] op_sel_hi:[0,1]
	s_delay_alu instid0(VALU_DEP_1) | instskip(SKIP_1) | instid1(VALU_DEP_2)
	v_pk_fma_f32 v[102:103], v[98:99], v[94:95], v[100:101] op_sel_hi:[1,0,1]
	v_pk_fma_f32 v[94:95], v[98:99], v[94:95], v[100:101] neg_lo:[0,0,1] neg_hi:[0,0,1]
	v_mov_b32_e32 v95, v103
	s_cbranch_execz .LBB44_614
	s_branch .LBB44_615
.LBB44_613:
                                        ; implicit-def: $vgpr94_vgpr95
.LBB44_614:
	ds_load_b64 v[94:95], v1
.LBB44_615:
	s_mov_b32 s2, exec_lo
	v_cmpx_ne_u32_e32 17, v0
	s_cbranch_execz .LBB44_619
; %bb.616:
	v_add_nc_u32_e32 v97, 0x178, v50
	v_add3_u32 v98, 0, v50, 8
	v_mov_b32_e32 v99, v0
	s_mov_b32 s3, 0
.LBB44_617:                             ; =>This Inner Loop Header: Depth=1
	scratch_load_b64 v[100:101], v98, off
	ds_load_b64 v[102:103], v97
	s_wait_xcnt 0x0
	v_dual_add_nc_u32 v97, 8, v97 :: v_dual_add_nc_u32 v98, 8, v98
	s_wait_loadcnt_dscnt 0x0
	v_pk_mul_f32 v[104:105], v[102:103], v[100:101] op_sel:[1,1] op_sel_hi:[0,1]
	s_delay_alu instid0(VALU_DEP_1) | instskip(SKIP_2) | instid1(VALU_DEP_3)
	v_pk_fma_f32 v[106:107], v[102:103], v[100:101], v[104:105] op_sel_hi:[1,0,1]
	v_add_nc_u32_e32 v99, 1, v99
	v_pk_fma_f32 v[100:101], v[102:103], v[100:101], v[104:105] neg_lo:[0,0,1] neg_hi:[0,0,1]
	v_mov_b32_e32 v101, v107
	s_delay_alu instid0(VALU_DEP_3) | instskip(NEXT) | instid1(VALU_DEP_2)
	v_cmp_lt_u32_e32 vcc_lo, 16, v99
	v_pk_add_f32 v[94:95], v[94:95], v[100:101]
	s_or_b32 s3, vcc_lo, s3
	s_delay_alu instid0(SALU_CYCLE_1)
	s_and_not1_b32 exec_lo, exec_lo, s3
	s_cbranch_execnz .LBB44_617
; %bb.618:
	s_or_b32 exec_lo, exec_lo, s3
.LBB44_619:
	s_delay_alu instid0(SALU_CYCLE_1) | instskip(SKIP_4) | instid1(VALU_DEP_1)
	s_or_b32 exec_lo, exec_lo, s2
	v_mov_b32_e32 v97, 0
	ds_load_b64 v[98:99], v97 offset:144
	s_wait_dscnt 0x0
	v_pk_mul_f32 v[100:101], v[94:95], v[98:99] op_sel:[1,1] op_sel_hi:[0,1]
	v_pk_fma_f32 v[102:103], v[94:95], v[98:99], v[100:101] op_sel_hi:[1,0,1]
	v_pk_fma_f32 v[94:95], v[94:95], v[98:99], v[100:101] neg_lo:[0,0,1] neg_hi:[0,0,1]
	s_delay_alu instid0(VALU_DEP_2)
	v_mov_b32_e32 v95, v103
	scratch_store_b64 off, v[94:95], off offset:144
.LBB44_620:
	s_wait_xcnt 0x0
	s_or_b32 exec_lo, exec_lo, s0
	scratch_load_b64 v[94:95], off, off offset:152
	s_mov_b32 s0, exec_lo
	s_wait_loadcnt 0x0
	ds_store_b64 v1, v[94:95]
	s_wait_storecnt_dscnt 0x0
	s_barrier_signal -1
	s_barrier_wait -1
	s_wait_xcnt 0x0
	v_cmpx_gt_u32_e32 19, v0
	s_cbranch_execz .LBB44_630
; %bb.621:
	v_cmp_ne_u32_e32 vcc_lo, 1, v96
	s_cbranch_vccnz .LBB44_623
; %bb.622:
	scratch_load_b64 v[94:95], v51, off
	ds_load_b64 v[98:99], v1
	s_wait_loadcnt_dscnt 0x0
	v_pk_mul_f32 v[100:101], v[98:99], v[94:95] op_sel:[1,1] op_sel_hi:[0,1]
	s_delay_alu instid0(VALU_DEP_1) | instskip(SKIP_1) | instid1(VALU_DEP_2)
	v_pk_fma_f32 v[102:103], v[98:99], v[94:95], v[100:101] op_sel_hi:[1,0,1]
	v_pk_fma_f32 v[94:95], v[98:99], v[94:95], v[100:101] neg_lo:[0,0,1] neg_hi:[0,0,1]
	v_mov_b32_e32 v95, v103
	s_cbranch_execz .LBB44_624
	s_branch .LBB44_625
.LBB44_623:
                                        ; implicit-def: $vgpr94_vgpr95
.LBB44_624:
	ds_load_b64 v[94:95], v1
.LBB44_625:
	s_mov_b32 s2, exec_lo
	v_cmpx_ne_u32_e32 18, v0
	s_cbranch_execz .LBB44_629
; %bb.626:
	v_add_nc_u32_e32 v97, 0x178, v50
	v_add3_u32 v98, 0, v50, 8
	v_mov_b32_e32 v99, v0
	s_mov_b32 s3, 0
.LBB44_627:                             ; =>This Inner Loop Header: Depth=1
	scratch_load_b64 v[100:101], v98, off
	ds_load_b64 v[102:103], v97
	s_wait_xcnt 0x0
	v_dual_add_nc_u32 v97, 8, v97 :: v_dual_add_nc_u32 v98, 8, v98
	s_wait_loadcnt_dscnt 0x0
	v_pk_mul_f32 v[104:105], v[102:103], v[100:101] op_sel:[1,1] op_sel_hi:[0,1]
	s_delay_alu instid0(VALU_DEP_1) | instskip(SKIP_2) | instid1(VALU_DEP_3)
	v_pk_fma_f32 v[106:107], v[102:103], v[100:101], v[104:105] op_sel_hi:[1,0,1]
	v_add_nc_u32_e32 v99, 1, v99
	v_pk_fma_f32 v[100:101], v[102:103], v[100:101], v[104:105] neg_lo:[0,0,1] neg_hi:[0,0,1]
	v_mov_b32_e32 v101, v107
	s_delay_alu instid0(VALU_DEP_3) | instskip(NEXT) | instid1(VALU_DEP_2)
	v_cmp_lt_u32_e32 vcc_lo, 17, v99
	v_pk_add_f32 v[94:95], v[94:95], v[100:101]
	s_or_b32 s3, vcc_lo, s3
	s_delay_alu instid0(SALU_CYCLE_1)
	s_and_not1_b32 exec_lo, exec_lo, s3
	s_cbranch_execnz .LBB44_627
; %bb.628:
	s_or_b32 exec_lo, exec_lo, s3
.LBB44_629:
	s_delay_alu instid0(SALU_CYCLE_1) | instskip(SKIP_4) | instid1(VALU_DEP_1)
	s_or_b32 exec_lo, exec_lo, s2
	v_mov_b32_e32 v97, 0
	ds_load_b64 v[98:99], v97 offset:152
	s_wait_dscnt 0x0
	v_pk_mul_f32 v[100:101], v[94:95], v[98:99] op_sel:[1,1] op_sel_hi:[0,1]
	v_pk_fma_f32 v[102:103], v[94:95], v[98:99], v[100:101] op_sel_hi:[1,0,1]
	v_pk_fma_f32 v[94:95], v[94:95], v[98:99], v[100:101] neg_lo:[0,0,1] neg_hi:[0,0,1]
	s_delay_alu instid0(VALU_DEP_2)
	v_mov_b32_e32 v95, v103
	scratch_store_b64 off, v[94:95], off offset:152
.LBB44_630:
	s_wait_xcnt 0x0
	s_or_b32 exec_lo, exec_lo, s0
	scratch_load_b64 v[94:95], off, off offset:160
	s_mov_b32 s0, exec_lo
	s_wait_loadcnt 0x0
	ds_store_b64 v1, v[94:95]
	s_wait_storecnt_dscnt 0x0
	s_barrier_signal -1
	s_barrier_wait -1
	s_wait_xcnt 0x0
	v_cmpx_gt_u32_e32 20, v0
	s_cbranch_execz .LBB44_640
; %bb.631:
	v_cmp_ne_u32_e32 vcc_lo, 1, v96
	s_cbranch_vccnz .LBB44_633
; %bb.632:
	scratch_load_b64 v[94:95], v51, off
	ds_load_b64 v[98:99], v1
	s_wait_loadcnt_dscnt 0x0
	v_pk_mul_f32 v[100:101], v[98:99], v[94:95] op_sel:[1,1] op_sel_hi:[0,1]
	s_delay_alu instid0(VALU_DEP_1) | instskip(SKIP_1) | instid1(VALU_DEP_2)
	v_pk_fma_f32 v[102:103], v[98:99], v[94:95], v[100:101] op_sel_hi:[1,0,1]
	v_pk_fma_f32 v[94:95], v[98:99], v[94:95], v[100:101] neg_lo:[0,0,1] neg_hi:[0,0,1]
	v_mov_b32_e32 v95, v103
	s_cbranch_execz .LBB44_634
	s_branch .LBB44_635
.LBB44_633:
                                        ; implicit-def: $vgpr94_vgpr95
.LBB44_634:
	ds_load_b64 v[94:95], v1
.LBB44_635:
	s_mov_b32 s2, exec_lo
	v_cmpx_ne_u32_e32 19, v0
	s_cbranch_execz .LBB44_639
; %bb.636:
	v_add_nc_u32_e32 v97, 0x178, v50
	v_add3_u32 v98, 0, v50, 8
	v_mov_b32_e32 v99, v0
	s_mov_b32 s3, 0
.LBB44_637:                             ; =>This Inner Loop Header: Depth=1
	scratch_load_b64 v[100:101], v98, off
	ds_load_b64 v[102:103], v97
	s_wait_xcnt 0x0
	v_dual_add_nc_u32 v97, 8, v97 :: v_dual_add_nc_u32 v98, 8, v98
	s_wait_loadcnt_dscnt 0x0
	v_pk_mul_f32 v[104:105], v[102:103], v[100:101] op_sel:[1,1] op_sel_hi:[0,1]
	s_delay_alu instid0(VALU_DEP_1) | instskip(SKIP_2) | instid1(VALU_DEP_3)
	v_pk_fma_f32 v[106:107], v[102:103], v[100:101], v[104:105] op_sel_hi:[1,0,1]
	v_add_nc_u32_e32 v99, 1, v99
	v_pk_fma_f32 v[100:101], v[102:103], v[100:101], v[104:105] neg_lo:[0,0,1] neg_hi:[0,0,1]
	v_mov_b32_e32 v101, v107
	s_delay_alu instid0(VALU_DEP_3) | instskip(NEXT) | instid1(VALU_DEP_2)
	v_cmp_lt_u32_e32 vcc_lo, 18, v99
	v_pk_add_f32 v[94:95], v[94:95], v[100:101]
	s_or_b32 s3, vcc_lo, s3
	s_delay_alu instid0(SALU_CYCLE_1)
	s_and_not1_b32 exec_lo, exec_lo, s3
	s_cbranch_execnz .LBB44_637
; %bb.638:
	s_or_b32 exec_lo, exec_lo, s3
.LBB44_639:
	s_delay_alu instid0(SALU_CYCLE_1) | instskip(SKIP_4) | instid1(VALU_DEP_1)
	s_or_b32 exec_lo, exec_lo, s2
	v_mov_b32_e32 v97, 0
	ds_load_b64 v[98:99], v97 offset:160
	s_wait_dscnt 0x0
	v_pk_mul_f32 v[100:101], v[94:95], v[98:99] op_sel:[1,1] op_sel_hi:[0,1]
	v_pk_fma_f32 v[102:103], v[94:95], v[98:99], v[100:101] op_sel_hi:[1,0,1]
	v_pk_fma_f32 v[94:95], v[94:95], v[98:99], v[100:101] neg_lo:[0,0,1] neg_hi:[0,0,1]
	s_delay_alu instid0(VALU_DEP_2)
	v_mov_b32_e32 v95, v103
	scratch_store_b64 off, v[94:95], off offset:160
.LBB44_640:
	s_wait_xcnt 0x0
	s_or_b32 exec_lo, exec_lo, s0
	scratch_load_b64 v[94:95], off, off offset:168
	s_mov_b32 s0, exec_lo
	s_wait_loadcnt 0x0
	ds_store_b64 v1, v[94:95]
	s_wait_storecnt_dscnt 0x0
	s_barrier_signal -1
	s_barrier_wait -1
	s_wait_xcnt 0x0
	v_cmpx_gt_u32_e32 21, v0
	s_cbranch_execz .LBB44_650
; %bb.641:
	v_cmp_ne_u32_e32 vcc_lo, 1, v96
	s_cbranch_vccnz .LBB44_643
; %bb.642:
	scratch_load_b64 v[94:95], v51, off
	ds_load_b64 v[98:99], v1
	s_wait_loadcnt_dscnt 0x0
	v_pk_mul_f32 v[100:101], v[98:99], v[94:95] op_sel:[1,1] op_sel_hi:[0,1]
	s_delay_alu instid0(VALU_DEP_1) | instskip(SKIP_1) | instid1(VALU_DEP_2)
	v_pk_fma_f32 v[102:103], v[98:99], v[94:95], v[100:101] op_sel_hi:[1,0,1]
	v_pk_fma_f32 v[94:95], v[98:99], v[94:95], v[100:101] neg_lo:[0,0,1] neg_hi:[0,0,1]
	v_mov_b32_e32 v95, v103
	s_cbranch_execz .LBB44_644
	s_branch .LBB44_645
.LBB44_643:
                                        ; implicit-def: $vgpr94_vgpr95
.LBB44_644:
	ds_load_b64 v[94:95], v1
.LBB44_645:
	s_mov_b32 s2, exec_lo
	v_cmpx_ne_u32_e32 20, v0
	s_cbranch_execz .LBB44_649
; %bb.646:
	v_add_nc_u32_e32 v97, 0x178, v50
	v_add3_u32 v98, 0, v50, 8
	v_mov_b32_e32 v99, v0
	s_mov_b32 s3, 0
.LBB44_647:                             ; =>This Inner Loop Header: Depth=1
	scratch_load_b64 v[100:101], v98, off
	ds_load_b64 v[102:103], v97
	s_wait_xcnt 0x0
	v_dual_add_nc_u32 v97, 8, v97 :: v_dual_add_nc_u32 v98, 8, v98
	s_wait_loadcnt_dscnt 0x0
	v_pk_mul_f32 v[104:105], v[102:103], v[100:101] op_sel:[1,1] op_sel_hi:[0,1]
	s_delay_alu instid0(VALU_DEP_1) | instskip(SKIP_2) | instid1(VALU_DEP_3)
	v_pk_fma_f32 v[106:107], v[102:103], v[100:101], v[104:105] op_sel_hi:[1,0,1]
	v_add_nc_u32_e32 v99, 1, v99
	v_pk_fma_f32 v[100:101], v[102:103], v[100:101], v[104:105] neg_lo:[0,0,1] neg_hi:[0,0,1]
	v_mov_b32_e32 v101, v107
	s_delay_alu instid0(VALU_DEP_3) | instskip(NEXT) | instid1(VALU_DEP_2)
	v_cmp_lt_u32_e32 vcc_lo, 19, v99
	v_pk_add_f32 v[94:95], v[94:95], v[100:101]
	s_or_b32 s3, vcc_lo, s3
	s_delay_alu instid0(SALU_CYCLE_1)
	s_and_not1_b32 exec_lo, exec_lo, s3
	s_cbranch_execnz .LBB44_647
; %bb.648:
	s_or_b32 exec_lo, exec_lo, s3
.LBB44_649:
	s_delay_alu instid0(SALU_CYCLE_1) | instskip(SKIP_4) | instid1(VALU_DEP_1)
	s_or_b32 exec_lo, exec_lo, s2
	v_mov_b32_e32 v97, 0
	ds_load_b64 v[98:99], v97 offset:168
	s_wait_dscnt 0x0
	v_pk_mul_f32 v[100:101], v[94:95], v[98:99] op_sel:[1,1] op_sel_hi:[0,1]
	v_pk_fma_f32 v[102:103], v[94:95], v[98:99], v[100:101] op_sel_hi:[1,0,1]
	v_pk_fma_f32 v[94:95], v[94:95], v[98:99], v[100:101] neg_lo:[0,0,1] neg_hi:[0,0,1]
	s_delay_alu instid0(VALU_DEP_2)
	v_mov_b32_e32 v95, v103
	scratch_store_b64 off, v[94:95], off offset:168
.LBB44_650:
	s_wait_xcnt 0x0
	s_or_b32 exec_lo, exec_lo, s0
	scratch_load_b64 v[94:95], off, off offset:176
	s_mov_b32 s0, exec_lo
	s_wait_loadcnt 0x0
	ds_store_b64 v1, v[94:95]
	s_wait_storecnt_dscnt 0x0
	s_barrier_signal -1
	s_barrier_wait -1
	s_wait_xcnt 0x0
	v_cmpx_gt_u32_e32 22, v0
	s_cbranch_execz .LBB44_660
; %bb.651:
	v_cmp_ne_u32_e32 vcc_lo, 1, v96
	s_cbranch_vccnz .LBB44_653
; %bb.652:
	scratch_load_b64 v[94:95], v51, off
	ds_load_b64 v[98:99], v1
	s_wait_loadcnt_dscnt 0x0
	v_pk_mul_f32 v[100:101], v[98:99], v[94:95] op_sel:[1,1] op_sel_hi:[0,1]
	s_delay_alu instid0(VALU_DEP_1) | instskip(SKIP_1) | instid1(VALU_DEP_2)
	v_pk_fma_f32 v[102:103], v[98:99], v[94:95], v[100:101] op_sel_hi:[1,0,1]
	v_pk_fma_f32 v[94:95], v[98:99], v[94:95], v[100:101] neg_lo:[0,0,1] neg_hi:[0,0,1]
	v_mov_b32_e32 v95, v103
	s_cbranch_execz .LBB44_654
	s_branch .LBB44_655
.LBB44_653:
                                        ; implicit-def: $vgpr94_vgpr95
.LBB44_654:
	ds_load_b64 v[94:95], v1
.LBB44_655:
	s_mov_b32 s2, exec_lo
	v_cmpx_ne_u32_e32 21, v0
	s_cbranch_execz .LBB44_659
; %bb.656:
	v_add_nc_u32_e32 v97, 0x178, v50
	v_add3_u32 v98, 0, v50, 8
	v_mov_b32_e32 v99, v0
	s_mov_b32 s3, 0
.LBB44_657:                             ; =>This Inner Loop Header: Depth=1
	scratch_load_b64 v[100:101], v98, off
	ds_load_b64 v[102:103], v97
	s_wait_xcnt 0x0
	v_dual_add_nc_u32 v97, 8, v97 :: v_dual_add_nc_u32 v98, 8, v98
	s_wait_loadcnt_dscnt 0x0
	v_pk_mul_f32 v[104:105], v[102:103], v[100:101] op_sel:[1,1] op_sel_hi:[0,1]
	s_delay_alu instid0(VALU_DEP_1) | instskip(SKIP_2) | instid1(VALU_DEP_3)
	v_pk_fma_f32 v[106:107], v[102:103], v[100:101], v[104:105] op_sel_hi:[1,0,1]
	v_add_nc_u32_e32 v99, 1, v99
	v_pk_fma_f32 v[100:101], v[102:103], v[100:101], v[104:105] neg_lo:[0,0,1] neg_hi:[0,0,1]
	v_mov_b32_e32 v101, v107
	s_delay_alu instid0(VALU_DEP_3) | instskip(NEXT) | instid1(VALU_DEP_2)
	v_cmp_lt_u32_e32 vcc_lo, 20, v99
	v_pk_add_f32 v[94:95], v[94:95], v[100:101]
	s_or_b32 s3, vcc_lo, s3
	s_delay_alu instid0(SALU_CYCLE_1)
	s_and_not1_b32 exec_lo, exec_lo, s3
	s_cbranch_execnz .LBB44_657
; %bb.658:
	s_or_b32 exec_lo, exec_lo, s3
.LBB44_659:
	s_delay_alu instid0(SALU_CYCLE_1) | instskip(SKIP_4) | instid1(VALU_DEP_1)
	s_or_b32 exec_lo, exec_lo, s2
	v_mov_b32_e32 v97, 0
	ds_load_b64 v[98:99], v97 offset:176
	s_wait_dscnt 0x0
	v_pk_mul_f32 v[100:101], v[94:95], v[98:99] op_sel:[1,1] op_sel_hi:[0,1]
	v_pk_fma_f32 v[102:103], v[94:95], v[98:99], v[100:101] op_sel_hi:[1,0,1]
	v_pk_fma_f32 v[94:95], v[94:95], v[98:99], v[100:101] neg_lo:[0,0,1] neg_hi:[0,0,1]
	s_delay_alu instid0(VALU_DEP_2)
	v_mov_b32_e32 v95, v103
	scratch_store_b64 off, v[94:95], off offset:176
.LBB44_660:
	s_wait_xcnt 0x0
	s_or_b32 exec_lo, exec_lo, s0
	scratch_load_b64 v[94:95], off, off offset:184
	s_mov_b32 s0, exec_lo
	s_wait_loadcnt 0x0
	ds_store_b64 v1, v[94:95]
	s_wait_storecnt_dscnt 0x0
	s_barrier_signal -1
	s_barrier_wait -1
	s_wait_xcnt 0x0
	v_cmpx_gt_u32_e32 23, v0
	s_cbranch_execz .LBB44_670
; %bb.661:
	v_cmp_ne_u32_e32 vcc_lo, 1, v96
	s_cbranch_vccnz .LBB44_663
; %bb.662:
	scratch_load_b64 v[94:95], v51, off
	ds_load_b64 v[98:99], v1
	s_wait_loadcnt_dscnt 0x0
	v_pk_mul_f32 v[100:101], v[98:99], v[94:95] op_sel:[1,1] op_sel_hi:[0,1]
	s_delay_alu instid0(VALU_DEP_1) | instskip(SKIP_1) | instid1(VALU_DEP_2)
	v_pk_fma_f32 v[102:103], v[98:99], v[94:95], v[100:101] op_sel_hi:[1,0,1]
	v_pk_fma_f32 v[94:95], v[98:99], v[94:95], v[100:101] neg_lo:[0,0,1] neg_hi:[0,0,1]
	v_mov_b32_e32 v95, v103
	s_cbranch_execz .LBB44_664
	s_branch .LBB44_665
.LBB44_663:
                                        ; implicit-def: $vgpr94_vgpr95
.LBB44_664:
	ds_load_b64 v[94:95], v1
.LBB44_665:
	s_mov_b32 s2, exec_lo
	v_cmpx_ne_u32_e32 22, v0
	s_cbranch_execz .LBB44_669
; %bb.666:
	v_add_nc_u32_e32 v97, 0x178, v50
	v_add3_u32 v98, 0, v50, 8
	v_mov_b32_e32 v99, v0
	s_mov_b32 s3, 0
.LBB44_667:                             ; =>This Inner Loop Header: Depth=1
	scratch_load_b64 v[100:101], v98, off
	ds_load_b64 v[102:103], v97
	s_wait_xcnt 0x0
	v_dual_add_nc_u32 v97, 8, v97 :: v_dual_add_nc_u32 v98, 8, v98
	s_wait_loadcnt_dscnt 0x0
	v_pk_mul_f32 v[104:105], v[102:103], v[100:101] op_sel:[1,1] op_sel_hi:[0,1]
	s_delay_alu instid0(VALU_DEP_1) | instskip(SKIP_2) | instid1(VALU_DEP_3)
	v_pk_fma_f32 v[106:107], v[102:103], v[100:101], v[104:105] op_sel_hi:[1,0,1]
	v_add_nc_u32_e32 v99, 1, v99
	v_pk_fma_f32 v[100:101], v[102:103], v[100:101], v[104:105] neg_lo:[0,0,1] neg_hi:[0,0,1]
	v_mov_b32_e32 v101, v107
	s_delay_alu instid0(VALU_DEP_3) | instskip(NEXT) | instid1(VALU_DEP_2)
	v_cmp_lt_u32_e32 vcc_lo, 21, v99
	v_pk_add_f32 v[94:95], v[94:95], v[100:101]
	s_or_b32 s3, vcc_lo, s3
	s_delay_alu instid0(SALU_CYCLE_1)
	s_and_not1_b32 exec_lo, exec_lo, s3
	s_cbranch_execnz .LBB44_667
; %bb.668:
	s_or_b32 exec_lo, exec_lo, s3
.LBB44_669:
	s_delay_alu instid0(SALU_CYCLE_1) | instskip(SKIP_4) | instid1(VALU_DEP_1)
	s_or_b32 exec_lo, exec_lo, s2
	v_mov_b32_e32 v97, 0
	ds_load_b64 v[98:99], v97 offset:184
	s_wait_dscnt 0x0
	v_pk_mul_f32 v[100:101], v[94:95], v[98:99] op_sel:[1,1] op_sel_hi:[0,1]
	v_pk_fma_f32 v[102:103], v[94:95], v[98:99], v[100:101] op_sel_hi:[1,0,1]
	v_pk_fma_f32 v[94:95], v[94:95], v[98:99], v[100:101] neg_lo:[0,0,1] neg_hi:[0,0,1]
	s_delay_alu instid0(VALU_DEP_2)
	v_mov_b32_e32 v95, v103
	scratch_store_b64 off, v[94:95], off offset:184
.LBB44_670:
	s_wait_xcnt 0x0
	s_or_b32 exec_lo, exec_lo, s0
	scratch_load_b64 v[94:95], off, off offset:192
	s_mov_b32 s0, exec_lo
	s_wait_loadcnt 0x0
	ds_store_b64 v1, v[94:95]
	s_wait_storecnt_dscnt 0x0
	s_barrier_signal -1
	s_barrier_wait -1
	s_wait_xcnt 0x0
	v_cmpx_gt_u32_e32 24, v0
	s_cbranch_execz .LBB44_680
; %bb.671:
	v_cmp_ne_u32_e32 vcc_lo, 1, v96
	s_cbranch_vccnz .LBB44_673
; %bb.672:
	scratch_load_b64 v[94:95], v51, off
	ds_load_b64 v[98:99], v1
	s_wait_loadcnt_dscnt 0x0
	v_pk_mul_f32 v[100:101], v[98:99], v[94:95] op_sel:[1,1] op_sel_hi:[0,1]
	s_delay_alu instid0(VALU_DEP_1) | instskip(SKIP_1) | instid1(VALU_DEP_2)
	v_pk_fma_f32 v[102:103], v[98:99], v[94:95], v[100:101] op_sel_hi:[1,0,1]
	v_pk_fma_f32 v[94:95], v[98:99], v[94:95], v[100:101] neg_lo:[0,0,1] neg_hi:[0,0,1]
	v_mov_b32_e32 v95, v103
	s_cbranch_execz .LBB44_674
	s_branch .LBB44_675
.LBB44_673:
                                        ; implicit-def: $vgpr94_vgpr95
.LBB44_674:
	ds_load_b64 v[94:95], v1
.LBB44_675:
	s_mov_b32 s2, exec_lo
	v_cmpx_ne_u32_e32 23, v0
	s_cbranch_execz .LBB44_679
; %bb.676:
	v_add_nc_u32_e32 v97, 0x178, v50
	v_add3_u32 v98, 0, v50, 8
	v_mov_b32_e32 v99, v0
	s_mov_b32 s3, 0
.LBB44_677:                             ; =>This Inner Loop Header: Depth=1
	scratch_load_b64 v[100:101], v98, off
	ds_load_b64 v[102:103], v97
	s_wait_xcnt 0x0
	v_dual_add_nc_u32 v97, 8, v97 :: v_dual_add_nc_u32 v98, 8, v98
	s_wait_loadcnt_dscnt 0x0
	v_pk_mul_f32 v[104:105], v[102:103], v[100:101] op_sel:[1,1] op_sel_hi:[0,1]
	s_delay_alu instid0(VALU_DEP_1) | instskip(SKIP_2) | instid1(VALU_DEP_3)
	v_pk_fma_f32 v[106:107], v[102:103], v[100:101], v[104:105] op_sel_hi:[1,0,1]
	v_add_nc_u32_e32 v99, 1, v99
	v_pk_fma_f32 v[100:101], v[102:103], v[100:101], v[104:105] neg_lo:[0,0,1] neg_hi:[0,0,1]
	v_mov_b32_e32 v101, v107
	s_delay_alu instid0(VALU_DEP_3) | instskip(NEXT) | instid1(VALU_DEP_2)
	v_cmp_lt_u32_e32 vcc_lo, 22, v99
	v_pk_add_f32 v[94:95], v[94:95], v[100:101]
	s_or_b32 s3, vcc_lo, s3
	s_delay_alu instid0(SALU_CYCLE_1)
	s_and_not1_b32 exec_lo, exec_lo, s3
	s_cbranch_execnz .LBB44_677
; %bb.678:
	s_or_b32 exec_lo, exec_lo, s3
.LBB44_679:
	s_delay_alu instid0(SALU_CYCLE_1) | instskip(SKIP_4) | instid1(VALU_DEP_1)
	s_or_b32 exec_lo, exec_lo, s2
	v_mov_b32_e32 v97, 0
	ds_load_b64 v[98:99], v97 offset:192
	s_wait_dscnt 0x0
	v_pk_mul_f32 v[100:101], v[94:95], v[98:99] op_sel:[1,1] op_sel_hi:[0,1]
	v_pk_fma_f32 v[102:103], v[94:95], v[98:99], v[100:101] op_sel_hi:[1,0,1]
	v_pk_fma_f32 v[94:95], v[94:95], v[98:99], v[100:101] neg_lo:[0,0,1] neg_hi:[0,0,1]
	s_delay_alu instid0(VALU_DEP_2)
	v_mov_b32_e32 v95, v103
	scratch_store_b64 off, v[94:95], off offset:192
.LBB44_680:
	s_wait_xcnt 0x0
	s_or_b32 exec_lo, exec_lo, s0
	scratch_load_b64 v[94:95], off, off offset:200
	s_mov_b32 s0, exec_lo
	s_wait_loadcnt 0x0
	ds_store_b64 v1, v[94:95]
	s_wait_storecnt_dscnt 0x0
	s_barrier_signal -1
	s_barrier_wait -1
	s_wait_xcnt 0x0
	v_cmpx_gt_u32_e32 25, v0
	s_cbranch_execz .LBB44_690
; %bb.681:
	v_cmp_ne_u32_e32 vcc_lo, 1, v96
	s_cbranch_vccnz .LBB44_683
; %bb.682:
	scratch_load_b64 v[94:95], v51, off
	ds_load_b64 v[98:99], v1
	s_wait_loadcnt_dscnt 0x0
	v_pk_mul_f32 v[100:101], v[98:99], v[94:95] op_sel:[1,1] op_sel_hi:[0,1]
	s_delay_alu instid0(VALU_DEP_1) | instskip(SKIP_1) | instid1(VALU_DEP_2)
	v_pk_fma_f32 v[102:103], v[98:99], v[94:95], v[100:101] op_sel_hi:[1,0,1]
	v_pk_fma_f32 v[94:95], v[98:99], v[94:95], v[100:101] neg_lo:[0,0,1] neg_hi:[0,0,1]
	v_mov_b32_e32 v95, v103
	s_cbranch_execz .LBB44_684
	s_branch .LBB44_685
.LBB44_683:
                                        ; implicit-def: $vgpr94_vgpr95
.LBB44_684:
	ds_load_b64 v[94:95], v1
.LBB44_685:
	s_mov_b32 s2, exec_lo
	v_cmpx_ne_u32_e32 24, v0
	s_cbranch_execz .LBB44_689
; %bb.686:
	v_add_nc_u32_e32 v97, 0x178, v50
	v_add3_u32 v98, 0, v50, 8
	v_mov_b32_e32 v99, v0
	s_mov_b32 s3, 0
.LBB44_687:                             ; =>This Inner Loop Header: Depth=1
	scratch_load_b64 v[100:101], v98, off
	ds_load_b64 v[102:103], v97
	s_wait_xcnt 0x0
	v_dual_add_nc_u32 v97, 8, v97 :: v_dual_add_nc_u32 v98, 8, v98
	s_wait_loadcnt_dscnt 0x0
	v_pk_mul_f32 v[104:105], v[102:103], v[100:101] op_sel:[1,1] op_sel_hi:[0,1]
	s_delay_alu instid0(VALU_DEP_1) | instskip(SKIP_2) | instid1(VALU_DEP_3)
	v_pk_fma_f32 v[106:107], v[102:103], v[100:101], v[104:105] op_sel_hi:[1,0,1]
	v_add_nc_u32_e32 v99, 1, v99
	v_pk_fma_f32 v[100:101], v[102:103], v[100:101], v[104:105] neg_lo:[0,0,1] neg_hi:[0,0,1]
	v_mov_b32_e32 v101, v107
	s_delay_alu instid0(VALU_DEP_3) | instskip(NEXT) | instid1(VALU_DEP_2)
	v_cmp_lt_u32_e32 vcc_lo, 23, v99
	v_pk_add_f32 v[94:95], v[94:95], v[100:101]
	s_or_b32 s3, vcc_lo, s3
	s_delay_alu instid0(SALU_CYCLE_1)
	s_and_not1_b32 exec_lo, exec_lo, s3
	s_cbranch_execnz .LBB44_687
; %bb.688:
	s_or_b32 exec_lo, exec_lo, s3
.LBB44_689:
	s_delay_alu instid0(SALU_CYCLE_1) | instskip(SKIP_4) | instid1(VALU_DEP_1)
	s_or_b32 exec_lo, exec_lo, s2
	v_mov_b32_e32 v97, 0
	ds_load_b64 v[98:99], v97 offset:200
	s_wait_dscnt 0x0
	v_pk_mul_f32 v[100:101], v[94:95], v[98:99] op_sel:[1,1] op_sel_hi:[0,1]
	v_pk_fma_f32 v[102:103], v[94:95], v[98:99], v[100:101] op_sel_hi:[1,0,1]
	v_pk_fma_f32 v[94:95], v[94:95], v[98:99], v[100:101] neg_lo:[0,0,1] neg_hi:[0,0,1]
	s_delay_alu instid0(VALU_DEP_2)
	v_mov_b32_e32 v95, v103
	scratch_store_b64 off, v[94:95], off offset:200
.LBB44_690:
	s_wait_xcnt 0x0
	s_or_b32 exec_lo, exec_lo, s0
	scratch_load_b64 v[94:95], off, off offset:208
	s_mov_b32 s0, exec_lo
	s_wait_loadcnt 0x0
	ds_store_b64 v1, v[94:95]
	s_wait_storecnt_dscnt 0x0
	s_barrier_signal -1
	s_barrier_wait -1
	s_wait_xcnt 0x0
	v_cmpx_gt_u32_e32 26, v0
	s_cbranch_execz .LBB44_700
; %bb.691:
	v_cmp_ne_u32_e32 vcc_lo, 1, v96
	s_cbranch_vccnz .LBB44_693
; %bb.692:
	scratch_load_b64 v[94:95], v51, off
	ds_load_b64 v[98:99], v1
	s_wait_loadcnt_dscnt 0x0
	v_pk_mul_f32 v[100:101], v[98:99], v[94:95] op_sel:[1,1] op_sel_hi:[0,1]
	s_delay_alu instid0(VALU_DEP_1) | instskip(SKIP_1) | instid1(VALU_DEP_2)
	v_pk_fma_f32 v[102:103], v[98:99], v[94:95], v[100:101] op_sel_hi:[1,0,1]
	v_pk_fma_f32 v[94:95], v[98:99], v[94:95], v[100:101] neg_lo:[0,0,1] neg_hi:[0,0,1]
	v_mov_b32_e32 v95, v103
	s_cbranch_execz .LBB44_694
	s_branch .LBB44_695
.LBB44_693:
                                        ; implicit-def: $vgpr94_vgpr95
.LBB44_694:
	ds_load_b64 v[94:95], v1
.LBB44_695:
	s_mov_b32 s2, exec_lo
	v_cmpx_ne_u32_e32 25, v0
	s_cbranch_execz .LBB44_699
; %bb.696:
	v_add_nc_u32_e32 v97, 0x178, v50
	v_add3_u32 v98, 0, v50, 8
	v_mov_b32_e32 v99, v0
	s_mov_b32 s3, 0
.LBB44_697:                             ; =>This Inner Loop Header: Depth=1
	scratch_load_b64 v[100:101], v98, off
	ds_load_b64 v[102:103], v97
	s_wait_xcnt 0x0
	v_dual_add_nc_u32 v97, 8, v97 :: v_dual_add_nc_u32 v98, 8, v98
	s_wait_loadcnt_dscnt 0x0
	v_pk_mul_f32 v[104:105], v[102:103], v[100:101] op_sel:[1,1] op_sel_hi:[0,1]
	s_delay_alu instid0(VALU_DEP_1) | instskip(SKIP_2) | instid1(VALU_DEP_3)
	v_pk_fma_f32 v[106:107], v[102:103], v[100:101], v[104:105] op_sel_hi:[1,0,1]
	v_add_nc_u32_e32 v99, 1, v99
	v_pk_fma_f32 v[100:101], v[102:103], v[100:101], v[104:105] neg_lo:[0,0,1] neg_hi:[0,0,1]
	v_mov_b32_e32 v101, v107
	s_delay_alu instid0(VALU_DEP_3) | instskip(NEXT) | instid1(VALU_DEP_2)
	v_cmp_lt_u32_e32 vcc_lo, 24, v99
	v_pk_add_f32 v[94:95], v[94:95], v[100:101]
	s_or_b32 s3, vcc_lo, s3
	s_delay_alu instid0(SALU_CYCLE_1)
	s_and_not1_b32 exec_lo, exec_lo, s3
	s_cbranch_execnz .LBB44_697
; %bb.698:
	s_or_b32 exec_lo, exec_lo, s3
.LBB44_699:
	s_delay_alu instid0(SALU_CYCLE_1) | instskip(SKIP_4) | instid1(VALU_DEP_1)
	s_or_b32 exec_lo, exec_lo, s2
	v_mov_b32_e32 v97, 0
	ds_load_b64 v[98:99], v97 offset:208
	s_wait_dscnt 0x0
	v_pk_mul_f32 v[100:101], v[94:95], v[98:99] op_sel:[1,1] op_sel_hi:[0,1]
	v_pk_fma_f32 v[102:103], v[94:95], v[98:99], v[100:101] op_sel_hi:[1,0,1]
	v_pk_fma_f32 v[94:95], v[94:95], v[98:99], v[100:101] neg_lo:[0,0,1] neg_hi:[0,0,1]
	s_delay_alu instid0(VALU_DEP_2)
	v_mov_b32_e32 v95, v103
	scratch_store_b64 off, v[94:95], off offset:208
.LBB44_700:
	s_wait_xcnt 0x0
	s_or_b32 exec_lo, exec_lo, s0
	scratch_load_b64 v[94:95], off, off offset:216
	s_mov_b32 s0, exec_lo
	s_wait_loadcnt 0x0
	ds_store_b64 v1, v[94:95]
	s_wait_storecnt_dscnt 0x0
	s_barrier_signal -1
	s_barrier_wait -1
	s_wait_xcnt 0x0
	v_cmpx_gt_u32_e32 27, v0
	s_cbranch_execz .LBB44_710
; %bb.701:
	v_cmp_ne_u32_e32 vcc_lo, 1, v96
	s_cbranch_vccnz .LBB44_703
; %bb.702:
	scratch_load_b64 v[94:95], v51, off
	ds_load_b64 v[98:99], v1
	s_wait_loadcnt_dscnt 0x0
	v_pk_mul_f32 v[100:101], v[98:99], v[94:95] op_sel:[1,1] op_sel_hi:[0,1]
	s_delay_alu instid0(VALU_DEP_1) | instskip(SKIP_1) | instid1(VALU_DEP_2)
	v_pk_fma_f32 v[102:103], v[98:99], v[94:95], v[100:101] op_sel_hi:[1,0,1]
	v_pk_fma_f32 v[94:95], v[98:99], v[94:95], v[100:101] neg_lo:[0,0,1] neg_hi:[0,0,1]
	v_mov_b32_e32 v95, v103
	s_cbranch_execz .LBB44_704
	s_branch .LBB44_705
.LBB44_703:
                                        ; implicit-def: $vgpr94_vgpr95
.LBB44_704:
	ds_load_b64 v[94:95], v1
.LBB44_705:
	s_mov_b32 s2, exec_lo
	v_cmpx_ne_u32_e32 26, v0
	s_cbranch_execz .LBB44_709
; %bb.706:
	v_add_nc_u32_e32 v97, 0x178, v50
	v_add3_u32 v98, 0, v50, 8
	v_mov_b32_e32 v99, v0
	s_mov_b32 s3, 0
.LBB44_707:                             ; =>This Inner Loop Header: Depth=1
	scratch_load_b64 v[100:101], v98, off
	ds_load_b64 v[102:103], v97
	s_wait_xcnt 0x0
	v_dual_add_nc_u32 v97, 8, v97 :: v_dual_add_nc_u32 v98, 8, v98
	s_wait_loadcnt_dscnt 0x0
	v_pk_mul_f32 v[104:105], v[102:103], v[100:101] op_sel:[1,1] op_sel_hi:[0,1]
	s_delay_alu instid0(VALU_DEP_1) | instskip(SKIP_2) | instid1(VALU_DEP_3)
	v_pk_fma_f32 v[106:107], v[102:103], v[100:101], v[104:105] op_sel_hi:[1,0,1]
	v_add_nc_u32_e32 v99, 1, v99
	v_pk_fma_f32 v[100:101], v[102:103], v[100:101], v[104:105] neg_lo:[0,0,1] neg_hi:[0,0,1]
	v_mov_b32_e32 v101, v107
	s_delay_alu instid0(VALU_DEP_3) | instskip(NEXT) | instid1(VALU_DEP_2)
	v_cmp_lt_u32_e32 vcc_lo, 25, v99
	v_pk_add_f32 v[94:95], v[94:95], v[100:101]
	s_or_b32 s3, vcc_lo, s3
	s_delay_alu instid0(SALU_CYCLE_1)
	s_and_not1_b32 exec_lo, exec_lo, s3
	s_cbranch_execnz .LBB44_707
; %bb.708:
	s_or_b32 exec_lo, exec_lo, s3
.LBB44_709:
	s_delay_alu instid0(SALU_CYCLE_1) | instskip(SKIP_4) | instid1(VALU_DEP_1)
	s_or_b32 exec_lo, exec_lo, s2
	v_mov_b32_e32 v97, 0
	ds_load_b64 v[98:99], v97 offset:216
	s_wait_dscnt 0x0
	v_pk_mul_f32 v[100:101], v[94:95], v[98:99] op_sel:[1,1] op_sel_hi:[0,1]
	v_pk_fma_f32 v[102:103], v[94:95], v[98:99], v[100:101] op_sel_hi:[1,0,1]
	v_pk_fma_f32 v[94:95], v[94:95], v[98:99], v[100:101] neg_lo:[0,0,1] neg_hi:[0,0,1]
	s_delay_alu instid0(VALU_DEP_2)
	v_mov_b32_e32 v95, v103
	scratch_store_b64 off, v[94:95], off offset:216
.LBB44_710:
	s_wait_xcnt 0x0
	s_or_b32 exec_lo, exec_lo, s0
	scratch_load_b64 v[94:95], off, off offset:224
	s_mov_b32 s0, exec_lo
	s_wait_loadcnt 0x0
	ds_store_b64 v1, v[94:95]
	s_wait_storecnt_dscnt 0x0
	s_barrier_signal -1
	s_barrier_wait -1
	s_wait_xcnt 0x0
	v_cmpx_gt_u32_e32 28, v0
	s_cbranch_execz .LBB44_720
; %bb.711:
	v_cmp_ne_u32_e32 vcc_lo, 1, v96
	s_cbranch_vccnz .LBB44_713
; %bb.712:
	scratch_load_b64 v[94:95], v51, off
	ds_load_b64 v[98:99], v1
	s_wait_loadcnt_dscnt 0x0
	v_pk_mul_f32 v[100:101], v[98:99], v[94:95] op_sel:[1,1] op_sel_hi:[0,1]
	s_delay_alu instid0(VALU_DEP_1) | instskip(SKIP_1) | instid1(VALU_DEP_2)
	v_pk_fma_f32 v[102:103], v[98:99], v[94:95], v[100:101] op_sel_hi:[1,0,1]
	v_pk_fma_f32 v[94:95], v[98:99], v[94:95], v[100:101] neg_lo:[0,0,1] neg_hi:[0,0,1]
	v_mov_b32_e32 v95, v103
	s_cbranch_execz .LBB44_714
	s_branch .LBB44_715
.LBB44_713:
                                        ; implicit-def: $vgpr94_vgpr95
.LBB44_714:
	ds_load_b64 v[94:95], v1
.LBB44_715:
	s_mov_b32 s2, exec_lo
	v_cmpx_ne_u32_e32 27, v0
	s_cbranch_execz .LBB44_719
; %bb.716:
	v_add_nc_u32_e32 v97, 0x178, v50
	v_add3_u32 v98, 0, v50, 8
	v_mov_b32_e32 v99, v0
	s_mov_b32 s3, 0
.LBB44_717:                             ; =>This Inner Loop Header: Depth=1
	scratch_load_b64 v[100:101], v98, off
	ds_load_b64 v[102:103], v97
	s_wait_xcnt 0x0
	v_dual_add_nc_u32 v97, 8, v97 :: v_dual_add_nc_u32 v98, 8, v98
	s_wait_loadcnt_dscnt 0x0
	v_pk_mul_f32 v[104:105], v[102:103], v[100:101] op_sel:[1,1] op_sel_hi:[0,1]
	s_delay_alu instid0(VALU_DEP_1) | instskip(SKIP_2) | instid1(VALU_DEP_3)
	v_pk_fma_f32 v[106:107], v[102:103], v[100:101], v[104:105] op_sel_hi:[1,0,1]
	v_add_nc_u32_e32 v99, 1, v99
	v_pk_fma_f32 v[100:101], v[102:103], v[100:101], v[104:105] neg_lo:[0,0,1] neg_hi:[0,0,1]
	v_mov_b32_e32 v101, v107
	s_delay_alu instid0(VALU_DEP_3) | instskip(NEXT) | instid1(VALU_DEP_2)
	v_cmp_lt_u32_e32 vcc_lo, 26, v99
	v_pk_add_f32 v[94:95], v[94:95], v[100:101]
	s_or_b32 s3, vcc_lo, s3
	s_delay_alu instid0(SALU_CYCLE_1)
	s_and_not1_b32 exec_lo, exec_lo, s3
	s_cbranch_execnz .LBB44_717
; %bb.718:
	s_or_b32 exec_lo, exec_lo, s3
.LBB44_719:
	s_delay_alu instid0(SALU_CYCLE_1) | instskip(SKIP_4) | instid1(VALU_DEP_1)
	s_or_b32 exec_lo, exec_lo, s2
	v_mov_b32_e32 v97, 0
	ds_load_b64 v[98:99], v97 offset:224
	s_wait_dscnt 0x0
	v_pk_mul_f32 v[100:101], v[94:95], v[98:99] op_sel:[1,1] op_sel_hi:[0,1]
	v_pk_fma_f32 v[102:103], v[94:95], v[98:99], v[100:101] op_sel_hi:[1,0,1]
	v_pk_fma_f32 v[94:95], v[94:95], v[98:99], v[100:101] neg_lo:[0,0,1] neg_hi:[0,0,1]
	s_delay_alu instid0(VALU_DEP_2)
	v_mov_b32_e32 v95, v103
	scratch_store_b64 off, v[94:95], off offset:224
.LBB44_720:
	s_wait_xcnt 0x0
	s_or_b32 exec_lo, exec_lo, s0
	scratch_load_b64 v[94:95], off, off offset:232
	s_mov_b32 s0, exec_lo
	s_wait_loadcnt 0x0
	ds_store_b64 v1, v[94:95]
	s_wait_storecnt_dscnt 0x0
	s_barrier_signal -1
	s_barrier_wait -1
	s_wait_xcnt 0x0
	v_cmpx_gt_u32_e32 29, v0
	s_cbranch_execz .LBB44_730
; %bb.721:
	v_cmp_ne_u32_e32 vcc_lo, 1, v96
	s_cbranch_vccnz .LBB44_723
; %bb.722:
	scratch_load_b64 v[94:95], v51, off
	ds_load_b64 v[98:99], v1
	s_wait_loadcnt_dscnt 0x0
	v_pk_mul_f32 v[100:101], v[98:99], v[94:95] op_sel:[1,1] op_sel_hi:[0,1]
	s_delay_alu instid0(VALU_DEP_1) | instskip(SKIP_1) | instid1(VALU_DEP_2)
	v_pk_fma_f32 v[102:103], v[98:99], v[94:95], v[100:101] op_sel_hi:[1,0,1]
	v_pk_fma_f32 v[94:95], v[98:99], v[94:95], v[100:101] neg_lo:[0,0,1] neg_hi:[0,0,1]
	v_mov_b32_e32 v95, v103
	s_cbranch_execz .LBB44_724
	s_branch .LBB44_725
.LBB44_723:
                                        ; implicit-def: $vgpr94_vgpr95
.LBB44_724:
	ds_load_b64 v[94:95], v1
.LBB44_725:
	s_mov_b32 s2, exec_lo
	v_cmpx_ne_u32_e32 28, v0
	s_cbranch_execz .LBB44_729
; %bb.726:
	v_add_nc_u32_e32 v97, 0x178, v50
	v_add3_u32 v98, 0, v50, 8
	v_mov_b32_e32 v99, v0
	s_mov_b32 s3, 0
.LBB44_727:                             ; =>This Inner Loop Header: Depth=1
	scratch_load_b64 v[100:101], v98, off
	ds_load_b64 v[102:103], v97
	s_wait_xcnt 0x0
	v_dual_add_nc_u32 v97, 8, v97 :: v_dual_add_nc_u32 v98, 8, v98
	s_wait_loadcnt_dscnt 0x0
	v_pk_mul_f32 v[104:105], v[102:103], v[100:101] op_sel:[1,1] op_sel_hi:[0,1]
	s_delay_alu instid0(VALU_DEP_1) | instskip(SKIP_2) | instid1(VALU_DEP_3)
	v_pk_fma_f32 v[106:107], v[102:103], v[100:101], v[104:105] op_sel_hi:[1,0,1]
	v_add_nc_u32_e32 v99, 1, v99
	v_pk_fma_f32 v[100:101], v[102:103], v[100:101], v[104:105] neg_lo:[0,0,1] neg_hi:[0,0,1]
	v_mov_b32_e32 v101, v107
	s_delay_alu instid0(VALU_DEP_3) | instskip(NEXT) | instid1(VALU_DEP_2)
	v_cmp_lt_u32_e32 vcc_lo, 27, v99
	v_pk_add_f32 v[94:95], v[94:95], v[100:101]
	s_or_b32 s3, vcc_lo, s3
	s_delay_alu instid0(SALU_CYCLE_1)
	s_and_not1_b32 exec_lo, exec_lo, s3
	s_cbranch_execnz .LBB44_727
; %bb.728:
	s_or_b32 exec_lo, exec_lo, s3
.LBB44_729:
	s_delay_alu instid0(SALU_CYCLE_1) | instskip(SKIP_4) | instid1(VALU_DEP_1)
	s_or_b32 exec_lo, exec_lo, s2
	v_mov_b32_e32 v97, 0
	ds_load_b64 v[98:99], v97 offset:232
	s_wait_dscnt 0x0
	v_pk_mul_f32 v[100:101], v[94:95], v[98:99] op_sel:[1,1] op_sel_hi:[0,1]
	v_pk_fma_f32 v[102:103], v[94:95], v[98:99], v[100:101] op_sel_hi:[1,0,1]
	v_pk_fma_f32 v[94:95], v[94:95], v[98:99], v[100:101] neg_lo:[0,0,1] neg_hi:[0,0,1]
	s_delay_alu instid0(VALU_DEP_2)
	v_mov_b32_e32 v95, v103
	scratch_store_b64 off, v[94:95], off offset:232
.LBB44_730:
	s_wait_xcnt 0x0
	s_or_b32 exec_lo, exec_lo, s0
	scratch_load_b64 v[94:95], off, off offset:240
	s_mov_b32 s0, exec_lo
	s_wait_loadcnt 0x0
	ds_store_b64 v1, v[94:95]
	s_wait_storecnt_dscnt 0x0
	s_barrier_signal -1
	s_barrier_wait -1
	s_wait_xcnt 0x0
	v_cmpx_gt_u32_e32 30, v0
	s_cbranch_execz .LBB44_740
; %bb.731:
	v_cmp_ne_u32_e32 vcc_lo, 1, v96
	s_cbranch_vccnz .LBB44_733
; %bb.732:
	scratch_load_b64 v[94:95], v51, off
	ds_load_b64 v[98:99], v1
	s_wait_loadcnt_dscnt 0x0
	v_pk_mul_f32 v[100:101], v[98:99], v[94:95] op_sel:[1,1] op_sel_hi:[0,1]
	s_delay_alu instid0(VALU_DEP_1) | instskip(SKIP_1) | instid1(VALU_DEP_2)
	v_pk_fma_f32 v[102:103], v[98:99], v[94:95], v[100:101] op_sel_hi:[1,0,1]
	v_pk_fma_f32 v[94:95], v[98:99], v[94:95], v[100:101] neg_lo:[0,0,1] neg_hi:[0,0,1]
	v_mov_b32_e32 v95, v103
	s_cbranch_execz .LBB44_734
	s_branch .LBB44_735
.LBB44_733:
                                        ; implicit-def: $vgpr94_vgpr95
.LBB44_734:
	ds_load_b64 v[94:95], v1
.LBB44_735:
	s_mov_b32 s2, exec_lo
	v_cmpx_ne_u32_e32 29, v0
	s_cbranch_execz .LBB44_739
; %bb.736:
	v_add_nc_u32_e32 v97, 0x178, v50
	v_add3_u32 v98, 0, v50, 8
	v_mov_b32_e32 v99, v0
	s_mov_b32 s3, 0
.LBB44_737:                             ; =>This Inner Loop Header: Depth=1
	scratch_load_b64 v[100:101], v98, off
	ds_load_b64 v[102:103], v97
	s_wait_xcnt 0x0
	v_dual_add_nc_u32 v97, 8, v97 :: v_dual_add_nc_u32 v98, 8, v98
	s_wait_loadcnt_dscnt 0x0
	v_pk_mul_f32 v[104:105], v[102:103], v[100:101] op_sel:[1,1] op_sel_hi:[0,1]
	s_delay_alu instid0(VALU_DEP_1) | instskip(SKIP_2) | instid1(VALU_DEP_3)
	v_pk_fma_f32 v[106:107], v[102:103], v[100:101], v[104:105] op_sel_hi:[1,0,1]
	v_add_nc_u32_e32 v99, 1, v99
	v_pk_fma_f32 v[100:101], v[102:103], v[100:101], v[104:105] neg_lo:[0,0,1] neg_hi:[0,0,1]
	v_mov_b32_e32 v101, v107
	s_delay_alu instid0(VALU_DEP_3) | instskip(NEXT) | instid1(VALU_DEP_2)
	v_cmp_lt_u32_e32 vcc_lo, 28, v99
	v_pk_add_f32 v[94:95], v[94:95], v[100:101]
	s_or_b32 s3, vcc_lo, s3
	s_delay_alu instid0(SALU_CYCLE_1)
	s_and_not1_b32 exec_lo, exec_lo, s3
	s_cbranch_execnz .LBB44_737
; %bb.738:
	s_or_b32 exec_lo, exec_lo, s3
.LBB44_739:
	s_delay_alu instid0(SALU_CYCLE_1) | instskip(SKIP_4) | instid1(VALU_DEP_1)
	s_or_b32 exec_lo, exec_lo, s2
	v_mov_b32_e32 v97, 0
	ds_load_b64 v[98:99], v97 offset:240
	s_wait_dscnt 0x0
	v_pk_mul_f32 v[100:101], v[94:95], v[98:99] op_sel:[1,1] op_sel_hi:[0,1]
	v_pk_fma_f32 v[102:103], v[94:95], v[98:99], v[100:101] op_sel_hi:[1,0,1]
	v_pk_fma_f32 v[94:95], v[94:95], v[98:99], v[100:101] neg_lo:[0,0,1] neg_hi:[0,0,1]
	s_delay_alu instid0(VALU_DEP_2)
	v_mov_b32_e32 v95, v103
	scratch_store_b64 off, v[94:95], off offset:240
.LBB44_740:
	s_wait_xcnt 0x0
	s_or_b32 exec_lo, exec_lo, s0
	scratch_load_b64 v[94:95], off, off offset:248
	s_mov_b32 s0, exec_lo
	s_wait_loadcnt 0x0
	ds_store_b64 v1, v[94:95]
	s_wait_storecnt_dscnt 0x0
	s_barrier_signal -1
	s_barrier_wait -1
	s_wait_xcnt 0x0
	v_cmpx_gt_u32_e32 31, v0
	s_cbranch_execz .LBB44_750
; %bb.741:
	v_cmp_ne_u32_e32 vcc_lo, 1, v96
	s_cbranch_vccnz .LBB44_743
; %bb.742:
	scratch_load_b64 v[94:95], v51, off
	ds_load_b64 v[98:99], v1
	s_wait_loadcnt_dscnt 0x0
	v_pk_mul_f32 v[100:101], v[98:99], v[94:95] op_sel:[1,1] op_sel_hi:[0,1]
	s_delay_alu instid0(VALU_DEP_1) | instskip(SKIP_1) | instid1(VALU_DEP_2)
	v_pk_fma_f32 v[102:103], v[98:99], v[94:95], v[100:101] op_sel_hi:[1,0,1]
	v_pk_fma_f32 v[94:95], v[98:99], v[94:95], v[100:101] neg_lo:[0,0,1] neg_hi:[0,0,1]
	v_mov_b32_e32 v95, v103
	s_cbranch_execz .LBB44_744
	s_branch .LBB44_745
.LBB44_743:
                                        ; implicit-def: $vgpr94_vgpr95
.LBB44_744:
	ds_load_b64 v[94:95], v1
.LBB44_745:
	s_mov_b32 s2, exec_lo
	v_cmpx_ne_u32_e32 30, v0
	s_cbranch_execz .LBB44_749
; %bb.746:
	v_add_nc_u32_e32 v97, 0x178, v50
	v_add3_u32 v98, 0, v50, 8
	v_mov_b32_e32 v99, v0
	s_mov_b32 s3, 0
.LBB44_747:                             ; =>This Inner Loop Header: Depth=1
	scratch_load_b64 v[100:101], v98, off
	ds_load_b64 v[102:103], v97
	s_wait_xcnt 0x0
	v_dual_add_nc_u32 v97, 8, v97 :: v_dual_add_nc_u32 v98, 8, v98
	s_wait_loadcnt_dscnt 0x0
	v_pk_mul_f32 v[104:105], v[102:103], v[100:101] op_sel:[1,1] op_sel_hi:[0,1]
	s_delay_alu instid0(VALU_DEP_1) | instskip(SKIP_2) | instid1(VALU_DEP_3)
	v_pk_fma_f32 v[106:107], v[102:103], v[100:101], v[104:105] op_sel_hi:[1,0,1]
	v_add_nc_u32_e32 v99, 1, v99
	v_pk_fma_f32 v[100:101], v[102:103], v[100:101], v[104:105] neg_lo:[0,0,1] neg_hi:[0,0,1]
	v_mov_b32_e32 v101, v107
	s_delay_alu instid0(VALU_DEP_3) | instskip(NEXT) | instid1(VALU_DEP_2)
	v_cmp_lt_u32_e32 vcc_lo, 29, v99
	v_pk_add_f32 v[94:95], v[94:95], v[100:101]
	s_or_b32 s3, vcc_lo, s3
	s_delay_alu instid0(SALU_CYCLE_1)
	s_and_not1_b32 exec_lo, exec_lo, s3
	s_cbranch_execnz .LBB44_747
; %bb.748:
	s_or_b32 exec_lo, exec_lo, s3
.LBB44_749:
	s_delay_alu instid0(SALU_CYCLE_1) | instskip(SKIP_4) | instid1(VALU_DEP_1)
	s_or_b32 exec_lo, exec_lo, s2
	v_mov_b32_e32 v97, 0
	ds_load_b64 v[98:99], v97 offset:248
	s_wait_dscnt 0x0
	v_pk_mul_f32 v[100:101], v[94:95], v[98:99] op_sel:[1,1] op_sel_hi:[0,1]
	v_pk_fma_f32 v[102:103], v[94:95], v[98:99], v[100:101] op_sel_hi:[1,0,1]
	v_pk_fma_f32 v[94:95], v[94:95], v[98:99], v[100:101] neg_lo:[0,0,1] neg_hi:[0,0,1]
	s_delay_alu instid0(VALU_DEP_2)
	v_mov_b32_e32 v95, v103
	scratch_store_b64 off, v[94:95], off offset:248
.LBB44_750:
	s_wait_xcnt 0x0
	s_or_b32 exec_lo, exec_lo, s0
	scratch_load_b64 v[94:95], off, off offset:256
	s_mov_b32 s0, exec_lo
	s_wait_loadcnt 0x0
	ds_store_b64 v1, v[94:95]
	s_wait_storecnt_dscnt 0x0
	s_barrier_signal -1
	s_barrier_wait -1
	s_wait_xcnt 0x0
	v_cmpx_gt_u32_e32 32, v0
	s_cbranch_execz .LBB44_760
; %bb.751:
	v_cmp_ne_u32_e32 vcc_lo, 1, v96
	s_cbranch_vccnz .LBB44_753
; %bb.752:
	scratch_load_b64 v[94:95], v51, off
	ds_load_b64 v[98:99], v1
	s_wait_loadcnt_dscnt 0x0
	v_pk_mul_f32 v[100:101], v[98:99], v[94:95] op_sel:[1,1] op_sel_hi:[0,1]
	s_delay_alu instid0(VALU_DEP_1) | instskip(SKIP_1) | instid1(VALU_DEP_2)
	v_pk_fma_f32 v[102:103], v[98:99], v[94:95], v[100:101] op_sel_hi:[1,0,1]
	v_pk_fma_f32 v[94:95], v[98:99], v[94:95], v[100:101] neg_lo:[0,0,1] neg_hi:[0,0,1]
	v_mov_b32_e32 v95, v103
	s_cbranch_execz .LBB44_754
	s_branch .LBB44_755
.LBB44_753:
                                        ; implicit-def: $vgpr94_vgpr95
.LBB44_754:
	ds_load_b64 v[94:95], v1
.LBB44_755:
	s_mov_b32 s2, exec_lo
	v_cmpx_ne_u32_e32 31, v0
	s_cbranch_execz .LBB44_759
; %bb.756:
	v_add_nc_u32_e32 v97, 0x178, v50
	v_add3_u32 v98, 0, v50, 8
	v_mov_b32_e32 v99, v0
	s_mov_b32 s3, 0
.LBB44_757:                             ; =>This Inner Loop Header: Depth=1
	scratch_load_b64 v[100:101], v98, off
	ds_load_b64 v[102:103], v97
	s_wait_xcnt 0x0
	v_dual_add_nc_u32 v97, 8, v97 :: v_dual_add_nc_u32 v98, 8, v98
	s_wait_loadcnt_dscnt 0x0
	v_pk_mul_f32 v[104:105], v[102:103], v[100:101] op_sel:[1,1] op_sel_hi:[0,1]
	s_delay_alu instid0(VALU_DEP_1) | instskip(SKIP_2) | instid1(VALU_DEP_3)
	v_pk_fma_f32 v[106:107], v[102:103], v[100:101], v[104:105] op_sel_hi:[1,0,1]
	v_add_nc_u32_e32 v99, 1, v99
	v_pk_fma_f32 v[100:101], v[102:103], v[100:101], v[104:105] neg_lo:[0,0,1] neg_hi:[0,0,1]
	v_mov_b32_e32 v101, v107
	s_delay_alu instid0(VALU_DEP_3) | instskip(NEXT) | instid1(VALU_DEP_2)
	v_cmp_lt_u32_e32 vcc_lo, 30, v99
	v_pk_add_f32 v[94:95], v[94:95], v[100:101]
	s_or_b32 s3, vcc_lo, s3
	s_delay_alu instid0(SALU_CYCLE_1)
	s_and_not1_b32 exec_lo, exec_lo, s3
	s_cbranch_execnz .LBB44_757
; %bb.758:
	s_or_b32 exec_lo, exec_lo, s3
.LBB44_759:
	s_delay_alu instid0(SALU_CYCLE_1) | instskip(SKIP_4) | instid1(VALU_DEP_1)
	s_or_b32 exec_lo, exec_lo, s2
	v_mov_b32_e32 v97, 0
	ds_load_b64 v[98:99], v97 offset:256
	s_wait_dscnt 0x0
	v_pk_mul_f32 v[100:101], v[94:95], v[98:99] op_sel:[1,1] op_sel_hi:[0,1]
	v_pk_fma_f32 v[102:103], v[94:95], v[98:99], v[100:101] op_sel_hi:[1,0,1]
	v_pk_fma_f32 v[94:95], v[94:95], v[98:99], v[100:101] neg_lo:[0,0,1] neg_hi:[0,0,1]
	s_delay_alu instid0(VALU_DEP_2)
	v_mov_b32_e32 v95, v103
	scratch_store_b64 off, v[94:95], off offset:256
.LBB44_760:
	s_wait_xcnt 0x0
	s_or_b32 exec_lo, exec_lo, s0
	scratch_load_b64 v[94:95], off, off offset:264
	s_mov_b32 s0, exec_lo
	s_wait_loadcnt 0x0
	ds_store_b64 v1, v[94:95]
	s_wait_storecnt_dscnt 0x0
	s_barrier_signal -1
	s_barrier_wait -1
	s_wait_xcnt 0x0
	v_cmpx_gt_u32_e32 33, v0
	s_cbranch_execz .LBB44_770
; %bb.761:
	v_cmp_ne_u32_e32 vcc_lo, 1, v96
	s_cbranch_vccnz .LBB44_763
; %bb.762:
	scratch_load_b64 v[94:95], v51, off
	ds_load_b64 v[98:99], v1
	s_wait_loadcnt_dscnt 0x0
	v_pk_mul_f32 v[100:101], v[98:99], v[94:95] op_sel:[1,1] op_sel_hi:[0,1]
	s_delay_alu instid0(VALU_DEP_1) | instskip(SKIP_1) | instid1(VALU_DEP_2)
	v_pk_fma_f32 v[102:103], v[98:99], v[94:95], v[100:101] op_sel_hi:[1,0,1]
	v_pk_fma_f32 v[94:95], v[98:99], v[94:95], v[100:101] neg_lo:[0,0,1] neg_hi:[0,0,1]
	v_mov_b32_e32 v95, v103
	s_cbranch_execz .LBB44_764
	s_branch .LBB44_765
.LBB44_763:
                                        ; implicit-def: $vgpr94_vgpr95
.LBB44_764:
	ds_load_b64 v[94:95], v1
.LBB44_765:
	s_mov_b32 s2, exec_lo
	v_cmpx_ne_u32_e32 32, v0
	s_cbranch_execz .LBB44_769
; %bb.766:
	v_add_nc_u32_e32 v97, 0x178, v50
	v_add3_u32 v98, 0, v50, 8
	v_mov_b32_e32 v99, v0
	s_mov_b32 s3, 0
.LBB44_767:                             ; =>This Inner Loop Header: Depth=1
	scratch_load_b64 v[100:101], v98, off
	ds_load_b64 v[102:103], v97
	s_wait_xcnt 0x0
	v_dual_add_nc_u32 v97, 8, v97 :: v_dual_add_nc_u32 v98, 8, v98
	s_wait_loadcnt_dscnt 0x0
	v_pk_mul_f32 v[104:105], v[102:103], v[100:101] op_sel:[1,1] op_sel_hi:[0,1]
	s_delay_alu instid0(VALU_DEP_1) | instskip(SKIP_2) | instid1(VALU_DEP_3)
	v_pk_fma_f32 v[106:107], v[102:103], v[100:101], v[104:105] op_sel_hi:[1,0,1]
	v_add_nc_u32_e32 v99, 1, v99
	v_pk_fma_f32 v[100:101], v[102:103], v[100:101], v[104:105] neg_lo:[0,0,1] neg_hi:[0,0,1]
	v_mov_b32_e32 v101, v107
	s_delay_alu instid0(VALU_DEP_3) | instskip(NEXT) | instid1(VALU_DEP_2)
	v_cmp_lt_u32_e32 vcc_lo, 31, v99
	v_pk_add_f32 v[94:95], v[94:95], v[100:101]
	s_or_b32 s3, vcc_lo, s3
	s_delay_alu instid0(SALU_CYCLE_1)
	s_and_not1_b32 exec_lo, exec_lo, s3
	s_cbranch_execnz .LBB44_767
; %bb.768:
	s_or_b32 exec_lo, exec_lo, s3
.LBB44_769:
	s_delay_alu instid0(SALU_CYCLE_1) | instskip(SKIP_4) | instid1(VALU_DEP_1)
	s_or_b32 exec_lo, exec_lo, s2
	v_mov_b32_e32 v97, 0
	ds_load_b64 v[98:99], v97 offset:264
	s_wait_dscnt 0x0
	v_pk_mul_f32 v[100:101], v[94:95], v[98:99] op_sel:[1,1] op_sel_hi:[0,1]
	v_pk_fma_f32 v[102:103], v[94:95], v[98:99], v[100:101] op_sel_hi:[1,0,1]
	v_pk_fma_f32 v[94:95], v[94:95], v[98:99], v[100:101] neg_lo:[0,0,1] neg_hi:[0,0,1]
	s_delay_alu instid0(VALU_DEP_2)
	v_mov_b32_e32 v95, v103
	scratch_store_b64 off, v[94:95], off offset:264
.LBB44_770:
	s_wait_xcnt 0x0
	s_or_b32 exec_lo, exec_lo, s0
	scratch_load_b64 v[94:95], off, off offset:272
	s_mov_b32 s0, exec_lo
	s_wait_loadcnt 0x0
	ds_store_b64 v1, v[94:95]
	s_wait_storecnt_dscnt 0x0
	s_barrier_signal -1
	s_barrier_wait -1
	s_wait_xcnt 0x0
	v_cmpx_gt_u32_e32 34, v0
	s_cbranch_execz .LBB44_780
; %bb.771:
	v_cmp_ne_u32_e32 vcc_lo, 1, v96
	s_cbranch_vccnz .LBB44_773
; %bb.772:
	scratch_load_b64 v[94:95], v51, off
	ds_load_b64 v[98:99], v1
	s_wait_loadcnt_dscnt 0x0
	v_pk_mul_f32 v[100:101], v[98:99], v[94:95] op_sel:[1,1] op_sel_hi:[0,1]
	s_delay_alu instid0(VALU_DEP_1) | instskip(SKIP_1) | instid1(VALU_DEP_2)
	v_pk_fma_f32 v[102:103], v[98:99], v[94:95], v[100:101] op_sel_hi:[1,0,1]
	v_pk_fma_f32 v[94:95], v[98:99], v[94:95], v[100:101] neg_lo:[0,0,1] neg_hi:[0,0,1]
	v_mov_b32_e32 v95, v103
	s_cbranch_execz .LBB44_774
	s_branch .LBB44_775
.LBB44_773:
                                        ; implicit-def: $vgpr94_vgpr95
.LBB44_774:
	ds_load_b64 v[94:95], v1
.LBB44_775:
	s_mov_b32 s2, exec_lo
	v_cmpx_ne_u32_e32 33, v0
	s_cbranch_execz .LBB44_779
; %bb.776:
	v_add_nc_u32_e32 v97, 0x178, v50
	v_add3_u32 v98, 0, v50, 8
	v_mov_b32_e32 v99, v0
	s_mov_b32 s3, 0
.LBB44_777:                             ; =>This Inner Loop Header: Depth=1
	scratch_load_b64 v[100:101], v98, off
	ds_load_b64 v[102:103], v97
	s_wait_xcnt 0x0
	v_dual_add_nc_u32 v97, 8, v97 :: v_dual_add_nc_u32 v98, 8, v98
	s_wait_loadcnt_dscnt 0x0
	v_pk_mul_f32 v[104:105], v[102:103], v[100:101] op_sel:[1,1] op_sel_hi:[0,1]
	s_delay_alu instid0(VALU_DEP_1) | instskip(SKIP_2) | instid1(VALU_DEP_3)
	v_pk_fma_f32 v[106:107], v[102:103], v[100:101], v[104:105] op_sel_hi:[1,0,1]
	v_add_nc_u32_e32 v99, 1, v99
	v_pk_fma_f32 v[100:101], v[102:103], v[100:101], v[104:105] neg_lo:[0,0,1] neg_hi:[0,0,1]
	v_mov_b32_e32 v101, v107
	s_delay_alu instid0(VALU_DEP_3) | instskip(NEXT) | instid1(VALU_DEP_2)
	v_cmp_lt_u32_e32 vcc_lo, 32, v99
	v_pk_add_f32 v[94:95], v[94:95], v[100:101]
	s_or_b32 s3, vcc_lo, s3
	s_delay_alu instid0(SALU_CYCLE_1)
	s_and_not1_b32 exec_lo, exec_lo, s3
	s_cbranch_execnz .LBB44_777
; %bb.778:
	s_or_b32 exec_lo, exec_lo, s3
.LBB44_779:
	s_delay_alu instid0(SALU_CYCLE_1) | instskip(SKIP_4) | instid1(VALU_DEP_1)
	s_or_b32 exec_lo, exec_lo, s2
	v_mov_b32_e32 v97, 0
	ds_load_b64 v[98:99], v97 offset:272
	s_wait_dscnt 0x0
	v_pk_mul_f32 v[100:101], v[94:95], v[98:99] op_sel:[1,1] op_sel_hi:[0,1]
	v_pk_fma_f32 v[102:103], v[94:95], v[98:99], v[100:101] op_sel_hi:[1,0,1]
	v_pk_fma_f32 v[94:95], v[94:95], v[98:99], v[100:101] neg_lo:[0,0,1] neg_hi:[0,0,1]
	s_delay_alu instid0(VALU_DEP_2)
	v_mov_b32_e32 v95, v103
	scratch_store_b64 off, v[94:95], off offset:272
.LBB44_780:
	s_wait_xcnt 0x0
	s_or_b32 exec_lo, exec_lo, s0
	scratch_load_b64 v[94:95], off, off offset:280
	s_mov_b32 s0, exec_lo
	s_wait_loadcnt 0x0
	ds_store_b64 v1, v[94:95]
	s_wait_storecnt_dscnt 0x0
	s_barrier_signal -1
	s_barrier_wait -1
	s_wait_xcnt 0x0
	v_cmpx_gt_u32_e32 35, v0
	s_cbranch_execz .LBB44_790
; %bb.781:
	v_cmp_ne_u32_e32 vcc_lo, 1, v96
	s_cbranch_vccnz .LBB44_783
; %bb.782:
	scratch_load_b64 v[94:95], v51, off
	ds_load_b64 v[98:99], v1
	s_wait_loadcnt_dscnt 0x0
	v_pk_mul_f32 v[100:101], v[98:99], v[94:95] op_sel:[1,1] op_sel_hi:[0,1]
	s_delay_alu instid0(VALU_DEP_1) | instskip(SKIP_1) | instid1(VALU_DEP_2)
	v_pk_fma_f32 v[102:103], v[98:99], v[94:95], v[100:101] op_sel_hi:[1,0,1]
	v_pk_fma_f32 v[94:95], v[98:99], v[94:95], v[100:101] neg_lo:[0,0,1] neg_hi:[0,0,1]
	v_mov_b32_e32 v95, v103
	s_cbranch_execz .LBB44_784
	s_branch .LBB44_785
.LBB44_783:
                                        ; implicit-def: $vgpr94_vgpr95
.LBB44_784:
	ds_load_b64 v[94:95], v1
.LBB44_785:
	s_mov_b32 s2, exec_lo
	v_cmpx_ne_u32_e32 34, v0
	s_cbranch_execz .LBB44_789
; %bb.786:
	v_add_nc_u32_e32 v97, 0x178, v50
	v_add3_u32 v98, 0, v50, 8
	v_mov_b32_e32 v99, v0
	s_mov_b32 s3, 0
.LBB44_787:                             ; =>This Inner Loop Header: Depth=1
	scratch_load_b64 v[100:101], v98, off
	ds_load_b64 v[102:103], v97
	s_wait_xcnt 0x0
	v_dual_add_nc_u32 v97, 8, v97 :: v_dual_add_nc_u32 v98, 8, v98
	s_wait_loadcnt_dscnt 0x0
	v_pk_mul_f32 v[104:105], v[102:103], v[100:101] op_sel:[1,1] op_sel_hi:[0,1]
	s_delay_alu instid0(VALU_DEP_1) | instskip(SKIP_2) | instid1(VALU_DEP_3)
	v_pk_fma_f32 v[106:107], v[102:103], v[100:101], v[104:105] op_sel_hi:[1,0,1]
	v_add_nc_u32_e32 v99, 1, v99
	v_pk_fma_f32 v[100:101], v[102:103], v[100:101], v[104:105] neg_lo:[0,0,1] neg_hi:[0,0,1]
	v_mov_b32_e32 v101, v107
	s_delay_alu instid0(VALU_DEP_3) | instskip(NEXT) | instid1(VALU_DEP_2)
	v_cmp_lt_u32_e32 vcc_lo, 33, v99
	v_pk_add_f32 v[94:95], v[94:95], v[100:101]
	s_or_b32 s3, vcc_lo, s3
	s_delay_alu instid0(SALU_CYCLE_1)
	s_and_not1_b32 exec_lo, exec_lo, s3
	s_cbranch_execnz .LBB44_787
; %bb.788:
	s_or_b32 exec_lo, exec_lo, s3
.LBB44_789:
	s_delay_alu instid0(SALU_CYCLE_1) | instskip(SKIP_4) | instid1(VALU_DEP_1)
	s_or_b32 exec_lo, exec_lo, s2
	v_mov_b32_e32 v97, 0
	ds_load_b64 v[98:99], v97 offset:280
	s_wait_dscnt 0x0
	v_pk_mul_f32 v[100:101], v[94:95], v[98:99] op_sel:[1,1] op_sel_hi:[0,1]
	v_pk_fma_f32 v[102:103], v[94:95], v[98:99], v[100:101] op_sel_hi:[1,0,1]
	v_pk_fma_f32 v[94:95], v[94:95], v[98:99], v[100:101] neg_lo:[0,0,1] neg_hi:[0,0,1]
	s_delay_alu instid0(VALU_DEP_2)
	v_mov_b32_e32 v95, v103
	scratch_store_b64 off, v[94:95], off offset:280
.LBB44_790:
	s_wait_xcnt 0x0
	s_or_b32 exec_lo, exec_lo, s0
	scratch_load_b64 v[94:95], off, off offset:288
	s_mov_b32 s0, exec_lo
	s_wait_loadcnt 0x0
	ds_store_b64 v1, v[94:95]
	s_wait_storecnt_dscnt 0x0
	s_barrier_signal -1
	s_barrier_wait -1
	s_wait_xcnt 0x0
	v_cmpx_gt_u32_e32 36, v0
	s_cbranch_execz .LBB44_800
; %bb.791:
	v_cmp_ne_u32_e32 vcc_lo, 1, v96
	s_cbranch_vccnz .LBB44_793
; %bb.792:
	scratch_load_b64 v[94:95], v51, off
	ds_load_b64 v[98:99], v1
	s_wait_loadcnt_dscnt 0x0
	v_pk_mul_f32 v[100:101], v[98:99], v[94:95] op_sel:[1,1] op_sel_hi:[0,1]
	s_delay_alu instid0(VALU_DEP_1) | instskip(SKIP_1) | instid1(VALU_DEP_2)
	v_pk_fma_f32 v[102:103], v[98:99], v[94:95], v[100:101] op_sel_hi:[1,0,1]
	v_pk_fma_f32 v[94:95], v[98:99], v[94:95], v[100:101] neg_lo:[0,0,1] neg_hi:[0,0,1]
	v_mov_b32_e32 v95, v103
	s_cbranch_execz .LBB44_794
	s_branch .LBB44_795
.LBB44_793:
                                        ; implicit-def: $vgpr94_vgpr95
.LBB44_794:
	ds_load_b64 v[94:95], v1
.LBB44_795:
	s_mov_b32 s2, exec_lo
	v_cmpx_ne_u32_e32 35, v0
	s_cbranch_execz .LBB44_799
; %bb.796:
	v_add_nc_u32_e32 v97, 0x178, v50
	v_add3_u32 v98, 0, v50, 8
	v_mov_b32_e32 v99, v0
	s_mov_b32 s3, 0
.LBB44_797:                             ; =>This Inner Loop Header: Depth=1
	scratch_load_b64 v[100:101], v98, off
	ds_load_b64 v[102:103], v97
	s_wait_xcnt 0x0
	v_dual_add_nc_u32 v97, 8, v97 :: v_dual_add_nc_u32 v98, 8, v98
	s_wait_loadcnt_dscnt 0x0
	v_pk_mul_f32 v[104:105], v[102:103], v[100:101] op_sel:[1,1] op_sel_hi:[0,1]
	s_delay_alu instid0(VALU_DEP_1) | instskip(SKIP_2) | instid1(VALU_DEP_3)
	v_pk_fma_f32 v[106:107], v[102:103], v[100:101], v[104:105] op_sel_hi:[1,0,1]
	v_add_nc_u32_e32 v99, 1, v99
	v_pk_fma_f32 v[100:101], v[102:103], v[100:101], v[104:105] neg_lo:[0,0,1] neg_hi:[0,0,1]
	v_mov_b32_e32 v101, v107
	s_delay_alu instid0(VALU_DEP_3) | instskip(NEXT) | instid1(VALU_DEP_2)
	v_cmp_lt_u32_e32 vcc_lo, 34, v99
	v_pk_add_f32 v[94:95], v[94:95], v[100:101]
	s_or_b32 s3, vcc_lo, s3
	s_delay_alu instid0(SALU_CYCLE_1)
	s_and_not1_b32 exec_lo, exec_lo, s3
	s_cbranch_execnz .LBB44_797
; %bb.798:
	s_or_b32 exec_lo, exec_lo, s3
.LBB44_799:
	s_delay_alu instid0(SALU_CYCLE_1) | instskip(SKIP_4) | instid1(VALU_DEP_1)
	s_or_b32 exec_lo, exec_lo, s2
	v_mov_b32_e32 v97, 0
	ds_load_b64 v[98:99], v97 offset:288
	s_wait_dscnt 0x0
	v_pk_mul_f32 v[100:101], v[94:95], v[98:99] op_sel:[1,1] op_sel_hi:[0,1]
	v_pk_fma_f32 v[102:103], v[94:95], v[98:99], v[100:101] op_sel_hi:[1,0,1]
	v_pk_fma_f32 v[94:95], v[94:95], v[98:99], v[100:101] neg_lo:[0,0,1] neg_hi:[0,0,1]
	s_delay_alu instid0(VALU_DEP_2)
	v_mov_b32_e32 v95, v103
	scratch_store_b64 off, v[94:95], off offset:288
.LBB44_800:
	s_wait_xcnt 0x0
	s_or_b32 exec_lo, exec_lo, s0
	scratch_load_b64 v[94:95], off, off offset:296
	s_mov_b32 s0, exec_lo
	s_wait_loadcnt 0x0
	ds_store_b64 v1, v[94:95]
	s_wait_storecnt_dscnt 0x0
	s_barrier_signal -1
	s_barrier_wait -1
	s_wait_xcnt 0x0
	v_cmpx_gt_u32_e32 37, v0
	s_cbranch_execz .LBB44_810
; %bb.801:
	v_cmp_ne_u32_e32 vcc_lo, 1, v96
	s_cbranch_vccnz .LBB44_803
; %bb.802:
	scratch_load_b64 v[94:95], v51, off
	ds_load_b64 v[98:99], v1
	s_wait_loadcnt_dscnt 0x0
	v_pk_mul_f32 v[100:101], v[98:99], v[94:95] op_sel:[1,1] op_sel_hi:[0,1]
	s_delay_alu instid0(VALU_DEP_1) | instskip(SKIP_1) | instid1(VALU_DEP_2)
	v_pk_fma_f32 v[102:103], v[98:99], v[94:95], v[100:101] op_sel_hi:[1,0,1]
	v_pk_fma_f32 v[94:95], v[98:99], v[94:95], v[100:101] neg_lo:[0,0,1] neg_hi:[0,0,1]
	v_mov_b32_e32 v95, v103
	s_cbranch_execz .LBB44_804
	s_branch .LBB44_805
.LBB44_803:
                                        ; implicit-def: $vgpr94_vgpr95
.LBB44_804:
	ds_load_b64 v[94:95], v1
.LBB44_805:
	s_mov_b32 s2, exec_lo
	v_cmpx_ne_u32_e32 36, v0
	s_cbranch_execz .LBB44_809
; %bb.806:
	v_add_nc_u32_e32 v97, 0x178, v50
	v_add3_u32 v98, 0, v50, 8
	v_mov_b32_e32 v99, v0
	s_mov_b32 s3, 0
.LBB44_807:                             ; =>This Inner Loop Header: Depth=1
	scratch_load_b64 v[100:101], v98, off
	ds_load_b64 v[102:103], v97
	s_wait_xcnt 0x0
	v_dual_add_nc_u32 v97, 8, v97 :: v_dual_add_nc_u32 v98, 8, v98
	s_wait_loadcnt_dscnt 0x0
	v_pk_mul_f32 v[104:105], v[102:103], v[100:101] op_sel:[1,1] op_sel_hi:[0,1]
	s_delay_alu instid0(VALU_DEP_1) | instskip(SKIP_2) | instid1(VALU_DEP_3)
	v_pk_fma_f32 v[106:107], v[102:103], v[100:101], v[104:105] op_sel_hi:[1,0,1]
	v_add_nc_u32_e32 v99, 1, v99
	v_pk_fma_f32 v[100:101], v[102:103], v[100:101], v[104:105] neg_lo:[0,0,1] neg_hi:[0,0,1]
	v_mov_b32_e32 v101, v107
	s_delay_alu instid0(VALU_DEP_3) | instskip(NEXT) | instid1(VALU_DEP_2)
	v_cmp_lt_u32_e32 vcc_lo, 35, v99
	v_pk_add_f32 v[94:95], v[94:95], v[100:101]
	s_or_b32 s3, vcc_lo, s3
	s_delay_alu instid0(SALU_CYCLE_1)
	s_and_not1_b32 exec_lo, exec_lo, s3
	s_cbranch_execnz .LBB44_807
; %bb.808:
	s_or_b32 exec_lo, exec_lo, s3
.LBB44_809:
	s_delay_alu instid0(SALU_CYCLE_1) | instskip(SKIP_4) | instid1(VALU_DEP_1)
	s_or_b32 exec_lo, exec_lo, s2
	v_mov_b32_e32 v97, 0
	ds_load_b64 v[98:99], v97 offset:296
	s_wait_dscnt 0x0
	v_pk_mul_f32 v[100:101], v[94:95], v[98:99] op_sel:[1,1] op_sel_hi:[0,1]
	v_pk_fma_f32 v[102:103], v[94:95], v[98:99], v[100:101] op_sel_hi:[1,0,1]
	v_pk_fma_f32 v[94:95], v[94:95], v[98:99], v[100:101] neg_lo:[0,0,1] neg_hi:[0,0,1]
	s_delay_alu instid0(VALU_DEP_2)
	v_mov_b32_e32 v95, v103
	scratch_store_b64 off, v[94:95], off offset:296
.LBB44_810:
	s_wait_xcnt 0x0
	s_or_b32 exec_lo, exec_lo, s0
	scratch_load_b64 v[94:95], off, off offset:304
	s_mov_b32 s0, exec_lo
	s_wait_loadcnt 0x0
	ds_store_b64 v1, v[94:95]
	s_wait_storecnt_dscnt 0x0
	s_barrier_signal -1
	s_barrier_wait -1
	s_wait_xcnt 0x0
	v_cmpx_gt_u32_e32 38, v0
	s_cbranch_execz .LBB44_820
; %bb.811:
	v_cmp_ne_u32_e32 vcc_lo, 1, v96
	s_cbranch_vccnz .LBB44_813
; %bb.812:
	scratch_load_b64 v[94:95], v51, off
	ds_load_b64 v[98:99], v1
	s_wait_loadcnt_dscnt 0x0
	v_pk_mul_f32 v[100:101], v[98:99], v[94:95] op_sel:[1,1] op_sel_hi:[0,1]
	s_delay_alu instid0(VALU_DEP_1) | instskip(SKIP_1) | instid1(VALU_DEP_2)
	v_pk_fma_f32 v[102:103], v[98:99], v[94:95], v[100:101] op_sel_hi:[1,0,1]
	v_pk_fma_f32 v[94:95], v[98:99], v[94:95], v[100:101] neg_lo:[0,0,1] neg_hi:[0,0,1]
	v_mov_b32_e32 v95, v103
	s_cbranch_execz .LBB44_814
	s_branch .LBB44_815
.LBB44_813:
                                        ; implicit-def: $vgpr94_vgpr95
.LBB44_814:
	ds_load_b64 v[94:95], v1
.LBB44_815:
	s_mov_b32 s2, exec_lo
	v_cmpx_ne_u32_e32 37, v0
	s_cbranch_execz .LBB44_819
; %bb.816:
	v_add_nc_u32_e32 v97, 0x178, v50
	v_add3_u32 v98, 0, v50, 8
	v_mov_b32_e32 v99, v0
	s_mov_b32 s3, 0
.LBB44_817:                             ; =>This Inner Loop Header: Depth=1
	scratch_load_b64 v[100:101], v98, off
	ds_load_b64 v[102:103], v97
	s_wait_xcnt 0x0
	v_dual_add_nc_u32 v97, 8, v97 :: v_dual_add_nc_u32 v98, 8, v98
	s_wait_loadcnt_dscnt 0x0
	v_pk_mul_f32 v[104:105], v[102:103], v[100:101] op_sel:[1,1] op_sel_hi:[0,1]
	s_delay_alu instid0(VALU_DEP_1) | instskip(SKIP_2) | instid1(VALU_DEP_3)
	v_pk_fma_f32 v[106:107], v[102:103], v[100:101], v[104:105] op_sel_hi:[1,0,1]
	v_add_nc_u32_e32 v99, 1, v99
	v_pk_fma_f32 v[100:101], v[102:103], v[100:101], v[104:105] neg_lo:[0,0,1] neg_hi:[0,0,1]
	v_mov_b32_e32 v101, v107
	s_delay_alu instid0(VALU_DEP_3) | instskip(NEXT) | instid1(VALU_DEP_2)
	v_cmp_lt_u32_e32 vcc_lo, 36, v99
	v_pk_add_f32 v[94:95], v[94:95], v[100:101]
	s_or_b32 s3, vcc_lo, s3
	s_delay_alu instid0(SALU_CYCLE_1)
	s_and_not1_b32 exec_lo, exec_lo, s3
	s_cbranch_execnz .LBB44_817
; %bb.818:
	s_or_b32 exec_lo, exec_lo, s3
.LBB44_819:
	s_delay_alu instid0(SALU_CYCLE_1) | instskip(SKIP_4) | instid1(VALU_DEP_1)
	s_or_b32 exec_lo, exec_lo, s2
	v_mov_b32_e32 v97, 0
	ds_load_b64 v[98:99], v97 offset:304
	s_wait_dscnt 0x0
	v_pk_mul_f32 v[100:101], v[94:95], v[98:99] op_sel:[1,1] op_sel_hi:[0,1]
	v_pk_fma_f32 v[102:103], v[94:95], v[98:99], v[100:101] op_sel_hi:[1,0,1]
	v_pk_fma_f32 v[94:95], v[94:95], v[98:99], v[100:101] neg_lo:[0,0,1] neg_hi:[0,0,1]
	s_delay_alu instid0(VALU_DEP_2)
	v_mov_b32_e32 v95, v103
	scratch_store_b64 off, v[94:95], off offset:304
.LBB44_820:
	s_wait_xcnt 0x0
	s_or_b32 exec_lo, exec_lo, s0
	scratch_load_b64 v[94:95], off, off offset:312
	s_mov_b32 s0, exec_lo
	s_wait_loadcnt 0x0
	ds_store_b64 v1, v[94:95]
	s_wait_storecnt_dscnt 0x0
	s_barrier_signal -1
	s_barrier_wait -1
	s_wait_xcnt 0x0
	v_cmpx_gt_u32_e32 39, v0
	s_cbranch_execz .LBB44_830
; %bb.821:
	v_cmp_ne_u32_e32 vcc_lo, 1, v96
	s_cbranch_vccnz .LBB44_823
; %bb.822:
	scratch_load_b64 v[94:95], v51, off
	ds_load_b64 v[98:99], v1
	s_wait_loadcnt_dscnt 0x0
	v_pk_mul_f32 v[100:101], v[98:99], v[94:95] op_sel:[1,1] op_sel_hi:[0,1]
	s_delay_alu instid0(VALU_DEP_1) | instskip(SKIP_1) | instid1(VALU_DEP_2)
	v_pk_fma_f32 v[102:103], v[98:99], v[94:95], v[100:101] op_sel_hi:[1,0,1]
	v_pk_fma_f32 v[94:95], v[98:99], v[94:95], v[100:101] neg_lo:[0,0,1] neg_hi:[0,0,1]
	v_mov_b32_e32 v95, v103
	s_cbranch_execz .LBB44_824
	s_branch .LBB44_825
.LBB44_823:
                                        ; implicit-def: $vgpr94_vgpr95
.LBB44_824:
	ds_load_b64 v[94:95], v1
.LBB44_825:
	s_mov_b32 s2, exec_lo
	v_cmpx_ne_u32_e32 38, v0
	s_cbranch_execz .LBB44_829
; %bb.826:
	v_add_nc_u32_e32 v97, 0x178, v50
	v_add3_u32 v98, 0, v50, 8
	v_mov_b32_e32 v99, v0
	s_mov_b32 s3, 0
.LBB44_827:                             ; =>This Inner Loop Header: Depth=1
	scratch_load_b64 v[100:101], v98, off
	ds_load_b64 v[102:103], v97
	s_wait_xcnt 0x0
	v_dual_add_nc_u32 v97, 8, v97 :: v_dual_add_nc_u32 v98, 8, v98
	s_wait_loadcnt_dscnt 0x0
	v_pk_mul_f32 v[104:105], v[102:103], v[100:101] op_sel:[1,1] op_sel_hi:[0,1]
	s_delay_alu instid0(VALU_DEP_1) | instskip(SKIP_2) | instid1(VALU_DEP_3)
	v_pk_fma_f32 v[106:107], v[102:103], v[100:101], v[104:105] op_sel_hi:[1,0,1]
	v_add_nc_u32_e32 v99, 1, v99
	v_pk_fma_f32 v[100:101], v[102:103], v[100:101], v[104:105] neg_lo:[0,0,1] neg_hi:[0,0,1]
	v_mov_b32_e32 v101, v107
	s_delay_alu instid0(VALU_DEP_3) | instskip(NEXT) | instid1(VALU_DEP_2)
	v_cmp_lt_u32_e32 vcc_lo, 37, v99
	v_pk_add_f32 v[94:95], v[94:95], v[100:101]
	s_or_b32 s3, vcc_lo, s3
	s_delay_alu instid0(SALU_CYCLE_1)
	s_and_not1_b32 exec_lo, exec_lo, s3
	s_cbranch_execnz .LBB44_827
; %bb.828:
	s_or_b32 exec_lo, exec_lo, s3
.LBB44_829:
	s_delay_alu instid0(SALU_CYCLE_1) | instskip(SKIP_4) | instid1(VALU_DEP_1)
	s_or_b32 exec_lo, exec_lo, s2
	v_mov_b32_e32 v97, 0
	ds_load_b64 v[98:99], v97 offset:312
	s_wait_dscnt 0x0
	v_pk_mul_f32 v[100:101], v[94:95], v[98:99] op_sel:[1,1] op_sel_hi:[0,1]
	v_pk_fma_f32 v[102:103], v[94:95], v[98:99], v[100:101] op_sel_hi:[1,0,1]
	v_pk_fma_f32 v[94:95], v[94:95], v[98:99], v[100:101] neg_lo:[0,0,1] neg_hi:[0,0,1]
	s_delay_alu instid0(VALU_DEP_2)
	v_mov_b32_e32 v95, v103
	scratch_store_b64 off, v[94:95], off offset:312
.LBB44_830:
	s_wait_xcnt 0x0
	s_or_b32 exec_lo, exec_lo, s0
	scratch_load_b64 v[94:95], off, off offset:320
	s_mov_b32 s0, exec_lo
	s_wait_loadcnt 0x0
	ds_store_b64 v1, v[94:95]
	s_wait_storecnt_dscnt 0x0
	s_barrier_signal -1
	s_barrier_wait -1
	s_wait_xcnt 0x0
	v_cmpx_gt_u32_e32 40, v0
	s_cbranch_execz .LBB44_840
; %bb.831:
	v_cmp_ne_u32_e32 vcc_lo, 1, v96
	s_cbranch_vccnz .LBB44_833
; %bb.832:
	scratch_load_b64 v[94:95], v51, off
	ds_load_b64 v[98:99], v1
	s_wait_loadcnt_dscnt 0x0
	v_pk_mul_f32 v[100:101], v[98:99], v[94:95] op_sel:[1,1] op_sel_hi:[0,1]
	s_delay_alu instid0(VALU_DEP_1) | instskip(SKIP_1) | instid1(VALU_DEP_2)
	v_pk_fma_f32 v[102:103], v[98:99], v[94:95], v[100:101] op_sel_hi:[1,0,1]
	v_pk_fma_f32 v[94:95], v[98:99], v[94:95], v[100:101] neg_lo:[0,0,1] neg_hi:[0,0,1]
	v_mov_b32_e32 v95, v103
	s_cbranch_execz .LBB44_834
	s_branch .LBB44_835
.LBB44_833:
                                        ; implicit-def: $vgpr94_vgpr95
.LBB44_834:
	ds_load_b64 v[94:95], v1
.LBB44_835:
	s_mov_b32 s2, exec_lo
	v_cmpx_ne_u32_e32 39, v0
	s_cbranch_execz .LBB44_839
; %bb.836:
	v_add_nc_u32_e32 v97, 0x178, v50
	v_add3_u32 v98, 0, v50, 8
	v_mov_b32_e32 v99, v0
	s_mov_b32 s3, 0
.LBB44_837:                             ; =>This Inner Loop Header: Depth=1
	scratch_load_b64 v[100:101], v98, off
	ds_load_b64 v[102:103], v97
	s_wait_xcnt 0x0
	v_dual_add_nc_u32 v97, 8, v97 :: v_dual_add_nc_u32 v98, 8, v98
	s_wait_loadcnt_dscnt 0x0
	v_pk_mul_f32 v[104:105], v[102:103], v[100:101] op_sel:[1,1] op_sel_hi:[0,1]
	s_delay_alu instid0(VALU_DEP_1) | instskip(SKIP_2) | instid1(VALU_DEP_3)
	v_pk_fma_f32 v[106:107], v[102:103], v[100:101], v[104:105] op_sel_hi:[1,0,1]
	v_add_nc_u32_e32 v99, 1, v99
	v_pk_fma_f32 v[100:101], v[102:103], v[100:101], v[104:105] neg_lo:[0,0,1] neg_hi:[0,0,1]
	v_mov_b32_e32 v101, v107
	s_delay_alu instid0(VALU_DEP_3) | instskip(NEXT) | instid1(VALU_DEP_2)
	v_cmp_lt_u32_e32 vcc_lo, 38, v99
	v_pk_add_f32 v[94:95], v[94:95], v[100:101]
	s_or_b32 s3, vcc_lo, s3
	s_delay_alu instid0(SALU_CYCLE_1)
	s_and_not1_b32 exec_lo, exec_lo, s3
	s_cbranch_execnz .LBB44_837
; %bb.838:
	s_or_b32 exec_lo, exec_lo, s3
.LBB44_839:
	s_delay_alu instid0(SALU_CYCLE_1) | instskip(SKIP_4) | instid1(VALU_DEP_1)
	s_or_b32 exec_lo, exec_lo, s2
	v_mov_b32_e32 v97, 0
	ds_load_b64 v[98:99], v97 offset:320
	s_wait_dscnt 0x0
	v_pk_mul_f32 v[100:101], v[94:95], v[98:99] op_sel:[1,1] op_sel_hi:[0,1]
	v_pk_fma_f32 v[102:103], v[94:95], v[98:99], v[100:101] op_sel_hi:[1,0,1]
	v_pk_fma_f32 v[94:95], v[94:95], v[98:99], v[100:101] neg_lo:[0,0,1] neg_hi:[0,0,1]
	s_delay_alu instid0(VALU_DEP_2)
	v_mov_b32_e32 v95, v103
	scratch_store_b64 off, v[94:95], off offset:320
.LBB44_840:
	s_wait_xcnt 0x0
	s_or_b32 exec_lo, exec_lo, s0
	scratch_load_b64 v[94:95], off, off offset:328
	s_mov_b32 s0, exec_lo
	s_wait_loadcnt 0x0
	ds_store_b64 v1, v[94:95]
	s_wait_storecnt_dscnt 0x0
	s_barrier_signal -1
	s_barrier_wait -1
	s_wait_xcnt 0x0
	v_cmpx_gt_u32_e32 41, v0
	s_cbranch_execz .LBB44_850
; %bb.841:
	v_cmp_ne_u32_e32 vcc_lo, 1, v96
	s_cbranch_vccnz .LBB44_843
; %bb.842:
	scratch_load_b64 v[94:95], v51, off
	ds_load_b64 v[98:99], v1
	s_wait_loadcnt_dscnt 0x0
	v_pk_mul_f32 v[100:101], v[98:99], v[94:95] op_sel:[1,1] op_sel_hi:[0,1]
	s_delay_alu instid0(VALU_DEP_1) | instskip(SKIP_1) | instid1(VALU_DEP_2)
	v_pk_fma_f32 v[102:103], v[98:99], v[94:95], v[100:101] op_sel_hi:[1,0,1]
	v_pk_fma_f32 v[94:95], v[98:99], v[94:95], v[100:101] neg_lo:[0,0,1] neg_hi:[0,0,1]
	v_mov_b32_e32 v95, v103
	s_cbranch_execz .LBB44_844
	s_branch .LBB44_845
.LBB44_843:
                                        ; implicit-def: $vgpr94_vgpr95
.LBB44_844:
	ds_load_b64 v[94:95], v1
.LBB44_845:
	s_mov_b32 s2, exec_lo
	v_cmpx_ne_u32_e32 40, v0
	s_cbranch_execz .LBB44_849
; %bb.846:
	v_add_nc_u32_e32 v97, 0x178, v50
	v_add3_u32 v98, 0, v50, 8
	v_mov_b32_e32 v99, v0
	s_mov_b32 s3, 0
.LBB44_847:                             ; =>This Inner Loop Header: Depth=1
	scratch_load_b64 v[100:101], v98, off
	ds_load_b64 v[102:103], v97
	s_wait_xcnt 0x0
	v_dual_add_nc_u32 v97, 8, v97 :: v_dual_add_nc_u32 v98, 8, v98
	s_wait_loadcnt_dscnt 0x0
	v_pk_mul_f32 v[104:105], v[102:103], v[100:101] op_sel:[1,1] op_sel_hi:[0,1]
	s_delay_alu instid0(VALU_DEP_1) | instskip(SKIP_2) | instid1(VALU_DEP_3)
	v_pk_fma_f32 v[106:107], v[102:103], v[100:101], v[104:105] op_sel_hi:[1,0,1]
	v_add_nc_u32_e32 v99, 1, v99
	v_pk_fma_f32 v[100:101], v[102:103], v[100:101], v[104:105] neg_lo:[0,0,1] neg_hi:[0,0,1]
	v_mov_b32_e32 v101, v107
	s_delay_alu instid0(VALU_DEP_3) | instskip(NEXT) | instid1(VALU_DEP_2)
	v_cmp_lt_u32_e32 vcc_lo, 39, v99
	v_pk_add_f32 v[94:95], v[94:95], v[100:101]
	s_or_b32 s3, vcc_lo, s3
	s_delay_alu instid0(SALU_CYCLE_1)
	s_and_not1_b32 exec_lo, exec_lo, s3
	s_cbranch_execnz .LBB44_847
; %bb.848:
	s_or_b32 exec_lo, exec_lo, s3
.LBB44_849:
	s_delay_alu instid0(SALU_CYCLE_1) | instskip(SKIP_4) | instid1(VALU_DEP_1)
	s_or_b32 exec_lo, exec_lo, s2
	v_mov_b32_e32 v97, 0
	ds_load_b64 v[98:99], v97 offset:328
	s_wait_dscnt 0x0
	v_pk_mul_f32 v[100:101], v[94:95], v[98:99] op_sel:[1,1] op_sel_hi:[0,1]
	v_pk_fma_f32 v[102:103], v[94:95], v[98:99], v[100:101] op_sel_hi:[1,0,1]
	v_pk_fma_f32 v[94:95], v[94:95], v[98:99], v[100:101] neg_lo:[0,0,1] neg_hi:[0,0,1]
	s_delay_alu instid0(VALU_DEP_2)
	v_mov_b32_e32 v95, v103
	scratch_store_b64 off, v[94:95], off offset:328
.LBB44_850:
	s_wait_xcnt 0x0
	s_or_b32 exec_lo, exec_lo, s0
	scratch_load_b64 v[94:95], off, off offset:336
	s_mov_b32 s0, exec_lo
	s_wait_loadcnt 0x0
	ds_store_b64 v1, v[94:95]
	s_wait_storecnt_dscnt 0x0
	s_barrier_signal -1
	s_barrier_wait -1
	s_wait_xcnt 0x0
	v_cmpx_gt_u32_e32 42, v0
	s_cbranch_execz .LBB44_860
; %bb.851:
	v_cmp_ne_u32_e32 vcc_lo, 1, v96
	s_cbranch_vccnz .LBB44_853
; %bb.852:
	scratch_load_b64 v[94:95], v51, off
	ds_load_b64 v[98:99], v1
	s_wait_loadcnt_dscnt 0x0
	v_pk_mul_f32 v[100:101], v[98:99], v[94:95] op_sel:[1,1] op_sel_hi:[0,1]
	s_delay_alu instid0(VALU_DEP_1) | instskip(SKIP_1) | instid1(VALU_DEP_2)
	v_pk_fma_f32 v[102:103], v[98:99], v[94:95], v[100:101] op_sel_hi:[1,0,1]
	v_pk_fma_f32 v[94:95], v[98:99], v[94:95], v[100:101] neg_lo:[0,0,1] neg_hi:[0,0,1]
	v_mov_b32_e32 v95, v103
	s_cbranch_execz .LBB44_854
	s_branch .LBB44_855
.LBB44_853:
                                        ; implicit-def: $vgpr94_vgpr95
.LBB44_854:
	ds_load_b64 v[94:95], v1
.LBB44_855:
	s_mov_b32 s2, exec_lo
	v_cmpx_ne_u32_e32 41, v0
	s_cbranch_execz .LBB44_859
; %bb.856:
	v_add_nc_u32_e32 v97, 0x178, v50
	v_add3_u32 v98, 0, v50, 8
	v_mov_b32_e32 v99, v0
	s_mov_b32 s3, 0
.LBB44_857:                             ; =>This Inner Loop Header: Depth=1
	scratch_load_b64 v[100:101], v98, off
	ds_load_b64 v[102:103], v97
	s_wait_xcnt 0x0
	v_dual_add_nc_u32 v97, 8, v97 :: v_dual_add_nc_u32 v98, 8, v98
	s_wait_loadcnt_dscnt 0x0
	v_pk_mul_f32 v[104:105], v[102:103], v[100:101] op_sel:[1,1] op_sel_hi:[0,1]
	s_delay_alu instid0(VALU_DEP_1) | instskip(SKIP_2) | instid1(VALU_DEP_3)
	v_pk_fma_f32 v[106:107], v[102:103], v[100:101], v[104:105] op_sel_hi:[1,0,1]
	v_add_nc_u32_e32 v99, 1, v99
	v_pk_fma_f32 v[100:101], v[102:103], v[100:101], v[104:105] neg_lo:[0,0,1] neg_hi:[0,0,1]
	v_mov_b32_e32 v101, v107
	s_delay_alu instid0(VALU_DEP_3) | instskip(NEXT) | instid1(VALU_DEP_2)
	v_cmp_lt_u32_e32 vcc_lo, 40, v99
	v_pk_add_f32 v[94:95], v[94:95], v[100:101]
	s_or_b32 s3, vcc_lo, s3
	s_delay_alu instid0(SALU_CYCLE_1)
	s_and_not1_b32 exec_lo, exec_lo, s3
	s_cbranch_execnz .LBB44_857
; %bb.858:
	s_or_b32 exec_lo, exec_lo, s3
.LBB44_859:
	s_delay_alu instid0(SALU_CYCLE_1) | instskip(SKIP_4) | instid1(VALU_DEP_1)
	s_or_b32 exec_lo, exec_lo, s2
	v_mov_b32_e32 v97, 0
	ds_load_b64 v[98:99], v97 offset:336
	s_wait_dscnt 0x0
	v_pk_mul_f32 v[100:101], v[94:95], v[98:99] op_sel:[1,1] op_sel_hi:[0,1]
	v_pk_fma_f32 v[102:103], v[94:95], v[98:99], v[100:101] op_sel_hi:[1,0,1]
	v_pk_fma_f32 v[94:95], v[94:95], v[98:99], v[100:101] neg_lo:[0,0,1] neg_hi:[0,0,1]
	s_delay_alu instid0(VALU_DEP_2)
	v_mov_b32_e32 v95, v103
	scratch_store_b64 off, v[94:95], off offset:336
.LBB44_860:
	s_wait_xcnt 0x0
	s_or_b32 exec_lo, exec_lo, s0
	scratch_load_b64 v[94:95], off, off offset:344
	v_cmp_gt_u32_e64 s0, 43, v0
	s_wait_loadcnt 0x0
	ds_store_b64 v1, v[94:95]
	s_wait_storecnt_dscnt 0x0
	s_barrier_signal -1
	s_barrier_wait -1
	s_wait_xcnt 0x0
	s_and_saveexec_b32 s2, s0
	s_cbranch_execz .LBB44_870
; %bb.861:
	v_cmp_ne_u32_e32 vcc_lo, 1, v96
	s_cbranch_vccnz .LBB44_863
; %bb.862:
	scratch_load_b64 v[94:95], v51, off
	ds_load_b64 v[98:99], v1
	s_wait_loadcnt_dscnt 0x0
	v_pk_mul_f32 v[100:101], v[98:99], v[94:95] op_sel:[1,1] op_sel_hi:[0,1]
	s_delay_alu instid0(VALU_DEP_1) | instskip(SKIP_1) | instid1(VALU_DEP_2)
	v_pk_fma_f32 v[102:103], v[98:99], v[94:95], v[100:101] op_sel_hi:[1,0,1]
	v_pk_fma_f32 v[94:95], v[98:99], v[94:95], v[100:101] neg_lo:[0,0,1] neg_hi:[0,0,1]
	v_mov_b32_e32 v95, v103
	s_cbranch_execz .LBB44_864
	s_branch .LBB44_865
.LBB44_863:
                                        ; implicit-def: $vgpr94_vgpr95
.LBB44_864:
	ds_load_b64 v[94:95], v1
.LBB44_865:
	s_mov_b32 s3, exec_lo
	v_cmpx_ne_u32_e32 42, v0
	s_cbranch_execz .LBB44_869
; %bb.866:
	v_add_nc_u32_e32 v97, 0x178, v50
	v_add3_u32 v98, 0, v50, 8
	v_mov_b32_e32 v99, v0
	s_mov_b32 s4, 0
.LBB44_867:                             ; =>This Inner Loop Header: Depth=1
	scratch_load_b64 v[100:101], v98, off
	ds_load_b64 v[102:103], v97
	s_wait_xcnt 0x0
	v_dual_add_nc_u32 v97, 8, v97 :: v_dual_add_nc_u32 v98, 8, v98
	s_wait_loadcnt_dscnt 0x0
	v_pk_mul_f32 v[104:105], v[102:103], v[100:101] op_sel:[1,1] op_sel_hi:[0,1]
	s_delay_alu instid0(VALU_DEP_1) | instskip(SKIP_2) | instid1(VALU_DEP_3)
	v_pk_fma_f32 v[106:107], v[102:103], v[100:101], v[104:105] op_sel_hi:[1,0,1]
	v_add_nc_u32_e32 v99, 1, v99
	v_pk_fma_f32 v[100:101], v[102:103], v[100:101], v[104:105] neg_lo:[0,0,1] neg_hi:[0,0,1]
	v_mov_b32_e32 v101, v107
	s_delay_alu instid0(VALU_DEP_3) | instskip(NEXT) | instid1(VALU_DEP_2)
	v_cmp_lt_u32_e32 vcc_lo, 41, v99
	v_pk_add_f32 v[94:95], v[94:95], v[100:101]
	s_or_b32 s4, vcc_lo, s4
	s_delay_alu instid0(SALU_CYCLE_1)
	s_and_not1_b32 exec_lo, exec_lo, s4
	s_cbranch_execnz .LBB44_867
; %bb.868:
	s_or_b32 exec_lo, exec_lo, s4
.LBB44_869:
	s_delay_alu instid0(SALU_CYCLE_1) | instskip(SKIP_4) | instid1(VALU_DEP_1)
	s_or_b32 exec_lo, exec_lo, s3
	v_mov_b32_e32 v97, 0
	ds_load_b64 v[98:99], v97 offset:344
	s_wait_dscnt 0x0
	v_pk_mul_f32 v[100:101], v[94:95], v[98:99] op_sel:[1,1] op_sel_hi:[0,1]
	v_pk_fma_f32 v[102:103], v[94:95], v[98:99], v[100:101] op_sel_hi:[1,0,1]
	v_pk_fma_f32 v[94:95], v[94:95], v[98:99], v[100:101] neg_lo:[0,0,1] neg_hi:[0,0,1]
	s_delay_alu instid0(VALU_DEP_2)
	v_mov_b32_e32 v95, v103
	scratch_store_b64 off, v[94:95], off offset:344
.LBB44_870:
	s_wait_xcnt 0x0
	s_or_b32 exec_lo, exec_lo, s2
	scratch_load_b64 v[94:95], off, off offset:352
	s_mov_b32 s2, exec_lo
                                        ; implicit-def: $vgpr126
                                        ; implicit-def: $sgpr4
	s_wait_loadcnt 0x0
	ds_store_b64 v1, v[94:95]
	s_wait_storecnt_dscnt 0x0
	s_barrier_signal -1
	s_barrier_wait -1
	s_wait_xcnt 0x0
	v_cmpx_ne_u32_e32 44, v0
	s_cbranch_execz .LBB44_880
; %bb.871:
	v_cmp_ne_u32_e32 vcc_lo, 1, v96
	s_cbranch_vccnz .LBB44_873
; %bb.872:
	scratch_load_b64 v[96:97], v51, off
	ds_load_b64 v[98:99], v1
	s_wait_loadcnt_dscnt 0x0
	v_dual_mul_f32 v51, v99, v97 :: v_dual_mul_f32 v95, v98, v97
	s_delay_alu instid0(VALU_DEP_1) | instskip(NEXT) | instid1(VALU_DEP_2)
	v_fma_f32 v94, v98, v96, -v51
	v_fmac_f32_e32 v95, v99, v96
	s_cbranch_execz .LBB44_874
	s_branch .LBB44_875
.LBB44_873:
                                        ; implicit-def: $vgpr95
.LBB44_874:
	ds_load_b64 v[94:95], v1
.LBB44_875:
	s_and_saveexec_b32 s3, s0
	s_cbranch_execz .LBB44_879
; %bb.876:
	v_add_nc_u32_e32 v1, 0x178, v50
	v_add3_u32 v50, 0, v50, 8
	s_mov_b32 s0, 0
.LBB44_877:                             ; =>This Inner Loop Header: Depth=1
	scratch_load_b64 v[96:97], v50, off
	ds_load_b64 v[98:99], v1
	v_dual_add_nc_u32 v0, 1, v0 :: v_dual_add_nc_u32 v1, 8, v1
	s_delay_alu instid0(VALU_DEP_1) | instskip(SKIP_3) | instid1(VALU_DEP_1)
	v_cmp_lt_u32_e32 vcc_lo, 42, v0
	s_or_b32 s0, vcc_lo, s0
	s_wait_loadcnt_dscnt 0x0
	v_dual_mul_f32 v51, v99, v97 :: v_dual_mul_f32 v97, v98, v97
	v_dual_fma_f32 v51, v98, v96, -v51 :: v_dual_fmac_f32 v97, v99, v96
	s_delay_alu instid0(VALU_DEP_1) | instskip(NEXT) | instid1(VALU_DEP_2)
	v_dual_add_nc_u32 v50, 8, v50 :: v_dual_add_f32 v94, v94, v51
	v_add_f32_e32 v95, v95, v97
	s_and_not1_b32 exec_lo, exec_lo, s0
	s_cbranch_execnz .LBB44_877
; %bb.878:
	s_or_b32 exec_lo, exec_lo, s0
.LBB44_879:
	s_delay_alu instid0(SALU_CYCLE_1)
	s_or_b32 exec_lo, exec_lo, s3
	v_mov_b32_e32 v0, 0
	s_movk_i32 s4, 0x164
	s_or_b32 s1, s1, exec_lo
	ds_load_b64 v[0:1], v0 offset:352
	s_wait_dscnt 0x0
	v_dual_mul_f32 v50, v95, v1 :: v_dual_mul_f32 v126, v94, v1
	s_delay_alu instid0(VALU_DEP_1) | instskip(NEXT) | instid1(VALU_DEP_2)
	v_fma_f32 v1, v94, v0, -v50
	v_fmac_f32_e32 v126, v95, v0
	scratch_store_b32 off, v1, off offset:352
.LBB44_880:
	s_wait_xcnt 0x0
	s_or_b32 exec_lo, exec_lo, s2
.LBB44_881:
	v_lshl_add_u64 v[124:125], v[2:3], 3, s[6:7]
	v_lshl_add_u64 v[122:123], v[4:5], 3, s[6:7]
	;; [unrolled: 1-line block ×43, first 2 shown]
	s_and_saveexec_b32 s0, s1
	s_cbranch_execz .LBB44_883
; %bb.882:
	scratch_store_b32 off, v126, s4
.LBB44_883:
	s_wait_xcnt 0x0
	s_or_b32 exec_lo, exec_lo, s0
	s_clause 0x8
	scratch_load_b128 v[58:61], off, off
	scratch_load_b128 v[62:65], off, off offset:16
	scratch_load_b128 v[66:69], off, off offset:32
	;; [unrolled: 1-line block ×8, first 2 shown]
	s_wait_loadcnt 0x8
	s_clause 0x1
	global_store_b64 v[6:7], v[58:59], off
	global_store_b64 v[12:13], v[60:61], off
	scratch_load_b128 v[58:61], off, off offset:80
	s_wait_loadcnt 0x8
	s_clause 0x1
	global_store_b64 v[124:125], v[62:63], off
	global_store_b64 v[122:123], v[64:65], off
	scratch_load_b128 v[62:65], off, off offset:112
	;; [unrolled: 5-line block ×3, first 2 shown]
	s_wait_loadcnt 0x8
	s_clause 0x1
	global_store_b64 v[116:117], v[70:71], off
	global_store_b64 v[114:115], v[72:73], off
	s_wait_loadcnt 0x7
	s_clause 0x1
	global_store_b64 v[112:113], v[74:75], off
	global_store_b64 v[110:111], v[76:77], off
	s_clause 0x1
	scratch_load_b128 v[70:73], off, off offset:176
	scratch_load_b128 v[74:77], off, off offset:208
	s_wait_loadcnt 0x4
	s_clause 0x3
	global_store_b64 v[108:109], v[58:59], off
	global_store_b64 v[106:107], v[60:61], off
	;; [unrolled: 1-line block ×4, first 2 shown]
	s_wait_loadcnt 0x3
	s_clause 0x3
	global_store_b64 v[100:101], v[62:63], off
	global_store_b64 v[98:99], v[64:65], off
	;; [unrolled: 1-line block ×4, first 2 shown]
	s_clause 0x8
	scratch_load_b128 v[108:111], off, off offset:224
	scratch_load_b128 v[58:61], off, off offset:240
	;; [unrolled: 1-line block ×8, first 2 shown]
	scratch_load_b64 v[6:7], off, off offset:352
	s_wait_loadcnt 0xb
	s_clause 0x3
	global_store_b64 v[0:1], v[66:67], off
	global_store_b64 v[2:3], v[68:69], off
	;; [unrolled: 1-line block ×4, first 2 shown]
	s_wait_loadcnt 0xa
	s_clause 0x3
	global_store_b64 v[10:11], v[70:71], off
	global_store_b64 v[14:15], v[72:73], off
	;; [unrolled: 1-line block ×4, first 2 shown]
	s_wait_loadcnt 0x9
	s_clause 0x1
	global_store_b64 v[20:21], v[74:75], off
	global_store_b64 v[22:23], v[76:77], off
	s_wait_loadcnt 0x8
	s_clause 0x1
	global_store_b64 v[24:25], v[108:109], off
	global_store_b64 v[26:27], v[110:111], off
	;; [unrolled: 4-line block ×9, first 2 shown]
	s_wait_loadcnt 0x0
	global_store_b64 v[56:57], v[6:7], off
.LBB44_884:
	s_sendmsg sendmsg(MSG_DEALLOC_VGPRS)
	s_endpgm
	.section	.rodata,"a",@progbits
	.p2align	6, 0x0
	.amdhsa_kernel _ZN9rocsolver6v33100L18trti2_kernel_smallILi45E19rocblas_complex_numIfEPS3_EEv13rocblas_fill_17rocblas_diagonal_T1_iil
		.amdhsa_group_segment_fixed_size 728
		.amdhsa_private_segment_fixed_size 368
		.amdhsa_kernarg_size 32
		.amdhsa_user_sgpr_count 2
		.amdhsa_user_sgpr_dispatch_ptr 0
		.amdhsa_user_sgpr_queue_ptr 0
		.amdhsa_user_sgpr_kernarg_segment_ptr 1
		.amdhsa_user_sgpr_dispatch_id 0
		.amdhsa_user_sgpr_kernarg_preload_length 0
		.amdhsa_user_sgpr_kernarg_preload_offset 0
		.amdhsa_user_sgpr_private_segment_size 0
		.amdhsa_wavefront_size32 1
		.amdhsa_uses_dynamic_stack 0
		.amdhsa_enable_private_segment 1
		.amdhsa_system_sgpr_workgroup_id_x 1
		.amdhsa_system_sgpr_workgroup_id_y 0
		.amdhsa_system_sgpr_workgroup_id_z 0
		.amdhsa_system_sgpr_workgroup_info 0
		.amdhsa_system_vgpr_workitem_id 0
		.amdhsa_next_free_vgpr 127
		.amdhsa_next_free_sgpr 29
		.amdhsa_named_barrier_count 0
		.amdhsa_reserve_vcc 1
		.amdhsa_float_round_mode_32 0
		.amdhsa_float_round_mode_16_64 0
		.amdhsa_float_denorm_mode_32 3
		.amdhsa_float_denorm_mode_16_64 3
		.amdhsa_fp16_overflow 0
		.amdhsa_memory_ordered 1
		.amdhsa_forward_progress 1
		.amdhsa_inst_pref_size 255
		.amdhsa_round_robin_scheduling 0
		.amdhsa_exception_fp_ieee_invalid_op 0
		.amdhsa_exception_fp_denorm_src 0
		.amdhsa_exception_fp_ieee_div_zero 0
		.amdhsa_exception_fp_ieee_overflow 0
		.amdhsa_exception_fp_ieee_underflow 0
		.amdhsa_exception_fp_ieee_inexact 0
		.amdhsa_exception_int_div_zero 0
	.end_amdhsa_kernel
	.section	.text._ZN9rocsolver6v33100L18trti2_kernel_smallILi45E19rocblas_complex_numIfEPS3_EEv13rocblas_fill_17rocblas_diagonal_T1_iil,"axG",@progbits,_ZN9rocsolver6v33100L18trti2_kernel_smallILi45E19rocblas_complex_numIfEPS3_EEv13rocblas_fill_17rocblas_diagonal_T1_iil,comdat
.Lfunc_end44:
	.size	_ZN9rocsolver6v33100L18trti2_kernel_smallILi45E19rocblas_complex_numIfEPS3_EEv13rocblas_fill_17rocblas_diagonal_T1_iil, .Lfunc_end44-_ZN9rocsolver6v33100L18trti2_kernel_smallILi45E19rocblas_complex_numIfEPS3_EEv13rocblas_fill_17rocblas_diagonal_T1_iil
                                        ; -- End function
	.set _ZN9rocsolver6v33100L18trti2_kernel_smallILi45E19rocblas_complex_numIfEPS3_EEv13rocblas_fill_17rocblas_diagonal_T1_iil.num_vgpr, 127
	.set _ZN9rocsolver6v33100L18trti2_kernel_smallILi45E19rocblas_complex_numIfEPS3_EEv13rocblas_fill_17rocblas_diagonal_T1_iil.num_agpr, 0
	.set _ZN9rocsolver6v33100L18trti2_kernel_smallILi45E19rocblas_complex_numIfEPS3_EEv13rocblas_fill_17rocblas_diagonal_T1_iil.numbered_sgpr, 29
	.set _ZN9rocsolver6v33100L18trti2_kernel_smallILi45E19rocblas_complex_numIfEPS3_EEv13rocblas_fill_17rocblas_diagonal_T1_iil.num_named_barrier, 0
	.set _ZN9rocsolver6v33100L18trti2_kernel_smallILi45E19rocblas_complex_numIfEPS3_EEv13rocblas_fill_17rocblas_diagonal_T1_iil.private_seg_size, 368
	.set _ZN9rocsolver6v33100L18trti2_kernel_smallILi45E19rocblas_complex_numIfEPS3_EEv13rocblas_fill_17rocblas_diagonal_T1_iil.uses_vcc, 1
	.set _ZN9rocsolver6v33100L18trti2_kernel_smallILi45E19rocblas_complex_numIfEPS3_EEv13rocblas_fill_17rocblas_diagonal_T1_iil.uses_flat_scratch, 1
	.set _ZN9rocsolver6v33100L18trti2_kernel_smallILi45E19rocblas_complex_numIfEPS3_EEv13rocblas_fill_17rocblas_diagonal_T1_iil.has_dyn_sized_stack, 0
	.set _ZN9rocsolver6v33100L18trti2_kernel_smallILi45E19rocblas_complex_numIfEPS3_EEv13rocblas_fill_17rocblas_diagonal_T1_iil.has_recursion, 0
	.set _ZN9rocsolver6v33100L18trti2_kernel_smallILi45E19rocblas_complex_numIfEPS3_EEv13rocblas_fill_17rocblas_diagonal_T1_iil.has_indirect_call, 0
	.section	.AMDGPU.csdata,"",@progbits
; Kernel info:
; codeLenInByte = 34044
; TotalNumSgprs: 31
; NumVgprs: 127
; ScratchSize: 368
; MemoryBound: 0
; FloatMode: 240
; IeeeMode: 1
; LDSByteSize: 728 bytes/workgroup (compile time only)
; SGPRBlocks: 0
; VGPRBlocks: 7
; NumSGPRsForWavesPerEU: 31
; NumVGPRsForWavesPerEU: 127
; NamedBarCnt: 0
; Occupancy: 8
; WaveLimiterHint : 0
; COMPUTE_PGM_RSRC2:SCRATCH_EN: 1
; COMPUTE_PGM_RSRC2:USER_SGPR: 2
; COMPUTE_PGM_RSRC2:TRAP_HANDLER: 0
; COMPUTE_PGM_RSRC2:TGID_X_EN: 1
; COMPUTE_PGM_RSRC2:TGID_Y_EN: 0
; COMPUTE_PGM_RSRC2:TGID_Z_EN: 0
; COMPUTE_PGM_RSRC2:TIDIG_COMP_CNT: 0
	.section	.text._ZN9rocsolver6v33100L18trti2_kernel_smallILi46E19rocblas_complex_numIfEPS3_EEv13rocblas_fill_17rocblas_diagonal_T1_iil,"axG",@progbits,_ZN9rocsolver6v33100L18trti2_kernel_smallILi46E19rocblas_complex_numIfEPS3_EEv13rocblas_fill_17rocblas_diagonal_T1_iil,comdat
	.globl	_ZN9rocsolver6v33100L18trti2_kernel_smallILi46E19rocblas_complex_numIfEPS3_EEv13rocblas_fill_17rocblas_diagonal_T1_iil ; -- Begin function _ZN9rocsolver6v33100L18trti2_kernel_smallILi46E19rocblas_complex_numIfEPS3_EEv13rocblas_fill_17rocblas_diagonal_T1_iil
	.p2align	8
	.type	_ZN9rocsolver6v33100L18trti2_kernel_smallILi46E19rocblas_complex_numIfEPS3_EEv13rocblas_fill_17rocblas_diagonal_T1_iil,@function
_ZN9rocsolver6v33100L18trti2_kernel_smallILi46E19rocblas_complex_numIfEPS3_EEv13rocblas_fill_17rocblas_diagonal_T1_iil: ; @_ZN9rocsolver6v33100L18trti2_kernel_smallILi46E19rocblas_complex_numIfEPS3_EEv13rocblas_fill_17rocblas_diagonal_T1_iil
; %bb.0:
	s_mov_b32 s2, exec_lo
	v_cmpx_gt_u32_e32 46, v0
	s_cbranch_execz .LBB45_904
; %bb.1:
	s_load_b256 s[4:11], s[0:1], 0x0
	s_wait_xcnt 0x0
	s_bfe_u32 s0, ttmp6, 0x4000c
	s_and_b32 s1, ttmp6, 15
	s_add_co_i32 s0, s0, 1
	s_getreg_b32 s2, hwreg(HW_REG_IB_STS2, 6, 4)
	s_mul_i32 s0, ttmp9, s0
	v_dual_mov_b32 v39, 0 :: v_dual_lshlrev_b32 v38, 3, v0
	s_add_co_i32 s0, s1, s0
	s_wait_kmcnt 0x0
	v_add3_u32 v6, s9, s9, v0
	s_ashr_i32 s1, s8, 31
	s_cmp_eq_u32 s2, 0
	s_cselect_b32 s2, ttmp9, s0
	s_delay_alu instid0(VALU_DEP_1)
	v_add_nc_u32_e32 v8, s9, v6
	s_ashr_i32 s3, s2, 31
	s_mov_b32 s0, s8
	s_mul_u64 s[2:3], s[10:11], s[2:3]
	s_lshl_b64 s[0:1], s[0:1], 3
	v_add_nc_u32_e32 v10, s9, v8
	s_lshl_b64 s[2:3], s[2:3], 3
	s_delay_alu instid0(SALU_CYCLE_1) | instskip(NEXT) | instid1(SALU_CYCLE_1)
	s_add_nc_u64 s[2:3], s[6:7], s[2:3]
	s_add_nc_u64 s[6:7], s[2:3], s[0:1]
	s_delay_alu instid0(VALU_DEP_1)
	v_add_nc_u32_e32 v12, s9, v10
	v_add_nc_u64_e32 v[2:3], s[6:7], v[38:39]
	s_mov_b32 s0, s9
	s_ashr_i32 s1, s9, 31
	s_cmp_lg_u32 s5, 0x84
	v_add_nc_u32_e32 v14, s9, v12
	s_cselect_b32 s3, -1, 0
	s_delay_alu instid0(VALU_DEP_2) | instskip(SKIP_1) | instid1(VALU_DEP_2)
	v_lshl_add_u64 v[4:5], s[0:1], 3, v[2:3]
	s_mov_b32 s0, -1
	v_add_nc_u32_e32 v16, s9, v14
	s_and_b32 vcc_lo, exec_lo, s3
	s_delay_alu instid0(VALU_DEP_1)
	v_add_nc_u32_e32 v18, s9, v16
	s_clause 0x7
	global_load_b64 v[58:59], v10, s[6:7] scale_offset
	global_load_b64 v[60:61], v12, s[6:7] scale_offset
	;; [unrolled: 1-line block ×3, first 2 shown]
	global_load_b64 v[64:65], v[4:5], off
	global_load_b64 v[66:67], v6, s[6:7] scale_offset
	global_load_b64 v[68:69], v8, s[6:7] scale_offset
	;; [unrolled: 1-line block ×4, first 2 shown]
	v_add_nc_u32_e32 v20, s9, v18
	s_delay_alu instid0(VALU_DEP_1) | instskip(NEXT) | instid1(VALU_DEP_1)
	v_add_nc_u32_e32 v22, s9, v20
	v_add_nc_u32_e32 v24, s9, v22
	s_delay_alu instid0(VALU_DEP_1) | instskip(SKIP_4) | instid1(VALU_DEP_1)
	v_add_nc_u32_e32 v26, s9, v24
	s_clause 0x1
	global_load_b64 v[74:75], v18, s[6:7] scale_offset
	global_load_b64 v[76:77], v20, s[6:7] scale_offset
	v_add_nc_u32_e32 v28, s9, v26
	v_add_nc_u32_e32 v30, s9, v28
	s_clause 0x3
	global_load_b64 v[78:79], v22, s[6:7] scale_offset
	global_load_b64 v[80:81], v24, s[6:7] scale_offset
	global_load_b64 v[82:83], v26, s[6:7] scale_offset
	global_load_b64 v[84:85], v28, s[6:7] scale_offset
	v_add_nc_u32_e32 v32, s9, v30
	s_delay_alu instid0(VALU_DEP_1) | instskip(NEXT) | instid1(VALU_DEP_1)
	v_add_nc_u32_e32 v34, s9, v32
	v_add_nc_u32_e32 v36, s9, v34
	s_delay_alu instid0(VALU_DEP_1) | instskip(SKIP_4) | instid1(VALU_DEP_1)
	v_add_nc_u32_e32 v40, s9, v36
	s_clause 0x1
	global_load_b64 v[86:87], v30, s[6:7] scale_offset
	global_load_b64 v[88:89], v32, s[6:7] scale_offset
	v_add_nc_u32_e32 v42, s9, v40
	v_add_nc_u32_e32 v44, s9, v42
	s_clause 0x3
	global_load_b64 v[90:91], v34, s[6:7] scale_offset
	global_load_b64 v[92:93], v36, s[6:7] scale_offset
	;; [unrolled: 1-line block ×4, first 2 shown]
	v_add_nc_u32_e32 v46, s9, v44
	s_delay_alu instid0(VALU_DEP_1) | instskip(NEXT) | instid1(VALU_DEP_1)
	v_add_nc_u32_e32 v48, s9, v46
	v_add_nc_u32_e32 v50, s9, v48
	s_delay_alu instid0(VALU_DEP_1) | instskip(NEXT) | instid1(VALU_DEP_1)
	v_add_nc_u32_e32 v52, s9, v50
	v_add_nc_u32_e32 v54, s9, v52
	s_delay_alu instid0(VALU_DEP_1)
	v_add_nc_u32_e32 v56, s9, v54
	s_clause 0x3
	global_load_b64 v[98:99], v44, s[6:7] scale_offset
	global_load_b64 v[100:101], v46, s[6:7] scale_offset
	;; [unrolled: 1-line block ×4, first 2 shown]
	s_wait_loadcnt 0x16
	scratch_store_b128 off, v[58:61], off offset:32
	s_wait_xcnt 0x0
	v_add_nc_u32_e32 v58, s9, v56
	s_clause 0x1
	global_load_b64 v[106:107], v52, s[6:7] scale_offset
	global_load_b64 v[108:109], v54, s[6:7] scale_offset
	s_wait_loadcnt 0x16
	scratch_store_b128 off, v[62:65], off
	v_add_nc_u32_e32 v60, s9, v58
	s_wait_xcnt 0x0
	s_delay_alu instid0(VALU_DEP_1) | instskip(NEXT) | instid1(VALU_DEP_1)
	v_add_nc_u32_e32 v62, s9, v60
	v_add_nc_u32_e32 v64, s9, v62
	s_clause 0x1
	global_load_b64 v[110:111], v56, s[6:7] scale_offset
	global_load_b64 v[112:113], v58, s[6:7] scale_offset
	s_wait_loadcnt 0x16
	scratch_store_b128 off, v[66:69], off offset:16
	s_wait_loadcnt 0x14
	scratch_store_b128 off, v[70:73], off offset:48
	;; [unrolled: 2-line block ×3, first 2 shown]
	s_wait_xcnt 0x2
	v_add_nc_u32_e32 v66, s9, v64
	s_delay_alu instid0(VALU_DEP_1)
	v_add_nc_u32_e32 v68, s9, v66
	s_wait_loadcnt 0x10
	scratch_store_b128 off, v[78:81], off offset:80
	s_wait_xcnt 0x2
	v_add_nc_u32_e32 v70, s9, v68
	s_clause 0x1
	global_load_b64 v[114:115], v60, s[6:7] scale_offset
	global_load_b64 v[116:117], v62, s[6:7] scale_offset
	s_wait_loadcnt 0x10
	scratch_store_b128 off, v[82:85], off offset:96
	v_add_nc_u32_e32 v72, s9, v70
	s_wait_xcnt 0x4
	s_delay_alu instid0(VALU_DEP_1) | instskip(NEXT) | instid1(VALU_DEP_1)
	v_add_nc_u32_e32 v74, s9, v72
	v_add_nc_u32_e32 v76, s9, v74
	s_wait_loadcnt 0xe
	scratch_store_b128 off, v[86:89], off offset:112
	s_wait_xcnt 0x4
	v_add_nc_u32_e32 v78, s9, v76
	s_clause 0x1
	global_load_b64 v[118:119], v64, s[6:7] scale_offset
	global_load_b64 v[120:121], v66, s[6:7] scale_offset
	v_add_nc_u32_e32 v80, s9, v78
	s_wait_loadcnt 0xe
	scratch_store_b128 off, v[90:93], off offset:128
	s_wait_loadcnt 0xc
	scratch_store_b128 off, v[94:97], off offset:144
	s_wait_xcnt 0x5
	v_add_nc_u32_e32 v82, s9, v80
	s_clause 0x1
	global_load_b64 v[92:93], v68, s[6:7] scale_offset
	global_load_b64 v[94:95], v70, s[6:7] scale_offset
	v_add_nc_u32_e32 v84, s9, v82
	s_delay_alu instid0(VALU_DEP_1) | instskip(NEXT) | instid1(VALU_DEP_1)
	v_add_nc_u32_e32 v86, s9, v84
	v_add_nc_u32_e32 v88, s9, v86
	s_delay_alu instid0(VALU_DEP_1)
	v_add_nc_u32_e32 v90, s9, v88
	s_wait_loadcnt 0xc
	scratch_store_b128 off, v[98:101], off offset:160
	s_wait_loadcnt 0xa
	scratch_store_b128 off, v[102:105], off offset:176
	s_clause 0x1
	global_load_b64 v[96:97], v72, s[6:7] scale_offset
	global_load_b64 v[98:99], v74, s[6:7] scale_offset
	s_wait_loadcnt 0xa
	scratch_store_b128 off, v[106:109], off offset:192
	s_clause 0x1
	global_load_b64 v[100:101], v76, s[6:7] scale_offset
	global_load_b64 v[102:103], v78, s[6:7] scale_offset
	;; [unrolled: 5-line block ×3, first 2 shown]
	s_wait_loadcnt 0xa
	scratch_store_b128 off, v[114:117], off offset:224
	s_wait_loadcnt 0x8
	scratch_store_b128 off, v[118:121], off offset:240
	;; [unrolled: 2-line block ×3, first 2 shown]
	s_wait_xcnt 0x0
	v_add_nc_u32_e32 v92, s9, v90
	s_wait_loadcnt 0x4
	scratch_store_b128 off, v[96:99], off offset:272
	s_wait_loadcnt 0x2
	scratch_store_b128 off, v[100:103], off offset:288
	v_add_nc_u32_e32 v94, s9, v92
	s_clause 0x3
	global_load_b64 v[96:97], v84, s[6:7] scale_offset
	global_load_b64 v[98:99], v86, s[6:7] scale_offset
	;; [unrolled: 1-line block ×4, first 2 shown]
	s_wait_loadcnt 0x4
	scratch_store_b128 off, v[104:107], off offset:304
	s_clause 0x1
	global_load_b64 v[104:105], v92, s[6:7] scale_offset
	global_load_b64 v[106:107], v94, s[6:7] scale_offset
	s_wait_loadcnt 0x4
	scratch_store_b128 off, v[96:99], off offset:320
	s_wait_loadcnt 0x2
	scratch_store_b128 off, v[100:103], off offset:336
	;; [unrolled: 2-line block ×3, first 2 shown]
	s_cbranch_vccz .LBB45_7
; %bb.2:
	scratch_load_b64 v[96:97], v0, off scale_offset
                                        ; implicit-def: $vgpr101
                                        ; implicit-def: $vgpr98
	s_wait_loadcnt 0x0
	v_cmp_ngt_f32_e64 s0, |v96|, |v97|
	s_wait_xcnt 0x0
	s_and_saveexec_b32 s1, s0
	s_delay_alu instid0(SALU_CYCLE_1)
	s_xor_b32 s0, exec_lo, s1
	s_cbranch_execz .LBB45_4
; %bb.3:
	v_div_scale_f32 v1, null, v97, v97, v96
	v_div_scale_f32 v11, vcc_lo, v96, v97, v96
	s_delay_alu instid0(VALU_DEP_2) | instskip(SKIP_1) | instid1(TRANS32_DEP_1)
	v_rcp_f32_e32 v7, v1
	v_nop
	v_fma_f32 v9, -v1, v7, 1.0
	s_delay_alu instid0(VALU_DEP_1) | instskip(NEXT) | instid1(VALU_DEP_1)
	v_fmac_f32_e32 v7, v9, v7
	v_mul_f32_e32 v9, v11, v7
	s_delay_alu instid0(VALU_DEP_1) | instskip(NEXT) | instid1(VALU_DEP_1)
	v_fma_f32 v13, -v1, v9, v11
	v_fmac_f32_e32 v9, v13, v7
	s_delay_alu instid0(VALU_DEP_1) | instskip(NEXT) | instid1(VALU_DEP_1)
	v_fma_f32 v1, -v1, v9, v11
	v_div_fmas_f32 v1, v1, v7, v9
	s_delay_alu instid0(VALU_DEP_1) | instskip(NEXT) | instid1(VALU_DEP_1)
	v_div_fixup_f32 v1, v1, v97, v96
	v_fmac_f32_e32 v97, v96, v1
	s_delay_alu instid0(VALU_DEP_1) | instskip(NEXT) | instid1(VALU_DEP_1)
	v_div_scale_f32 v7, null, v97, v97, -1.0
	v_rcp_f32_e32 v9, v7
	v_nop
	s_delay_alu instid0(TRANS32_DEP_1) | instskip(NEXT) | instid1(VALU_DEP_1)
	v_fma_f32 v11, -v7, v9, 1.0
	v_fmac_f32_e32 v9, v11, v9
	v_div_scale_f32 v11, vcc_lo, -1.0, v97, -1.0
	s_delay_alu instid0(VALU_DEP_1) | instskip(NEXT) | instid1(VALU_DEP_1)
	v_mul_f32_e32 v13, v11, v9
	v_fma_f32 v15, -v7, v13, v11
	s_delay_alu instid0(VALU_DEP_1) | instskip(NEXT) | instid1(VALU_DEP_1)
	v_fmac_f32_e32 v13, v15, v9
	v_fma_f32 v7, -v7, v13, v11
	s_delay_alu instid0(VALU_DEP_1) | instskip(NEXT) | instid1(VALU_DEP_1)
	v_div_fmas_f32 v7, v7, v9, v13
	v_div_fixup_f32 v101, v7, v97, -1.0
                                        ; implicit-def: $vgpr96_vgpr97
	s_delay_alu instid0(VALU_DEP_1) | instskip(NEXT) | instid1(VALU_DEP_1)
	v_mul_f32_e32 v98, v1, v101
	v_xor_b32_e32 v100, 0x80000000, v98
.LBB45_4:
	s_or_saveexec_b32 s0, s0
	v_lshl_add_u32 v1, v0, 3, 0
	s_xor_b32 exec_lo, exec_lo, s0
	s_cbranch_execz .LBB45_6
; %bb.5:
	v_div_scale_f32 v7, null, v96, v96, v97
	v_div_scale_f32 v13, vcc_lo, v97, v96, v97
	s_delay_alu instid0(VALU_DEP_2) | instskip(SKIP_1) | instid1(TRANS32_DEP_1)
	v_rcp_f32_e32 v9, v7
	v_nop
	v_fma_f32 v11, -v7, v9, 1.0
	s_delay_alu instid0(VALU_DEP_1) | instskip(NEXT) | instid1(VALU_DEP_1)
	v_fmac_f32_e32 v9, v11, v9
	v_mul_f32_e32 v11, v13, v9
	s_delay_alu instid0(VALU_DEP_1) | instskip(NEXT) | instid1(VALU_DEP_1)
	v_fma_f32 v15, -v7, v11, v13
	v_fmac_f32_e32 v11, v15, v9
	s_delay_alu instid0(VALU_DEP_1) | instskip(NEXT) | instid1(VALU_DEP_1)
	v_fma_f32 v7, -v7, v11, v13
	v_div_fmas_f32 v7, v7, v9, v11
	s_delay_alu instid0(VALU_DEP_1) | instskip(NEXT) | instid1(VALU_DEP_1)
	v_div_fixup_f32 v7, v7, v96, v97
	v_fmac_f32_e32 v96, v97, v7
	s_delay_alu instid0(VALU_DEP_1) | instskip(SKIP_1) | instid1(VALU_DEP_2)
	v_div_scale_f32 v9, null, v96, v96, 1.0
	v_div_scale_f32 v15, vcc_lo, 1.0, v96, 1.0
	v_rcp_f32_e32 v11, v9
	v_nop
	s_delay_alu instid0(TRANS32_DEP_1) | instskip(NEXT) | instid1(VALU_DEP_1)
	v_fma_f32 v13, -v9, v11, 1.0
	v_fmac_f32_e32 v11, v13, v11
	s_delay_alu instid0(VALU_DEP_1) | instskip(NEXT) | instid1(VALU_DEP_1)
	v_mul_f32_e32 v13, v15, v11
	v_fma_f32 v17, -v9, v13, v15
	s_delay_alu instid0(VALU_DEP_1) | instskip(NEXT) | instid1(VALU_DEP_1)
	v_fmac_f32_e32 v13, v17, v11
	v_fma_f32 v9, -v9, v13, v15
	s_delay_alu instid0(VALU_DEP_1) | instskip(NEXT) | instid1(VALU_DEP_1)
	v_div_fmas_f32 v9, v9, v11, v13
	v_div_fixup_f32 v100, v9, v96, 1.0
	s_delay_alu instid0(VALU_DEP_1)
	v_xor_b32_e32 v98, 0x80000000, v100
	v_mul_f32_e64 v101, v7, -v100
.LBB45_6:
	s_or_b32 exec_lo, exec_lo, s0
	s_delay_alu instid0(VALU_DEP_1)
	v_xor_b32_e32 v99, 0x80000000, v101
	s_mov_b32 s0, 0
	scratch_store_b64 v1, v[100:101], off
	ds_store_b64 v38, v[98:99]
.LBB45_7:
	s_and_b32 vcc_lo, exec_lo, s0
	s_cbranch_vccz .LBB45_9
; %bb.8:
	s_mov_b64 s[0:1], 0xbf800000
	s_wait_xcnt 0x2
	v_mov_b64_e32 v[96:97], s[0:1]
	ds_store_b64 v38, v[96:97]
.LBB45_9:
	v_dual_ashrrev_i32 v7, 31, v6 :: v_dual_ashrrev_i32 v9, 31, v8
	v_dual_ashrrev_i32 v11, 31, v10 :: v_dual_ashrrev_i32 v13, 31, v12
	;; [unrolled: 1-line block ×22, first 2 shown]
	s_wait_xcnt 0x0
	v_add_nc_u32_e32 v1, 0x170, v38
	v_mov_b32_e32 v39, v38
	s_cmp_eq_u32 s4, 0x79
	s_cbranch_scc1 .LBB45_13
; %bb.10:
	scratch_load_b64 v[96:97], off, off offset:352
	v_cmp_eq_u32_e64 s0, 45, v0
	s_movk_i32 s1, 0x50
	s_movk_i32 s10, 0x60
	;; [unrolled: 1-line block ×17, first 2 shown]
	s_wait_loadcnt 0x0
	ds_store_b64 v1, v[96:97]
	s_wait_storecnt_dscnt 0x0
	s_barrier_signal -1
	s_barrier_wait -1
	s_wait_xcnt 0x0
	s_and_saveexec_b32 s2, s0
	s_cbranch_execz .LBB45_17
; %bb.11:
	s_and_b32 vcc_lo, exec_lo, s3
	s_cbranch_vccz .LBB45_14
; %bb.12:
	scratch_load_b64 v[96:97], v39, off
	ds_load_b64 v[98:99], v1
	s_wait_loadcnt_dscnt 0x0
	v_pk_mul_f32 v[100:101], v[98:99], v[96:97] op_sel:[1,1] op_sel_hi:[0,1]
	v_pk_mul_f32 v[102:103], v[98:99], v[96:97] op_sel_hi:[1,0]
	s_delay_alu instid0(VALU_DEP_2) | instskip(NEXT) | instid1(VALU_DEP_2)
	v_pk_fma_f32 v[96:97], v[98:99], v[96:97], v[100:101] op_sel_hi:[1,0,1]
	v_sub_f32_e32 v96, v102, v100
	s_cbranch_execz .LBB45_15
	s_branch .LBB45_16
.LBB45_13:
	s_mov_b32 s1, 0
                                        ; implicit-def: $vgpr132
                                        ; implicit-def: $sgpr4
	s_cbranch_execnz .LBB45_456
	s_branch .LBB45_901
.LBB45_14:
                                        ; implicit-def: $vgpr97
.LBB45_15:
	ds_load_b64 v[96:97], v1
.LBB45_16:
	s_wait_dscnt 0x0
	v_dual_mov_b32 v98, 0 :: v_dual_mov_b32 v100, v97
	v_mov_b32_e32 v101, v96
	ds_load_b64 v[98:99], v98 offset:352
	s_wait_dscnt 0x0
	v_pk_mul_f32 v[100:101], v[100:101], v[98:99] op_sel:[0,1]
	s_delay_alu instid0(VALU_DEP_1) | instskip(SKIP_1) | instid1(VALU_DEP_2)
	v_pk_fma_f32 v[102:103], v[96:97], v[98:99], v[100:101] op_sel_hi:[1,0,1]
	v_pk_fma_f32 v[96:97], v[96:97], v[98:99], v[100:101] neg_lo:[0,0,1] neg_hi:[0,0,1]
	v_mov_b32_e32 v97, v103
	scratch_store_b64 off, v[96:97], off offset:352
.LBB45_17:
	s_wait_xcnt 0x0
	s_or_b32 exec_lo, exec_lo, s2
	scratch_load_b64 v[96:97], off, off offset:344
	s_mov_b32 s9, s1
	v_cmp_lt_u32_e64 s1, 43, v0
	s_mov_b32 s4, 16
	s_mov_b32 s5, 32
	;; [unrolled: 1-line block ×4, first 2 shown]
	s_wait_loadcnt 0x0
	ds_store_b64 v1, v[96:97]
	s_wait_storecnt_dscnt 0x0
	s_barrier_signal -1
	s_barrier_wait -1
	s_wait_xcnt 0x0
	s_and_saveexec_b32 s26, s1
	s_cbranch_execz .LBB45_25
; %bb.18:
	s_and_not1_b32 vcc_lo, exec_lo, s3
	s_cbranch_vccnz .LBB45_20
; %bb.19:
	scratch_load_b64 v[96:97], v39, off
	ds_load_b64 v[98:99], v1
	s_wait_loadcnt_dscnt 0x0
	v_pk_mul_f32 v[100:101], v[98:99], v[96:97] op_sel:[1,1] op_sel_hi:[0,1]
	s_delay_alu instid0(VALU_DEP_1) | instskip(SKIP_1) | instid1(VALU_DEP_2)
	v_pk_fma_f32 v[102:103], v[98:99], v[96:97], v[100:101] op_sel_hi:[1,0,1]
	v_pk_fma_f32 v[96:97], v[98:99], v[96:97], v[100:101] neg_lo:[0,0,1] neg_hi:[0,0,1]
	v_mov_b32_e32 v97, v103
	s_cbranch_execz .LBB45_21
	s_branch .LBB45_22
.LBB45_20:
                                        ; implicit-def: $vgpr96_vgpr97
.LBB45_21:
	ds_load_b64 v[96:97], v1
.LBB45_22:
	s_and_saveexec_b32 s27, s0
	s_cbranch_execz .LBB45_24
; %bb.23:
	scratch_load_b64 v[98:99], off, off offset:352
	v_mov_b32_e32 v100, 0
	ds_load_b64 v[100:101], v100 offset:720
	s_wait_loadcnt_dscnt 0x0
	v_pk_mul_f32 v[102:103], v[100:101], v[98:99] op_sel:[1,1] op_sel_hi:[0,1]
	s_delay_alu instid0(VALU_DEP_1) | instskip(SKIP_1) | instid1(VALU_DEP_2)
	v_pk_fma_f32 v[104:105], v[100:101], v[98:99], v[102:103] op_sel_hi:[1,0,1]
	v_pk_fma_f32 v[98:99], v[100:101], v[98:99], v[102:103] neg_lo:[0,0,1] neg_hi:[0,0,1]
	v_mov_b32_e32 v99, v105
	s_delay_alu instid0(VALU_DEP_1)
	v_pk_add_f32 v[96:97], v[96:97], v[98:99]
.LBB45_24:
	s_or_b32 exec_lo, exec_lo, s27
	v_mov_b32_e32 v98, 0
	ds_load_b64 v[98:99], v98 offset:344
	s_wait_dscnt 0x0
	v_pk_mul_f32 v[100:101], v[96:97], v[98:99] op_sel:[1,1] op_sel_hi:[0,1]
	s_delay_alu instid0(VALU_DEP_1) | instskip(SKIP_1) | instid1(VALU_DEP_2)
	v_pk_fma_f32 v[102:103], v[96:97], v[98:99], v[100:101] op_sel_hi:[1,0,1]
	v_pk_fma_f32 v[96:97], v[96:97], v[98:99], v[100:101] neg_lo:[0,0,1] neg_hi:[0,0,1]
	v_mov_b32_e32 v97, v103
	scratch_store_b64 off, v[96:97], off offset:344
.LBB45_25:
	s_wait_xcnt 0x0
	s_or_b32 exec_lo, exec_lo, s26
	scratch_load_b64 v[96:97], off, off offset:336
	v_cmp_lt_u32_e64 s0, 42, v0
	s_wait_loadcnt 0x0
	ds_store_b64 v1, v[96:97]
	s_wait_storecnt_dscnt 0x0
	s_barrier_signal -1
	s_barrier_wait -1
	s_wait_xcnt 0x0
	s_and_saveexec_b32 s26, s0
	s_cbranch_execz .LBB45_35
; %bb.26:
	s_and_not1_b32 vcc_lo, exec_lo, s3
	s_cbranch_vccnz .LBB45_28
; %bb.27:
	scratch_load_b64 v[96:97], v39, off
	ds_load_b64 v[98:99], v1
	s_wait_loadcnt_dscnt 0x0
	v_pk_mul_f32 v[100:101], v[98:99], v[96:97] op_sel:[1,1] op_sel_hi:[0,1]
	s_delay_alu instid0(VALU_DEP_1) | instskip(SKIP_1) | instid1(VALU_DEP_2)
	v_pk_fma_f32 v[102:103], v[98:99], v[96:97], v[100:101] op_sel_hi:[1,0,1]
	v_pk_fma_f32 v[96:97], v[98:99], v[96:97], v[100:101] neg_lo:[0,0,1] neg_hi:[0,0,1]
	v_mov_b32_e32 v97, v103
	s_cbranch_execz .LBB45_29
	s_branch .LBB45_30
.LBB45_28:
                                        ; implicit-def: $vgpr96_vgpr97
.LBB45_29:
	ds_load_b64 v[96:97], v1
.LBB45_30:
	s_and_saveexec_b32 s27, s1
	s_cbranch_execz .LBB45_34
; %bb.31:
	v_subrev_nc_u32_e32 v98, 43, v0
	s_movk_i32 s1, 0x158
	s_movk_i32 s29, 0x2c8
	s_mov_b32 s28, 0
.LBB45_32:                              ; =>This Inner Loop Header: Depth=1
	scratch_load_b64 v[100:101], off, s1
	v_dual_mov_b32 v99, s29 :: v_dual_add_nc_u32 v98, -1, v98
	s_add_co_i32 s29, s29, 8
	s_wait_xcnt 0x0
	s_add_co_i32 s1, s1, 8
	ds_load_b64 v[102:103], v99
	v_cmp_eq_u32_e32 vcc_lo, 0, v98
	s_or_b32 s28, vcc_lo, s28
	s_wait_loadcnt_dscnt 0x0
	v_pk_mul_f32 v[104:105], v[102:103], v[100:101] op_sel:[1,1] op_sel_hi:[0,1]
	s_delay_alu instid0(VALU_DEP_1) | instskip(SKIP_1) | instid1(VALU_DEP_2)
	v_pk_fma_f32 v[106:107], v[102:103], v[100:101], v[104:105] op_sel_hi:[1,0,1]
	v_pk_fma_f32 v[100:101], v[102:103], v[100:101], v[104:105] neg_lo:[0,0,1] neg_hi:[0,0,1]
	v_mov_b32_e32 v101, v107
	s_delay_alu instid0(VALU_DEP_1)
	v_pk_add_f32 v[96:97], v[96:97], v[100:101]
	s_and_not1_b32 exec_lo, exec_lo, s28
	s_cbranch_execnz .LBB45_32
; %bb.33:
	s_or_b32 exec_lo, exec_lo, s28
.LBB45_34:
	s_delay_alu instid0(SALU_CYCLE_1) | instskip(SKIP_4) | instid1(VALU_DEP_1)
	s_or_b32 exec_lo, exec_lo, s27
	v_mov_b32_e32 v98, 0
	ds_load_b64 v[98:99], v98 offset:336
	s_wait_dscnt 0x0
	v_pk_mul_f32 v[100:101], v[96:97], v[98:99] op_sel:[1,1] op_sel_hi:[0,1]
	v_pk_fma_f32 v[102:103], v[96:97], v[98:99], v[100:101] op_sel_hi:[1,0,1]
	v_pk_fma_f32 v[96:97], v[96:97], v[98:99], v[100:101] neg_lo:[0,0,1] neg_hi:[0,0,1]
	s_delay_alu instid0(VALU_DEP_2)
	v_mov_b32_e32 v97, v103
	scratch_store_b64 off, v[96:97], off offset:336
.LBB45_35:
	s_wait_xcnt 0x0
	s_or_b32 exec_lo, exec_lo, s26
	scratch_load_b64 v[96:97], off, off offset:328
	v_cmp_lt_u32_e64 s1, 41, v0
	s_wait_loadcnt 0x0
	ds_store_b64 v1, v[96:97]
	s_wait_storecnt_dscnt 0x0
	s_barrier_signal -1
	s_barrier_wait -1
	s_wait_xcnt 0x0
	s_and_saveexec_b32 s26, s1
	s_cbranch_execz .LBB45_45
; %bb.36:
	s_and_not1_b32 vcc_lo, exec_lo, s3
	s_cbranch_vccnz .LBB45_38
; %bb.37:
	scratch_load_b64 v[96:97], v39, off
	ds_load_b64 v[98:99], v1
	s_wait_loadcnt_dscnt 0x0
	v_pk_mul_f32 v[100:101], v[98:99], v[96:97] op_sel:[1,1] op_sel_hi:[0,1]
	s_delay_alu instid0(VALU_DEP_1) | instskip(SKIP_1) | instid1(VALU_DEP_2)
	v_pk_fma_f32 v[102:103], v[98:99], v[96:97], v[100:101] op_sel_hi:[1,0,1]
	v_pk_fma_f32 v[96:97], v[98:99], v[96:97], v[100:101] neg_lo:[0,0,1] neg_hi:[0,0,1]
	v_mov_b32_e32 v97, v103
	s_cbranch_execz .LBB45_39
	s_branch .LBB45_40
.LBB45_38:
                                        ; implicit-def: $vgpr96_vgpr97
.LBB45_39:
	ds_load_b64 v[96:97], v1
.LBB45_40:
	s_and_saveexec_b32 s27, s0
	s_cbranch_execz .LBB45_44
; %bb.41:
	v_subrev_nc_u32_e32 v98, 42, v0
	s_movk_i32 s28, 0x2c0
	s_mov_b32 s0, 0
.LBB45_42:                              ; =>This Inner Loop Header: Depth=1
	scratch_load_b64 v[100:101], off, s25
	v_dual_mov_b32 v99, s28 :: v_dual_add_nc_u32 v98, -1, v98
	s_add_co_i32 s28, s28, 8
	s_wait_xcnt 0x0
	s_add_co_i32 s25, s25, 8
	ds_load_b64 v[102:103], v99
	v_cmp_eq_u32_e32 vcc_lo, 0, v98
	s_or_b32 s0, vcc_lo, s0
	s_wait_loadcnt_dscnt 0x0
	v_pk_mul_f32 v[104:105], v[102:103], v[100:101] op_sel:[1,1] op_sel_hi:[0,1]
	s_delay_alu instid0(VALU_DEP_1) | instskip(SKIP_1) | instid1(VALU_DEP_2)
	v_pk_fma_f32 v[106:107], v[102:103], v[100:101], v[104:105] op_sel_hi:[1,0,1]
	v_pk_fma_f32 v[100:101], v[102:103], v[100:101], v[104:105] neg_lo:[0,0,1] neg_hi:[0,0,1]
	v_mov_b32_e32 v101, v107
	s_delay_alu instid0(VALU_DEP_1)
	v_pk_add_f32 v[96:97], v[96:97], v[100:101]
	s_and_not1_b32 exec_lo, exec_lo, s0
	s_cbranch_execnz .LBB45_42
; %bb.43:
	s_or_b32 exec_lo, exec_lo, s0
.LBB45_44:
	s_delay_alu instid0(SALU_CYCLE_1) | instskip(SKIP_4) | instid1(VALU_DEP_1)
	s_or_b32 exec_lo, exec_lo, s27
	v_mov_b32_e32 v98, 0
	ds_load_b64 v[98:99], v98 offset:328
	s_wait_dscnt 0x0
	v_pk_mul_f32 v[100:101], v[96:97], v[98:99] op_sel:[1,1] op_sel_hi:[0,1]
	v_pk_fma_f32 v[102:103], v[96:97], v[98:99], v[100:101] op_sel_hi:[1,0,1]
	v_pk_fma_f32 v[96:97], v[96:97], v[98:99], v[100:101] neg_lo:[0,0,1] neg_hi:[0,0,1]
	s_delay_alu instid0(VALU_DEP_2)
	v_mov_b32_e32 v97, v103
	scratch_store_b64 off, v[96:97], off offset:328
.LBB45_45:
	s_wait_xcnt 0x0
	s_or_b32 exec_lo, exec_lo, s26
	scratch_load_b64 v[96:97], off, off offset:320
	v_cmp_lt_u32_e64 s0, 40, v0
	s_wait_loadcnt 0x0
	ds_store_b64 v1, v[96:97]
	s_wait_storecnt_dscnt 0x0
	s_barrier_signal -1
	s_barrier_wait -1
	s_wait_xcnt 0x0
	s_and_saveexec_b32 s25, s0
	s_cbranch_execz .LBB45_55
; %bb.46:
	s_and_not1_b32 vcc_lo, exec_lo, s3
	s_cbranch_vccnz .LBB45_48
; %bb.47:
	scratch_load_b64 v[96:97], v39, off
	ds_load_b64 v[98:99], v1
	s_wait_loadcnt_dscnt 0x0
	v_pk_mul_f32 v[100:101], v[98:99], v[96:97] op_sel:[1,1] op_sel_hi:[0,1]
	s_delay_alu instid0(VALU_DEP_1) | instskip(SKIP_1) | instid1(VALU_DEP_2)
	v_pk_fma_f32 v[102:103], v[98:99], v[96:97], v[100:101] op_sel_hi:[1,0,1]
	v_pk_fma_f32 v[96:97], v[98:99], v[96:97], v[100:101] neg_lo:[0,0,1] neg_hi:[0,0,1]
	v_mov_b32_e32 v97, v103
	s_cbranch_execz .LBB45_49
	s_branch .LBB45_50
.LBB45_48:
                                        ; implicit-def: $vgpr96_vgpr97
.LBB45_49:
	ds_load_b64 v[96:97], v1
.LBB45_50:
	s_and_saveexec_b32 s26, s1
	s_cbranch_execz .LBB45_54
; %bb.51:
	v_subrev_nc_u32_e32 v98, 41, v0
	s_movk_i32 s1, 0x148
	s_movk_i32 s28, 0x2b8
	s_mov_b32 s27, 0
.LBB45_52:                              ; =>This Inner Loop Header: Depth=1
	scratch_load_b64 v[100:101], off, s1
	v_dual_mov_b32 v99, s28 :: v_dual_add_nc_u32 v98, -1, v98
	s_add_co_i32 s28, s28, 8
	s_wait_xcnt 0x0
	s_add_co_i32 s1, s1, 8
	ds_load_b64 v[102:103], v99
	v_cmp_eq_u32_e32 vcc_lo, 0, v98
	s_or_b32 s27, vcc_lo, s27
	s_wait_loadcnt_dscnt 0x0
	v_pk_mul_f32 v[104:105], v[102:103], v[100:101] op_sel:[1,1] op_sel_hi:[0,1]
	s_delay_alu instid0(VALU_DEP_1) | instskip(SKIP_1) | instid1(VALU_DEP_2)
	v_pk_fma_f32 v[106:107], v[102:103], v[100:101], v[104:105] op_sel_hi:[1,0,1]
	v_pk_fma_f32 v[100:101], v[102:103], v[100:101], v[104:105] neg_lo:[0,0,1] neg_hi:[0,0,1]
	v_mov_b32_e32 v101, v107
	s_delay_alu instid0(VALU_DEP_1)
	v_pk_add_f32 v[96:97], v[96:97], v[100:101]
	s_and_not1_b32 exec_lo, exec_lo, s27
	s_cbranch_execnz .LBB45_52
; %bb.53:
	s_or_b32 exec_lo, exec_lo, s27
.LBB45_54:
	s_delay_alu instid0(SALU_CYCLE_1) | instskip(SKIP_4) | instid1(VALU_DEP_1)
	s_or_b32 exec_lo, exec_lo, s26
	v_mov_b32_e32 v98, 0
	ds_load_b64 v[98:99], v98 offset:320
	s_wait_dscnt 0x0
	v_pk_mul_f32 v[100:101], v[96:97], v[98:99] op_sel:[1,1] op_sel_hi:[0,1]
	v_pk_fma_f32 v[102:103], v[96:97], v[98:99], v[100:101] op_sel_hi:[1,0,1]
	v_pk_fma_f32 v[96:97], v[96:97], v[98:99], v[100:101] neg_lo:[0,0,1] neg_hi:[0,0,1]
	s_delay_alu instid0(VALU_DEP_2)
	v_mov_b32_e32 v97, v103
	scratch_store_b64 off, v[96:97], off offset:320
.LBB45_55:
	s_wait_xcnt 0x0
	s_or_b32 exec_lo, exec_lo, s25
	scratch_load_b64 v[96:97], off, off offset:312
	v_cmp_lt_u32_e64 s1, 39, v0
	s_wait_loadcnt 0x0
	ds_store_b64 v1, v[96:97]
	s_wait_storecnt_dscnt 0x0
	s_barrier_signal -1
	s_barrier_wait -1
	s_wait_xcnt 0x0
	s_and_saveexec_b32 s25, s1
	s_cbranch_execz .LBB45_65
; %bb.56:
	s_and_not1_b32 vcc_lo, exec_lo, s3
	s_cbranch_vccnz .LBB45_58
; %bb.57:
	scratch_load_b64 v[96:97], v39, off
	ds_load_b64 v[98:99], v1
	s_wait_loadcnt_dscnt 0x0
	v_pk_mul_f32 v[100:101], v[98:99], v[96:97] op_sel:[1,1] op_sel_hi:[0,1]
	s_delay_alu instid0(VALU_DEP_1) | instskip(SKIP_1) | instid1(VALU_DEP_2)
	v_pk_fma_f32 v[102:103], v[98:99], v[96:97], v[100:101] op_sel_hi:[1,0,1]
	v_pk_fma_f32 v[96:97], v[98:99], v[96:97], v[100:101] neg_lo:[0,0,1] neg_hi:[0,0,1]
	v_mov_b32_e32 v97, v103
	s_cbranch_execz .LBB45_59
	s_branch .LBB45_60
.LBB45_58:
                                        ; implicit-def: $vgpr96_vgpr97
.LBB45_59:
	ds_load_b64 v[96:97], v1
.LBB45_60:
	s_and_saveexec_b32 s26, s0
	s_cbranch_execz .LBB45_64
; %bb.61:
	v_subrev_nc_u32_e32 v98, 40, v0
	s_movk_i32 s27, 0x2b0
	s_mov_b32 s0, 0
.LBB45_62:                              ; =>This Inner Loop Header: Depth=1
	scratch_load_b64 v[100:101], off, s24
	v_dual_mov_b32 v99, s27 :: v_dual_add_nc_u32 v98, -1, v98
	s_add_co_i32 s27, s27, 8
	s_wait_xcnt 0x0
	s_add_co_i32 s24, s24, 8
	ds_load_b64 v[102:103], v99
	v_cmp_eq_u32_e32 vcc_lo, 0, v98
	s_or_b32 s0, vcc_lo, s0
	s_wait_loadcnt_dscnt 0x0
	v_pk_mul_f32 v[104:105], v[102:103], v[100:101] op_sel:[1,1] op_sel_hi:[0,1]
	s_delay_alu instid0(VALU_DEP_1) | instskip(SKIP_1) | instid1(VALU_DEP_2)
	v_pk_fma_f32 v[106:107], v[102:103], v[100:101], v[104:105] op_sel_hi:[1,0,1]
	v_pk_fma_f32 v[100:101], v[102:103], v[100:101], v[104:105] neg_lo:[0,0,1] neg_hi:[0,0,1]
	v_mov_b32_e32 v101, v107
	s_delay_alu instid0(VALU_DEP_1)
	v_pk_add_f32 v[96:97], v[96:97], v[100:101]
	s_and_not1_b32 exec_lo, exec_lo, s0
	s_cbranch_execnz .LBB45_62
; %bb.63:
	s_or_b32 exec_lo, exec_lo, s0
.LBB45_64:
	s_delay_alu instid0(SALU_CYCLE_1) | instskip(SKIP_4) | instid1(VALU_DEP_1)
	s_or_b32 exec_lo, exec_lo, s26
	v_mov_b32_e32 v98, 0
	ds_load_b64 v[98:99], v98 offset:312
	s_wait_dscnt 0x0
	v_pk_mul_f32 v[100:101], v[96:97], v[98:99] op_sel:[1,1] op_sel_hi:[0,1]
	v_pk_fma_f32 v[102:103], v[96:97], v[98:99], v[100:101] op_sel_hi:[1,0,1]
	v_pk_fma_f32 v[96:97], v[96:97], v[98:99], v[100:101] neg_lo:[0,0,1] neg_hi:[0,0,1]
	s_delay_alu instid0(VALU_DEP_2)
	v_mov_b32_e32 v97, v103
	scratch_store_b64 off, v[96:97], off offset:312
.LBB45_65:
	s_wait_xcnt 0x0
	s_or_b32 exec_lo, exec_lo, s25
	scratch_load_b64 v[96:97], off, off offset:304
	v_cmp_lt_u32_e64 s0, 38, v0
	s_wait_loadcnt 0x0
	ds_store_b64 v1, v[96:97]
	s_wait_storecnt_dscnt 0x0
	s_barrier_signal -1
	s_barrier_wait -1
	s_wait_xcnt 0x0
	s_and_saveexec_b32 s24, s0
	s_cbranch_execz .LBB45_75
; %bb.66:
	s_and_not1_b32 vcc_lo, exec_lo, s3
	s_cbranch_vccnz .LBB45_68
; %bb.67:
	scratch_load_b64 v[96:97], v39, off
	ds_load_b64 v[98:99], v1
	s_wait_loadcnt_dscnt 0x0
	v_pk_mul_f32 v[100:101], v[98:99], v[96:97] op_sel:[1,1] op_sel_hi:[0,1]
	s_delay_alu instid0(VALU_DEP_1) | instskip(SKIP_1) | instid1(VALU_DEP_2)
	v_pk_fma_f32 v[102:103], v[98:99], v[96:97], v[100:101] op_sel_hi:[1,0,1]
	v_pk_fma_f32 v[96:97], v[98:99], v[96:97], v[100:101] neg_lo:[0,0,1] neg_hi:[0,0,1]
	v_mov_b32_e32 v97, v103
	s_cbranch_execz .LBB45_69
	s_branch .LBB45_70
.LBB45_68:
                                        ; implicit-def: $vgpr96_vgpr97
.LBB45_69:
	ds_load_b64 v[96:97], v1
.LBB45_70:
	s_and_saveexec_b32 s25, s1
	s_cbranch_execz .LBB45_74
; %bb.71:
	v_subrev_nc_u32_e32 v98, 39, v0
	s_movk_i32 s1, 0x138
	s_movk_i32 s27, 0x2a8
	s_mov_b32 s26, 0
.LBB45_72:                              ; =>This Inner Loop Header: Depth=1
	scratch_load_b64 v[100:101], off, s1
	v_dual_mov_b32 v99, s27 :: v_dual_add_nc_u32 v98, -1, v98
	s_add_co_i32 s27, s27, 8
	s_wait_xcnt 0x0
	s_add_co_i32 s1, s1, 8
	ds_load_b64 v[102:103], v99
	v_cmp_eq_u32_e32 vcc_lo, 0, v98
	s_or_b32 s26, vcc_lo, s26
	s_wait_loadcnt_dscnt 0x0
	v_pk_mul_f32 v[104:105], v[102:103], v[100:101] op_sel:[1,1] op_sel_hi:[0,1]
	s_delay_alu instid0(VALU_DEP_1) | instskip(SKIP_1) | instid1(VALU_DEP_2)
	v_pk_fma_f32 v[106:107], v[102:103], v[100:101], v[104:105] op_sel_hi:[1,0,1]
	v_pk_fma_f32 v[100:101], v[102:103], v[100:101], v[104:105] neg_lo:[0,0,1] neg_hi:[0,0,1]
	v_mov_b32_e32 v101, v107
	s_delay_alu instid0(VALU_DEP_1)
	v_pk_add_f32 v[96:97], v[96:97], v[100:101]
	s_and_not1_b32 exec_lo, exec_lo, s26
	s_cbranch_execnz .LBB45_72
; %bb.73:
	s_or_b32 exec_lo, exec_lo, s26
.LBB45_74:
	s_delay_alu instid0(SALU_CYCLE_1) | instskip(SKIP_4) | instid1(VALU_DEP_1)
	s_or_b32 exec_lo, exec_lo, s25
	v_mov_b32_e32 v98, 0
	ds_load_b64 v[98:99], v98 offset:304
	s_wait_dscnt 0x0
	v_pk_mul_f32 v[100:101], v[96:97], v[98:99] op_sel:[1,1] op_sel_hi:[0,1]
	v_pk_fma_f32 v[102:103], v[96:97], v[98:99], v[100:101] op_sel_hi:[1,0,1]
	v_pk_fma_f32 v[96:97], v[96:97], v[98:99], v[100:101] neg_lo:[0,0,1] neg_hi:[0,0,1]
	s_delay_alu instid0(VALU_DEP_2)
	v_mov_b32_e32 v97, v103
	scratch_store_b64 off, v[96:97], off offset:304
.LBB45_75:
	s_wait_xcnt 0x0
	s_or_b32 exec_lo, exec_lo, s24
	scratch_load_b64 v[96:97], off, off offset:296
	v_cmp_lt_u32_e64 s1, 37, v0
	s_wait_loadcnt 0x0
	ds_store_b64 v1, v[96:97]
	s_wait_storecnt_dscnt 0x0
	s_barrier_signal -1
	s_barrier_wait -1
	s_wait_xcnt 0x0
	s_and_saveexec_b32 s24, s1
	s_cbranch_execz .LBB45_85
; %bb.76:
	s_and_not1_b32 vcc_lo, exec_lo, s3
	s_cbranch_vccnz .LBB45_78
; %bb.77:
	scratch_load_b64 v[96:97], v39, off
	ds_load_b64 v[98:99], v1
	s_wait_loadcnt_dscnt 0x0
	v_pk_mul_f32 v[100:101], v[98:99], v[96:97] op_sel:[1,1] op_sel_hi:[0,1]
	s_delay_alu instid0(VALU_DEP_1) | instskip(SKIP_1) | instid1(VALU_DEP_2)
	v_pk_fma_f32 v[102:103], v[98:99], v[96:97], v[100:101] op_sel_hi:[1,0,1]
	v_pk_fma_f32 v[96:97], v[98:99], v[96:97], v[100:101] neg_lo:[0,0,1] neg_hi:[0,0,1]
	v_mov_b32_e32 v97, v103
	s_cbranch_execz .LBB45_79
	s_branch .LBB45_80
.LBB45_78:
                                        ; implicit-def: $vgpr96_vgpr97
.LBB45_79:
	ds_load_b64 v[96:97], v1
.LBB45_80:
	s_and_saveexec_b32 s25, s0
	s_cbranch_execz .LBB45_84
; %bb.81:
	v_subrev_nc_u32_e32 v98, 38, v0
	s_movk_i32 s26, 0x2a0
	s_mov_b32 s0, 0
.LBB45_82:                              ; =>This Inner Loop Header: Depth=1
	scratch_load_b64 v[100:101], off, s23
	v_dual_mov_b32 v99, s26 :: v_dual_add_nc_u32 v98, -1, v98
	s_add_co_i32 s26, s26, 8
	s_wait_xcnt 0x0
	s_add_co_i32 s23, s23, 8
	ds_load_b64 v[102:103], v99
	v_cmp_eq_u32_e32 vcc_lo, 0, v98
	s_or_b32 s0, vcc_lo, s0
	s_wait_loadcnt_dscnt 0x0
	v_pk_mul_f32 v[104:105], v[102:103], v[100:101] op_sel:[1,1] op_sel_hi:[0,1]
	s_delay_alu instid0(VALU_DEP_1) | instskip(SKIP_1) | instid1(VALU_DEP_2)
	v_pk_fma_f32 v[106:107], v[102:103], v[100:101], v[104:105] op_sel_hi:[1,0,1]
	v_pk_fma_f32 v[100:101], v[102:103], v[100:101], v[104:105] neg_lo:[0,0,1] neg_hi:[0,0,1]
	v_mov_b32_e32 v101, v107
	s_delay_alu instid0(VALU_DEP_1)
	v_pk_add_f32 v[96:97], v[96:97], v[100:101]
	s_and_not1_b32 exec_lo, exec_lo, s0
	s_cbranch_execnz .LBB45_82
; %bb.83:
	s_or_b32 exec_lo, exec_lo, s0
.LBB45_84:
	s_delay_alu instid0(SALU_CYCLE_1) | instskip(SKIP_4) | instid1(VALU_DEP_1)
	s_or_b32 exec_lo, exec_lo, s25
	v_mov_b32_e32 v98, 0
	ds_load_b64 v[98:99], v98 offset:296
	s_wait_dscnt 0x0
	v_pk_mul_f32 v[100:101], v[96:97], v[98:99] op_sel:[1,1] op_sel_hi:[0,1]
	v_pk_fma_f32 v[102:103], v[96:97], v[98:99], v[100:101] op_sel_hi:[1,0,1]
	v_pk_fma_f32 v[96:97], v[96:97], v[98:99], v[100:101] neg_lo:[0,0,1] neg_hi:[0,0,1]
	s_delay_alu instid0(VALU_DEP_2)
	v_mov_b32_e32 v97, v103
	scratch_store_b64 off, v[96:97], off offset:296
.LBB45_85:
	s_wait_xcnt 0x0
	s_or_b32 exec_lo, exec_lo, s24
	scratch_load_b64 v[96:97], off, off offset:288
	v_cmp_lt_u32_e64 s0, 36, v0
	s_wait_loadcnt 0x0
	ds_store_b64 v1, v[96:97]
	s_wait_storecnt_dscnt 0x0
	s_barrier_signal -1
	s_barrier_wait -1
	s_wait_xcnt 0x0
	s_and_saveexec_b32 s23, s0
	s_cbranch_execz .LBB45_95
; %bb.86:
	s_and_not1_b32 vcc_lo, exec_lo, s3
	s_cbranch_vccnz .LBB45_88
; %bb.87:
	scratch_load_b64 v[96:97], v39, off
	ds_load_b64 v[98:99], v1
	s_wait_loadcnt_dscnt 0x0
	v_pk_mul_f32 v[100:101], v[98:99], v[96:97] op_sel:[1,1] op_sel_hi:[0,1]
	s_delay_alu instid0(VALU_DEP_1) | instskip(SKIP_1) | instid1(VALU_DEP_2)
	v_pk_fma_f32 v[102:103], v[98:99], v[96:97], v[100:101] op_sel_hi:[1,0,1]
	v_pk_fma_f32 v[96:97], v[98:99], v[96:97], v[100:101] neg_lo:[0,0,1] neg_hi:[0,0,1]
	v_mov_b32_e32 v97, v103
	s_cbranch_execz .LBB45_89
	s_branch .LBB45_90
.LBB45_88:
                                        ; implicit-def: $vgpr96_vgpr97
.LBB45_89:
	ds_load_b64 v[96:97], v1
.LBB45_90:
	s_and_saveexec_b32 s24, s1
	s_cbranch_execz .LBB45_94
; %bb.91:
	v_subrev_nc_u32_e32 v98, 37, v0
	s_movk_i32 s1, 0x128
	s_movk_i32 s26, 0x298
	s_mov_b32 s25, 0
.LBB45_92:                              ; =>This Inner Loop Header: Depth=1
	scratch_load_b64 v[100:101], off, s1
	v_dual_mov_b32 v99, s26 :: v_dual_add_nc_u32 v98, -1, v98
	s_add_co_i32 s26, s26, 8
	s_wait_xcnt 0x0
	s_add_co_i32 s1, s1, 8
	ds_load_b64 v[102:103], v99
	v_cmp_eq_u32_e32 vcc_lo, 0, v98
	s_or_b32 s25, vcc_lo, s25
	s_wait_loadcnt_dscnt 0x0
	v_pk_mul_f32 v[104:105], v[102:103], v[100:101] op_sel:[1,1] op_sel_hi:[0,1]
	s_delay_alu instid0(VALU_DEP_1) | instskip(SKIP_1) | instid1(VALU_DEP_2)
	v_pk_fma_f32 v[106:107], v[102:103], v[100:101], v[104:105] op_sel_hi:[1,0,1]
	v_pk_fma_f32 v[100:101], v[102:103], v[100:101], v[104:105] neg_lo:[0,0,1] neg_hi:[0,0,1]
	v_mov_b32_e32 v101, v107
	s_delay_alu instid0(VALU_DEP_1)
	v_pk_add_f32 v[96:97], v[96:97], v[100:101]
	s_and_not1_b32 exec_lo, exec_lo, s25
	s_cbranch_execnz .LBB45_92
; %bb.93:
	s_or_b32 exec_lo, exec_lo, s25
.LBB45_94:
	s_delay_alu instid0(SALU_CYCLE_1) | instskip(SKIP_4) | instid1(VALU_DEP_1)
	s_or_b32 exec_lo, exec_lo, s24
	v_mov_b32_e32 v98, 0
	ds_load_b64 v[98:99], v98 offset:288
	s_wait_dscnt 0x0
	v_pk_mul_f32 v[100:101], v[96:97], v[98:99] op_sel:[1,1] op_sel_hi:[0,1]
	v_pk_fma_f32 v[102:103], v[96:97], v[98:99], v[100:101] op_sel_hi:[1,0,1]
	v_pk_fma_f32 v[96:97], v[96:97], v[98:99], v[100:101] neg_lo:[0,0,1] neg_hi:[0,0,1]
	s_delay_alu instid0(VALU_DEP_2)
	v_mov_b32_e32 v97, v103
	scratch_store_b64 off, v[96:97], off offset:288
.LBB45_95:
	s_wait_xcnt 0x0
	s_or_b32 exec_lo, exec_lo, s23
	scratch_load_b64 v[96:97], off, off offset:280
	v_cmp_lt_u32_e64 s1, 35, v0
	s_wait_loadcnt 0x0
	ds_store_b64 v1, v[96:97]
	s_wait_storecnt_dscnt 0x0
	s_barrier_signal -1
	s_barrier_wait -1
	s_wait_xcnt 0x0
	s_and_saveexec_b32 s23, s1
	s_cbranch_execz .LBB45_105
; %bb.96:
	s_and_not1_b32 vcc_lo, exec_lo, s3
	s_cbranch_vccnz .LBB45_98
; %bb.97:
	scratch_load_b64 v[96:97], v39, off
	ds_load_b64 v[98:99], v1
	s_wait_loadcnt_dscnt 0x0
	v_pk_mul_f32 v[100:101], v[98:99], v[96:97] op_sel:[1,1] op_sel_hi:[0,1]
	s_delay_alu instid0(VALU_DEP_1) | instskip(SKIP_1) | instid1(VALU_DEP_2)
	v_pk_fma_f32 v[102:103], v[98:99], v[96:97], v[100:101] op_sel_hi:[1,0,1]
	v_pk_fma_f32 v[96:97], v[98:99], v[96:97], v[100:101] neg_lo:[0,0,1] neg_hi:[0,0,1]
	v_mov_b32_e32 v97, v103
	s_cbranch_execz .LBB45_99
	s_branch .LBB45_100
.LBB45_98:
                                        ; implicit-def: $vgpr96_vgpr97
.LBB45_99:
	ds_load_b64 v[96:97], v1
.LBB45_100:
	s_and_saveexec_b32 s24, s0
	s_cbranch_execz .LBB45_104
; %bb.101:
	v_subrev_nc_u32_e32 v98, 36, v0
	s_movk_i32 s25, 0x290
	s_mov_b32 s0, 0
.LBB45_102:                             ; =>This Inner Loop Header: Depth=1
	scratch_load_b64 v[100:101], off, s22
	v_dual_mov_b32 v99, s25 :: v_dual_add_nc_u32 v98, -1, v98
	s_add_co_i32 s25, s25, 8
	s_wait_xcnt 0x0
	s_add_co_i32 s22, s22, 8
	ds_load_b64 v[102:103], v99
	v_cmp_eq_u32_e32 vcc_lo, 0, v98
	s_or_b32 s0, vcc_lo, s0
	s_wait_loadcnt_dscnt 0x0
	v_pk_mul_f32 v[104:105], v[102:103], v[100:101] op_sel:[1,1] op_sel_hi:[0,1]
	s_delay_alu instid0(VALU_DEP_1) | instskip(SKIP_1) | instid1(VALU_DEP_2)
	v_pk_fma_f32 v[106:107], v[102:103], v[100:101], v[104:105] op_sel_hi:[1,0,1]
	v_pk_fma_f32 v[100:101], v[102:103], v[100:101], v[104:105] neg_lo:[0,0,1] neg_hi:[0,0,1]
	v_mov_b32_e32 v101, v107
	s_delay_alu instid0(VALU_DEP_1)
	v_pk_add_f32 v[96:97], v[96:97], v[100:101]
	s_and_not1_b32 exec_lo, exec_lo, s0
	s_cbranch_execnz .LBB45_102
; %bb.103:
	s_or_b32 exec_lo, exec_lo, s0
.LBB45_104:
	s_delay_alu instid0(SALU_CYCLE_1) | instskip(SKIP_4) | instid1(VALU_DEP_1)
	s_or_b32 exec_lo, exec_lo, s24
	v_mov_b32_e32 v98, 0
	ds_load_b64 v[98:99], v98 offset:280
	s_wait_dscnt 0x0
	v_pk_mul_f32 v[100:101], v[96:97], v[98:99] op_sel:[1,1] op_sel_hi:[0,1]
	v_pk_fma_f32 v[102:103], v[96:97], v[98:99], v[100:101] op_sel_hi:[1,0,1]
	v_pk_fma_f32 v[96:97], v[96:97], v[98:99], v[100:101] neg_lo:[0,0,1] neg_hi:[0,0,1]
	s_delay_alu instid0(VALU_DEP_2)
	v_mov_b32_e32 v97, v103
	scratch_store_b64 off, v[96:97], off offset:280
.LBB45_105:
	s_wait_xcnt 0x0
	s_or_b32 exec_lo, exec_lo, s23
	scratch_load_b64 v[96:97], off, off offset:272
	v_cmp_lt_u32_e64 s0, 34, v0
	s_wait_loadcnt 0x0
	ds_store_b64 v1, v[96:97]
	s_wait_storecnt_dscnt 0x0
	s_barrier_signal -1
	s_barrier_wait -1
	s_wait_xcnt 0x0
	s_and_saveexec_b32 s22, s0
	s_cbranch_execz .LBB45_115
; %bb.106:
	s_and_not1_b32 vcc_lo, exec_lo, s3
	s_cbranch_vccnz .LBB45_108
; %bb.107:
	scratch_load_b64 v[96:97], v39, off
	ds_load_b64 v[98:99], v1
	s_wait_loadcnt_dscnt 0x0
	v_pk_mul_f32 v[100:101], v[98:99], v[96:97] op_sel:[1,1] op_sel_hi:[0,1]
	s_delay_alu instid0(VALU_DEP_1) | instskip(SKIP_1) | instid1(VALU_DEP_2)
	v_pk_fma_f32 v[102:103], v[98:99], v[96:97], v[100:101] op_sel_hi:[1,0,1]
	v_pk_fma_f32 v[96:97], v[98:99], v[96:97], v[100:101] neg_lo:[0,0,1] neg_hi:[0,0,1]
	v_mov_b32_e32 v97, v103
	s_cbranch_execz .LBB45_109
	s_branch .LBB45_110
.LBB45_108:
                                        ; implicit-def: $vgpr96_vgpr97
.LBB45_109:
	ds_load_b64 v[96:97], v1
.LBB45_110:
	s_and_saveexec_b32 s23, s1
	s_cbranch_execz .LBB45_114
; %bb.111:
	v_subrev_nc_u32_e32 v98, 35, v0
	s_movk_i32 s1, 0x118
	s_movk_i32 s25, 0x288
	s_mov_b32 s24, 0
.LBB45_112:                             ; =>This Inner Loop Header: Depth=1
	scratch_load_b64 v[100:101], off, s1
	v_dual_mov_b32 v99, s25 :: v_dual_add_nc_u32 v98, -1, v98
	s_add_co_i32 s25, s25, 8
	s_wait_xcnt 0x0
	s_add_co_i32 s1, s1, 8
	ds_load_b64 v[102:103], v99
	v_cmp_eq_u32_e32 vcc_lo, 0, v98
	s_or_b32 s24, vcc_lo, s24
	s_wait_loadcnt_dscnt 0x0
	v_pk_mul_f32 v[104:105], v[102:103], v[100:101] op_sel:[1,1] op_sel_hi:[0,1]
	s_delay_alu instid0(VALU_DEP_1) | instskip(SKIP_1) | instid1(VALU_DEP_2)
	v_pk_fma_f32 v[106:107], v[102:103], v[100:101], v[104:105] op_sel_hi:[1,0,1]
	v_pk_fma_f32 v[100:101], v[102:103], v[100:101], v[104:105] neg_lo:[0,0,1] neg_hi:[0,0,1]
	v_mov_b32_e32 v101, v107
	s_delay_alu instid0(VALU_DEP_1)
	v_pk_add_f32 v[96:97], v[96:97], v[100:101]
	s_and_not1_b32 exec_lo, exec_lo, s24
	s_cbranch_execnz .LBB45_112
; %bb.113:
	s_or_b32 exec_lo, exec_lo, s24
.LBB45_114:
	s_delay_alu instid0(SALU_CYCLE_1) | instskip(SKIP_4) | instid1(VALU_DEP_1)
	s_or_b32 exec_lo, exec_lo, s23
	v_mov_b32_e32 v98, 0
	ds_load_b64 v[98:99], v98 offset:272
	s_wait_dscnt 0x0
	v_pk_mul_f32 v[100:101], v[96:97], v[98:99] op_sel:[1,1] op_sel_hi:[0,1]
	v_pk_fma_f32 v[102:103], v[96:97], v[98:99], v[100:101] op_sel_hi:[1,0,1]
	v_pk_fma_f32 v[96:97], v[96:97], v[98:99], v[100:101] neg_lo:[0,0,1] neg_hi:[0,0,1]
	s_delay_alu instid0(VALU_DEP_2)
	v_mov_b32_e32 v97, v103
	scratch_store_b64 off, v[96:97], off offset:272
.LBB45_115:
	s_wait_xcnt 0x0
	s_or_b32 exec_lo, exec_lo, s22
	scratch_load_b64 v[96:97], off, off offset:264
	v_cmp_lt_u32_e64 s1, 33, v0
	s_wait_loadcnt 0x0
	ds_store_b64 v1, v[96:97]
	s_wait_storecnt_dscnt 0x0
	s_barrier_signal -1
	s_barrier_wait -1
	s_wait_xcnt 0x0
	s_and_saveexec_b32 s22, s1
	s_cbranch_execz .LBB45_125
; %bb.116:
	s_and_not1_b32 vcc_lo, exec_lo, s3
	s_cbranch_vccnz .LBB45_118
; %bb.117:
	scratch_load_b64 v[96:97], v39, off
	ds_load_b64 v[98:99], v1
	s_wait_loadcnt_dscnt 0x0
	v_pk_mul_f32 v[100:101], v[98:99], v[96:97] op_sel:[1,1] op_sel_hi:[0,1]
	s_delay_alu instid0(VALU_DEP_1) | instskip(SKIP_1) | instid1(VALU_DEP_2)
	v_pk_fma_f32 v[102:103], v[98:99], v[96:97], v[100:101] op_sel_hi:[1,0,1]
	v_pk_fma_f32 v[96:97], v[98:99], v[96:97], v[100:101] neg_lo:[0,0,1] neg_hi:[0,0,1]
	v_mov_b32_e32 v97, v103
	s_cbranch_execz .LBB45_119
	s_branch .LBB45_120
.LBB45_118:
                                        ; implicit-def: $vgpr96_vgpr97
.LBB45_119:
	ds_load_b64 v[96:97], v1
.LBB45_120:
	s_and_saveexec_b32 s23, s0
	s_cbranch_execz .LBB45_124
; %bb.121:
	v_subrev_nc_u32_e32 v98, 34, v0
	s_movk_i32 s24, 0x280
	s_mov_b32 s0, 0
.LBB45_122:                             ; =>This Inner Loop Header: Depth=1
	scratch_load_b64 v[100:101], off, s21
	v_dual_mov_b32 v99, s24 :: v_dual_add_nc_u32 v98, -1, v98
	s_add_co_i32 s24, s24, 8
	s_wait_xcnt 0x0
	s_add_co_i32 s21, s21, 8
	ds_load_b64 v[102:103], v99
	v_cmp_eq_u32_e32 vcc_lo, 0, v98
	s_or_b32 s0, vcc_lo, s0
	s_wait_loadcnt_dscnt 0x0
	v_pk_mul_f32 v[104:105], v[102:103], v[100:101] op_sel:[1,1] op_sel_hi:[0,1]
	s_delay_alu instid0(VALU_DEP_1) | instskip(SKIP_1) | instid1(VALU_DEP_2)
	v_pk_fma_f32 v[106:107], v[102:103], v[100:101], v[104:105] op_sel_hi:[1,0,1]
	v_pk_fma_f32 v[100:101], v[102:103], v[100:101], v[104:105] neg_lo:[0,0,1] neg_hi:[0,0,1]
	v_mov_b32_e32 v101, v107
	s_delay_alu instid0(VALU_DEP_1)
	v_pk_add_f32 v[96:97], v[96:97], v[100:101]
	s_and_not1_b32 exec_lo, exec_lo, s0
	s_cbranch_execnz .LBB45_122
; %bb.123:
	s_or_b32 exec_lo, exec_lo, s0
.LBB45_124:
	s_delay_alu instid0(SALU_CYCLE_1) | instskip(SKIP_4) | instid1(VALU_DEP_1)
	s_or_b32 exec_lo, exec_lo, s23
	v_mov_b32_e32 v98, 0
	ds_load_b64 v[98:99], v98 offset:264
	s_wait_dscnt 0x0
	v_pk_mul_f32 v[100:101], v[96:97], v[98:99] op_sel:[1,1] op_sel_hi:[0,1]
	v_pk_fma_f32 v[102:103], v[96:97], v[98:99], v[100:101] op_sel_hi:[1,0,1]
	v_pk_fma_f32 v[96:97], v[96:97], v[98:99], v[100:101] neg_lo:[0,0,1] neg_hi:[0,0,1]
	s_delay_alu instid0(VALU_DEP_2)
	v_mov_b32_e32 v97, v103
	scratch_store_b64 off, v[96:97], off offset:264
.LBB45_125:
	s_wait_xcnt 0x0
	s_or_b32 exec_lo, exec_lo, s22
	scratch_load_b64 v[96:97], off, off offset:256
	v_cmp_lt_u32_e64 s0, 32, v0
	s_wait_loadcnt 0x0
	ds_store_b64 v1, v[96:97]
	s_wait_storecnt_dscnt 0x0
	s_barrier_signal -1
	s_barrier_wait -1
	s_wait_xcnt 0x0
	s_and_saveexec_b32 s21, s0
	s_cbranch_execz .LBB45_135
; %bb.126:
	s_and_not1_b32 vcc_lo, exec_lo, s3
	s_cbranch_vccnz .LBB45_128
; %bb.127:
	scratch_load_b64 v[96:97], v39, off
	ds_load_b64 v[98:99], v1
	s_wait_loadcnt_dscnt 0x0
	v_pk_mul_f32 v[100:101], v[98:99], v[96:97] op_sel:[1,1] op_sel_hi:[0,1]
	s_delay_alu instid0(VALU_DEP_1) | instskip(SKIP_1) | instid1(VALU_DEP_2)
	v_pk_fma_f32 v[102:103], v[98:99], v[96:97], v[100:101] op_sel_hi:[1,0,1]
	v_pk_fma_f32 v[96:97], v[98:99], v[96:97], v[100:101] neg_lo:[0,0,1] neg_hi:[0,0,1]
	v_mov_b32_e32 v97, v103
	s_cbranch_execz .LBB45_129
	s_branch .LBB45_130
.LBB45_128:
                                        ; implicit-def: $vgpr96_vgpr97
.LBB45_129:
	ds_load_b64 v[96:97], v1
.LBB45_130:
	s_and_saveexec_b32 s22, s1
	s_cbranch_execz .LBB45_134
; %bb.131:
	v_subrev_nc_u32_e32 v98, 33, v0
	s_movk_i32 s1, 0x108
	s_movk_i32 s24, 0x278
	s_mov_b32 s23, 0
.LBB45_132:                             ; =>This Inner Loop Header: Depth=1
	scratch_load_b64 v[100:101], off, s1
	v_dual_mov_b32 v99, s24 :: v_dual_add_nc_u32 v98, -1, v98
	s_add_co_i32 s24, s24, 8
	s_wait_xcnt 0x0
	s_add_co_i32 s1, s1, 8
	ds_load_b64 v[102:103], v99
	v_cmp_eq_u32_e32 vcc_lo, 0, v98
	s_or_b32 s23, vcc_lo, s23
	s_wait_loadcnt_dscnt 0x0
	v_pk_mul_f32 v[104:105], v[102:103], v[100:101] op_sel:[1,1] op_sel_hi:[0,1]
	s_delay_alu instid0(VALU_DEP_1) | instskip(SKIP_1) | instid1(VALU_DEP_2)
	v_pk_fma_f32 v[106:107], v[102:103], v[100:101], v[104:105] op_sel_hi:[1,0,1]
	v_pk_fma_f32 v[100:101], v[102:103], v[100:101], v[104:105] neg_lo:[0,0,1] neg_hi:[0,0,1]
	v_mov_b32_e32 v101, v107
	s_delay_alu instid0(VALU_DEP_1)
	v_pk_add_f32 v[96:97], v[96:97], v[100:101]
	s_and_not1_b32 exec_lo, exec_lo, s23
	s_cbranch_execnz .LBB45_132
; %bb.133:
	s_or_b32 exec_lo, exec_lo, s23
.LBB45_134:
	s_delay_alu instid0(SALU_CYCLE_1) | instskip(SKIP_4) | instid1(VALU_DEP_1)
	s_or_b32 exec_lo, exec_lo, s22
	v_mov_b32_e32 v98, 0
	ds_load_b64 v[98:99], v98 offset:256
	s_wait_dscnt 0x0
	v_pk_mul_f32 v[100:101], v[96:97], v[98:99] op_sel:[1,1] op_sel_hi:[0,1]
	v_pk_fma_f32 v[102:103], v[96:97], v[98:99], v[100:101] op_sel_hi:[1,0,1]
	v_pk_fma_f32 v[96:97], v[96:97], v[98:99], v[100:101] neg_lo:[0,0,1] neg_hi:[0,0,1]
	s_delay_alu instid0(VALU_DEP_2)
	v_mov_b32_e32 v97, v103
	scratch_store_b64 off, v[96:97], off offset:256
.LBB45_135:
	s_wait_xcnt 0x0
	s_or_b32 exec_lo, exec_lo, s21
	scratch_load_b64 v[96:97], off, off offset:248
	v_cmp_lt_u32_e64 s1, 31, v0
	s_wait_loadcnt 0x0
	ds_store_b64 v1, v[96:97]
	s_wait_storecnt_dscnt 0x0
	s_barrier_signal -1
	s_barrier_wait -1
	s_wait_xcnt 0x0
	s_and_saveexec_b32 s21, s1
	s_cbranch_execz .LBB45_145
; %bb.136:
	s_and_not1_b32 vcc_lo, exec_lo, s3
	s_cbranch_vccnz .LBB45_138
; %bb.137:
	scratch_load_b64 v[96:97], v39, off
	ds_load_b64 v[98:99], v1
	s_wait_loadcnt_dscnt 0x0
	v_pk_mul_f32 v[100:101], v[98:99], v[96:97] op_sel:[1,1] op_sel_hi:[0,1]
	s_delay_alu instid0(VALU_DEP_1) | instskip(SKIP_1) | instid1(VALU_DEP_2)
	v_pk_fma_f32 v[102:103], v[98:99], v[96:97], v[100:101] op_sel_hi:[1,0,1]
	v_pk_fma_f32 v[96:97], v[98:99], v[96:97], v[100:101] neg_lo:[0,0,1] neg_hi:[0,0,1]
	v_mov_b32_e32 v97, v103
	s_cbranch_execz .LBB45_139
	s_branch .LBB45_140
.LBB45_138:
                                        ; implicit-def: $vgpr96_vgpr97
.LBB45_139:
	ds_load_b64 v[96:97], v1
.LBB45_140:
	s_and_saveexec_b32 s22, s0
	s_cbranch_execz .LBB45_144
; %bb.141:
	v_subrev_nc_u32_e32 v98, 32, v0
	s_movk_i32 s23, 0x270
	s_mov_b32 s0, 0
.LBB45_142:                             ; =>This Inner Loop Header: Depth=1
	scratch_load_b64 v[100:101], off, s20
	v_dual_mov_b32 v99, s23 :: v_dual_add_nc_u32 v98, -1, v98
	s_add_co_i32 s23, s23, 8
	s_wait_xcnt 0x0
	s_add_co_i32 s20, s20, 8
	ds_load_b64 v[102:103], v99
	v_cmp_eq_u32_e32 vcc_lo, 0, v98
	s_or_b32 s0, vcc_lo, s0
	s_wait_loadcnt_dscnt 0x0
	v_pk_mul_f32 v[104:105], v[102:103], v[100:101] op_sel:[1,1] op_sel_hi:[0,1]
	s_delay_alu instid0(VALU_DEP_1) | instskip(SKIP_1) | instid1(VALU_DEP_2)
	v_pk_fma_f32 v[106:107], v[102:103], v[100:101], v[104:105] op_sel_hi:[1,0,1]
	v_pk_fma_f32 v[100:101], v[102:103], v[100:101], v[104:105] neg_lo:[0,0,1] neg_hi:[0,0,1]
	v_mov_b32_e32 v101, v107
	s_delay_alu instid0(VALU_DEP_1)
	v_pk_add_f32 v[96:97], v[96:97], v[100:101]
	s_and_not1_b32 exec_lo, exec_lo, s0
	s_cbranch_execnz .LBB45_142
; %bb.143:
	s_or_b32 exec_lo, exec_lo, s0
.LBB45_144:
	s_delay_alu instid0(SALU_CYCLE_1) | instskip(SKIP_4) | instid1(VALU_DEP_1)
	s_or_b32 exec_lo, exec_lo, s22
	v_mov_b32_e32 v98, 0
	ds_load_b64 v[98:99], v98 offset:248
	s_wait_dscnt 0x0
	v_pk_mul_f32 v[100:101], v[96:97], v[98:99] op_sel:[1,1] op_sel_hi:[0,1]
	v_pk_fma_f32 v[102:103], v[96:97], v[98:99], v[100:101] op_sel_hi:[1,0,1]
	v_pk_fma_f32 v[96:97], v[96:97], v[98:99], v[100:101] neg_lo:[0,0,1] neg_hi:[0,0,1]
	s_delay_alu instid0(VALU_DEP_2)
	v_mov_b32_e32 v97, v103
	scratch_store_b64 off, v[96:97], off offset:248
.LBB45_145:
	s_wait_xcnt 0x0
	s_or_b32 exec_lo, exec_lo, s21
	scratch_load_b64 v[96:97], off, off offset:240
	v_cmp_lt_u32_e64 s0, 30, v0
	s_wait_loadcnt 0x0
	ds_store_b64 v1, v[96:97]
	s_wait_storecnt_dscnt 0x0
	s_barrier_signal -1
	s_barrier_wait -1
	s_wait_xcnt 0x0
	s_and_saveexec_b32 s20, s0
	s_cbranch_execz .LBB45_155
; %bb.146:
	s_and_not1_b32 vcc_lo, exec_lo, s3
	s_cbranch_vccnz .LBB45_148
; %bb.147:
	scratch_load_b64 v[96:97], v39, off
	ds_load_b64 v[98:99], v1
	s_wait_loadcnt_dscnt 0x0
	v_pk_mul_f32 v[100:101], v[98:99], v[96:97] op_sel:[1,1] op_sel_hi:[0,1]
	s_delay_alu instid0(VALU_DEP_1) | instskip(SKIP_1) | instid1(VALU_DEP_2)
	v_pk_fma_f32 v[102:103], v[98:99], v[96:97], v[100:101] op_sel_hi:[1,0,1]
	v_pk_fma_f32 v[96:97], v[98:99], v[96:97], v[100:101] neg_lo:[0,0,1] neg_hi:[0,0,1]
	v_mov_b32_e32 v97, v103
	s_cbranch_execz .LBB45_149
	s_branch .LBB45_150
.LBB45_148:
                                        ; implicit-def: $vgpr96_vgpr97
.LBB45_149:
	ds_load_b64 v[96:97], v1
.LBB45_150:
	s_and_saveexec_b32 s21, s1
	s_cbranch_execz .LBB45_154
; %bb.151:
	v_subrev_nc_u32_e32 v98, 31, v0
	s_movk_i32 s1, 0xf8
	s_movk_i32 s23, 0x268
	s_mov_b32 s22, 0
.LBB45_152:                             ; =>This Inner Loop Header: Depth=1
	scratch_load_b64 v[100:101], off, s1
	v_dual_mov_b32 v99, s23 :: v_dual_add_nc_u32 v98, -1, v98
	s_add_co_i32 s23, s23, 8
	s_wait_xcnt 0x0
	s_add_co_i32 s1, s1, 8
	ds_load_b64 v[102:103], v99
	v_cmp_eq_u32_e32 vcc_lo, 0, v98
	s_or_b32 s22, vcc_lo, s22
	s_wait_loadcnt_dscnt 0x0
	v_pk_mul_f32 v[104:105], v[102:103], v[100:101] op_sel:[1,1] op_sel_hi:[0,1]
	s_delay_alu instid0(VALU_DEP_1) | instskip(SKIP_1) | instid1(VALU_DEP_2)
	v_pk_fma_f32 v[106:107], v[102:103], v[100:101], v[104:105] op_sel_hi:[1,0,1]
	v_pk_fma_f32 v[100:101], v[102:103], v[100:101], v[104:105] neg_lo:[0,0,1] neg_hi:[0,0,1]
	v_mov_b32_e32 v101, v107
	s_delay_alu instid0(VALU_DEP_1)
	v_pk_add_f32 v[96:97], v[96:97], v[100:101]
	s_and_not1_b32 exec_lo, exec_lo, s22
	s_cbranch_execnz .LBB45_152
; %bb.153:
	s_or_b32 exec_lo, exec_lo, s22
.LBB45_154:
	s_delay_alu instid0(SALU_CYCLE_1) | instskip(SKIP_4) | instid1(VALU_DEP_1)
	s_or_b32 exec_lo, exec_lo, s21
	v_mov_b32_e32 v98, 0
	ds_load_b64 v[98:99], v98 offset:240
	s_wait_dscnt 0x0
	v_pk_mul_f32 v[100:101], v[96:97], v[98:99] op_sel:[1,1] op_sel_hi:[0,1]
	v_pk_fma_f32 v[102:103], v[96:97], v[98:99], v[100:101] op_sel_hi:[1,0,1]
	v_pk_fma_f32 v[96:97], v[96:97], v[98:99], v[100:101] neg_lo:[0,0,1] neg_hi:[0,0,1]
	s_delay_alu instid0(VALU_DEP_2)
	v_mov_b32_e32 v97, v103
	scratch_store_b64 off, v[96:97], off offset:240
.LBB45_155:
	s_wait_xcnt 0x0
	s_or_b32 exec_lo, exec_lo, s20
	scratch_load_b64 v[96:97], off, off offset:232
	v_cmp_lt_u32_e64 s1, 29, v0
	s_wait_loadcnt 0x0
	ds_store_b64 v1, v[96:97]
	s_wait_storecnt_dscnt 0x0
	s_barrier_signal -1
	s_barrier_wait -1
	s_wait_xcnt 0x0
	s_and_saveexec_b32 s20, s1
	s_cbranch_execz .LBB45_165
; %bb.156:
	s_and_not1_b32 vcc_lo, exec_lo, s3
	s_cbranch_vccnz .LBB45_158
; %bb.157:
	scratch_load_b64 v[96:97], v39, off
	ds_load_b64 v[98:99], v1
	s_wait_loadcnt_dscnt 0x0
	v_pk_mul_f32 v[100:101], v[98:99], v[96:97] op_sel:[1,1] op_sel_hi:[0,1]
	s_delay_alu instid0(VALU_DEP_1) | instskip(SKIP_1) | instid1(VALU_DEP_2)
	v_pk_fma_f32 v[102:103], v[98:99], v[96:97], v[100:101] op_sel_hi:[1,0,1]
	v_pk_fma_f32 v[96:97], v[98:99], v[96:97], v[100:101] neg_lo:[0,0,1] neg_hi:[0,0,1]
	v_mov_b32_e32 v97, v103
	s_cbranch_execz .LBB45_159
	s_branch .LBB45_160
.LBB45_158:
                                        ; implicit-def: $vgpr96_vgpr97
.LBB45_159:
	ds_load_b64 v[96:97], v1
.LBB45_160:
	s_and_saveexec_b32 s21, s0
	s_cbranch_execz .LBB45_164
; %bb.161:
	v_subrev_nc_u32_e32 v98, 30, v0
	s_movk_i32 s22, 0x260
	s_mov_b32 s0, 0
.LBB45_162:                             ; =>This Inner Loop Header: Depth=1
	scratch_load_b64 v[100:101], off, s19
	v_dual_mov_b32 v99, s22 :: v_dual_add_nc_u32 v98, -1, v98
	s_add_co_i32 s22, s22, 8
	s_wait_xcnt 0x0
	s_add_co_i32 s19, s19, 8
	ds_load_b64 v[102:103], v99
	v_cmp_eq_u32_e32 vcc_lo, 0, v98
	s_or_b32 s0, vcc_lo, s0
	s_wait_loadcnt_dscnt 0x0
	v_pk_mul_f32 v[104:105], v[102:103], v[100:101] op_sel:[1,1] op_sel_hi:[0,1]
	s_delay_alu instid0(VALU_DEP_1) | instskip(SKIP_1) | instid1(VALU_DEP_2)
	v_pk_fma_f32 v[106:107], v[102:103], v[100:101], v[104:105] op_sel_hi:[1,0,1]
	v_pk_fma_f32 v[100:101], v[102:103], v[100:101], v[104:105] neg_lo:[0,0,1] neg_hi:[0,0,1]
	v_mov_b32_e32 v101, v107
	s_delay_alu instid0(VALU_DEP_1)
	v_pk_add_f32 v[96:97], v[96:97], v[100:101]
	s_and_not1_b32 exec_lo, exec_lo, s0
	s_cbranch_execnz .LBB45_162
; %bb.163:
	s_or_b32 exec_lo, exec_lo, s0
.LBB45_164:
	s_delay_alu instid0(SALU_CYCLE_1) | instskip(SKIP_4) | instid1(VALU_DEP_1)
	s_or_b32 exec_lo, exec_lo, s21
	v_mov_b32_e32 v98, 0
	ds_load_b64 v[98:99], v98 offset:232
	s_wait_dscnt 0x0
	v_pk_mul_f32 v[100:101], v[96:97], v[98:99] op_sel:[1,1] op_sel_hi:[0,1]
	v_pk_fma_f32 v[102:103], v[96:97], v[98:99], v[100:101] op_sel_hi:[1,0,1]
	v_pk_fma_f32 v[96:97], v[96:97], v[98:99], v[100:101] neg_lo:[0,0,1] neg_hi:[0,0,1]
	s_delay_alu instid0(VALU_DEP_2)
	v_mov_b32_e32 v97, v103
	scratch_store_b64 off, v[96:97], off offset:232
.LBB45_165:
	s_wait_xcnt 0x0
	s_or_b32 exec_lo, exec_lo, s20
	scratch_load_b64 v[96:97], off, off offset:224
	v_cmp_lt_u32_e64 s0, 28, v0
	s_wait_loadcnt 0x0
	ds_store_b64 v1, v[96:97]
	s_wait_storecnt_dscnt 0x0
	s_barrier_signal -1
	s_barrier_wait -1
	s_wait_xcnt 0x0
	s_and_saveexec_b32 s19, s0
	s_cbranch_execz .LBB45_175
; %bb.166:
	s_and_not1_b32 vcc_lo, exec_lo, s3
	s_cbranch_vccnz .LBB45_168
; %bb.167:
	scratch_load_b64 v[96:97], v39, off
	ds_load_b64 v[98:99], v1
	s_wait_loadcnt_dscnt 0x0
	v_pk_mul_f32 v[100:101], v[98:99], v[96:97] op_sel:[1,1] op_sel_hi:[0,1]
	s_delay_alu instid0(VALU_DEP_1) | instskip(SKIP_1) | instid1(VALU_DEP_2)
	v_pk_fma_f32 v[102:103], v[98:99], v[96:97], v[100:101] op_sel_hi:[1,0,1]
	v_pk_fma_f32 v[96:97], v[98:99], v[96:97], v[100:101] neg_lo:[0,0,1] neg_hi:[0,0,1]
	v_mov_b32_e32 v97, v103
	s_cbranch_execz .LBB45_169
	s_branch .LBB45_170
.LBB45_168:
                                        ; implicit-def: $vgpr96_vgpr97
.LBB45_169:
	ds_load_b64 v[96:97], v1
.LBB45_170:
	s_and_saveexec_b32 s20, s1
	s_cbranch_execz .LBB45_174
; %bb.171:
	v_subrev_nc_u32_e32 v98, 29, v0
	s_movk_i32 s1, 0xe8
	s_movk_i32 s22, 0x258
	s_mov_b32 s21, 0
.LBB45_172:                             ; =>This Inner Loop Header: Depth=1
	scratch_load_b64 v[100:101], off, s1
	v_dual_mov_b32 v99, s22 :: v_dual_add_nc_u32 v98, -1, v98
	s_add_co_i32 s22, s22, 8
	s_wait_xcnt 0x0
	s_add_co_i32 s1, s1, 8
	ds_load_b64 v[102:103], v99
	v_cmp_eq_u32_e32 vcc_lo, 0, v98
	s_or_b32 s21, vcc_lo, s21
	s_wait_loadcnt_dscnt 0x0
	v_pk_mul_f32 v[104:105], v[102:103], v[100:101] op_sel:[1,1] op_sel_hi:[0,1]
	s_delay_alu instid0(VALU_DEP_1) | instskip(SKIP_1) | instid1(VALU_DEP_2)
	v_pk_fma_f32 v[106:107], v[102:103], v[100:101], v[104:105] op_sel_hi:[1,0,1]
	v_pk_fma_f32 v[100:101], v[102:103], v[100:101], v[104:105] neg_lo:[0,0,1] neg_hi:[0,0,1]
	v_mov_b32_e32 v101, v107
	s_delay_alu instid0(VALU_DEP_1)
	v_pk_add_f32 v[96:97], v[96:97], v[100:101]
	s_and_not1_b32 exec_lo, exec_lo, s21
	s_cbranch_execnz .LBB45_172
; %bb.173:
	s_or_b32 exec_lo, exec_lo, s21
.LBB45_174:
	s_delay_alu instid0(SALU_CYCLE_1) | instskip(SKIP_4) | instid1(VALU_DEP_1)
	s_or_b32 exec_lo, exec_lo, s20
	v_mov_b32_e32 v98, 0
	ds_load_b64 v[98:99], v98 offset:224
	s_wait_dscnt 0x0
	v_pk_mul_f32 v[100:101], v[96:97], v[98:99] op_sel:[1,1] op_sel_hi:[0,1]
	v_pk_fma_f32 v[102:103], v[96:97], v[98:99], v[100:101] op_sel_hi:[1,0,1]
	v_pk_fma_f32 v[96:97], v[96:97], v[98:99], v[100:101] neg_lo:[0,0,1] neg_hi:[0,0,1]
	s_delay_alu instid0(VALU_DEP_2)
	v_mov_b32_e32 v97, v103
	scratch_store_b64 off, v[96:97], off offset:224
.LBB45_175:
	s_wait_xcnt 0x0
	s_or_b32 exec_lo, exec_lo, s19
	scratch_load_b64 v[96:97], off, off offset:216
	v_cmp_lt_u32_e64 s1, 27, v0
	s_wait_loadcnt 0x0
	ds_store_b64 v1, v[96:97]
	s_wait_storecnt_dscnt 0x0
	s_barrier_signal -1
	s_barrier_wait -1
	s_wait_xcnt 0x0
	s_and_saveexec_b32 s19, s1
	s_cbranch_execz .LBB45_185
; %bb.176:
	s_and_not1_b32 vcc_lo, exec_lo, s3
	s_cbranch_vccnz .LBB45_178
; %bb.177:
	scratch_load_b64 v[96:97], v39, off
	ds_load_b64 v[98:99], v1
	s_wait_loadcnt_dscnt 0x0
	v_pk_mul_f32 v[100:101], v[98:99], v[96:97] op_sel:[1,1] op_sel_hi:[0,1]
	s_delay_alu instid0(VALU_DEP_1) | instskip(SKIP_1) | instid1(VALU_DEP_2)
	v_pk_fma_f32 v[102:103], v[98:99], v[96:97], v[100:101] op_sel_hi:[1,0,1]
	v_pk_fma_f32 v[96:97], v[98:99], v[96:97], v[100:101] neg_lo:[0,0,1] neg_hi:[0,0,1]
	v_mov_b32_e32 v97, v103
	s_cbranch_execz .LBB45_179
	s_branch .LBB45_180
.LBB45_178:
                                        ; implicit-def: $vgpr96_vgpr97
.LBB45_179:
	ds_load_b64 v[96:97], v1
.LBB45_180:
	s_and_saveexec_b32 s20, s0
	s_cbranch_execz .LBB45_184
; %bb.181:
	v_subrev_nc_u32_e32 v98, 28, v0
	s_movk_i32 s21, 0x250
	s_mov_b32 s0, 0
.LBB45_182:                             ; =>This Inner Loop Header: Depth=1
	scratch_load_b64 v[100:101], off, s18
	v_dual_mov_b32 v99, s21 :: v_dual_add_nc_u32 v98, -1, v98
	s_add_co_i32 s21, s21, 8
	s_wait_xcnt 0x0
	s_add_co_i32 s18, s18, 8
	ds_load_b64 v[102:103], v99
	v_cmp_eq_u32_e32 vcc_lo, 0, v98
	s_or_b32 s0, vcc_lo, s0
	s_wait_loadcnt_dscnt 0x0
	v_pk_mul_f32 v[104:105], v[102:103], v[100:101] op_sel:[1,1] op_sel_hi:[0,1]
	s_delay_alu instid0(VALU_DEP_1) | instskip(SKIP_1) | instid1(VALU_DEP_2)
	v_pk_fma_f32 v[106:107], v[102:103], v[100:101], v[104:105] op_sel_hi:[1,0,1]
	v_pk_fma_f32 v[100:101], v[102:103], v[100:101], v[104:105] neg_lo:[0,0,1] neg_hi:[0,0,1]
	v_mov_b32_e32 v101, v107
	s_delay_alu instid0(VALU_DEP_1)
	v_pk_add_f32 v[96:97], v[96:97], v[100:101]
	s_and_not1_b32 exec_lo, exec_lo, s0
	s_cbranch_execnz .LBB45_182
; %bb.183:
	s_or_b32 exec_lo, exec_lo, s0
.LBB45_184:
	s_delay_alu instid0(SALU_CYCLE_1) | instskip(SKIP_4) | instid1(VALU_DEP_1)
	s_or_b32 exec_lo, exec_lo, s20
	v_mov_b32_e32 v98, 0
	ds_load_b64 v[98:99], v98 offset:216
	s_wait_dscnt 0x0
	v_pk_mul_f32 v[100:101], v[96:97], v[98:99] op_sel:[1,1] op_sel_hi:[0,1]
	v_pk_fma_f32 v[102:103], v[96:97], v[98:99], v[100:101] op_sel_hi:[1,0,1]
	v_pk_fma_f32 v[96:97], v[96:97], v[98:99], v[100:101] neg_lo:[0,0,1] neg_hi:[0,0,1]
	s_delay_alu instid0(VALU_DEP_2)
	v_mov_b32_e32 v97, v103
	scratch_store_b64 off, v[96:97], off offset:216
.LBB45_185:
	s_wait_xcnt 0x0
	s_or_b32 exec_lo, exec_lo, s19
	scratch_load_b64 v[96:97], off, off offset:208
	v_cmp_lt_u32_e64 s0, 26, v0
	s_wait_loadcnt 0x0
	ds_store_b64 v1, v[96:97]
	s_wait_storecnt_dscnt 0x0
	s_barrier_signal -1
	s_barrier_wait -1
	s_wait_xcnt 0x0
	s_and_saveexec_b32 s18, s0
	s_cbranch_execz .LBB45_195
; %bb.186:
	s_and_not1_b32 vcc_lo, exec_lo, s3
	s_cbranch_vccnz .LBB45_188
; %bb.187:
	scratch_load_b64 v[96:97], v39, off
	ds_load_b64 v[98:99], v1
	s_wait_loadcnt_dscnt 0x0
	v_pk_mul_f32 v[100:101], v[98:99], v[96:97] op_sel:[1,1] op_sel_hi:[0,1]
	s_delay_alu instid0(VALU_DEP_1) | instskip(SKIP_1) | instid1(VALU_DEP_2)
	v_pk_fma_f32 v[102:103], v[98:99], v[96:97], v[100:101] op_sel_hi:[1,0,1]
	v_pk_fma_f32 v[96:97], v[98:99], v[96:97], v[100:101] neg_lo:[0,0,1] neg_hi:[0,0,1]
	v_mov_b32_e32 v97, v103
	s_cbranch_execz .LBB45_189
	s_branch .LBB45_190
.LBB45_188:
                                        ; implicit-def: $vgpr96_vgpr97
.LBB45_189:
	ds_load_b64 v[96:97], v1
.LBB45_190:
	s_and_saveexec_b32 s19, s1
	s_cbranch_execz .LBB45_194
; %bb.191:
	v_subrev_nc_u32_e32 v98, 27, v0
	s_movk_i32 s1, 0xd8
	s_movk_i32 s21, 0x248
	s_mov_b32 s20, 0
.LBB45_192:                             ; =>This Inner Loop Header: Depth=1
	scratch_load_b64 v[100:101], off, s1
	v_dual_mov_b32 v99, s21 :: v_dual_add_nc_u32 v98, -1, v98
	s_add_co_i32 s21, s21, 8
	s_wait_xcnt 0x0
	s_add_co_i32 s1, s1, 8
	ds_load_b64 v[102:103], v99
	v_cmp_eq_u32_e32 vcc_lo, 0, v98
	s_or_b32 s20, vcc_lo, s20
	s_wait_loadcnt_dscnt 0x0
	v_pk_mul_f32 v[104:105], v[102:103], v[100:101] op_sel:[1,1] op_sel_hi:[0,1]
	s_delay_alu instid0(VALU_DEP_1) | instskip(SKIP_1) | instid1(VALU_DEP_2)
	v_pk_fma_f32 v[106:107], v[102:103], v[100:101], v[104:105] op_sel_hi:[1,0,1]
	v_pk_fma_f32 v[100:101], v[102:103], v[100:101], v[104:105] neg_lo:[0,0,1] neg_hi:[0,0,1]
	v_mov_b32_e32 v101, v107
	s_delay_alu instid0(VALU_DEP_1)
	v_pk_add_f32 v[96:97], v[96:97], v[100:101]
	s_and_not1_b32 exec_lo, exec_lo, s20
	s_cbranch_execnz .LBB45_192
; %bb.193:
	s_or_b32 exec_lo, exec_lo, s20
.LBB45_194:
	s_delay_alu instid0(SALU_CYCLE_1) | instskip(SKIP_4) | instid1(VALU_DEP_1)
	s_or_b32 exec_lo, exec_lo, s19
	v_mov_b32_e32 v98, 0
	ds_load_b64 v[98:99], v98 offset:208
	s_wait_dscnt 0x0
	v_pk_mul_f32 v[100:101], v[96:97], v[98:99] op_sel:[1,1] op_sel_hi:[0,1]
	v_pk_fma_f32 v[102:103], v[96:97], v[98:99], v[100:101] op_sel_hi:[1,0,1]
	v_pk_fma_f32 v[96:97], v[96:97], v[98:99], v[100:101] neg_lo:[0,0,1] neg_hi:[0,0,1]
	s_delay_alu instid0(VALU_DEP_2)
	v_mov_b32_e32 v97, v103
	scratch_store_b64 off, v[96:97], off offset:208
.LBB45_195:
	s_wait_xcnt 0x0
	s_or_b32 exec_lo, exec_lo, s18
	scratch_load_b64 v[96:97], off, off offset:200
	v_cmp_lt_u32_e64 s1, 25, v0
	s_wait_loadcnt 0x0
	ds_store_b64 v1, v[96:97]
	s_wait_storecnt_dscnt 0x0
	s_barrier_signal -1
	s_barrier_wait -1
	s_wait_xcnt 0x0
	s_and_saveexec_b32 s18, s1
	s_cbranch_execz .LBB45_205
; %bb.196:
	s_and_not1_b32 vcc_lo, exec_lo, s3
	s_cbranch_vccnz .LBB45_198
; %bb.197:
	scratch_load_b64 v[96:97], v39, off
	ds_load_b64 v[98:99], v1
	s_wait_loadcnt_dscnt 0x0
	v_pk_mul_f32 v[100:101], v[98:99], v[96:97] op_sel:[1,1] op_sel_hi:[0,1]
	s_delay_alu instid0(VALU_DEP_1) | instskip(SKIP_1) | instid1(VALU_DEP_2)
	v_pk_fma_f32 v[102:103], v[98:99], v[96:97], v[100:101] op_sel_hi:[1,0,1]
	v_pk_fma_f32 v[96:97], v[98:99], v[96:97], v[100:101] neg_lo:[0,0,1] neg_hi:[0,0,1]
	v_mov_b32_e32 v97, v103
	s_cbranch_execz .LBB45_199
	s_branch .LBB45_200
.LBB45_198:
                                        ; implicit-def: $vgpr96_vgpr97
.LBB45_199:
	ds_load_b64 v[96:97], v1
.LBB45_200:
	s_and_saveexec_b32 s19, s0
	s_cbranch_execz .LBB45_204
; %bb.201:
	v_subrev_nc_u32_e32 v98, 26, v0
	s_movk_i32 s20, 0x240
	s_mov_b32 s0, 0
.LBB45_202:                             ; =>This Inner Loop Header: Depth=1
	scratch_load_b64 v[100:101], off, s17
	v_dual_mov_b32 v99, s20 :: v_dual_add_nc_u32 v98, -1, v98
	s_add_co_i32 s20, s20, 8
	s_wait_xcnt 0x0
	s_add_co_i32 s17, s17, 8
	ds_load_b64 v[102:103], v99
	v_cmp_eq_u32_e32 vcc_lo, 0, v98
	s_or_b32 s0, vcc_lo, s0
	s_wait_loadcnt_dscnt 0x0
	v_pk_mul_f32 v[104:105], v[102:103], v[100:101] op_sel:[1,1] op_sel_hi:[0,1]
	s_delay_alu instid0(VALU_DEP_1) | instskip(SKIP_1) | instid1(VALU_DEP_2)
	v_pk_fma_f32 v[106:107], v[102:103], v[100:101], v[104:105] op_sel_hi:[1,0,1]
	v_pk_fma_f32 v[100:101], v[102:103], v[100:101], v[104:105] neg_lo:[0,0,1] neg_hi:[0,0,1]
	v_mov_b32_e32 v101, v107
	s_delay_alu instid0(VALU_DEP_1)
	v_pk_add_f32 v[96:97], v[96:97], v[100:101]
	s_and_not1_b32 exec_lo, exec_lo, s0
	s_cbranch_execnz .LBB45_202
; %bb.203:
	s_or_b32 exec_lo, exec_lo, s0
.LBB45_204:
	s_delay_alu instid0(SALU_CYCLE_1) | instskip(SKIP_4) | instid1(VALU_DEP_1)
	s_or_b32 exec_lo, exec_lo, s19
	v_mov_b32_e32 v98, 0
	ds_load_b64 v[98:99], v98 offset:200
	s_wait_dscnt 0x0
	v_pk_mul_f32 v[100:101], v[96:97], v[98:99] op_sel:[1,1] op_sel_hi:[0,1]
	v_pk_fma_f32 v[102:103], v[96:97], v[98:99], v[100:101] op_sel_hi:[1,0,1]
	v_pk_fma_f32 v[96:97], v[96:97], v[98:99], v[100:101] neg_lo:[0,0,1] neg_hi:[0,0,1]
	s_delay_alu instid0(VALU_DEP_2)
	v_mov_b32_e32 v97, v103
	scratch_store_b64 off, v[96:97], off offset:200
.LBB45_205:
	s_wait_xcnt 0x0
	s_or_b32 exec_lo, exec_lo, s18
	scratch_load_b64 v[96:97], off, off offset:192
	v_cmp_lt_u32_e64 s0, 24, v0
	s_wait_loadcnt 0x0
	ds_store_b64 v1, v[96:97]
	s_wait_storecnt_dscnt 0x0
	s_barrier_signal -1
	s_barrier_wait -1
	s_wait_xcnt 0x0
	s_and_saveexec_b32 s17, s0
	s_cbranch_execz .LBB45_215
; %bb.206:
	s_and_not1_b32 vcc_lo, exec_lo, s3
	s_cbranch_vccnz .LBB45_208
; %bb.207:
	scratch_load_b64 v[96:97], v39, off
	ds_load_b64 v[98:99], v1
	s_wait_loadcnt_dscnt 0x0
	v_pk_mul_f32 v[100:101], v[98:99], v[96:97] op_sel:[1,1] op_sel_hi:[0,1]
	s_delay_alu instid0(VALU_DEP_1) | instskip(SKIP_1) | instid1(VALU_DEP_2)
	v_pk_fma_f32 v[102:103], v[98:99], v[96:97], v[100:101] op_sel_hi:[1,0,1]
	v_pk_fma_f32 v[96:97], v[98:99], v[96:97], v[100:101] neg_lo:[0,0,1] neg_hi:[0,0,1]
	v_mov_b32_e32 v97, v103
	s_cbranch_execz .LBB45_209
	s_branch .LBB45_210
.LBB45_208:
                                        ; implicit-def: $vgpr96_vgpr97
.LBB45_209:
	ds_load_b64 v[96:97], v1
.LBB45_210:
	s_and_saveexec_b32 s18, s1
	s_cbranch_execz .LBB45_214
; %bb.211:
	v_subrev_nc_u32_e32 v98, 25, v0
	s_movk_i32 s1, 0xc8
	s_movk_i32 s20, 0x238
	s_mov_b32 s19, 0
.LBB45_212:                             ; =>This Inner Loop Header: Depth=1
	scratch_load_b64 v[100:101], off, s1
	v_dual_mov_b32 v99, s20 :: v_dual_add_nc_u32 v98, -1, v98
	s_add_co_i32 s20, s20, 8
	s_wait_xcnt 0x0
	s_add_co_i32 s1, s1, 8
	ds_load_b64 v[102:103], v99
	v_cmp_eq_u32_e32 vcc_lo, 0, v98
	s_or_b32 s19, vcc_lo, s19
	s_wait_loadcnt_dscnt 0x0
	v_pk_mul_f32 v[104:105], v[102:103], v[100:101] op_sel:[1,1] op_sel_hi:[0,1]
	s_delay_alu instid0(VALU_DEP_1) | instskip(SKIP_1) | instid1(VALU_DEP_2)
	v_pk_fma_f32 v[106:107], v[102:103], v[100:101], v[104:105] op_sel_hi:[1,0,1]
	v_pk_fma_f32 v[100:101], v[102:103], v[100:101], v[104:105] neg_lo:[0,0,1] neg_hi:[0,0,1]
	v_mov_b32_e32 v101, v107
	s_delay_alu instid0(VALU_DEP_1)
	v_pk_add_f32 v[96:97], v[96:97], v[100:101]
	s_and_not1_b32 exec_lo, exec_lo, s19
	s_cbranch_execnz .LBB45_212
; %bb.213:
	s_or_b32 exec_lo, exec_lo, s19
.LBB45_214:
	s_delay_alu instid0(SALU_CYCLE_1) | instskip(SKIP_4) | instid1(VALU_DEP_1)
	s_or_b32 exec_lo, exec_lo, s18
	v_mov_b32_e32 v98, 0
	ds_load_b64 v[98:99], v98 offset:192
	s_wait_dscnt 0x0
	v_pk_mul_f32 v[100:101], v[96:97], v[98:99] op_sel:[1,1] op_sel_hi:[0,1]
	v_pk_fma_f32 v[102:103], v[96:97], v[98:99], v[100:101] op_sel_hi:[1,0,1]
	v_pk_fma_f32 v[96:97], v[96:97], v[98:99], v[100:101] neg_lo:[0,0,1] neg_hi:[0,0,1]
	s_delay_alu instid0(VALU_DEP_2)
	v_mov_b32_e32 v97, v103
	scratch_store_b64 off, v[96:97], off offset:192
.LBB45_215:
	s_wait_xcnt 0x0
	s_or_b32 exec_lo, exec_lo, s17
	scratch_load_b64 v[96:97], off, off offset:184
	v_cmp_lt_u32_e64 s1, 23, v0
	s_wait_loadcnt 0x0
	ds_store_b64 v1, v[96:97]
	s_wait_storecnt_dscnt 0x0
	s_barrier_signal -1
	s_barrier_wait -1
	s_wait_xcnt 0x0
	s_and_saveexec_b32 s17, s1
	s_cbranch_execz .LBB45_225
; %bb.216:
	s_and_not1_b32 vcc_lo, exec_lo, s3
	s_cbranch_vccnz .LBB45_218
; %bb.217:
	scratch_load_b64 v[96:97], v39, off
	ds_load_b64 v[98:99], v1
	s_wait_loadcnt_dscnt 0x0
	v_pk_mul_f32 v[100:101], v[98:99], v[96:97] op_sel:[1,1] op_sel_hi:[0,1]
	s_delay_alu instid0(VALU_DEP_1) | instskip(SKIP_1) | instid1(VALU_DEP_2)
	v_pk_fma_f32 v[102:103], v[98:99], v[96:97], v[100:101] op_sel_hi:[1,0,1]
	v_pk_fma_f32 v[96:97], v[98:99], v[96:97], v[100:101] neg_lo:[0,0,1] neg_hi:[0,0,1]
	v_mov_b32_e32 v97, v103
	s_cbranch_execz .LBB45_219
	s_branch .LBB45_220
.LBB45_218:
                                        ; implicit-def: $vgpr96_vgpr97
.LBB45_219:
	ds_load_b64 v[96:97], v1
.LBB45_220:
	s_and_saveexec_b32 s18, s0
	s_cbranch_execz .LBB45_224
; %bb.221:
	v_subrev_nc_u32_e32 v98, 24, v0
	s_movk_i32 s19, 0x230
	s_mov_b32 s0, 0
.LBB45_222:                             ; =>This Inner Loop Header: Depth=1
	scratch_load_b64 v[100:101], off, s16
	v_dual_mov_b32 v99, s19 :: v_dual_add_nc_u32 v98, -1, v98
	s_add_co_i32 s19, s19, 8
	s_wait_xcnt 0x0
	s_add_co_i32 s16, s16, 8
	ds_load_b64 v[102:103], v99
	v_cmp_eq_u32_e32 vcc_lo, 0, v98
	s_or_b32 s0, vcc_lo, s0
	s_wait_loadcnt_dscnt 0x0
	v_pk_mul_f32 v[104:105], v[102:103], v[100:101] op_sel:[1,1] op_sel_hi:[0,1]
	s_delay_alu instid0(VALU_DEP_1) | instskip(SKIP_1) | instid1(VALU_DEP_2)
	v_pk_fma_f32 v[106:107], v[102:103], v[100:101], v[104:105] op_sel_hi:[1,0,1]
	v_pk_fma_f32 v[100:101], v[102:103], v[100:101], v[104:105] neg_lo:[0,0,1] neg_hi:[0,0,1]
	v_mov_b32_e32 v101, v107
	s_delay_alu instid0(VALU_DEP_1)
	v_pk_add_f32 v[96:97], v[96:97], v[100:101]
	s_and_not1_b32 exec_lo, exec_lo, s0
	s_cbranch_execnz .LBB45_222
; %bb.223:
	s_or_b32 exec_lo, exec_lo, s0
.LBB45_224:
	s_delay_alu instid0(SALU_CYCLE_1) | instskip(SKIP_4) | instid1(VALU_DEP_1)
	s_or_b32 exec_lo, exec_lo, s18
	v_mov_b32_e32 v98, 0
	ds_load_b64 v[98:99], v98 offset:184
	s_wait_dscnt 0x0
	v_pk_mul_f32 v[100:101], v[96:97], v[98:99] op_sel:[1,1] op_sel_hi:[0,1]
	v_pk_fma_f32 v[102:103], v[96:97], v[98:99], v[100:101] op_sel_hi:[1,0,1]
	v_pk_fma_f32 v[96:97], v[96:97], v[98:99], v[100:101] neg_lo:[0,0,1] neg_hi:[0,0,1]
	s_delay_alu instid0(VALU_DEP_2)
	v_mov_b32_e32 v97, v103
	scratch_store_b64 off, v[96:97], off offset:184
.LBB45_225:
	s_wait_xcnt 0x0
	s_or_b32 exec_lo, exec_lo, s17
	scratch_load_b64 v[96:97], off, off offset:176
	v_cmp_lt_u32_e64 s0, 22, v0
	s_wait_loadcnt 0x0
	ds_store_b64 v1, v[96:97]
	s_wait_storecnt_dscnt 0x0
	s_barrier_signal -1
	s_barrier_wait -1
	s_wait_xcnt 0x0
	s_and_saveexec_b32 s16, s0
	s_cbranch_execz .LBB45_235
; %bb.226:
	s_and_not1_b32 vcc_lo, exec_lo, s3
	s_cbranch_vccnz .LBB45_228
; %bb.227:
	scratch_load_b64 v[96:97], v39, off
	ds_load_b64 v[98:99], v1
	s_wait_loadcnt_dscnt 0x0
	v_pk_mul_f32 v[100:101], v[98:99], v[96:97] op_sel:[1,1] op_sel_hi:[0,1]
	s_delay_alu instid0(VALU_DEP_1) | instskip(SKIP_1) | instid1(VALU_DEP_2)
	v_pk_fma_f32 v[102:103], v[98:99], v[96:97], v[100:101] op_sel_hi:[1,0,1]
	v_pk_fma_f32 v[96:97], v[98:99], v[96:97], v[100:101] neg_lo:[0,0,1] neg_hi:[0,0,1]
	v_mov_b32_e32 v97, v103
	s_cbranch_execz .LBB45_229
	s_branch .LBB45_230
.LBB45_228:
                                        ; implicit-def: $vgpr96_vgpr97
.LBB45_229:
	ds_load_b64 v[96:97], v1
.LBB45_230:
	s_and_saveexec_b32 s17, s1
	s_cbranch_execz .LBB45_234
; %bb.231:
	v_subrev_nc_u32_e32 v98, 23, v0
	s_movk_i32 s1, 0xb8
	s_movk_i32 s19, 0x228
	s_mov_b32 s18, 0
.LBB45_232:                             ; =>This Inner Loop Header: Depth=1
	scratch_load_b64 v[100:101], off, s1
	v_dual_mov_b32 v99, s19 :: v_dual_add_nc_u32 v98, -1, v98
	s_add_co_i32 s19, s19, 8
	s_wait_xcnt 0x0
	s_add_co_i32 s1, s1, 8
	ds_load_b64 v[102:103], v99
	v_cmp_eq_u32_e32 vcc_lo, 0, v98
	s_or_b32 s18, vcc_lo, s18
	s_wait_loadcnt_dscnt 0x0
	v_pk_mul_f32 v[104:105], v[102:103], v[100:101] op_sel:[1,1] op_sel_hi:[0,1]
	s_delay_alu instid0(VALU_DEP_1) | instskip(SKIP_1) | instid1(VALU_DEP_2)
	v_pk_fma_f32 v[106:107], v[102:103], v[100:101], v[104:105] op_sel_hi:[1,0,1]
	v_pk_fma_f32 v[100:101], v[102:103], v[100:101], v[104:105] neg_lo:[0,0,1] neg_hi:[0,0,1]
	v_mov_b32_e32 v101, v107
	s_delay_alu instid0(VALU_DEP_1)
	v_pk_add_f32 v[96:97], v[96:97], v[100:101]
	s_and_not1_b32 exec_lo, exec_lo, s18
	s_cbranch_execnz .LBB45_232
; %bb.233:
	s_or_b32 exec_lo, exec_lo, s18
.LBB45_234:
	s_delay_alu instid0(SALU_CYCLE_1) | instskip(SKIP_4) | instid1(VALU_DEP_1)
	s_or_b32 exec_lo, exec_lo, s17
	v_mov_b32_e32 v98, 0
	ds_load_b64 v[98:99], v98 offset:176
	s_wait_dscnt 0x0
	v_pk_mul_f32 v[100:101], v[96:97], v[98:99] op_sel:[1,1] op_sel_hi:[0,1]
	v_pk_fma_f32 v[102:103], v[96:97], v[98:99], v[100:101] op_sel_hi:[1,0,1]
	v_pk_fma_f32 v[96:97], v[96:97], v[98:99], v[100:101] neg_lo:[0,0,1] neg_hi:[0,0,1]
	s_delay_alu instid0(VALU_DEP_2)
	v_mov_b32_e32 v97, v103
	scratch_store_b64 off, v[96:97], off offset:176
.LBB45_235:
	s_wait_xcnt 0x0
	s_or_b32 exec_lo, exec_lo, s16
	scratch_load_b64 v[96:97], off, off offset:168
	v_cmp_lt_u32_e64 s1, 21, v0
	s_wait_loadcnt 0x0
	ds_store_b64 v1, v[96:97]
	s_wait_storecnt_dscnt 0x0
	s_barrier_signal -1
	s_barrier_wait -1
	s_wait_xcnt 0x0
	s_and_saveexec_b32 s16, s1
	s_cbranch_execz .LBB45_245
; %bb.236:
	s_and_not1_b32 vcc_lo, exec_lo, s3
	s_cbranch_vccnz .LBB45_238
; %bb.237:
	scratch_load_b64 v[96:97], v39, off
	ds_load_b64 v[98:99], v1
	s_wait_loadcnt_dscnt 0x0
	v_pk_mul_f32 v[100:101], v[98:99], v[96:97] op_sel:[1,1] op_sel_hi:[0,1]
	s_delay_alu instid0(VALU_DEP_1) | instskip(SKIP_1) | instid1(VALU_DEP_2)
	v_pk_fma_f32 v[102:103], v[98:99], v[96:97], v[100:101] op_sel_hi:[1,0,1]
	v_pk_fma_f32 v[96:97], v[98:99], v[96:97], v[100:101] neg_lo:[0,0,1] neg_hi:[0,0,1]
	v_mov_b32_e32 v97, v103
	s_cbranch_execz .LBB45_239
	s_branch .LBB45_240
.LBB45_238:
                                        ; implicit-def: $vgpr96_vgpr97
.LBB45_239:
	ds_load_b64 v[96:97], v1
.LBB45_240:
	s_and_saveexec_b32 s17, s0
	s_cbranch_execz .LBB45_244
; %bb.241:
	v_subrev_nc_u32_e32 v98, 22, v0
	s_movk_i32 s18, 0x220
	s_mov_b32 s0, 0
.LBB45_242:                             ; =>This Inner Loop Header: Depth=1
	scratch_load_b64 v[100:101], off, s15
	v_dual_mov_b32 v99, s18 :: v_dual_add_nc_u32 v98, -1, v98
	s_add_co_i32 s18, s18, 8
	s_wait_xcnt 0x0
	s_add_co_i32 s15, s15, 8
	ds_load_b64 v[102:103], v99
	v_cmp_eq_u32_e32 vcc_lo, 0, v98
	s_or_b32 s0, vcc_lo, s0
	s_wait_loadcnt_dscnt 0x0
	v_pk_mul_f32 v[104:105], v[102:103], v[100:101] op_sel:[1,1] op_sel_hi:[0,1]
	s_delay_alu instid0(VALU_DEP_1) | instskip(SKIP_1) | instid1(VALU_DEP_2)
	v_pk_fma_f32 v[106:107], v[102:103], v[100:101], v[104:105] op_sel_hi:[1,0,1]
	v_pk_fma_f32 v[100:101], v[102:103], v[100:101], v[104:105] neg_lo:[0,0,1] neg_hi:[0,0,1]
	v_mov_b32_e32 v101, v107
	s_delay_alu instid0(VALU_DEP_1)
	v_pk_add_f32 v[96:97], v[96:97], v[100:101]
	s_and_not1_b32 exec_lo, exec_lo, s0
	s_cbranch_execnz .LBB45_242
; %bb.243:
	s_or_b32 exec_lo, exec_lo, s0
.LBB45_244:
	s_delay_alu instid0(SALU_CYCLE_1) | instskip(SKIP_4) | instid1(VALU_DEP_1)
	s_or_b32 exec_lo, exec_lo, s17
	v_mov_b32_e32 v98, 0
	ds_load_b64 v[98:99], v98 offset:168
	s_wait_dscnt 0x0
	v_pk_mul_f32 v[100:101], v[96:97], v[98:99] op_sel:[1,1] op_sel_hi:[0,1]
	v_pk_fma_f32 v[102:103], v[96:97], v[98:99], v[100:101] op_sel_hi:[1,0,1]
	v_pk_fma_f32 v[96:97], v[96:97], v[98:99], v[100:101] neg_lo:[0,0,1] neg_hi:[0,0,1]
	s_delay_alu instid0(VALU_DEP_2)
	v_mov_b32_e32 v97, v103
	scratch_store_b64 off, v[96:97], off offset:168
.LBB45_245:
	s_wait_xcnt 0x0
	s_or_b32 exec_lo, exec_lo, s16
	scratch_load_b64 v[96:97], off, off offset:160
	v_cmp_lt_u32_e64 s0, 20, v0
	s_wait_loadcnt 0x0
	ds_store_b64 v1, v[96:97]
	s_wait_storecnt_dscnt 0x0
	s_barrier_signal -1
	s_barrier_wait -1
	s_wait_xcnt 0x0
	s_and_saveexec_b32 s15, s0
	s_cbranch_execz .LBB45_255
; %bb.246:
	s_and_not1_b32 vcc_lo, exec_lo, s3
	s_cbranch_vccnz .LBB45_248
; %bb.247:
	scratch_load_b64 v[96:97], v39, off
	ds_load_b64 v[98:99], v1
	s_wait_loadcnt_dscnt 0x0
	v_pk_mul_f32 v[100:101], v[98:99], v[96:97] op_sel:[1,1] op_sel_hi:[0,1]
	s_delay_alu instid0(VALU_DEP_1) | instskip(SKIP_1) | instid1(VALU_DEP_2)
	v_pk_fma_f32 v[102:103], v[98:99], v[96:97], v[100:101] op_sel_hi:[1,0,1]
	v_pk_fma_f32 v[96:97], v[98:99], v[96:97], v[100:101] neg_lo:[0,0,1] neg_hi:[0,0,1]
	v_mov_b32_e32 v97, v103
	s_cbranch_execz .LBB45_249
	s_branch .LBB45_250
.LBB45_248:
                                        ; implicit-def: $vgpr96_vgpr97
.LBB45_249:
	ds_load_b64 v[96:97], v1
.LBB45_250:
	s_and_saveexec_b32 s16, s1
	s_cbranch_execz .LBB45_254
; %bb.251:
	v_subrev_nc_u32_e32 v98, 21, v0
	s_movk_i32 s1, 0xa8
	s_movk_i32 s18, 0x218
	s_mov_b32 s17, 0
.LBB45_252:                             ; =>This Inner Loop Header: Depth=1
	scratch_load_b64 v[100:101], off, s1
	v_dual_mov_b32 v99, s18 :: v_dual_add_nc_u32 v98, -1, v98
	s_add_co_i32 s18, s18, 8
	s_wait_xcnt 0x0
	s_add_co_i32 s1, s1, 8
	ds_load_b64 v[102:103], v99
	v_cmp_eq_u32_e32 vcc_lo, 0, v98
	s_or_b32 s17, vcc_lo, s17
	s_wait_loadcnt_dscnt 0x0
	v_pk_mul_f32 v[104:105], v[102:103], v[100:101] op_sel:[1,1] op_sel_hi:[0,1]
	s_delay_alu instid0(VALU_DEP_1) | instskip(SKIP_1) | instid1(VALU_DEP_2)
	v_pk_fma_f32 v[106:107], v[102:103], v[100:101], v[104:105] op_sel_hi:[1,0,1]
	v_pk_fma_f32 v[100:101], v[102:103], v[100:101], v[104:105] neg_lo:[0,0,1] neg_hi:[0,0,1]
	v_mov_b32_e32 v101, v107
	s_delay_alu instid0(VALU_DEP_1)
	v_pk_add_f32 v[96:97], v[96:97], v[100:101]
	s_and_not1_b32 exec_lo, exec_lo, s17
	s_cbranch_execnz .LBB45_252
; %bb.253:
	s_or_b32 exec_lo, exec_lo, s17
.LBB45_254:
	s_delay_alu instid0(SALU_CYCLE_1) | instskip(SKIP_4) | instid1(VALU_DEP_1)
	s_or_b32 exec_lo, exec_lo, s16
	v_mov_b32_e32 v98, 0
	ds_load_b64 v[98:99], v98 offset:160
	s_wait_dscnt 0x0
	v_pk_mul_f32 v[100:101], v[96:97], v[98:99] op_sel:[1,1] op_sel_hi:[0,1]
	v_pk_fma_f32 v[102:103], v[96:97], v[98:99], v[100:101] op_sel_hi:[1,0,1]
	v_pk_fma_f32 v[96:97], v[96:97], v[98:99], v[100:101] neg_lo:[0,0,1] neg_hi:[0,0,1]
	s_delay_alu instid0(VALU_DEP_2)
	v_mov_b32_e32 v97, v103
	scratch_store_b64 off, v[96:97], off offset:160
.LBB45_255:
	s_wait_xcnt 0x0
	s_or_b32 exec_lo, exec_lo, s15
	scratch_load_b64 v[96:97], off, off offset:152
	v_cmp_lt_u32_e64 s1, 19, v0
	s_wait_loadcnt 0x0
	ds_store_b64 v1, v[96:97]
	s_wait_storecnt_dscnt 0x0
	s_barrier_signal -1
	s_barrier_wait -1
	s_wait_xcnt 0x0
	s_and_saveexec_b32 s15, s1
	s_cbranch_execz .LBB45_265
; %bb.256:
	s_and_not1_b32 vcc_lo, exec_lo, s3
	s_cbranch_vccnz .LBB45_258
; %bb.257:
	scratch_load_b64 v[96:97], v39, off
	ds_load_b64 v[98:99], v1
	s_wait_loadcnt_dscnt 0x0
	v_pk_mul_f32 v[100:101], v[98:99], v[96:97] op_sel:[1,1] op_sel_hi:[0,1]
	s_delay_alu instid0(VALU_DEP_1) | instskip(SKIP_1) | instid1(VALU_DEP_2)
	v_pk_fma_f32 v[102:103], v[98:99], v[96:97], v[100:101] op_sel_hi:[1,0,1]
	v_pk_fma_f32 v[96:97], v[98:99], v[96:97], v[100:101] neg_lo:[0,0,1] neg_hi:[0,0,1]
	v_mov_b32_e32 v97, v103
	s_cbranch_execz .LBB45_259
	s_branch .LBB45_260
.LBB45_258:
                                        ; implicit-def: $vgpr96_vgpr97
.LBB45_259:
	ds_load_b64 v[96:97], v1
.LBB45_260:
	s_and_saveexec_b32 s16, s0
	s_cbranch_execz .LBB45_264
; %bb.261:
	v_subrev_nc_u32_e32 v98, 20, v0
	s_movk_i32 s17, 0x210
	s_mov_b32 s0, 0
.LBB45_262:                             ; =>This Inner Loop Header: Depth=1
	scratch_load_b64 v[100:101], off, s14
	v_dual_mov_b32 v99, s17 :: v_dual_add_nc_u32 v98, -1, v98
	s_add_co_i32 s17, s17, 8
	s_wait_xcnt 0x0
	s_add_co_i32 s14, s14, 8
	ds_load_b64 v[102:103], v99
	v_cmp_eq_u32_e32 vcc_lo, 0, v98
	s_or_b32 s0, vcc_lo, s0
	s_wait_loadcnt_dscnt 0x0
	v_pk_mul_f32 v[104:105], v[102:103], v[100:101] op_sel:[1,1] op_sel_hi:[0,1]
	s_delay_alu instid0(VALU_DEP_1) | instskip(SKIP_1) | instid1(VALU_DEP_2)
	v_pk_fma_f32 v[106:107], v[102:103], v[100:101], v[104:105] op_sel_hi:[1,0,1]
	v_pk_fma_f32 v[100:101], v[102:103], v[100:101], v[104:105] neg_lo:[0,0,1] neg_hi:[0,0,1]
	v_mov_b32_e32 v101, v107
	s_delay_alu instid0(VALU_DEP_1)
	v_pk_add_f32 v[96:97], v[96:97], v[100:101]
	s_and_not1_b32 exec_lo, exec_lo, s0
	s_cbranch_execnz .LBB45_262
; %bb.263:
	s_or_b32 exec_lo, exec_lo, s0
.LBB45_264:
	s_delay_alu instid0(SALU_CYCLE_1) | instskip(SKIP_4) | instid1(VALU_DEP_1)
	s_or_b32 exec_lo, exec_lo, s16
	v_mov_b32_e32 v98, 0
	ds_load_b64 v[98:99], v98 offset:152
	s_wait_dscnt 0x0
	v_pk_mul_f32 v[100:101], v[96:97], v[98:99] op_sel:[1,1] op_sel_hi:[0,1]
	v_pk_fma_f32 v[102:103], v[96:97], v[98:99], v[100:101] op_sel_hi:[1,0,1]
	v_pk_fma_f32 v[96:97], v[96:97], v[98:99], v[100:101] neg_lo:[0,0,1] neg_hi:[0,0,1]
	s_delay_alu instid0(VALU_DEP_2)
	v_mov_b32_e32 v97, v103
	scratch_store_b64 off, v[96:97], off offset:152
.LBB45_265:
	s_wait_xcnt 0x0
	s_or_b32 exec_lo, exec_lo, s15
	scratch_load_b64 v[96:97], off, off offset:144
	v_cmp_lt_u32_e64 s0, 18, v0
	s_wait_loadcnt 0x0
	ds_store_b64 v1, v[96:97]
	s_wait_storecnt_dscnt 0x0
	s_barrier_signal -1
	s_barrier_wait -1
	s_wait_xcnt 0x0
	s_and_saveexec_b32 s14, s0
	s_cbranch_execz .LBB45_275
; %bb.266:
	s_and_not1_b32 vcc_lo, exec_lo, s3
	s_cbranch_vccnz .LBB45_268
; %bb.267:
	scratch_load_b64 v[96:97], v39, off
	ds_load_b64 v[98:99], v1
	s_wait_loadcnt_dscnt 0x0
	v_pk_mul_f32 v[100:101], v[98:99], v[96:97] op_sel:[1,1] op_sel_hi:[0,1]
	s_delay_alu instid0(VALU_DEP_1) | instskip(SKIP_1) | instid1(VALU_DEP_2)
	v_pk_fma_f32 v[102:103], v[98:99], v[96:97], v[100:101] op_sel_hi:[1,0,1]
	v_pk_fma_f32 v[96:97], v[98:99], v[96:97], v[100:101] neg_lo:[0,0,1] neg_hi:[0,0,1]
	v_mov_b32_e32 v97, v103
	s_cbranch_execz .LBB45_269
	s_branch .LBB45_270
.LBB45_268:
                                        ; implicit-def: $vgpr96_vgpr97
.LBB45_269:
	ds_load_b64 v[96:97], v1
.LBB45_270:
	s_and_saveexec_b32 s15, s1
	s_cbranch_execz .LBB45_274
; %bb.271:
	v_subrev_nc_u32_e32 v98, 19, v0
	s_movk_i32 s1, 0x98
	s_movk_i32 s17, 0x208
	s_mov_b32 s16, 0
.LBB45_272:                             ; =>This Inner Loop Header: Depth=1
	scratch_load_b64 v[100:101], off, s1
	v_dual_mov_b32 v99, s17 :: v_dual_add_nc_u32 v98, -1, v98
	s_add_co_i32 s17, s17, 8
	s_wait_xcnt 0x0
	s_add_co_i32 s1, s1, 8
	ds_load_b64 v[102:103], v99
	v_cmp_eq_u32_e32 vcc_lo, 0, v98
	s_or_b32 s16, vcc_lo, s16
	s_wait_loadcnt_dscnt 0x0
	v_pk_mul_f32 v[104:105], v[102:103], v[100:101] op_sel:[1,1] op_sel_hi:[0,1]
	s_delay_alu instid0(VALU_DEP_1) | instskip(SKIP_1) | instid1(VALU_DEP_2)
	v_pk_fma_f32 v[106:107], v[102:103], v[100:101], v[104:105] op_sel_hi:[1,0,1]
	v_pk_fma_f32 v[100:101], v[102:103], v[100:101], v[104:105] neg_lo:[0,0,1] neg_hi:[0,0,1]
	v_mov_b32_e32 v101, v107
	s_delay_alu instid0(VALU_DEP_1)
	v_pk_add_f32 v[96:97], v[96:97], v[100:101]
	s_and_not1_b32 exec_lo, exec_lo, s16
	s_cbranch_execnz .LBB45_272
; %bb.273:
	s_or_b32 exec_lo, exec_lo, s16
.LBB45_274:
	s_delay_alu instid0(SALU_CYCLE_1) | instskip(SKIP_4) | instid1(VALU_DEP_1)
	s_or_b32 exec_lo, exec_lo, s15
	v_mov_b32_e32 v98, 0
	ds_load_b64 v[98:99], v98 offset:144
	s_wait_dscnt 0x0
	v_pk_mul_f32 v[100:101], v[96:97], v[98:99] op_sel:[1,1] op_sel_hi:[0,1]
	v_pk_fma_f32 v[102:103], v[96:97], v[98:99], v[100:101] op_sel_hi:[1,0,1]
	v_pk_fma_f32 v[96:97], v[96:97], v[98:99], v[100:101] neg_lo:[0,0,1] neg_hi:[0,0,1]
	s_delay_alu instid0(VALU_DEP_2)
	v_mov_b32_e32 v97, v103
	scratch_store_b64 off, v[96:97], off offset:144
.LBB45_275:
	s_wait_xcnt 0x0
	s_or_b32 exec_lo, exec_lo, s14
	scratch_load_b64 v[96:97], off, off offset:136
	v_cmp_lt_u32_e64 s1, 17, v0
	s_wait_loadcnt 0x0
	ds_store_b64 v1, v[96:97]
	s_wait_storecnt_dscnt 0x0
	s_barrier_signal -1
	s_barrier_wait -1
	s_wait_xcnt 0x0
	s_and_saveexec_b32 s14, s1
	s_cbranch_execz .LBB45_285
; %bb.276:
	s_and_not1_b32 vcc_lo, exec_lo, s3
	s_cbranch_vccnz .LBB45_278
; %bb.277:
	scratch_load_b64 v[96:97], v39, off
	ds_load_b64 v[98:99], v1
	s_wait_loadcnt_dscnt 0x0
	v_pk_mul_f32 v[100:101], v[98:99], v[96:97] op_sel:[1,1] op_sel_hi:[0,1]
	s_delay_alu instid0(VALU_DEP_1) | instskip(SKIP_1) | instid1(VALU_DEP_2)
	v_pk_fma_f32 v[102:103], v[98:99], v[96:97], v[100:101] op_sel_hi:[1,0,1]
	v_pk_fma_f32 v[96:97], v[98:99], v[96:97], v[100:101] neg_lo:[0,0,1] neg_hi:[0,0,1]
	v_mov_b32_e32 v97, v103
	s_cbranch_execz .LBB45_279
	s_branch .LBB45_280
.LBB45_278:
                                        ; implicit-def: $vgpr96_vgpr97
.LBB45_279:
	ds_load_b64 v[96:97], v1
.LBB45_280:
	s_and_saveexec_b32 s15, s0
	s_cbranch_execz .LBB45_284
; %bb.281:
	v_subrev_nc_u32_e32 v98, 18, v0
	s_movk_i32 s16, 0x200
	s_mov_b32 s0, 0
.LBB45_282:                             ; =>This Inner Loop Header: Depth=1
	scratch_load_b64 v[100:101], off, s13
	v_dual_mov_b32 v99, s16 :: v_dual_add_nc_u32 v98, -1, v98
	s_add_co_i32 s16, s16, 8
	s_wait_xcnt 0x0
	s_add_co_i32 s13, s13, 8
	ds_load_b64 v[102:103], v99
	v_cmp_eq_u32_e32 vcc_lo, 0, v98
	s_or_b32 s0, vcc_lo, s0
	s_wait_loadcnt_dscnt 0x0
	v_pk_mul_f32 v[104:105], v[102:103], v[100:101] op_sel:[1,1] op_sel_hi:[0,1]
	s_delay_alu instid0(VALU_DEP_1) | instskip(SKIP_1) | instid1(VALU_DEP_2)
	v_pk_fma_f32 v[106:107], v[102:103], v[100:101], v[104:105] op_sel_hi:[1,0,1]
	v_pk_fma_f32 v[100:101], v[102:103], v[100:101], v[104:105] neg_lo:[0,0,1] neg_hi:[0,0,1]
	v_mov_b32_e32 v101, v107
	s_delay_alu instid0(VALU_DEP_1)
	v_pk_add_f32 v[96:97], v[96:97], v[100:101]
	s_and_not1_b32 exec_lo, exec_lo, s0
	s_cbranch_execnz .LBB45_282
; %bb.283:
	s_or_b32 exec_lo, exec_lo, s0
.LBB45_284:
	s_delay_alu instid0(SALU_CYCLE_1) | instskip(SKIP_4) | instid1(VALU_DEP_1)
	s_or_b32 exec_lo, exec_lo, s15
	v_mov_b32_e32 v98, 0
	ds_load_b64 v[98:99], v98 offset:136
	s_wait_dscnt 0x0
	v_pk_mul_f32 v[100:101], v[96:97], v[98:99] op_sel:[1,1] op_sel_hi:[0,1]
	v_pk_fma_f32 v[102:103], v[96:97], v[98:99], v[100:101] op_sel_hi:[1,0,1]
	v_pk_fma_f32 v[96:97], v[96:97], v[98:99], v[100:101] neg_lo:[0,0,1] neg_hi:[0,0,1]
	s_delay_alu instid0(VALU_DEP_2)
	v_mov_b32_e32 v97, v103
	scratch_store_b64 off, v[96:97], off offset:136
.LBB45_285:
	s_wait_xcnt 0x0
	s_or_b32 exec_lo, exec_lo, s14
	scratch_load_b64 v[96:97], off, off offset:128
	v_cmp_lt_u32_e64 s0, 16, v0
	s_wait_loadcnt 0x0
	ds_store_b64 v1, v[96:97]
	s_wait_storecnt_dscnt 0x0
	s_barrier_signal -1
	s_barrier_wait -1
	s_wait_xcnt 0x0
	s_and_saveexec_b32 s13, s0
	s_cbranch_execz .LBB45_295
; %bb.286:
	s_and_not1_b32 vcc_lo, exec_lo, s3
	s_cbranch_vccnz .LBB45_288
; %bb.287:
	scratch_load_b64 v[96:97], v39, off
	ds_load_b64 v[98:99], v1
	s_wait_loadcnt_dscnt 0x0
	v_pk_mul_f32 v[100:101], v[98:99], v[96:97] op_sel:[1,1] op_sel_hi:[0,1]
	s_delay_alu instid0(VALU_DEP_1) | instskip(SKIP_1) | instid1(VALU_DEP_2)
	v_pk_fma_f32 v[102:103], v[98:99], v[96:97], v[100:101] op_sel_hi:[1,0,1]
	v_pk_fma_f32 v[96:97], v[98:99], v[96:97], v[100:101] neg_lo:[0,0,1] neg_hi:[0,0,1]
	v_mov_b32_e32 v97, v103
	s_cbranch_execz .LBB45_289
	s_branch .LBB45_290
.LBB45_288:
                                        ; implicit-def: $vgpr96_vgpr97
.LBB45_289:
	ds_load_b64 v[96:97], v1
.LBB45_290:
	s_and_saveexec_b32 s14, s1
	s_cbranch_execz .LBB45_294
; %bb.291:
	v_subrev_nc_u32_e32 v98, 17, v0
	s_movk_i32 s1, 0x88
	s_movk_i32 s16, 0x1f8
	s_mov_b32 s15, 0
.LBB45_292:                             ; =>This Inner Loop Header: Depth=1
	scratch_load_b64 v[100:101], off, s1
	v_dual_mov_b32 v99, s16 :: v_dual_add_nc_u32 v98, -1, v98
	s_add_co_i32 s16, s16, 8
	s_wait_xcnt 0x0
	s_add_co_i32 s1, s1, 8
	ds_load_b64 v[102:103], v99
	v_cmp_eq_u32_e32 vcc_lo, 0, v98
	s_or_b32 s15, vcc_lo, s15
	s_wait_loadcnt_dscnt 0x0
	v_pk_mul_f32 v[104:105], v[102:103], v[100:101] op_sel:[1,1] op_sel_hi:[0,1]
	s_delay_alu instid0(VALU_DEP_1) | instskip(SKIP_1) | instid1(VALU_DEP_2)
	v_pk_fma_f32 v[106:107], v[102:103], v[100:101], v[104:105] op_sel_hi:[1,0,1]
	v_pk_fma_f32 v[100:101], v[102:103], v[100:101], v[104:105] neg_lo:[0,0,1] neg_hi:[0,0,1]
	v_mov_b32_e32 v101, v107
	s_delay_alu instid0(VALU_DEP_1)
	v_pk_add_f32 v[96:97], v[96:97], v[100:101]
	s_and_not1_b32 exec_lo, exec_lo, s15
	s_cbranch_execnz .LBB45_292
; %bb.293:
	s_or_b32 exec_lo, exec_lo, s15
.LBB45_294:
	s_delay_alu instid0(SALU_CYCLE_1) | instskip(SKIP_4) | instid1(VALU_DEP_1)
	s_or_b32 exec_lo, exec_lo, s14
	v_mov_b32_e32 v98, 0
	ds_load_b64 v[98:99], v98 offset:128
	s_wait_dscnt 0x0
	v_pk_mul_f32 v[100:101], v[96:97], v[98:99] op_sel:[1,1] op_sel_hi:[0,1]
	v_pk_fma_f32 v[102:103], v[96:97], v[98:99], v[100:101] op_sel_hi:[1,0,1]
	v_pk_fma_f32 v[96:97], v[96:97], v[98:99], v[100:101] neg_lo:[0,0,1] neg_hi:[0,0,1]
	s_delay_alu instid0(VALU_DEP_2)
	v_mov_b32_e32 v97, v103
	scratch_store_b64 off, v[96:97], off offset:128
.LBB45_295:
	s_wait_xcnt 0x0
	s_or_b32 exec_lo, exec_lo, s13
	scratch_load_b64 v[96:97], off, off offset:120
	v_cmp_lt_u32_e64 s1, 15, v0
	s_wait_loadcnt 0x0
	ds_store_b64 v1, v[96:97]
	s_wait_storecnt_dscnt 0x0
	s_barrier_signal -1
	s_barrier_wait -1
	s_wait_xcnt 0x0
	s_and_saveexec_b32 s13, s1
	s_cbranch_execz .LBB45_305
; %bb.296:
	s_and_not1_b32 vcc_lo, exec_lo, s3
	s_cbranch_vccnz .LBB45_298
; %bb.297:
	scratch_load_b64 v[96:97], v39, off
	ds_load_b64 v[98:99], v1
	s_wait_loadcnt_dscnt 0x0
	v_pk_mul_f32 v[100:101], v[98:99], v[96:97] op_sel:[1,1] op_sel_hi:[0,1]
	s_delay_alu instid0(VALU_DEP_1) | instskip(SKIP_1) | instid1(VALU_DEP_2)
	v_pk_fma_f32 v[102:103], v[98:99], v[96:97], v[100:101] op_sel_hi:[1,0,1]
	v_pk_fma_f32 v[96:97], v[98:99], v[96:97], v[100:101] neg_lo:[0,0,1] neg_hi:[0,0,1]
	v_mov_b32_e32 v97, v103
	s_cbranch_execz .LBB45_299
	s_branch .LBB45_300
.LBB45_298:
                                        ; implicit-def: $vgpr96_vgpr97
.LBB45_299:
	ds_load_b64 v[96:97], v1
.LBB45_300:
	s_and_saveexec_b32 s14, s0
	s_cbranch_execz .LBB45_304
; %bb.301:
	v_add_nc_u32_e32 v98, -16, v0
	s_movk_i32 s15, 0x1f0
	s_mov_b32 s0, 0
.LBB45_302:                             ; =>This Inner Loop Header: Depth=1
	scratch_load_b64 v[100:101], off, s12
	v_dual_mov_b32 v99, s15 :: v_dual_add_nc_u32 v98, -1, v98
	s_add_co_i32 s15, s15, 8
	s_wait_xcnt 0x0
	s_add_co_i32 s12, s12, 8
	ds_load_b64 v[102:103], v99
	v_cmp_eq_u32_e32 vcc_lo, 0, v98
	s_or_b32 s0, vcc_lo, s0
	s_wait_loadcnt_dscnt 0x0
	v_pk_mul_f32 v[104:105], v[102:103], v[100:101] op_sel:[1,1] op_sel_hi:[0,1]
	s_delay_alu instid0(VALU_DEP_1) | instskip(SKIP_1) | instid1(VALU_DEP_2)
	v_pk_fma_f32 v[106:107], v[102:103], v[100:101], v[104:105] op_sel_hi:[1,0,1]
	v_pk_fma_f32 v[100:101], v[102:103], v[100:101], v[104:105] neg_lo:[0,0,1] neg_hi:[0,0,1]
	v_mov_b32_e32 v101, v107
	s_delay_alu instid0(VALU_DEP_1)
	v_pk_add_f32 v[96:97], v[96:97], v[100:101]
	s_and_not1_b32 exec_lo, exec_lo, s0
	s_cbranch_execnz .LBB45_302
; %bb.303:
	s_or_b32 exec_lo, exec_lo, s0
.LBB45_304:
	s_delay_alu instid0(SALU_CYCLE_1) | instskip(SKIP_4) | instid1(VALU_DEP_1)
	s_or_b32 exec_lo, exec_lo, s14
	v_mov_b32_e32 v98, 0
	ds_load_b64 v[98:99], v98 offset:120
	s_wait_dscnt 0x0
	v_pk_mul_f32 v[100:101], v[96:97], v[98:99] op_sel:[1,1] op_sel_hi:[0,1]
	v_pk_fma_f32 v[102:103], v[96:97], v[98:99], v[100:101] op_sel_hi:[1,0,1]
	v_pk_fma_f32 v[96:97], v[96:97], v[98:99], v[100:101] neg_lo:[0,0,1] neg_hi:[0,0,1]
	s_delay_alu instid0(VALU_DEP_2)
	v_mov_b32_e32 v97, v103
	scratch_store_b64 off, v[96:97], off offset:120
.LBB45_305:
	s_wait_xcnt 0x0
	s_or_b32 exec_lo, exec_lo, s13
	scratch_load_b64 v[96:97], off, off offset:112
	v_cmp_lt_u32_e64 s0, 14, v0
	s_wait_loadcnt 0x0
	ds_store_b64 v1, v[96:97]
	s_wait_storecnt_dscnt 0x0
	s_barrier_signal -1
	s_barrier_wait -1
	s_wait_xcnt 0x0
	s_and_saveexec_b32 s12, s0
	s_cbranch_execz .LBB45_315
; %bb.306:
	s_and_not1_b32 vcc_lo, exec_lo, s3
	s_cbranch_vccnz .LBB45_308
; %bb.307:
	scratch_load_b64 v[96:97], v39, off
	ds_load_b64 v[98:99], v1
	s_wait_loadcnt_dscnt 0x0
	v_pk_mul_f32 v[100:101], v[98:99], v[96:97] op_sel:[1,1] op_sel_hi:[0,1]
	s_delay_alu instid0(VALU_DEP_1) | instskip(SKIP_1) | instid1(VALU_DEP_2)
	v_pk_fma_f32 v[102:103], v[98:99], v[96:97], v[100:101] op_sel_hi:[1,0,1]
	v_pk_fma_f32 v[96:97], v[98:99], v[96:97], v[100:101] neg_lo:[0,0,1] neg_hi:[0,0,1]
	v_mov_b32_e32 v97, v103
	s_cbranch_execz .LBB45_309
	s_branch .LBB45_310
.LBB45_308:
                                        ; implicit-def: $vgpr96_vgpr97
.LBB45_309:
	ds_load_b64 v[96:97], v1
.LBB45_310:
	s_and_saveexec_b32 s13, s1
	s_cbranch_execz .LBB45_314
; %bb.311:
	v_add_nc_u32_e32 v98, -15, v0
	s_movk_i32 s1, 0x78
	s_movk_i32 s15, 0x1e8
	s_mov_b32 s14, 0
.LBB45_312:                             ; =>This Inner Loop Header: Depth=1
	scratch_load_b64 v[100:101], off, s1
	v_dual_mov_b32 v99, s15 :: v_dual_add_nc_u32 v98, -1, v98
	s_add_co_i32 s15, s15, 8
	s_wait_xcnt 0x0
	s_add_co_i32 s1, s1, 8
	ds_load_b64 v[102:103], v99
	v_cmp_eq_u32_e32 vcc_lo, 0, v98
	s_or_b32 s14, vcc_lo, s14
	s_wait_loadcnt_dscnt 0x0
	v_pk_mul_f32 v[104:105], v[102:103], v[100:101] op_sel:[1,1] op_sel_hi:[0,1]
	s_delay_alu instid0(VALU_DEP_1) | instskip(SKIP_1) | instid1(VALU_DEP_2)
	v_pk_fma_f32 v[106:107], v[102:103], v[100:101], v[104:105] op_sel_hi:[1,0,1]
	v_pk_fma_f32 v[100:101], v[102:103], v[100:101], v[104:105] neg_lo:[0,0,1] neg_hi:[0,0,1]
	v_mov_b32_e32 v101, v107
	s_delay_alu instid0(VALU_DEP_1)
	v_pk_add_f32 v[96:97], v[96:97], v[100:101]
	s_and_not1_b32 exec_lo, exec_lo, s14
	s_cbranch_execnz .LBB45_312
; %bb.313:
	s_or_b32 exec_lo, exec_lo, s14
.LBB45_314:
	s_delay_alu instid0(SALU_CYCLE_1) | instskip(SKIP_4) | instid1(VALU_DEP_1)
	s_or_b32 exec_lo, exec_lo, s13
	v_mov_b32_e32 v98, 0
	ds_load_b64 v[98:99], v98 offset:112
	s_wait_dscnt 0x0
	v_pk_mul_f32 v[100:101], v[96:97], v[98:99] op_sel:[1,1] op_sel_hi:[0,1]
	v_pk_fma_f32 v[102:103], v[96:97], v[98:99], v[100:101] op_sel_hi:[1,0,1]
	v_pk_fma_f32 v[96:97], v[96:97], v[98:99], v[100:101] neg_lo:[0,0,1] neg_hi:[0,0,1]
	s_delay_alu instid0(VALU_DEP_2)
	v_mov_b32_e32 v97, v103
	scratch_store_b64 off, v[96:97], off offset:112
.LBB45_315:
	s_wait_xcnt 0x0
	s_or_b32 exec_lo, exec_lo, s12
	scratch_load_b64 v[96:97], off, off offset:104
	v_cmp_lt_u32_e64 s1, 13, v0
	s_wait_loadcnt 0x0
	ds_store_b64 v1, v[96:97]
	s_wait_storecnt_dscnt 0x0
	s_barrier_signal -1
	s_barrier_wait -1
	s_wait_xcnt 0x0
	s_and_saveexec_b32 s12, s1
	s_cbranch_execz .LBB45_325
; %bb.316:
	s_and_not1_b32 vcc_lo, exec_lo, s3
	s_cbranch_vccnz .LBB45_318
; %bb.317:
	scratch_load_b64 v[96:97], v39, off
	ds_load_b64 v[98:99], v1
	s_wait_loadcnt_dscnt 0x0
	v_pk_mul_f32 v[100:101], v[98:99], v[96:97] op_sel:[1,1] op_sel_hi:[0,1]
	s_delay_alu instid0(VALU_DEP_1) | instskip(SKIP_1) | instid1(VALU_DEP_2)
	v_pk_fma_f32 v[102:103], v[98:99], v[96:97], v[100:101] op_sel_hi:[1,0,1]
	v_pk_fma_f32 v[96:97], v[98:99], v[96:97], v[100:101] neg_lo:[0,0,1] neg_hi:[0,0,1]
	v_mov_b32_e32 v97, v103
	s_cbranch_execz .LBB45_319
	s_branch .LBB45_320
.LBB45_318:
                                        ; implicit-def: $vgpr96_vgpr97
.LBB45_319:
	ds_load_b64 v[96:97], v1
.LBB45_320:
	s_and_saveexec_b32 s13, s0
	s_cbranch_execz .LBB45_324
; %bb.321:
	v_add_nc_u32_e32 v98, -14, v0
	s_movk_i32 s14, 0x1e0
	s_mov_b32 s0, 0
.LBB45_322:                             ; =>This Inner Loop Header: Depth=1
	scratch_load_b64 v[100:101], off, s11
	v_dual_mov_b32 v99, s14 :: v_dual_add_nc_u32 v98, -1, v98
	s_add_co_i32 s14, s14, 8
	s_wait_xcnt 0x0
	s_add_co_i32 s11, s11, 8
	ds_load_b64 v[102:103], v99
	v_cmp_eq_u32_e32 vcc_lo, 0, v98
	s_or_b32 s0, vcc_lo, s0
	s_wait_loadcnt_dscnt 0x0
	v_pk_mul_f32 v[104:105], v[102:103], v[100:101] op_sel:[1,1] op_sel_hi:[0,1]
	s_delay_alu instid0(VALU_DEP_1) | instskip(SKIP_1) | instid1(VALU_DEP_2)
	v_pk_fma_f32 v[106:107], v[102:103], v[100:101], v[104:105] op_sel_hi:[1,0,1]
	v_pk_fma_f32 v[100:101], v[102:103], v[100:101], v[104:105] neg_lo:[0,0,1] neg_hi:[0,0,1]
	v_mov_b32_e32 v101, v107
	s_delay_alu instid0(VALU_DEP_1)
	v_pk_add_f32 v[96:97], v[96:97], v[100:101]
	s_and_not1_b32 exec_lo, exec_lo, s0
	s_cbranch_execnz .LBB45_322
; %bb.323:
	s_or_b32 exec_lo, exec_lo, s0
.LBB45_324:
	s_delay_alu instid0(SALU_CYCLE_1) | instskip(SKIP_4) | instid1(VALU_DEP_1)
	s_or_b32 exec_lo, exec_lo, s13
	v_mov_b32_e32 v98, 0
	ds_load_b64 v[98:99], v98 offset:104
	s_wait_dscnt 0x0
	v_pk_mul_f32 v[100:101], v[96:97], v[98:99] op_sel:[1,1] op_sel_hi:[0,1]
	v_pk_fma_f32 v[102:103], v[96:97], v[98:99], v[100:101] op_sel_hi:[1,0,1]
	v_pk_fma_f32 v[96:97], v[96:97], v[98:99], v[100:101] neg_lo:[0,0,1] neg_hi:[0,0,1]
	s_delay_alu instid0(VALU_DEP_2)
	v_mov_b32_e32 v97, v103
	scratch_store_b64 off, v[96:97], off offset:104
.LBB45_325:
	s_wait_xcnt 0x0
	s_or_b32 exec_lo, exec_lo, s12
	scratch_load_b64 v[96:97], off, off offset:96
	v_cmp_lt_u32_e64 s0, 12, v0
	s_wait_loadcnt 0x0
	ds_store_b64 v1, v[96:97]
	s_wait_storecnt_dscnt 0x0
	s_barrier_signal -1
	s_barrier_wait -1
	s_wait_xcnt 0x0
	s_and_saveexec_b32 s11, s0
	s_cbranch_execz .LBB45_335
; %bb.326:
	s_and_not1_b32 vcc_lo, exec_lo, s3
	s_cbranch_vccnz .LBB45_328
; %bb.327:
	scratch_load_b64 v[96:97], v39, off
	ds_load_b64 v[98:99], v1
	s_wait_loadcnt_dscnt 0x0
	v_pk_mul_f32 v[100:101], v[98:99], v[96:97] op_sel:[1,1] op_sel_hi:[0,1]
	s_delay_alu instid0(VALU_DEP_1) | instskip(SKIP_1) | instid1(VALU_DEP_2)
	v_pk_fma_f32 v[102:103], v[98:99], v[96:97], v[100:101] op_sel_hi:[1,0,1]
	v_pk_fma_f32 v[96:97], v[98:99], v[96:97], v[100:101] neg_lo:[0,0,1] neg_hi:[0,0,1]
	v_mov_b32_e32 v97, v103
	s_cbranch_execz .LBB45_329
	s_branch .LBB45_330
.LBB45_328:
                                        ; implicit-def: $vgpr96_vgpr97
.LBB45_329:
	ds_load_b64 v[96:97], v1
.LBB45_330:
	s_and_saveexec_b32 s12, s1
	s_cbranch_execz .LBB45_334
; %bb.331:
	v_add_nc_u32_e32 v98, -13, v0
	s_movk_i32 s1, 0x68
	s_movk_i32 s14, 0x1d8
	s_mov_b32 s13, 0
.LBB45_332:                             ; =>This Inner Loop Header: Depth=1
	scratch_load_b64 v[100:101], off, s1
	v_dual_mov_b32 v99, s14 :: v_dual_add_nc_u32 v98, -1, v98
	s_add_co_i32 s14, s14, 8
	s_wait_xcnt 0x0
	s_add_co_i32 s1, s1, 8
	ds_load_b64 v[102:103], v99
	v_cmp_eq_u32_e32 vcc_lo, 0, v98
	s_or_b32 s13, vcc_lo, s13
	s_wait_loadcnt_dscnt 0x0
	v_pk_mul_f32 v[104:105], v[102:103], v[100:101] op_sel:[1,1] op_sel_hi:[0,1]
	s_delay_alu instid0(VALU_DEP_1) | instskip(SKIP_1) | instid1(VALU_DEP_2)
	v_pk_fma_f32 v[106:107], v[102:103], v[100:101], v[104:105] op_sel_hi:[1,0,1]
	v_pk_fma_f32 v[100:101], v[102:103], v[100:101], v[104:105] neg_lo:[0,0,1] neg_hi:[0,0,1]
	v_mov_b32_e32 v101, v107
	s_delay_alu instid0(VALU_DEP_1)
	v_pk_add_f32 v[96:97], v[96:97], v[100:101]
	s_and_not1_b32 exec_lo, exec_lo, s13
	s_cbranch_execnz .LBB45_332
; %bb.333:
	s_or_b32 exec_lo, exec_lo, s13
.LBB45_334:
	s_delay_alu instid0(SALU_CYCLE_1) | instskip(SKIP_4) | instid1(VALU_DEP_1)
	s_or_b32 exec_lo, exec_lo, s12
	v_mov_b32_e32 v98, 0
	ds_load_b64 v[98:99], v98 offset:96
	s_wait_dscnt 0x0
	v_pk_mul_f32 v[100:101], v[96:97], v[98:99] op_sel:[1,1] op_sel_hi:[0,1]
	v_pk_fma_f32 v[102:103], v[96:97], v[98:99], v[100:101] op_sel_hi:[1,0,1]
	v_pk_fma_f32 v[96:97], v[96:97], v[98:99], v[100:101] neg_lo:[0,0,1] neg_hi:[0,0,1]
	s_delay_alu instid0(VALU_DEP_2)
	v_mov_b32_e32 v97, v103
	scratch_store_b64 off, v[96:97], off offset:96
.LBB45_335:
	s_wait_xcnt 0x0
	s_or_b32 exec_lo, exec_lo, s11
	scratch_load_b64 v[96:97], off, off offset:88
	v_cmp_lt_u32_e64 s1, 11, v0
	s_wait_loadcnt 0x0
	ds_store_b64 v1, v[96:97]
	s_wait_storecnt_dscnt 0x0
	s_barrier_signal -1
	s_barrier_wait -1
	s_wait_xcnt 0x0
	s_and_saveexec_b32 s11, s1
	s_cbranch_execz .LBB45_345
; %bb.336:
	s_and_not1_b32 vcc_lo, exec_lo, s3
	s_cbranch_vccnz .LBB45_338
; %bb.337:
	scratch_load_b64 v[96:97], v39, off
	ds_load_b64 v[98:99], v1
	s_wait_loadcnt_dscnt 0x0
	v_pk_mul_f32 v[100:101], v[98:99], v[96:97] op_sel:[1,1] op_sel_hi:[0,1]
	s_delay_alu instid0(VALU_DEP_1) | instskip(SKIP_1) | instid1(VALU_DEP_2)
	v_pk_fma_f32 v[102:103], v[98:99], v[96:97], v[100:101] op_sel_hi:[1,0,1]
	v_pk_fma_f32 v[96:97], v[98:99], v[96:97], v[100:101] neg_lo:[0,0,1] neg_hi:[0,0,1]
	v_mov_b32_e32 v97, v103
	s_cbranch_execz .LBB45_339
	s_branch .LBB45_340
.LBB45_338:
                                        ; implicit-def: $vgpr96_vgpr97
.LBB45_339:
	ds_load_b64 v[96:97], v1
.LBB45_340:
	s_and_saveexec_b32 s12, s0
	s_cbranch_execz .LBB45_344
; %bb.341:
	v_add_nc_u32_e32 v98, -12, v0
	s_movk_i32 s13, 0x1d0
	s_mov_b32 s0, 0
.LBB45_342:                             ; =>This Inner Loop Header: Depth=1
	scratch_load_b64 v[100:101], off, s10
	v_dual_mov_b32 v99, s13 :: v_dual_add_nc_u32 v98, -1, v98
	s_add_co_i32 s13, s13, 8
	s_wait_xcnt 0x0
	s_add_co_i32 s10, s10, 8
	ds_load_b64 v[102:103], v99
	v_cmp_eq_u32_e32 vcc_lo, 0, v98
	s_or_b32 s0, vcc_lo, s0
	s_wait_loadcnt_dscnt 0x0
	v_pk_mul_f32 v[104:105], v[102:103], v[100:101] op_sel:[1,1] op_sel_hi:[0,1]
	s_delay_alu instid0(VALU_DEP_1) | instskip(SKIP_1) | instid1(VALU_DEP_2)
	v_pk_fma_f32 v[106:107], v[102:103], v[100:101], v[104:105] op_sel_hi:[1,0,1]
	v_pk_fma_f32 v[100:101], v[102:103], v[100:101], v[104:105] neg_lo:[0,0,1] neg_hi:[0,0,1]
	v_mov_b32_e32 v101, v107
	s_delay_alu instid0(VALU_DEP_1)
	v_pk_add_f32 v[96:97], v[96:97], v[100:101]
	s_and_not1_b32 exec_lo, exec_lo, s0
	s_cbranch_execnz .LBB45_342
; %bb.343:
	s_or_b32 exec_lo, exec_lo, s0
.LBB45_344:
	s_delay_alu instid0(SALU_CYCLE_1) | instskip(SKIP_4) | instid1(VALU_DEP_1)
	s_or_b32 exec_lo, exec_lo, s12
	v_mov_b32_e32 v98, 0
	ds_load_b64 v[98:99], v98 offset:88
	s_wait_dscnt 0x0
	v_pk_mul_f32 v[100:101], v[96:97], v[98:99] op_sel:[1,1] op_sel_hi:[0,1]
	v_pk_fma_f32 v[102:103], v[96:97], v[98:99], v[100:101] op_sel_hi:[1,0,1]
	v_pk_fma_f32 v[96:97], v[96:97], v[98:99], v[100:101] neg_lo:[0,0,1] neg_hi:[0,0,1]
	s_delay_alu instid0(VALU_DEP_2)
	v_mov_b32_e32 v97, v103
	scratch_store_b64 off, v[96:97], off offset:88
.LBB45_345:
	s_wait_xcnt 0x0
	s_or_b32 exec_lo, exec_lo, s11
	scratch_load_b64 v[96:97], off, off offset:80
	v_cmp_lt_u32_e64 s0, 10, v0
	s_wait_loadcnt 0x0
	ds_store_b64 v1, v[96:97]
	s_wait_storecnt_dscnt 0x0
	s_barrier_signal -1
	s_barrier_wait -1
	s_wait_xcnt 0x0
	s_and_saveexec_b32 s10, s0
	s_cbranch_execz .LBB45_355
; %bb.346:
	s_and_not1_b32 vcc_lo, exec_lo, s3
	s_cbranch_vccnz .LBB45_348
; %bb.347:
	scratch_load_b64 v[96:97], v39, off
	ds_load_b64 v[98:99], v1
	s_wait_loadcnt_dscnt 0x0
	v_pk_mul_f32 v[100:101], v[98:99], v[96:97] op_sel:[1,1] op_sel_hi:[0,1]
	s_delay_alu instid0(VALU_DEP_1) | instskip(SKIP_1) | instid1(VALU_DEP_2)
	v_pk_fma_f32 v[102:103], v[98:99], v[96:97], v[100:101] op_sel_hi:[1,0,1]
	v_pk_fma_f32 v[96:97], v[98:99], v[96:97], v[100:101] neg_lo:[0,0,1] neg_hi:[0,0,1]
	v_mov_b32_e32 v97, v103
	s_cbranch_execz .LBB45_349
	s_branch .LBB45_350
.LBB45_348:
                                        ; implicit-def: $vgpr96_vgpr97
.LBB45_349:
	ds_load_b64 v[96:97], v1
.LBB45_350:
	s_and_saveexec_b32 s11, s1
	s_cbranch_execz .LBB45_354
; %bb.351:
	v_add_nc_u32_e32 v98, -11, v0
	s_movk_i32 s1, 0x58
	s_movk_i32 s13, 0x1c8
	s_mov_b32 s12, 0
.LBB45_352:                             ; =>This Inner Loop Header: Depth=1
	scratch_load_b64 v[100:101], off, s1
	v_dual_mov_b32 v99, s13 :: v_dual_add_nc_u32 v98, -1, v98
	s_add_co_i32 s13, s13, 8
	s_wait_xcnt 0x0
	s_add_co_i32 s1, s1, 8
	ds_load_b64 v[102:103], v99
	v_cmp_eq_u32_e32 vcc_lo, 0, v98
	s_or_b32 s12, vcc_lo, s12
	s_wait_loadcnt_dscnt 0x0
	v_pk_mul_f32 v[104:105], v[102:103], v[100:101] op_sel:[1,1] op_sel_hi:[0,1]
	s_delay_alu instid0(VALU_DEP_1) | instskip(SKIP_1) | instid1(VALU_DEP_2)
	v_pk_fma_f32 v[106:107], v[102:103], v[100:101], v[104:105] op_sel_hi:[1,0,1]
	v_pk_fma_f32 v[100:101], v[102:103], v[100:101], v[104:105] neg_lo:[0,0,1] neg_hi:[0,0,1]
	v_mov_b32_e32 v101, v107
	s_delay_alu instid0(VALU_DEP_1)
	v_pk_add_f32 v[96:97], v[96:97], v[100:101]
	s_and_not1_b32 exec_lo, exec_lo, s12
	s_cbranch_execnz .LBB45_352
; %bb.353:
	s_or_b32 exec_lo, exec_lo, s12
.LBB45_354:
	s_delay_alu instid0(SALU_CYCLE_1) | instskip(SKIP_4) | instid1(VALU_DEP_1)
	s_or_b32 exec_lo, exec_lo, s11
	v_mov_b32_e32 v98, 0
	ds_load_b64 v[98:99], v98 offset:80
	s_wait_dscnt 0x0
	v_pk_mul_f32 v[100:101], v[96:97], v[98:99] op_sel:[1,1] op_sel_hi:[0,1]
	v_pk_fma_f32 v[102:103], v[96:97], v[98:99], v[100:101] op_sel_hi:[1,0,1]
	v_pk_fma_f32 v[96:97], v[96:97], v[98:99], v[100:101] neg_lo:[0,0,1] neg_hi:[0,0,1]
	s_delay_alu instid0(VALU_DEP_2)
	v_mov_b32_e32 v97, v103
	scratch_store_b64 off, v[96:97], off offset:80
.LBB45_355:
	s_wait_xcnt 0x0
	s_or_b32 exec_lo, exec_lo, s10
	scratch_load_b64 v[96:97], off, off offset:72
	v_cmp_lt_u32_e64 s1, 9, v0
	s_wait_loadcnt 0x0
	ds_store_b64 v1, v[96:97]
	s_wait_storecnt_dscnt 0x0
	s_barrier_signal -1
	s_barrier_wait -1
	s_wait_xcnt 0x0
	s_and_saveexec_b32 s10, s1
	s_cbranch_execz .LBB45_365
; %bb.356:
	s_and_not1_b32 vcc_lo, exec_lo, s3
	s_cbranch_vccnz .LBB45_358
; %bb.357:
	scratch_load_b64 v[96:97], v39, off
	ds_load_b64 v[98:99], v1
	s_wait_loadcnt_dscnt 0x0
	v_pk_mul_f32 v[100:101], v[98:99], v[96:97] op_sel:[1,1] op_sel_hi:[0,1]
	s_delay_alu instid0(VALU_DEP_1) | instskip(SKIP_1) | instid1(VALU_DEP_2)
	v_pk_fma_f32 v[102:103], v[98:99], v[96:97], v[100:101] op_sel_hi:[1,0,1]
	v_pk_fma_f32 v[96:97], v[98:99], v[96:97], v[100:101] neg_lo:[0,0,1] neg_hi:[0,0,1]
	v_mov_b32_e32 v97, v103
	s_cbranch_execz .LBB45_359
	s_branch .LBB45_360
.LBB45_358:
                                        ; implicit-def: $vgpr96_vgpr97
.LBB45_359:
	ds_load_b64 v[96:97], v1
.LBB45_360:
	s_and_saveexec_b32 s11, s0
	s_cbranch_execz .LBB45_364
; %bb.361:
	v_add_nc_u32_e32 v98, -10, v0
	s_movk_i32 s12, 0x1c0
	s_mov_b32 s0, 0
.LBB45_362:                             ; =>This Inner Loop Header: Depth=1
	scratch_load_b64 v[100:101], off, s9
	v_dual_mov_b32 v99, s12 :: v_dual_add_nc_u32 v98, -1, v98
	s_add_co_i32 s12, s12, 8
	s_wait_xcnt 0x0
	s_add_co_i32 s9, s9, 8
	ds_load_b64 v[102:103], v99
	v_cmp_eq_u32_e32 vcc_lo, 0, v98
	s_or_b32 s0, vcc_lo, s0
	s_wait_loadcnt_dscnt 0x0
	v_pk_mul_f32 v[104:105], v[102:103], v[100:101] op_sel:[1,1] op_sel_hi:[0,1]
	s_delay_alu instid0(VALU_DEP_1) | instskip(SKIP_1) | instid1(VALU_DEP_2)
	v_pk_fma_f32 v[106:107], v[102:103], v[100:101], v[104:105] op_sel_hi:[1,0,1]
	v_pk_fma_f32 v[100:101], v[102:103], v[100:101], v[104:105] neg_lo:[0,0,1] neg_hi:[0,0,1]
	v_mov_b32_e32 v101, v107
	s_delay_alu instid0(VALU_DEP_1)
	v_pk_add_f32 v[96:97], v[96:97], v[100:101]
	s_and_not1_b32 exec_lo, exec_lo, s0
	s_cbranch_execnz .LBB45_362
; %bb.363:
	s_or_b32 exec_lo, exec_lo, s0
.LBB45_364:
	s_delay_alu instid0(SALU_CYCLE_1) | instskip(SKIP_4) | instid1(VALU_DEP_1)
	s_or_b32 exec_lo, exec_lo, s11
	v_mov_b32_e32 v98, 0
	ds_load_b64 v[98:99], v98 offset:72
	s_wait_dscnt 0x0
	v_pk_mul_f32 v[100:101], v[96:97], v[98:99] op_sel:[1,1] op_sel_hi:[0,1]
	v_pk_fma_f32 v[102:103], v[96:97], v[98:99], v[100:101] op_sel_hi:[1,0,1]
	v_pk_fma_f32 v[96:97], v[96:97], v[98:99], v[100:101] neg_lo:[0,0,1] neg_hi:[0,0,1]
	s_delay_alu instid0(VALU_DEP_2)
	v_mov_b32_e32 v97, v103
	scratch_store_b64 off, v[96:97], off offset:72
.LBB45_365:
	s_wait_xcnt 0x0
	s_or_b32 exec_lo, exec_lo, s10
	scratch_load_b64 v[96:97], off, off offset:64
	v_cmp_lt_u32_e64 s0, 8, v0
	s_wait_loadcnt 0x0
	ds_store_b64 v1, v[96:97]
	s_wait_storecnt_dscnt 0x0
	s_barrier_signal -1
	s_barrier_wait -1
	s_wait_xcnt 0x0
	s_and_saveexec_b32 s9, s0
	s_cbranch_execz .LBB45_375
; %bb.366:
	s_and_not1_b32 vcc_lo, exec_lo, s3
	s_cbranch_vccnz .LBB45_368
; %bb.367:
	scratch_load_b64 v[96:97], v39, off
	ds_load_b64 v[98:99], v1
	s_wait_loadcnt_dscnt 0x0
	v_pk_mul_f32 v[100:101], v[98:99], v[96:97] op_sel:[1,1] op_sel_hi:[0,1]
	s_delay_alu instid0(VALU_DEP_1) | instskip(SKIP_1) | instid1(VALU_DEP_2)
	v_pk_fma_f32 v[102:103], v[98:99], v[96:97], v[100:101] op_sel_hi:[1,0,1]
	v_pk_fma_f32 v[96:97], v[98:99], v[96:97], v[100:101] neg_lo:[0,0,1] neg_hi:[0,0,1]
	v_mov_b32_e32 v97, v103
	s_cbranch_execz .LBB45_369
	s_branch .LBB45_370
.LBB45_368:
                                        ; implicit-def: $vgpr96_vgpr97
.LBB45_369:
	ds_load_b64 v[96:97], v1
.LBB45_370:
	s_and_saveexec_b32 s10, s1
	s_cbranch_execz .LBB45_374
; %bb.371:
	v_add_nc_u32_e32 v98, -9, v0
	s_movk_i32 s1, 0x48
	s_movk_i32 s12, 0x1b8
	s_mov_b32 s11, 0
.LBB45_372:                             ; =>This Inner Loop Header: Depth=1
	scratch_load_b64 v[100:101], off, s1
	v_dual_mov_b32 v99, s12 :: v_dual_add_nc_u32 v98, -1, v98
	s_add_co_i32 s12, s12, 8
	s_wait_xcnt 0x0
	s_add_co_i32 s1, s1, 8
	ds_load_b64 v[102:103], v99
	v_cmp_eq_u32_e32 vcc_lo, 0, v98
	s_or_b32 s11, vcc_lo, s11
	s_wait_loadcnt_dscnt 0x0
	v_pk_mul_f32 v[104:105], v[102:103], v[100:101] op_sel:[1,1] op_sel_hi:[0,1]
	s_delay_alu instid0(VALU_DEP_1) | instskip(SKIP_1) | instid1(VALU_DEP_2)
	v_pk_fma_f32 v[106:107], v[102:103], v[100:101], v[104:105] op_sel_hi:[1,0,1]
	v_pk_fma_f32 v[100:101], v[102:103], v[100:101], v[104:105] neg_lo:[0,0,1] neg_hi:[0,0,1]
	v_mov_b32_e32 v101, v107
	s_delay_alu instid0(VALU_DEP_1)
	v_pk_add_f32 v[96:97], v[96:97], v[100:101]
	s_and_not1_b32 exec_lo, exec_lo, s11
	s_cbranch_execnz .LBB45_372
; %bb.373:
	s_or_b32 exec_lo, exec_lo, s11
.LBB45_374:
	s_delay_alu instid0(SALU_CYCLE_1) | instskip(SKIP_4) | instid1(VALU_DEP_1)
	s_or_b32 exec_lo, exec_lo, s10
	v_mov_b32_e32 v98, 0
	ds_load_b64 v[98:99], v98 offset:64
	s_wait_dscnt 0x0
	v_pk_mul_f32 v[100:101], v[96:97], v[98:99] op_sel:[1,1] op_sel_hi:[0,1]
	v_pk_fma_f32 v[102:103], v[96:97], v[98:99], v[100:101] op_sel_hi:[1,0,1]
	v_pk_fma_f32 v[96:97], v[96:97], v[98:99], v[100:101] neg_lo:[0,0,1] neg_hi:[0,0,1]
	s_delay_alu instid0(VALU_DEP_2)
	v_mov_b32_e32 v97, v103
	scratch_store_b64 off, v[96:97], off offset:64
.LBB45_375:
	s_wait_xcnt 0x0
	s_or_b32 exec_lo, exec_lo, s9
	scratch_load_b64 v[96:97], off, off offset:56
	v_cmp_lt_u32_e64 s1, 7, v0
	s_wait_loadcnt 0x0
	ds_store_b64 v1, v[96:97]
	s_wait_storecnt_dscnt 0x0
	s_barrier_signal -1
	s_barrier_wait -1
	s_wait_xcnt 0x0
	s_and_saveexec_b32 s9, s1
	s_cbranch_execz .LBB45_385
; %bb.376:
	s_and_not1_b32 vcc_lo, exec_lo, s3
	s_cbranch_vccnz .LBB45_378
; %bb.377:
	scratch_load_b64 v[96:97], v39, off
	ds_load_b64 v[98:99], v1
	s_wait_loadcnt_dscnt 0x0
	v_pk_mul_f32 v[100:101], v[98:99], v[96:97] op_sel:[1,1] op_sel_hi:[0,1]
	s_delay_alu instid0(VALU_DEP_1) | instskip(SKIP_1) | instid1(VALU_DEP_2)
	v_pk_fma_f32 v[102:103], v[98:99], v[96:97], v[100:101] op_sel_hi:[1,0,1]
	v_pk_fma_f32 v[96:97], v[98:99], v[96:97], v[100:101] neg_lo:[0,0,1] neg_hi:[0,0,1]
	v_mov_b32_e32 v97, v103
	s_cbranch_execz .LBB45_379
	s_branch .LBB45_380
.LBB45_378:
                                        ; implicit-def: $vgpr96_vgpr97
.LBB45_379:
	ds_load_b64 v[96:97], v1
.LBB45_380:
	s_and_saveexec_b32 s10, s0
	s_cbranch_execz .LBB45_384
; %bb.381:
	v_add_nc_u32_e32 v98, -8, v0
	s_movk_i32 s11, 0x1b0
	s_mov_b32 s0, 0
.LBB45_382:                             ; =>This Inner Loop Header: Depth=1
	scratch_load_b64 v[100:101], off, s8
	v_dual_mov_b32 v99, s11 :: v_dual_add_nc_u32 v98, -1, v98
	s_add_co_i32 s11, s11, 8
	s_wait_xcnt 0x0
	s_add_co_i32 s8, s8, 8
	ds_load_b64 v[102:103], v99
	v_cmp_eq_u32_e32 vcc_lo, 0, v98
	s_or_b32 s0, vcc_lo, s0
	s_wait_loadcnt_dscnt 0x0
	v_pk_mul_f32 v[104:105], v[102:103], v[100:101] op_sel:[1,1] op_sel_hi:[0,1]
	s_delay_alu instid0(VALU_DEP_1) | instskip(SKIP_1) | instid1(VALU_DEP_2)
	v_pk_fma_f32 v[106:107], v[102:103], v[100:101], v[104:105] op_sel_hi:[1,0,1]
	v_pk_fma_f32 v[100:101], v[102:103], v[100:101], v[104:105] neg_lo:[0,0,1] neg_hi:[0,0,1]
	v_mov_b32_e32 v101, v107
	s_delay_alu instid0(VALU_DEP_1)
	v_pk_add_f32 v[96:97], v[96:97], v[100:101]
	s_and_not1_b32 exec_lo, exec_lo, s0
	s_cbranch_execnz .LBB45_382
; %bb.383:
	s_or_b32 exec_lo, exec_lo, s0
.LBB45_384:
	s_delay_alu instid0(SALU_CYCLE_1) | instskip(SKIP_4) | instid1(VALU_DEP_1)
	s_or_b32 exec_lo, exec_lo, s10
	v_mov_b32_e32 v98, 0
	ds_load_b64 v[98:99], v98 offset:56
	s_wait_dscnt 0x0
	v_pk_mul_f32 v[100:101], v[96:97], v[98:99] op_sel:[1,1] op_sel_hi:[0,1]
	v_pk_fma_f32 v[102:103], v[96:97], v[98:99], v[100:101] op_sel_hi:[1,0,1]
	v_pk_fma_f32 v[96:97], v[96:97], v[98:99], v[100:101] neg_lo:[0,0,1] neg_hi:[0,0,1]
	s_delay_alu instid0(VALU_DEP_2)
	v_mov_b32_e32 v97, v103
	scratch_store_b64 off, v[96:97], off offset:56
.LBB45_385:
	s_wait_xcnt 0x0
	s_or_b32 exec_lo, exec_lo, s9
	scratch_load_b64 v[96:97], off, off offset:48
	v_cmp_lt_u32_e64 s0, 6, v0
	s_wait_loadcnt 0x0
	ds_store_b64 v1, v[96:97]
	s_wait_storecnt_dscnt 0x0
	s_barrier_signal -1
	s_barrier_wait -1
	s_wait_xcnt 0x0
	s_and_saveexec_b32 s8, s0
	s_cbranch_execz .LBB45_395
; %bb.386:
	s_and_not1_b32 vcc_lo, exec_lo, s3
	s_cbranch_vccnz .LBB45_388
; %bb.387:
	scratch_load_b64 v[96:97], v39, off
	ds_load_b64 v[98:99], v1
	s_wait_loadcnt_dscnt 0x0
	v_pk_mul_f32 v[100:101], v[98:99], v[96:97] op_sel:[1,1] op_sel_hi:[0,1]
	s_delay_alu instid0(VALU_DEP_1) | instskip(SKIP_1) | instid1(VALU_DEP_2)
	v_pk_fma_f32 v[102:103], v[98:99], v[96:97], v[100:101] op_sel_hi:[1,0,1]
	v_pk_fma_f32 v[96:97], v[98:99], v[96:97], v[100:101] neg_lo:[0,0,1] neg_hi:[0,0,1]
	v_mov_b32_e32 v97, v103
	s_cbranch_execz .LBB45_389
	s_branch .LBB45_390
.LBB45_388:
                                        ; implicit-def: $vgpr96_vgpr97
.LBB45_389:
	ds_load_b64 v[96:97], v1
.LBB45_390:
	s_and_saveexec_b32 s9, s1
	s_cbranch_execz .LBB45_394
; %bb.391:
	v_add_nc_u32_e32 v98, -7, v0
	s_mov_b32 s1, 56
	s_movk_i32 s11, 0x1a8
	s_mov_b32 s10, 0
.LBB45_392:                             ; =>This Inner Loop Header: Depth=1
	scratch_load_b64 v[100:101], off, s1
	v_dual_mov_b32 v99, s11 :: v_dual_add_nc_u32 v98, -1, v98
	s_add_co_i32 s11, s11, 8
	s_wait_xcnt 0x0
	s_add_co_i32 s1, s1, 8
	ds_load_b64 v[102:103], v99
	v_cmp_eq_u32_e32 vcc_lo, 0, v98
	s_or_b32 s10, vcc_lo, s10
	s_wait_loadcnt_dscnt 0x0
	v_pk_mul_f32 v[104:105], v[102:103], v[100:101] op_sel:[1,1] op_sel_hi:[0,1]
	s_delay_alu instid0(VALU_DEP_1) | instskip(SKIP_1) | instid1(VALU_DEP_2)
	v_pk_fma_f32 v[106:107], v[102:103], v[100:101], v[104:105] op_sel_hi:[1,0,1]
	v_pk_fma_f32 v[100:101], v[102:103], v[100:101], v[104:105] neg_lo:[0,0,1] neg_hi:[0,0,1]
	v_mov_b32_e32 v101, v107
	s_delay_alu instid0(VALU_DEP_1)
	v_pk_add_f32 v[96:97], v[96:97], v[100:101]
	s_and_not1_b32 exec_lo, exec_lo, s10
	s_cbranch_execnz .LBB45_392
; %bb.393:
	s_or_b32 exec_lo, exec_lo, s10
.LBB45_394:
	s_delay_alu instid0(SALU_CYCLE_1) | instskip(SKIP_4) | instid1(VALU_DEP_1)
	s_or_b32 exec_lo, exec_lo, s9
	v_mov_b32_e32 v98, 0
	ds_load_b64 v[98:99], v98 offset:48
	s_wait_dscnt 0x0
	v_pk_mul_f32 v[100:101], v[96:97], v[98:99] op_sel:[1,1] op_sel_hi:[0,1]
	v_pk_fma_f32 v[102:103], v[96:97], v[98:99], v[100:101] op_sel_hi:[1,0,1]
	v_pk_fma_f32 v[96:97], v[96:97], v[98:99], v[100:101] neg_lo:[0,0,1] neg_hi:[0,0,1]
	s_delay_alu instid0(VALU_DEP_2)
	v_mov_b32_e32 v97, v103
	scratch_store_b64 off, v[96:97], off offset:48
.LBB45_395:
	s_wait_xcnt 0x0
	s_or_b32 exec_lo, exec_lo, s8
	scratch_load_b64 v[96:97], off, off offset:40
	v_cmp_lt_u32_e64 s1, 5, v0
	s_wait_loadcnt 0x0
	ds_store_b64 v1, v[96:97]
	s_wait_storecnt_dscnt 0x0
	s_barrier_signal -1
	s_barrier_wait -1
	s_wait_xcnt 0x0
	s_and_saveexec_b32 s8, s1
	s_cbranch_execz .LBB45_405
; %bb.396:
	s_and_not1_b32 vcc_lo, exec_lo, s3
	s_cbranch_vccnz .LBB45_398
; %bb.397:
	scratch_load_b64 v[96:97], v39, off
	ds_load_b64 v[98:99], v1
	s_wait_loadcnt_dscnt 0x0
	v_pk_mul_f32 v[100:101], v[98:99], v[96:97] op_sel:[1,1] op_sel_hi:[0,1]
	s_delay_alu instid0(VALU_DEP_1) | instskip(SKIP_1) | instid1(VALU_DEP_2)
	v_pk_fma_f32 v[102:103], v[98:99], v[96:97], v[100:101] op_sel_hi:[1,0,1]
	v_pk_fma_f32 v[96:97], v[98:99], v[96:97], v[100:101] neg_lo:[0,0,1] neg_hi:[0,0,1]
	v_mov_b32_e32 v97, v103
	s_cbranch_execz .LBB45_399
	s_branch .LBB45_400
.LBB45_398:
                                        ; implicit-def: $vgpr96_vgpr97
.LBB45_399:
	ds_load_b64 v[96:97], v1
.LBB45_400:
	s_and_saveexec_b32 s9, s0
	s_cbranch_execz .LBB45_404
; %bb.401:
	v_add_nc_u32_e32 v98, -6, v0
	s_movk_i32 s10, 0x1a0
	s_mov_b32 s0, 0
.LBB45_402:                             ; =>This Inner Loop Header: Depth=1
	scratch_load_b64 v[100:101], off, s2
	v_dual_mov_b32 v99, s10 :: v_dual_add_nc_u32 v98, -1, v98
	s_add_co_i32 s10, s10, 8
	s_wait_xcnt 0x0
	s_add_co_i32 s2, s2, 8
	ds_load_b64 v[102:103], v99
	v_cmp_eq_u32_e32 vcc_lo, 0, v98
	s_or_b32 s0, vcc_lo, s0
	s_wait_loadcnt_dscnt 0x0
	v_pk_mul_f32 v[104:105], v[102:103], v[100:101] op_sel:[1,1] op_sel_hi:[0,1]
	s_delay_alu instid0(VALU_DEP_1) | instskip(SKIP_1) | instid1(VALU_DEP_2)
	v_pk_fma_f32 v[106:107], v[102:103], v[100:101], v[104:105] op_sel_hi:[1,0,1]
	v_pk_fma_f32 v[100:101], v[102:103], v[100:101], v[104:105] neg_lo:[0,0,1] neg_hi:[0,0,1]
	v_mov_b32_e32 v101, v107
	s_delay_alu instid0(VALU_DEP_1)
	v_pk_add_f32 v[96:97], v[96:97], v[100:101]
	s_and_not1_b32 exec_lo, exec_lo, s0
	s_cbranch_execnz .LBB45_402
; %bb.403:
	s_or_b32 exec_lo, exec_lo, s0
.LBB45_404:
	s_delay_alu instid0(SALU_CYCLE_1) | instskip(SKIP_4) | instid1(VALU_DEP_1)
	s_or_b32 exec_lo, exec_lo, s9
	v_mov_b32_e32 v98, 0
	ds_load_b64 v[98:99], v98 offset:40
	s_wait_dscnt 0x0
	v_pk_mul_f32 v[100:101], v[96:97], v[98:99] op_sel:[1,1] op_sel_hi:[0,1]
	v_pk_fma_f32 v[102:103], v[96:97], v[98:99], v[100:101] op_sel_hi:[1,0,1]
	v_pk_fma_f32 v[96:97], v[96:97], v[98:99], v[100:101] neg_lo:[0,0,1] neg_hi:[0,0,1]
	s_delay_alu instid0(VALU_DEP_2)
	v_mov_b32_e32 v97, v103
	scratch_store_b64 off, v[96:97], off offset:40
.LBB45_405:
	s_wait_xcnt 0x0
	s_or_b32 exec_lo, exec_lo, s8
	scratch_load_b64 v[96:97], off, off offset:32
	v_cmp_lt_u32_e64 s0, 4, v0
	s_wait_loadcnt 0x0
	ds_store_b64 v1, v[96:97]
	s_wait_storecnt_dscnt 0x0
	s_barrier_signal -1
	s_barrier_wait -1
	s_wait_xcnt 0x0
	s_and_saveexec_b32 s2, s0
	s_cbranch_execz .LBB45_415
; %bb.406:
	s_and_not1_b32 vcc_lo, exec_lo, s3
	s_cbranch_vccnz .LBB45_408
; %bb.407:
	scratch_load_b64 v[96:97], v39, off
	ds_load_b64 v[98:99], v1
	s_wait_loadcnt_dscnt 0x0
	v_pk_mul_f32 v[100:101], v[98:99], v[96:97] op_sel:[1,1] op_sel_hi:[0,1]
	s_delay_alu instid0(VALU_DEP_1) | instskip(SKIP_1) | instid1(VALU_DEP_2)
	v_pk_fma_f32 v[102:103], v[98:99], v[96:97], v[100:101] op_sel_hi:[1,0,1]
	v_pk_fma_f32 v[96:97], v[98:99], v[96:97], v[100:101] neg_lo:[0,0,1] neg_hi:[0,0,1]
	v_mov_b32_e32 v97, v103
	s_cbranch_execz .LBB45_409
	s_branch .LBB45_410
.LBB45_408:
                                        ; implicit-def: $vgpr96_vgpr97
.LBB45_409:
	ds_load_b64 v[96:97], v1
.LBB45_410:
	s_and_saveexec_b32 s8, s1
	s_cbranch_execz .LBB45_414
; %bb.411:
	v_add_nc_u32_e32 v98, -5, v0
	s_mov_b32 s1, 40
	s_movk_i32 s10, 0x198
	s_mov_b32 s9, 0
.LBB45_412:                             ; =>This Inner Loop Header: Depth=1
	scratch_load_b64 v[100:101], off, s1
	v_dual_mov_b32 v99, s10 :: v_dual_add_nc_u32 v98, -1, v98
	s_add_co_i32 s10, s10, 8
	s_wait_xcnt 0x0
	s_add_co_i32 s1, s1, 8
	ds_load_b64 v[102:103], v99
	v_cmp_eq_u32_e32 vcc_lo, 0, v98
	s_or_b32 s9, vcc_lo, s9
	s_wait_loadcnt_dscnt 0x0
	v_pk_mul_f32 v[104:105], v[102:103], v[100:101] op_sel:[1,1] op_sel_hi:[0,1]
	s_delay_alu instid0(VALU_DEP_1) | instskip(SKIP_1) | instid1(VALU_DEP_2)
	v_pk_fma_f32 v[106:107], v[102:103], v[100:101], v[104:105] op_sel_hi:[1,0,1]
	v_pk_fma_f32 v[100:101], v[102:103], v[100:101], v[104:105] neg_lo:[0,0,1] neg_hi:[0,0,1]
	v_mov_b32_e32 v101, v107
	s_delay_alu instid0(VALU_DEP_1)
	v_pk_add_f32 v[96:97], v[96:97], v[100:101]
	s_and_not1_b32 exec_lo, exec_lo, s9
	s_cbranch_execnz .LBB45_412
; %bb.413:
	s_or_b32 exec_lo, exec_lo, s9
.LBB45_414:
	s_delay_alu instid0(SALU_CYCLE_1) | instskip(SKIP_4) | instid1(VALU_DEP_1)
	s_or_b32 exec_lo, exec_lo, s8
	v_mov_b32_e32 v98, 0
	ds_load_b64 v[98:99], v98 offset:32
	s_wait_dscnt 0x0
	v_pk_mul_f32 v[100:101], v[96:97], v[98:99] op_sel:[1,1] op_sel_hi:[0,1]
	v_pk_fma_f32 v[102:103], v[96:97], v[98:99], v[100:101] op_sel_hi:[1,0,1]
	v_pk_fma_f32 v[96:97], v[96:97], v[98:99], v[100:101] neg_lo:[0,0,1] neg_hi:[0,0,1]
	s_delay_alu instid0(VALU_DEP_2)
	v_mov_b32_e32 v97, v103
	scratch_store_b64 off, v[96:97], off offset:32
.LBB45_415:
	s_wait_xcnt 0x0
	s_or_b32 exec_lo, exec_lo, s2
	scratch_load_b64 v[96:97], off, off offset:24
	v_cmp_lt_u32_e64 s2, 3, v0
	s_wait_loadcnt 0x0
	ds_store_b64 v1, v[96:97]
	s_wait_storecnt_dscnt 0x0
	s_barrier_signal -1
	s_barrier_wait -1
	s_wait_xcnt 0x0
	s_and_saveexec_b32 s1, s2
	s_cbranch_execz .LBB45_425
; %bb.416:
	s_and_not1_b32 vcc_lo, exec_lo, s3
	s_cbranch_vccnz .LBB45_418
; %bb.417:
	scratch_load_b64 v[96:97], v39, off
	ds_load_b64 v[98:99], v1
	s_wait_loadcnt_dscnt 0x0
	v_pk_mul_f32 v[100:101], v[98:99], v[96:97] op_sel:[1,1] op_sel_hi:[0,1]
	s_delay_alu instid0(VALU_DEP_1) | instskip(SKIP_1) | instid1(VALU_DEP_2)
	v_pk_fma_f32 v[102:103], v[98:99], v[96:97], v[100:101] op_sel_hi:[1,0,1]
	v_pk_fma_f32 v[96:97], v[98:99], v[96:97], v[100:101] neg_lo:[0,0,1] neg_hi:[0,0,1]
	v_mov_b32_e32 v97, v103
	s_cbranch_execz .LBB45_419
	s_branch .LBB45_420
.LBB45_418:
                                        ; implicit-def: $vgpr96_vgpr97
.LBB45_419:
	ds_load_b64 v[96:97], v1
.LBB45_420:
	s_and_saveexec_b32 s8, s0
	s_cbranch_execz .LBB45_424
; %bb.421:
	v_add_nc_u32_e32 v98, -4, v0
	s_movk_i32 s9, 0x190
	s_mov_b32 s0, 0
.LBB45_422:                             ; =>This Inner Loop Header: Depth=1
	scratch_load_b64 v[100:101], off, s5
	v_dual_mov_b32 v99, s9 :: v_dual_add_nc_u32 v98, -1, v98
	s_add_co_i32 s9, s9, 8
	s_wait_xcnt 0x0
	s_add_co_i32 s5, s5, 8
	ds_load_b64 v[102:103], v99
	v_cmp_eq_u32_e32 vcc_lo, 0, v98
	s_or_b32 s0, vcc_lo, s0
	s_wait_loadcnt_dscnt 0x0
	v_pk_mul_f32 v[104:105], v[102:103], v[100:101] op_sel:[1,1] op_sel_hi:[0,1]
	s_delay_alu instid0(VALU_DEP_1) | instskip(SKIP_1) | instid1(VALU_DEP_2)
	v_pk_fma_f32 v[106:107], v[102:103], v[100:101], v[104:105] op_sel_hi:[1,0,1]
	v_pk_fma_f32 v[100:101], v[102:103], v[100:101], v[104:105] neg_lo:[0,0,1] neg_hi:[0,0,1]
	v_mov_b32_e32 v101, v107
	s_delay_alu instid0(VALU_DEP_1)
	v_pk_add_f32 v[96:97], v[96:97], v[100:101]
	s_and_not1_b32 exec_lo, exec_lo, s0
	s_cbranch_execnz .LBB45_422
; %bb.423:
	s_or_b32 exec_lo, exec_lo, s0
.LBB45_424:
	s_delay_alu instid0(SALU_CYCLE_1) | instskip(SKIP_4) | instid1(VALU_DEP_1)
	s_or_b32 exec_lo, exec_lo, s8
	v_mov_b32_e32 v98, 0
	ds_load_b64 v[98:99], v98 offset:24
	s_wait_dscnt 0x0
	v_pk_mul_f32 v[100:101], v[96:97], v[98:99] op_sel:[1,1] op_sel_hi:[0,1]
	v_pk_fma_f32 v[102:103], v[96:97], v[98:99], v[100:101] op_sel_hi:[1,0,1]
	v_pk_fma_f32 v[96:97], v[96:97], v[98:99], v[100:101] neg_lo:[0,0,1] neg_hi:[0,0,1]
	s_delay_alu instid0(VALU_DEP_2)
	v_mov_b32_e32 v97, v103
	scratch_store_b64 off, v[96:97], off offset:24
.LBB45_425:
	s_wait_xcnt 0x0
	s_or_b32 exec_lo, exec_lo, s1
	scratch_load_b64 v[96:97], off, off offset:16
	v_cmp_lt_u32_e64 s1, 2, v0
	s_wait_loadcnt 0x0
	ds_store_b64 v1, v[96:97]
	s_wait_storecnt_dscnt 0x0
	s_barrier_signal -1
	s_barrier_wait -1
	s_wait_xcnt 0x0
	s_and_saveexec_b32 s0, s1
	s_cbranch_execz .LBB45_435
; %bb.426:
	s_and_not1_b32 vcc_lo, exec_lo, s3
	s_cbranch_vccnz .LBB45_428
; %bb.427:
	scratch_load_b64 v[96:97], v39, off
	ds_load_b64 v[98:99], v1
	s_wait_loadcnt_dscnt 0x0
	v_pk_mul_f32 v[100:101], v[98:99], v[96:97] op_sel:[1,1] op_sel_hi:[0,1]
	s_delay_alu instid0(VALU_DEP_1) | instskip(SKIP_1) | instid1(VALU_DEP_2)
	v_pk_fma_f32 v[102:103], v[98:99], v[96:97], v[100:101] op_sel_hi:[1,0,1]
	v_pk_fma_f32 v[96:97], v[98:99], v[96:97], v[100:101] neg_lo:[0,0,1] neg_hi:[0,0,1]
	v_mov_b32_e32 v97, v103
	s_cbranch_execz .LBB45_429
	s_branch .LBB45_430
.LBB45_428:
                                        ; implicit-def: $vgpr96_vgpr97
.LBB45_429:
	ds_load_b64 v[96:97], v1
.LBB45_430:
	s_and_saveexec_b32 s5, s2
	s_cbranch_execz .LBB45_434
; %bb.431:
	v_add_nc_u32_e32 v98, -3, v0
	s_mov_b32 s2, 24
	s_movk_i32 s9, 0x188
	s_mov_b32 s8, 0
.LBB45_432:                             ; =>This Inner Loop Header: Depth=1
	scratch_load_b64 v[100:101], off, s2
	v_dual_mov_b32 v99, s9 :: v_dual_add_nc_u32 v98, -1, v98
	s_add_co_i32 s9, s9, 8
	s_wait_xcnt 0x0
	s_add_co_i32 s2, s2, 8
	ds_load_b64 v[102:103], v99
	v_cmp_eq_u32_e32 vcc_lo, 0, v98
	s_or_b32 s8, vcc_lo, s8
	s_wait_loadcnt_dscnt 0x0
	v_pk_mul_f32 v[104:105], v[102:103], v[100:101] op_sel:[1,1] op_sel_hi:[0,1]
	s_delay_alu instid0(VALU_DEP_1) | instskip(SKIP_1) | instid1(VALU_DEP_2)
	v_pk_fma_f32 v[106:107], v[102:103], v[100:101], v[104:105] op_sel_hi:[1,0,1]
	v_pk_fma_f32 v[100:101], v[102:103], v[100:101], v[104:105] neg_lo:[0,0,1] neg_hi:[0,0,1]
	v_mov_b32_e32 v101, v107
	s_delay_alu instid0(VALU_DEP_1)
	v_pk_add_f32 v[96:97], v[96:97], v[100:101]
	s_and_not1_b32 exec_lo, exec_lo, s8
	s_cbranch_execnz .LBB45_432
; %bb.433:
	s_or_b32 exec_lo, exec_lo, s8
.LBB45_434:
	s_delay_alu instid0(SALU_CYCLE_1) | instskip(SKIP_4) | instid1(VALU_DEP_1)
	s_or_b32 exec_lo, exec_lo, s5
	v_mov_b32_e32 v98, 0
	ds_load_b64 v[98:99], v98 offset:16
	s_wait_dscnt 0x0
	v_pk_mul_f32 v[100:101], v[96:97], v[98:99] op_sel:[1,1] op_sel_hi:[0,1]
	v_pk_fma_f32 v[102:103], v[96:97], v[98:99], v[100:101] op_sel_hi:[1,0,1]
	v_pk_fma_f32 v[96:97], v[96:97], v[98:99], v[100:101] neg_lo:[0,0,1] neg_hi:[0,0,1]
	s_delay_alu instid0(VALU_DEP_2)
	v_mov_b32_e32 v97, v103
	scratch_store_b64 off, v[96:97], off offset:16
.LBB45_435:
	s_wait_xcnt 0x0
	s_or_b32 exec_lo, exec_lo, s0
	scratch_load_b64 v[96:97], off, off offset:8
	v_cmp_lt_u32_e64 s0, 1, v0
	s_wait_loadcnt 0x0
	ds_store_b64 v1, v[96:97]
	s_wait_storecnt_dscnt 0x0
	s_barrier_signal -1
	s_barrier_wait -1
	s_wait_xcnt 0x0
	s_and_saveexec_b32 s2, s0
	s_cbranch_execz .LBB45_445
; %bb.436:
	s_and_not1_b32 vcc_lo, exec_lo, s3
	s_cbranch_vccnz .LBB45_438
; %bb.437:
	scratch_load_b64 v[96:97], v39, off
	ds_load_b64 v[98:99], v1
	s_wait_loadcnt_dscnt 0x0
	v_pk_mul_f32 v[100:101], v[98:99], v[96:97] op_sel:[1,1] op_sel_hi:[0,1]
	s_delay_alu instid0(VALU_DEP_1) | instskip(SKIP_1) | instid1(VALU_DEP_2)
	v_pk_fma_f32 v[102:103], v[98:99], v[96:97], v[100:101] op_sel_hi:[1,0,1]
	v_pk_fma_f32 v[96:97], v[98:99], v[96:97], v[100:101] neg_lo:[0,0,1] neg_hi:[0,0,1]
	v_mov_b32_e32 v97, v103
	s_cbranch_execz .LBB45_439
	s_branch .LBB45_440
.LBB45_438:
                                        ; implicit-def: $vgpr96_vgpr97
.LBB45_439:
	ds_load_b64 v[96:97], v1
.LBB45_440:
	s_and_saveexec_b32 s5, s1
	s_cbranch_execz .LBB45_444
; %bb.441:
	v_add_nc_u32_e32 v98, -2, v0
	s_movk_i32 s8, 0x180
	s_mov_b32 s1, 0
.LBB45_442:                             ; =>This Inner Loop Header: Depth=1
	scratch_load_b64 v[100:101], off, s4
	v_dual_mov_b32 v99, s8 :: v_dual_add_nc_u32 v98, -1, v98
	s_add_co_i32 s8, s8, 8
	s_wait_xcnt 0x0
	s_add_co_i32 s4, s4, 8
	ds_load_b64 v[102:103], v99
	v_cmp_eq_u32_e32 vcc_lo, 0, v98
	s_or_b32 s1, vcc_lo, s1
	s_wait_loadcnt_dscnt 0x0
	v_pk_mul_f32 v[104:105], v[102:103], v[100:101] op_sel:[1,1] op_sel_hi:[0,1]
	s_delay_alu instid0(VALU_DEP_1) | instskip(SKIP_1) | instid1(VALU_DEP_2)
	v_pk_fma_f32 v[106:107], v[102:103], v[100:101], v[104:105] op_sel_hi:[1,0,1]
	v_pk_fma_f32 v[100:101], v[102:103], v[100:101], v[104:105] neg_lo:[0,0,1] neg_hi:[0,0,1]
	v_mov_b32_e32 v101, v107
	s_delay_alu instid0(VALU_DEP_1)
	v_pk_add_f32 v[96:97], v[96:97], v[100:101]
	s_and_not1_b32 exec_lo, exec_lo, s1
	s_cbranch_execnz .LBB45_442
; %bb.443:
	s_or_b32 exec_lo, exec_lo, s1
.LBB45_444:
	s_delay_alu instid0(SALU_CYCLE_1) | instskip(SKIP_4) | instid1(VALU_DEP_1)
	s_or_b32 exec_lo, exec_lo, s5
	v_mov_b32_e32 v98, 0
	ds_load_b64 v[98:99], v98 offset:8
	s_wait_dscnt 0x0
	v_pk_mul_f32 v[100:101], v[96:97], v[98:99] op_sel:[1,1] op_sel_hi:[0,1]
	v_pk_fma_f32 v[102:103], v[96:97], v[98:99], v[100:101] op_sel_hi:[1,0,1]
	v_pk_fma_f32 v[96:97], v[96:97], v[98:99], v[100:101] neg_lo:[0,0,1] neg_hi:[0,0,1]
	s_delay_alu instid0(VALU_DEP_2)
	v_mov_b32_e32 v97, v103
	scratch_store_b64 off, v[96:97], off offset:8
.LBB45_445:
	s_wait_xcnt 0x0
	s_or_b32 exec_lo, exec_lo, s2
	scratch_load_b64 v[96:97], off, off
	s_mov_b32 s2, 0
	s_mov_b32 s1, 0
	s_mov_b32 s5, exec_lo
                                        ; implicit-def: $vgpr132
                                        ; implicit-def: $sgpr4
	s_wait_loadcnt 0x0
	ds_store_b64 v1, v[96:97]
	s_wait_storecnt_dscnt 0x0
	s_barrier_signal -1
	s_barrier_wait -1
	s_wait_xcnt 0x0
	v_cmpx_ne_u32_e32 0, v0
	s_cbranch_execz .LBB45_455
; %bb.446:
	s_and_not1_b32 vcc_lo, exec_lo, s3
	s_cbranch_vccnz .LBB45_448
; %bb.447:
	scratch_load_b64 v[98:99], v39, off
	ds_load_b64 v[100:101], v1
	s_wait_loadcnt_dscnt 0x0
	v_dual_mul_f32 v96, v101, v99 :: v_dual_mul_f32 v97, v100, v99
	s_delay_alu instid0(VALU_DEP_1)
	v_dual_fma_f32 v96, v100, v98, -v96 :: v_dual_fmac_f32 v97, v101, v98
	s_and_not1_b32 vcc_lo, exec_lo, s1
	s_cbranch_vccz .LBB45_449
	s_branch .LBB45_450
.LBB45_448:
                                        ; implicit-def: $vgpr96
.LBB45_449:
	ds_load_b64 v[96:97], v1
.LBB45_450:
	s_and_saveexec_b32 s1, s0
	s_cbranch_execz .LBB45_454
; %bb.451:
	v_add_nc_u32_e32 v98, -1, v0
	s_or_b32 s0, 0, 8
	s_movk_i32 s8, 0x178
	s_mov_b32 s4, 0
.LBB45_452:                             ; =>This Inner Loop Header: Depth=1
	scratch_load_b64 v[100:101], off, s0
	v_mov_b32_e32 v99, s8
	s_add_co_i32 s8, s8, 8
	s_wait_xcnt 0x0
	s_add_co_i32 s0, s0, 8
	v_add_nc_u32_e32 v98, -1, v98
	ds_load_b64 v[102:103], v99
	v_cmp_eq_u32_e32 vcc_lo, 0, v98
	s_or_b32 s4, vcc_lo, s4
	s_wait_loadcnt_dscnt 0x0
	v_dual_mul_f32 v99, v103, v101 :: v_dual_mul_f32 v101, v102, v101
	s_delay_alu instid0(VALU_DEP_1) | instskip(NEXT) | instid1(VALU_DEP_1)
	v_dual_fma_f32 v99, v102, v100, -v99 :: v_dual_fmac_f32 v101, v103, v100
	v_dual_add_f32 v96, v96, v99 :: v_dual_add_f32 v97, v97, v101
	s_and_not1_b32 exec_lo, exec_lo, s4
	s_cbranch_execnz .LBB45_452
; %bb.453:
	s_or_b32 exec_lo, exec_lo, s4
.LBB45_454:
	s_delay_alu instid0(SALU_CYCLE_1)
	s_or_b32 exec_lo, exec_lo, s1
	v_mov_b32_e32 v98, 0
	s_mov_b32 s1, exec_lo
	s_or_b32 s4, 0, 4
	ds_load_b64 v[98:99], v98
	s_wait_dscnt 0x0
	v_dual_mul_f32 v100, v97, v99 :: v_dual_mul_f32 v132, v96, v99
	s_delay_alu instid0(VALU_DEP_1) | instskip(NEXT) | instid1(VALU_DEP_2)
	v_fma_f32 v96, v96, v98, -v100
	v_fmac_f32_e32 v132, v97, v98
	scratch_store_b32 off, v96, off
.LBB45_455:
	s_wait_xcnt 0x0
	s_or_b32 exec_lo, exec_lo, s5
	s_delay_alu instid0(SALU_CYCLE_1)
	s_and_b32 vcc_lo, exec_lo, s2
	s_cbranch_vccz .LBB45_901
.LBB45_456:
	scratch_load_b64 v[96:97], off, off offset:8
	v_cmp_eq_u32_e64 s0, 0, v0
	s_wait_loadcnt 0x0
	ds_store_b64 v1, v[96:97]
	s_wait_storecnt_dscnt 0x0
	s_barrier_signal -1
	s_barrier_wait -1
	s_wait_xcnt 0x0
	s_and_saveexec_b32 s2, s0
	s_cbranch_execz .LBB45_462
; %bb.457:
	s_and_b32 vcc_lo, exec_lo, s3
	s_cbranch_vccz .LBB45_459
; %bb.458:
	scratch_load_b64 v[96:97], v39, off
	ds_load_b64 v[98:99], v1
	s_wait_loadcnt_dscnt 0x0
	v_pk_mul_f32 v[100:101], v[98:99], v[96:97] op_sel:[1,1] op_sel_hi:[0,1]
	v_pk_mul_f32 v[102:103], v[98:99], v[96:97] op_sel_hi:[1,0]
	s_delay_alu instid0(VALU_DEP_2) | instskip(NEXT) | instid1(VALU_DEP_2)
	v_pk_fma_f32 v[96:97], v[98:99], v[96:97], v[100:101] op_sel_hi:[1,0,1]
	v_sub_f32_e32 v96, v102, v100
	s_cbranch_execz .LBB45_460
	s_branch .LBB45_461
.LBB45_459:
                                        ; implicit-def: $vgpr97
.LBB45_460:
	ds_load_b64 v[96:97], v1
.LBB45_461:
	s_wait_dscnt 0x0
	v_dual_mov_b32 v98, 0 :: v_dual_mov_b32 v100, v97
	v_mov_b32_e32 v101, v96
	ds_load_b64 v[98:99], v98 offset:8
	s_wait_dscnt 0x0
	v_pk_mul_f32 v[100:101], v[100:101], v[98:99] op_sel:[0,1]
	s_delay_alu instid0(VALU_DEP_1) | instskip(SKIP_1) | instid1(VALU_DEP_2)
	v_pk_fma_f32 v[102:103], v[96:97], v[98:99], v[100:101] op_sel_hi:[1,0,1]
	v_pk_fma_f32 v[96:97], v[96:97], v[98:99], v[100:101] neg_lo:[0,0,1] neg_hi:[0,0,1]
	v_mov_b32_e32 v97, v103
	scratch_store_b64 off, v[96:97], off offset:8
.LBB45_462:
	s_wait_xcnt 0x0
	s_or_b32 exec_lo, exec_lo, s2
	scratch_load_b64 v[96:97], off, off offset:16
	v_cndmask_b32_e64 v98, 0, 1, s3
	s_mov_b32 s2, exec_lo
	s_wait_loadcnt 0x0
	ds_store_b64 v1, v[96:97]
	s_wait_storecnt_dscnt 0x0
	s_barrier_signal -1
	s_barrier_wait -1
	s_wait_xcnt 0x0
	v_cmpx_gt_u32_e32 2, v0
	s_cbranch_execz .LBB45_470
; %bb.463:
	s_and_not1_b32 vcc_lo, exec_lo, s3
	s_cbranch_vccnz .LBB45_465
; %bb.464:
	scratch_load_b64 v[96:97], v39, off
	ds_load_b64 v[100:101], v1
	s_wait_loadcnt_dscnt 0x0
	v_pk_mul_f32 v[102:103], v[100:101], v[96:97] op_sel:[1,1] op_sel_hi:[0,1]
	s_delay_alu instid0(VALU_DEP_1) | instskip(SKIP_1) | instid1(VALU_DEP_2)
	v_pk_fma_f32 v[104:105], v[100:101], v[96:97], v[102:103] op_sel_hi:[1,0,1]
	v_pk_fma_f32 v[96:97], v[100:101], v[96:97], v[102:103] neg_lo:[0,0,1] neg_hi:[0,0,1]
	v_mov_b32_e32 v97, v105
	s_cbranch_execz .LBB45_466
	s_branch .LBB45_467
.LBB45_465:
                                        ; implicit-def: $vgpr96_vgpr97
.LBB45_466:
	ds_load_b64 v[96:97], v1
.LBB45_467:
	s_and_saveexec_b32 s3, s0
	s_cbranch_execz .LBB45_469
; %bb.468:
	scratch_load_b64 v[100:101], off, off offset:8
	v_mov_b32_e32 v99, 0
	ds_load_b64 v[102:103], v99 offset:376
	s_wait_loadcnt_dscnt 0x0
	v_pk_mul_f32 v[104:105], v[102:103], v[100:101] op_sel:[1,1] op_sel_hi:[0,1]
	s_delay_alu instid0(VALU_DEP_1) | instskip(SKIP_1) | instid1(VALU_DEP_2)
	v_pk_fma_f32 v[106:107], v[102:103], v[100:101], v[104:105] op_sel_hi:[1,0,1]
	v_pk_fma_f32 v[100:101], v[102:103], v[100:101], v[104:105] neg_lo:[0,0,1] neg_hi:[0,0,1]
	v_mov_b32_e32 v101, v107
	s_delay_alu instid0(VALU_DEP_1)
	v_pk_add_f32 v[96:97], v[96:97], v[100:101]
.LBB45_469:
	s_or_b32 exec_lo, exec_lo, s3
	v_mov_b32_e32 v99, 0
	ds_load_b64 v[100:101], v99 offset:16
	s_wait_dscnt 0x0
	v_pk_mul_f32 v[102:103], v[96:97], v[100:101] op_sel:[1,1] op_sel_hi:[0,1]
	s_delay_alu instid0(VALU_DEP_1) | instskip(SKIP_1) | instid1(VALU_DEP_2)
	v_pk_fma_f32 v[104:105], v[96:97], v[100:101], v[102:103] op_sel_hi:[1,0,1]
	v_pk_fma_f32 v[96:97], v[96:97], v[100:101], v[102:103] neg_lo:[0,0,1] neg_hi:[0,0,1]
	v_mov_b32_e32 v97, v105
	scratch_store_b64 off, v[96:97], off offset:16
.LBB45_470:
	s_wait_xcnt 0x0
	s_or_b32 exec_lo, exec_lo, s2
	scratch_load_b64 v[96:97], off, off offset:24
	s_mov_b32 s2, exec_lo
	s_wait_loadcnt 0x0
	ds_store_b64 v1, v[96:97]
	s_wait_storecnt_dscnt 0x0
	s_barrier_signal -1
	s_barrier_wait -1
	s_wait_xcnt 0x0
	v_cmpx_gt_u32_e32 3, v0
	s_cbranch_execz .LBB45_480
; %bb.471:
	v_cmp_ne_u32_e32 vcc_lo, 1, v98
	s_cbranch_vccnz .LBB45_473
; %bb.472:
	scratch_load_b64 v[96:97], v39, off
	ds_load_b64 v[100:101], v1
	s_wait_loadcnt_dscnt 0x0
	v_pk_mul_f32 v[102:103], v[100:101], v[96:97] op_sel:[1,1] op_sel_hi:[0,1]
	s_delay_alu instid0(VALU_DEP_1) | instskip(SKIP_1) | instid1(VALU_DEP_2)
	v_pk_fma_f32 v[104:105], v[100:101], v[96:97], v[102:103] op_sel_hi:[1,0,1]
	v_pk_fma_f32 v[96:97], v[100:101], v[96:97], v[102:103] neg_lo:[0,0,1] neg_hi:[0,0,1]
	v_mov_b32_e32 v97, v105
	s_cbranch_execz .LBB45_474
	s_branch .LBB45_475
.LBB45_473:
                                        ; implicit-def: $vgpr96_vgpr97
.LBB45_474:
	ds_load_b64 v[96:97], v1
.LBB45_475:
	s_mov_b32 s3, exec_lo
	v_cmpx_ne_u32_e32 2, v0
	s_cbranch_execz .LBB45_479
; %bb.476:
	scratch_load_b64 v[100:101], v39, off offset:8
	ds_load_b64 v[102:103], v1 offset:8
	s_wait_loadcnt_dscnt 0x0
	v_pk_mul_f32 v[104:105], v[102:103], v[100:101] op_sel:[1,1] op_sel_hi:[0,1]
	s_delay_alu instid0(VALU_DEP_1) | instskip(SKIP_1) | instid1(VALU_DEP_2)
	v_pk_fma_f32 v[106:107], v[102:103], v[100:101], v[104:105] op_sel_hi:[1,0,1]
	v_pk_fma_f32 v[100:101], v[102:103], v[100:101], v[104:105] neg_lo:[0,0,1] neg_hi:[0,0,1]
	v_mov_b32_e32 v101, v107
	s_delay_alu instid0(VALU_DEP_1)
	v_pk_add_f32 v[96:97], v[96:97], v[100:101]
	s_and_saveexec_b32 s4, s0
	s_cbranch_execz .LBB45_478
; %bb.477:
	scratch_load_b64 v[100:101], off, off offset:16
	v_mov_b32_e32 v99, 0
	ds_load_b64 v[102:103], v99 offset:384
	s_wait_loadcnt_dscnt 0x0
	v_pk_mul_f32 v[104:105], v[102:103], v[100:101] op_sel:[1,1] op_sel_hi:[0,1]
	s_delay_alu instid0(VALU_DEP_1) | instskip(SKIP_1) | instid1(VALU_DEP_2)
	v_pk_fma_f32 v[106:107], v[102:103], v[100:101], v[104:105] op_sel_hi:[1,0,1]
	v_pk_fma_f32 v[100:101], v[102:103], v[100:101], v[104:105] neg_lo:[0,0,1] neg_hi:[0,0,1]
	v_mov_b32_e32 v101, v107
	s_delay_alu instid0(VALU_DEP_1)
	v_pk_add_f32 v[96:97], v[96:97], v[100:101]
.LBB45_478:
	s_or_b32 exec_lo, exec_lo, s4
.LBB45_479:
	s_delay_alu instid0(SALU_CYCLE_1) | instskip(SKIP_4) | instid1(VALU_DEP_1)
	s_or_b32 exec_lo, exec_lo, s3
	v_mov_b32_e32 v99, 0
	ds_load_b64 v[100:101], v99 offset:24
	s_wait_dscnt 0x0
	v_pk_mul_f32 v[102:103], v[96:97], v[100:101] op_sel:[1,1] op_sel_hi:[0,1]
	v_pk_fma_f32 v[104:105], v[96:97], v[100:101], v[102:103] op_sel_hi:[1,0,1]
	v_pk_fma_f32 v[96:97], v[96:97], v[100:101], v[102:103] neg_lo:[0,0,1] neg_hi:[0,0,1]
	s_delay_alu instid0(VALU_DEP_2)
	v_mov_b32_e32 v97, v105
	scratch_store_b64 off, v[96:97], off offset:24
.LBB45_480:
	s_wait_xcnt 0x0
	s_or_b32 exec_lo, exec_lo, s2
	scratch_load_b64 v[96:97], off, off offset:32
	s_mov_b32 s0, exec_lo
	s_wait_loadcnt 0x0
	ds_store_b64 v1, v[96:97]
	s_wait_storecnt_dscnt 0x0
	s_barrier_signal -1
	s_barrier_wait -1
	s_wait_xcnt 0x0
	v_cmpx_gt_u32_e32 4, v0
	s_cbranch_execz .LBB45_490
; %bb.481:
	v_cmp_ne_u32_e32 vcc_lo, 1, v98
	s_cbranch_vccnz .LBB45_483
; %bb.482:
	scratch_load_b64 v[96:97], v39, off
	ds_load_b64 v[100:101], v1
	s_wait_loadcnt_dscnt 0x0
	v_pk_mul_f32 v[102:103], v[100:101], v[96:97] op_sel:[1,1] op_sel_hi:[0,1]
	s_delay_alu instid0(VALU_DEP_1) | instskip(SKIP_1) | instid1(VALU_DEP_2)
	v_pk_fma_f32 v[104:105], v[100:101], v[96:97], v[102:103] op_sel_hi:[1,0,1]
	v_pk_fma_f32 v[96:97], v[100:101], v[96:97], v[102:103] neg_lo:[0,0,1] neg_hi:[0,0,1]
	v_mov_b32_e32 v97, v105
	s_cbranch_execz .LBB45_484
	s_branch .LBB45_485
.LBB45_483:
                                        ; implicit-def: $vgpr96_vgpr97
.LBB45_484:
	ds_load_b64 v[96:97], v1
.LBB45_485:
	s_mov_b32 s2, exec_lo
	v_cmpx_ne_u32_e32 3, v0
	s_cbranch_execz .LBB45_489
; %bb.486:
	v_add_nc_u32_e32 v99, 0x178, v38
	v_add3_u32 v100, 0, v38, 8
	v_mov_b32_e32 v101, v0
	s_mov_b32 s3, 0
.LBB45_487:                             ; =>This Inner Loop Header: Depth=1
	scratch_load_b64 v[102:103], v100, off
	ds_load_b64 v[104:105], v99
	s_wait_xcnt 0x0
	v_dual_add_nc_u32 v99, 8, v99 :: v_dual_add_nc_u32 v100, 8, v100
	s_wait_loadcnt_dscnt 0x0
	v_pk_mul_f32 v[106:107], v[104:105], v[102:103] op_sel:[1,1] op_sel_hi:[0,1]
	s_delay_alu instid0(VALU_DEP_1) | instskip(SKIP_2) | instid1(VALU_DEP_3)
	v_pk_fma_f32 v[108:109], v[104:105], v[102:103], v[106:107] op_sel_hi:[1,0,1]
	v_add_nc_u32_e32 v101, 1, v101
	v_pk_fma_f32 v[102:103], v[104:105], v[102:103], v[106:107] neg_lo:[0,0,1] neg_hi:[0,0,1]
	v_mov_b32_e32 v103, v109
	s_delay_alu instid0(VALU_DEP_3) | instskip(NEXT) | instid1(VALU_DEP_2)
	v_cmp_lt_u32_e32 vcc_lo, 2, v101
	v_pk_add_f32 v[96:97], v[96:97], v[102:103]
	s_or_b32 s3, vcc_lo, s3
	s_delay_alu instid0(SALU_CYCLE_1)
	s_and_not1_b32 exec_lo, exec_lo, s3
	s_cbranch_execnz .LBB45_487
; %bb.488:
	s_or_b32 exec_lo, exec_lo, s3
.LBB45_489:
	s_delay_alu instid0(SALU_CYCLE_1) | instskip(SKIP_4) | instid1(VALU_DEP_1)
	s_or_b32 exec_lo, exec_lo, s2
	v_mov_b32_e32 v99, 0
	ds_load_b64 v[100:101], v99 offset:32
	s_wait_dscnt 0x0
	v_pk_mul_f32 v[102:103], v[96:97], v[100:101] op_sel:[1,1] op_sel_hi:[0,1]
	v_pk_fma_f32 v[104:105], v[96:97], v[100:101], v[102:103] op_sel_hi:[1,0,1]
	v_pk_fma_f32 v[96:97], v[96:97], v[100:101], v[102:103] neg_lo:[0,0,1] neg_hi:[0,0,1]
	s_delay_alu instid0(VALU_DEP_2)
	v_mov_b32_e32 v97, v105
	scratch_store_b64 off, v[96:97], off offset:32
.LBB45_490:
	s_wait_xcnt 0x0
	s_or_b32 exec_lo, exec_lo, s0
	scratch_load_b64 v[96:97], off, off offset:40
	s_mov_b32 s0, exec_lo
	s_wait_loadcnt 0x0
	ds_store_b64 v1, v[96:97]
	s_wait_storecnt_dscnt 0x0
	s_barrier_signal -1
	s_barrier_wait -1
	s_wait_xcnt 0x0
	v_cmpx_gt_u32_e32 5, v0
	s_cbranch_execz .LBB45_500
; %bb.491:
	v_cmp_ne_u32_e32 vcc_lo, 1, v98
	s_cbranch_vccnz .LBB45_493
; %bb.492:
	scratch_load_b64 v[96:97], v39, off
	ds_load_b64 v[100:101], v1
	s_wait_loadcnt_dscnt 0x0
	v_pk_mul_f32 v[102:103], v[100:101], v[96:97] op_sel:[1,1] op_sel_hi:[0,1]
	s_delay_alu instid0(VALU_DEP_1) | instskip(SKIP_1) | instid1(VALU_DEP_2)
	v_pk_fma_f32 v[104:105], v[100:101], v[96:97], v[102:103] op_sel_hi:[1,0,1]
	v_pk_fma_f32 v[96:97], v[100:101], v[96:97], v[102:103] neg_lo:[0,0,1] neg_hi:[0,0,1]
	v_mov_b32_e32 v97, v105
	s_cbranch_execz .LBB45_494
	s_branch .LBB45_495
.LBB45_493:
                                        ; implicit-def: $vgpr96_vgpr97
.LBB45_494:
	ds_load_b64 v[96:97], v1
.LBB45_495:
	s_mov_b32 s2, exec_lo
	v_cmpx_ne_u32_e32 4, v0
	s_cbranch_execz .LBB45_499
; %bb.496:
	v_add_nc_u32_e32 v99, 0x178, v38
	v_add3_u32 v100, 0, v38, 8
	v_mov_b32_e32 v101, v0
	s_mov_b32 s3, 0
.LBB45_497:                             ; =>This Inner Loop Header: Depth=1
	scratch_load_b64 v[102:103], v100, off
	ds_load_b64 v[104:105], v99
	s_wait_xcnt 0x0
	v_dual_add_nc_u32 v99, 8, v99 :: v_dual_add_nc_u32 v100, 8, v100
	s_wait_loadcnt_dscnt 0x0
	v_pk_mul_f32 v[106:107], v[104:105], v[102:103] op_sel:[1,1] op_sel_hi:[0,1]
	s_delay_alu instid0(VALU_DEP_1) | instskip(SKIP_2) | instid1(VALU_DEP_3)
	v_pk_fma_f32 v[108:109], v[104:105], v[102:103], v[106:107] op_sel_hi:[1,0,1]
	v_add_nc_u32_e32 v101, 1, v101
	v_pk_fma_f32 v[102:103], v[104:105], v[102:103], v[106:107] neg_lo:[0,0,1] neg_hi:[0,0,1]
	v_mov_b32_e32 v103, v109
	s_delay_alu instid0(VALU_DEP_3) | instskip(NEXT) | instid1(VALU_DEP_2)
	v_cmp_lt_u32_e32 vcc_lo, 3, v101
	v_pk_add_f32 v[96:97], v[96:97], v[102:103]
	s_or_b32 s3, vcc_lo, s3
	s_delay_alu instid0(SALU_CYCLE_1)
	s_and_not1_b32 exec_lo, exec_lo, s3
	s_cbranch_execnz .LBB45_497
; %bb.498:
	s_or_b32 exec_lo, exec_lo, s3
.LBB45_499:
	s_delay_alu instid0(SALU_CYCLE_1) | instskip(SKIP_4) | instid1(VALU_DEP_1)
	s_or_b32 exec_lo, exec_lo, s2
	v_mov_b32_e32 v99, 0
	ds_load_b64 v[100:101], v99 offset:40
	s_wait_dscnt 0x0
	v_pk_mul_f32 v[102:103], v[96:97], v[100:101] op_sel:[1,1] op_sel_hi:[0,1]
	v_pk_fma_f32 v[104:105], v[96:97], v[100:101], v[102:103] op_sel_hi:[1,0,1]
	v_pk_fma_f32 v[96:97], v[96:97], v[100:101], v[102:103] neg_lo:[0,0,1] neg_hi:[0,0,1]
	s_delay_alu instid0(VALU_DEP_2)
	v_mov_b32_e32 v97, v105
	scratch_store_b64 off, v[96:97], off offset:40
.LBB45_500:
	s_wait_xcnt 0x0
	s_or_b32 exec_lo, exec_lo, s0
	scratch_load_b64 v[96:97], off, off offset:48
	s_mov_b32 s0, exec_lo
	s_wait_loadcnt 0x0
	ds_store_b64 v1, v[96:97]
	s_wait_storecnt_dscnt 0x0
	s_barrier_signal -1
	s_barrier_wait -1
	s_wait_xcnt 0x0
	v_cmpx_gt_u32_e32 6, v0
	s_cbranch_execz .LBB45_510
; %bb.501:
	v_cmp_ne_u32_e32 vcc_lo, 1, v98
	s_cbranch_vccnz .LBB45_503
; %bb.502:
	scratch_load_b64 v[96:97], v39, off
	ds_load_b64 v[100:101], v1
	s_wait_loadcnt_dscnt 0x0
	v_pk_mul_f32 v[102:103], v[100:101], v[96:97] op_sel:[1,1] op_sel_hi:[0,1]
	s_delay_alu instid0(VALU_DEP_1) | instskip(SKIP_1) | instid1(VALU_DEP_2)
	v_pk_fma_f32 v[104:105], v[100:101], v[96:97], v[102:103] op_sel_hi:[1,0,1]
	v_pk_fma_f32 v[96:97], v[100:101], v[96:97], v[102:103] neg_lo:[0,0,1] neg_hi:[0,0,1]
	v_mov_b32_e32 v97, v105
	s_cbranch_execz .LBB45_504
	s_branch .LBB45_505
.LBB45_503:
                                        ; implicit-def: $vgpr96_vgpr97
.LBB45_504:
	ds_load_b64 v[96:97], v1
.LBB45_505:
	s_mov_b32 s2, exec_lo
	v_cmpx_ne_u32_e32 5, v0
	s_cbranch_execz .LBB45_509
; %bb.506:
	v_add_nc_u32_e32 v99, 0x178, v38
	v_add3_u32 v100, 0, v38, 8
	v_mov_b32_e32 v101, v0
	s_mov_b32 s3, 0
.LBB45_507:                             ; =>This Inner Loop Header: Depth=1
	scratch_load_b64 v[102:103], v100, off
	ds_load_b64 v[104:105], v99
	s_wait_xcnt 0x0
	v_dual_add_nc_u32 v99, 8, v99 :: v_dual_add_nc_u32 v100, 8, v100
	s_wait_loadcnt_dscnt 0x0
	v_pk_mul_f32 v[106:107], v[104:105], v[102:103] op_sel:[1,1] op_sel_hi:[0,1]
	s_delay_alu instid0(VALU_DEP_1) | instskip(SKIP_2) | instid1(VALU_DEP_3)
	v_pk_fma_f32 v[108:109], v[104:105], v[102:103], v[106:107] op_sel_hi:[1,0,1]
	v_add_nc_u32_e32 v101, 1, v101
	v_pk_fma_f32 v[102:103], v[104:105], v[102:103], v[106:107] neg_lo:[0,0,1] neg_hi:[0,0,1]
	v_mov_b32_e32 v103, v109
	s_delay_alu instid0(VALU_DEP_3) | instskip(NEXT) | instid1(VALU_DEP_2)
	v_cmp_lt_u32_e32 vcc_lo, 4, v101
	v_pk_add_f32 v[96:97], v[96:97], v[102:103]
	s_or_b32 s3, vcc_lo, s3
	s_delay_alu instid0(SALU_CYCLE_1)
	s_and_not1_b32 exec_lo, exec_lo, s3
	s_cbranch_execnz .LBB45_507
; %bb.508:
	s_or_b32 exec_lo, exec_lo, s3
.LBB45_509:
	s_delay_alu instid0(SALU_CYCLE_1) | instskip(SKIP_4) | instid1(VALU_DEP_1)
	s_or_b32 exec_lo, exec_lo, s2
	v_mov_b32_e32 v99, 0
	ds_load_b64 v[100:101], v99 offset:48
	s_wait_dscnt 0x0
	v_pk_mul_f32 v[102:103], v[96:97], v[100:101] op_sel:[1,1] op_sel_hi:[0,1]
	v_pk_fma_f32 v[104:105], v[96:97], v[100:101], v[102:103] op_sel_hi:[1,0,1]
	v_pk_fma_f32 v[96:97], v[96:97], v[100:101], v[102:103] neg_lo:[0,0,1] neg_hi:[0,0,1]
	s_delay_alu instid0(VALU_DEP_2)
	v_mov_b32_e32 v97, v105
	scratch_store_b64 off, v[96:97], off offset:48
.LBB45_510:
	s_wait_xcnt 0x0
	s_or_b32 exec_lo, exec_lo, s0
	scratch_load_b64 v[96:97], off, off offset:56
	s_mov_b32 s0, exec_lo
	s_wait_loadcnt 0x0
	ds_store_b64 v1, v[96:97]
	s_wait_storecnt_dscnt 0x0
	s_barrier_signal -1
	s_barrier_wait -1
	s_wait_xcnt 0x0
	v_cmpx_gt_u32_e32 7, v0
	s_cbranch_execz .LBB45_520
; %bb.511:
	v_cmp_ne_u32_e32 vcc_lo, 1, v98
	s_cbranch_vccnz .LBB45_513
; %bb.512:
	scratch_load_b64 v[96:97], v39, off
	ds_load_b64 v[100:101], v1
	s_wait_loadcnt_dscnt 0x0
	v_pk_mul_f32 v[102:103], v[100:101], v[96:97] op_sel:[1,1] op_sel_hi:[0,1]
	s_delay_alu instid0(VALU_DEP_1) | instskip(SKIP_1) | instid1(VALU_DEP_2)
	v_pk_fma_f32 v[104:105], v[100:101], v[96:97], v[102:103] op_sel_hi:[1,0,1]
	v_pk_fma_f32 v[96:97], v[100:101], v[96:97], v[102:103] neg_lo:[0,0,1] neg_hi:[0,0,1]
	v_mov_b32_e32 v97, v105
	s_cbranch_execz .LBB45_514
	s_branch .LBB45_515
.LBB45_513:
                                        ; implicit-def: $vgpr96_vgpr97
.LBB45_514:
	ds_load_b64 v[96:97], v1
.LBB45_515:
	s_mov_b32 s2, exec_lo
	v_cmpx_ne_u32_e32 6, v0
	s_cbranch_execz .LBB45_519
; %bb.516:
	v_add_nc_u32_e32 v99, 0x178, v38
	v_add3_u32 v100, 0, v38, 8
	v_mov_b32_e32 v101, v0
	s_mov_b32 s3, 0
.LBB45_517:                             ; =>This Inner Loop Header: Depth=1
	scratch_load_b64 v[102:103], v100, off
	ds_load_b64 v[104:105], v99
	s_wait_xcnt 0x0
	v_dual_add_nc_u32 v99, 8, v99 :: v_dual_add_nc_u32 v100, 8, v100
	s_wait_loadcnt_dscnt 0x0
	v_pk_mul_f32 v[106:107], v[104:105], v[102:103] op_sel:[1,1] op_sel_hi:[0,1]
	s_delay_alu instid0(VALU_DEP_1) | instskip(SKIP_2) | instid1(VALU_DEP_3)
	v_pk_fma_f32 v[108:109], v[104:105], v[102:103], v[106:107] op_sel_hi:[1,0,1]
	v_add_nc_u32_e32 v101, 1, v101
	v_pk_fma_f32 v[102:103], v[104:105], v[102:103], v[106:107] neg_lo:[0,0,1] neg_hi:[0,0,1]
	v_mov_b32_e32 v103, v109
	s_delay_alu instid0(VALU_DEP_3) | instskip(NEXT) | instid1(VALU_DEP_2)
	v_cmp_lt_u32_e32 vcc_lo, 5, v101
	v_pk_add_f32 v[96:97], v[96:97], v[102:103]
	s_or_b32 s3, vcc_lo, s3
	s_delay_alu instid0(SALU_CYCLE_1)
	s_and_not1_b32 exec_lo, exec_lo, s3
	s_cbranch_execnz .LBB45_517
; %bb.518:
	s_or_b32 exec_lo, exec_lo, s3
.LBB45_519:
	s_delay_alu instid0(SALU_CYCLE_1) | instskip(SKIP_4) | instid1(VALU_DEP_1)
	s_or_b32 exec_lo, exec_lo, s2
	v_mov_b32_e32 v99, 0
	ds_load_b64 v[100:101], v99 offset:56
	s_wait_dscnt 0x0
	v_pk_mul_f32 v[102:103], v[96:97], v[100:101] op_sel:[1,1] op_sel_hi:[0,1]
	v_pk_fma_f32 v[104:105], v[96:97], v[100:101], v[102:103] op_sel_hi:[1,0,1]
	v_pk_fma_f32 v[96:97], v[96:97], v[100:101], v[102:103] neg_lo:[0,0,1] neg_hi:[0,0,1]
	s_delay_alu instid0(VALU_DEP_2)
	v_mov_b32_e32 v97, v105
	scratch_store_b64 off, v[96:97], off offset:56
.LBB45_520:
	s_wait_xcnt 0x0
	s_or_b32 exec_lo, exec_lo, s0
	scratch_load_b64 v[96:97], off, off offset:64
	s_mov_b32 s0, exec_lo
	s_wait_loadcnt 0x0
	ds_store_b64 v1, v[96:97]
	s_wait_storecnt_dscnt 0x0
	s_barrier_signal -1
	s_barrier_wait -1
	s_wait_xcnt 0x0
	v_cmpx_gt_u32_e32 8, v0
	s_cbranch_execz .LBB45_530
; %bb.521:
	v_cmp_ne_u32_e32 vcc_lo, 1, v98
	s_cbranch_vccnz .LBB45_523
; %bb.522:
	scratch_load_b64 v[96:97], v39, off
	ds_load_b64 v[100:101], v1
	s_wait_loadcnt_dscnt 0x0
	v_pk_mul_f32 v[102:103], v[100:101], v[96:97] op_sel:[1,1] op_sel_hi:[0,1]
	s_delay_alu instid0(VALU_DEP_1) | instskip(SKIP_1) | instid1(VALU_DEP_2)
	v_pk_fma_f32 v[104:105], v[100:101], v[96:97], v[102:103] op_sel_hi:[1,0,1]
	v_pk_fma_f32 v[96:97], v[100:101], v[96:97], v[102:103] neg_lo:[0,0,1] neg_hi:[0,0,1]
	v_mov_b32_e32 v97, v105
	s_cbranch_execz .LBB45_524
	s_branch .LBB45_525
.LBB45_523:
                                        ; implicit-def: $vgpr96_vgpr97
.LBB45_524:
	ds_load_b64 v[96:97], v1
.LBB45_525:
	s_mov_b32 s2, exec_lo
	v_cmpx_ne_u32_e32 7, v0
	s_cbranch_execz .LBB45_529
; %bb.526:
	v_add_nc_u32_e32 v99, 0x178, v38
	v_add3_u32 v100, 0, v38, 8
	v_mov_b32_e32 v101, v0
	s_mov_b32 s3, 0
.LBB45_527:                             ; =>This Inner Loop Header: Depth=1
	scratch_load_b64 v[102:103], v100, off
	ds_load_b64 v[104:105], v99
	s_wait_xcnt 0x0
	v_dual_add_nc_u32 v99, 8, v99 :: v_dual_add_nc_u32 v100, 8, v100
	s_wait_loadcnt_dscnt 0x0
	v_pk_mul_f32 v[106:107], v[104:105], v[102:103] op_sel:[1,1] op_sel_hi:[0,1]
	s_delay_alu instid0(VALU_DEP_1) | instskip(SKIP_2) | instid1(VALU_DEP_3)
	v_pk_fma_f32 v[108:109], v[104:105], v[102:103], v[106:107] op_sel_hi:[1,0,1]
	v_add_nc_u32_e32 v101, 1, v101
	v_pk_fma_f32 v[102:103], v[104:105], v[102:103], v[106:107] neg_lo:[0,0,1] neg_hi:[0,0,1]
	v_mov_b32_e32 v103, v109
	s_delay_alu instid0(VALU_DEP_3) | instskip(NEXT) | instid1(VALU_DEP_2)
	v_cmp_lt_u32_e32 vcc_lo, 6, v101
	v_pk_add_f32 v[96:97], v[96:97], v[102:103]
	s_or_b32 s3, vcc_lo, s3
	s_delay_alu instid0(SALU_CYCLE_1)
	s_and_not1_b32 exec_lo, exec_lo, s3
	s_cbranch_execnz .LBB45_527
; %bb.528:
	s_or_b32 exec_lo, exec_lo, s3
.LBB45_529:
	s_delay_alu instid0(SALU_CYCLE_1) | instskip(SKIP_4) | instid1(VALU_DEP_1)
	s_or_b32 exec_lo, exec_lo, s2
	v_mov_b32_e32 v99, 0
	ds_load_b64 v[100:101], v99 offset:64
	s_wait_dscnt 0x0
	v_pk_mul_f32 v[102:103], v[96:97], v[100:101] op_sel:[1,1] op_sel_hi:[0,1]
	v_pk_fma_f32 v[104:105], v[96:97], v[100:101], v[102:103] op_sel_hi:[1,0,1]
	v_pk_fma_f32 v[96:97], v[96:97], v[100:101], v[102:103] neg_lo:[0,0,1] neg_hi:[0,0,1]
	s_delay_alu instid0(VALU_DEP_2)
	v_mov_b32_e32 v97, v105
	scratch_store_b64 off, v[96:97], off offset:64
.LBB45_530:
	s_wait_xcnt 0x0
	s_or_b32 exec_lo, exec_lo, s0
	scratch_load_b64 v[96:97], off, off offset:72
	s_mov_b32 s0, exec_lo
	s_wait_loadcnt 0x0
	ds_store_b64 v1, v[96:97]
	s_wait_storecnt_dscnt 0x0
	s_barrier_signal -1
	s_barrier_wait -1
	s_wait_xcnt 0x0
	v_cmpx_gt_u32_e32 9, v0
	s_cbranch_execz .LBB45_540
; %bb.531:
	v_cmp_ne_u32_e32 vcc_lo, 1, v98
	s_cbranch_vccnz .LBB45_533
; %bb.532:
	scratch_load_b64 v[96:97], v39, off
	ds_load_b64 v[100:101], v1
	s_wait_loadcnt_dscnt 0x0
	v_pk_mul_f32 v[102:103], v[100:101], v[96:97] op_sel:[1,1] op_sel_hi:[0,1]
	s_delay_alu instid0(VALU_DEP_1) | instskip(SKIP_1) | instid1(VALU_DEP_2)
	v_pk_fma_f32 v[104:105], v[100:101], v[96:97], v[102:103] op_sel_hi:[1,0,1]
	v_pk_fma_f32 v[96:97], v[100:101], v[96:97], v[102:103] neg_lo:[0,0,1] neg_hi:[0,0,1]
	v_mov_b32_e32 v97, v105
	s_cbranch_execz .LBB45_534
	s_branch .LBB45_535
.LBB45_533:
                                        ; implicit-def: $vgpr96_vgpr97
.LBB45_534:
	ds_load_b64 v[96:97], v1
.LBB45_535:
	s_mov_b32 s2, exec_lo
	v_cmpx_ne_u32_e32 8, v0
	s_cbranch_execz .LBB45_539
; %bb.536:
	v_add_nc_u32_e32 v99, 0x178, v38
	v_add3_u32 v100, 0, v38, 8
	v_mov_b32_e32 v101, v0
	s_mov_b32 s3, 0
.LBB45_537:                             ; =>This Inner Loop Header: Depth=1
	scratch_load_b64 v[102:103], v100, off
	ds_load_b64 v[104:105], v99
	s_wait_xcnt 0x0
	v_dual_add_nc_u32 v99, 8, v99 :: v_dual_add_nc_u32 v100, 8, v100
	s_wait_loadcnt_dscnt 0x0
	v_pk_mul_f32 v[106:107], v[104:105], v[102:103] op_sel:[1,1] op_sel_hi:[0,1]
	s_delay_alu instid0(VALU_DEP_1) | instskip(SKIP_2) | instid1(VALU_DEP_3)
	v_pk_fma_f32 v[108:109], v[104:105], v[102:103], v[106:107] op_sel_hi:[1,0,1]
	v_add_nc_u32_e32 v101, 1, v101
	v_pk_fma_f32 v[102:103], v[104:105], v[102:103], v[106:107] neg_lo:[0,0,1] neg_hi:[0,0,1]
	v_mov_b32_e32 v103, v109
	s_delay_alu instid0(VALU_DEP_3) | instskip(NEXT) | instid1(VALU_DEP_2)
	v_cmp_lt_u32_e32 vcc_lo, 7, v101
	v_pk_add_f32 v[96:97], v[96:97], v[102:103]
	s_or_b32 s3, vcc_lo, s3
	s_delay_alu instid0(SALU_CYCLE_1)
	s_and_not1_b32 exec_lo, exec_lo, s3
	s_cbranch_execnz .LBB45_537
; %bb.538:
	s_or_b32 exec_lo, exec_lo, s3
.LBB45_539:
	s_delay_alu instid0(SALU_CYCLE_1) | instskip(SKIP_4) | instid1(VALU_DEP_1)
	s_or_b32 exec_lo, exec_lo, s2
	v_mov_b32_e32 v99, 0
	ds_load_b64 v[100:101], v99 offset:72
	s_wait_dscnt 0x0
	v_pk_mul_f32 v[102:103], v[96:97], v[100:101] op_sel:[1,1] op_sel_hi:[0,1]
	v_pk_fma_f32 v[104:105], v[96:97], v[100:101], v[102:103] op_sel_hi:[1,0,1]
	v_pk_fma_f32 v[96:97], v[96:97], v[100:101], v[102:103] neg_lo:[0,0,1] neg_hi:[0,0,1]
	s_delay_alu instid0(VALU_DEP_2)
	v_mov_b32_e32 v97, v105
	scratch_store_b64 off, v[96:97], off offset:72
.LBB45_540:
	s_wait_xcnt 0x0
	s_or_b32 exec_lo, exec_lo, s0
	scratch_load_b64 v[96:97], off, off offset:80
	s_mov_b32 s0, exec_lo
	s_wait_loadcnt 0x0
	ds_store_b64 v1, v[96:97]
	s_wait_storecnt_dscnt 0x0
	s_barrier_signal -1
	s_barrier_wait -1
	s_wait_xcnt 0x0
	v_cmpx_gt_u32_e32 10, v0
	s_cbranch_execz .LBB45_550
; %bb.541:
	v_cmp_ne_u32_e32 vcc_lo, 1, v98
	s_cbranch_vccnz .LBB45_543
; %bb.542:
	scratch_load_b64 v[96:97], v39, off
	ds_load_b64 v[100:101], v1
	s_wait_loadcnt_dscnt 0x0
	v_pk_mul_f32 v[102:103], v[100:101], v[96:97] op_sel:[1,1] op_sel_hi:[0,1]
	s_delay_alu instid0(VALU_DEP_1) | instskip(SKIP_1) | instid1(VALU_DEP_2)
	v_pk_fma_f32 v[104:105], v[100:101], v[96:97], v[102:103] op_sel_hi:[1,0,1]
	v_pk_fma_f32 v[96:97], v[100:101], v[96:97], v[102:103] neg_lo:[0,0,1] neg_hi:[0,0,1]
	v_mov_b32_e32 v97, v105
	s_cbranch_execz .LBB45_544
	s_branch .LBB45_545
.LBB45_543:
                                        ; implicit-def: $vgpr96_vgpr97
.LBB45_544:
	ds_load_b64 v[96:97], v1
.LBB45_545:
	s_mov_b32 s2, exec_lo
	v_cmpx_ne_u32_e32 9, v0
	s_cbranch_execz .LBB45_549
; %bb.546:
	v_add_nc_u32_e32 v99, 0x178, v38
	v_add3_u32 v100, 0, v38, 8
	v_mov_b32_e32 v101, v0
	s_mov_b32 s3, 0
.LBB45_547:                             ; =>This Inner Loop Header: Depth=1
	scratch_load_b64 v[102:103], v100, off
	ds_load_b64 v[104:105], v99
	s_wait_xcnt 0x0
	v_dual_add_nc_u32 v99, 8, v99 :: v_dual_add_nc_u32 v100, 8, v100
	s_wait_loadcnt_dscnt 0x0
	v_pk_mul_f32 v[106:107], v[104:105], v[102:103] op_sel:[1,1] op_sel_hi:[0,1]
	s_delay_alu instid0(VALU_DEP_1) | instskip(SKIP_2) | instid1(VALU_DEP_3)
	v_pk_fma_f32 v[108:109], v[104:105], v[102:103], v[106:107] op_sel_hi:[1,0,1]
	v_add_nc_u32_e32 v101, 1, v101
	v_pk_fma_f32 v[102:103], v[104:105], v[102:103], v[106:107] neg_lo:[0,0,1] neg_hi:[0,0,1]
	v_mov_b32_e32 v103, v109
	s_delay_alu instid0(VALU_DEP_3) | instskip(NEXT) | instid1(VALU_DEP_2)
	v_cmp_lt_u32_e32 vcc_lo, 8, v101
	v_pk_add_f32 v[96:97], v[96:97], v[102:103]
	s_or_b32 s3, vcc_lo, s3
	s_delay_alu instid0(SALU_CYCLE_1)
	s_and_not1_b32 exec_lo, exec_lo, s3
	s_cbranch_execnz .LBB45_547
; %bb.548:
	s_or_b32 exec_lo, exec_lo, s3
.LBB45_549:
	s_delay_alu instid0(SALU_CYCLE_1) | instskip(SKIP_4) | instid1(VALU_DEP_1)
	s_or_b32 exec_lo, exec_lo, s2
	v_mov_b32_e32 v99, 0
	ds_load_b64 v[100:101], v99 offset:80
	s_wait_dscnt 0x0
	v_pk_mul_f32 v[102:103], v[96:97], v[100:101] op_sel:[1,1] op_sel_hi:[0,1]
	v_pk_fma_f32 v[104:105], v[96:97], v[100:101], v[102:103] op_sel_hi:[1,0,1]
	v_pk_fma_f32 v[96:97], v[96:97], v[100:101], v[102:103] neg_lo:[0,0,1] neg_hi:[0,0,1]
	s_delay_alu instid0(VALU_DEP_2)
	v_mov_b32_e32 v97, v105
	scratch_store_b64 off, v[96:97], off offset:80
.LBB45_550:
	s_wait_xcnt 0x0
	s_or_b32 exec_lo, exec_lo, s0
	scratch_load_b64 v[96:97], off, off offset:88
	s_mov_b32 s0, exec_lo
	s_wait_loadcnt 0x0
	ds_store_b64 v1, v[96:97]
	s_wait_storecnt_dscnt 0x0
	s_barrier_signal -1
	s_barrier_wait -1
	s_wait_xcnt 0x0
	v_cmpx_gt_u32_e32 11, v0
	s_cbranch_execz .LBB45_560
; %bb.551:
	v_cmp_ne_u32_e32 vcc_lo, 1, v98
	s_cbranch_vccnz .LBB45_553
; %bb.552:
	scratch_load_b64 v[96:97], v39, off
	ds_load_b64 v[100:101], v1
	s_wait_loadcnt_dscnt 0x0
	v_pk_mul_f32 v[102:103], v[100:101], v[96:97] op_sel:[1,1] op_sel_hi:[0,1]
	s_delay_alu instid0(VALU_DEP_1) | instskip(SKIP_1) | instid1(VALU_DEP_2)
	v_pk_fma_f32 v[104:105], v[100:101], v[96:97], v[102:103] op_sel_hi:[1,0,1]
	v_pk_fma_f32 v[96:97], v[100:101], v[96:97], v[102:103] neg_lo:[0,0,1] neg_hi:[0,0,1]
	v_mov_b32_e32 v97, v105
	s_cbranch_execz .LBB45_554
	s_branch .LBB45_555
.LBB45_553:
                                        ; implicit-def: $vgpr96_vgpr97
.LBB45_554:
	ds_load_b64 v[96:97], v1
.LBB45_555:
	s_mov_b32 s2, exec_lo
	v_cmpx_ne_u32_e32 10, v0
	s_cbranch_execz .LBB45_559
; %bb.556:
	v_add_nc_u32_e32 v99, 0x178, v38
	v_add3_u32 v100, 0, v38, 8
	v_mov_b32_e32 v101, v0
	s_mov_b32 s3, 0
.LBB45_557:                             ; =>This Inner Loop Header: Depth=1
	scratch_load_b64 v[102:103], v100, off
	ds_load_b64 v[104:105], v99
	s_wait_xcnt 0x0
	v_dual_add_nc_u32 v99, 8, v99 :: v_dual_add_nc_u32 v100, 8, v100
	s_wait_loadcnt_dscnt 0x0
	v_pk_mul_f32 v[106:107], v[104:105], v[102:103] op_sel:[1,1] op_sel_hi:[0,1]
	s_delay_alu instid0(VALU_DEP_1) | instskip(SKIP_2) | instid1(VALU_DEP_3)
	v_pk_fma_f32 v[108:109], v[104:105], v[102:103], v[106:107] op_sel_hi:[1,0,1]
	v_add_nc_u32_e32 v101, 1, v101
	v_pk_fma_f32 v[102:103], v[104:105], v[102:103], v[106:107] neg_lo:[0,0,1] neg_hi:[0,0,1]
	v_mov_b32_e32 v103, v109
	s_delay_alu instid0(VALU_DEP_3) | instskip(NEXT) | instid1(VALU_DEP_2)
	v_cmp_lt_u32_e32 vcc_lo, 9, v101
	v_pk_add_f32 v[96:97], v[96:97], v[102:103]
	s_or_b32 s3, vcc_lo, s3
	s_delay_alu instid0(SALU_CYCLE_1)
	s_and_not1_b32 exec_lo, exec_lo, s3
	s_cbranch_execnz .LBB45_557
; %bb.558:
	s_or_b32 exec_lo, exec_lo, s3
.LBB45_559:
	s_delay_alu instid0(SALU_CYCLE_1) | instskip(SKIP_4) | instid1(VALU_DEP_1)
	s_or_b32 exec_lo, exec_lo, s2
	v_mov_b32_e32 v99, 0
	ds_load_b64 v[100:101], v99 offset:88
	s_wait_dscnt 0x0
	v_pk_mul_f32 v[102:103], v[96:97], v[100:101] op_sel:[1,1] op_sel_hi:[0,1]
	v_pk_fma_f32 v[104:105], v[96:97], v[100:101], v[102:103] op_sel_hi:[1,0,1]
	v_pk_fma_f32 v[96:97], v[96:97], v[100:101], v[102:103] neg_lo:[0,0,1] neg_hi:[0,0,1]
	s_delay_alu instid0(VALU_DEP_2)
	v_mov_b32_e32 v97, v105
	scratch_store_b64 off, v[96:97], off offset:88
.LBB45_560:
	s_wait_xcnt 0x0
	s_or_b32 exec_lo, exec_lo, s0
	scratch_load_b64 v[96:97], off, off offset:96
	s_mov_b32 s0, exec_lo
	s_wait_loadcnt 0x0
	ds_store_b64 v1, v[96:97]
	s_wait_storecnt_dscnt 0x0
	s_barrier_signal -1
	s_barrier_wait -1
	s_wait_xcnt 0x0
	v_cmpx_gt_u32_e32 12, v0
	s_cbranch_execz .LBB45_570
; %bb.561:
	v_cmp_ne_u32_e32 vcc_lo, 1, v98
	s_cbranch_vccnz .LBB45_563
; %bb.562:
	scratch_load_b64 v[96:97], v39, off
	ds_load_b64 v[100:101], v1
	s_wait_loadcnt_dscnt 0x0
	v_pk_mul_f32 v[102:103], v[100:101], v[96:97] op_sel:[1,1] op_sel_hi:[0,1]
	s_delay_alu instid0(VALU_DEP_1) | instskip(SKIP_1) | instid1(VALU_DEP_2)
	v_pk_fma_f32 v[104:105], v[100:101], v[96:97], v[102:103] op_sel_hi:[1,0,1]
	v_pk_fma_f32 v[96:97], v[100:101], v[96:97], v[102:103] neg_lo:[0,0,1] neg_hi:[0,0,1]
	v_mov_b32_e32 v97, v105
	s_cbranch_execz .LBB45_564
	s_branch .LBB45_565
.LBB45_563:
                                        ; implicit-def: $vgpr96_vgpr97
.LBB45_564:
	ds_load_b64 v[96:97], v1
.LBB45_565:
	s_mov_b32 s2, exec_lo
	v_cmpx_ne_u32_e32 11, v0
	s_cbranch_execz .LBB45_569
; %bb.566:
	v_add_nc_u32_e32 v99, 0x178, v38
	v_add3_u32 v100, 0, v38, 8
	v_mov_b32_e32 v101, v0
	s_mov_b32 s3, 0
.LBB45_567:                             ; =>This Inner Loop Header: Depth=1
	scratch_load_b64 v[102:103], v100, off
	ds_load_b64 v[104:105], v99
	s_wait_xcnt 0x0
	v_dual_add_nc_u32 v99, 8, v99 :: v_dual_add_nc_u32 v100, 8, v100
	s_wait_loadcnt_dscnt 0x0
	v_pk_mul_f32 v[106:107], v[104:105], v[102:103] op_sel:[1,1] op_sel_hi:[0,1]
	s_delay_alu instid0(VALU_DEP_1) | instskip(SKIP_2) | instid1(VALU_DEP_3)
	v_pk_fma_f32 v[108:109], v[104:105], v[102:103], v[106:107] op_sel_hi:[1,0,1]
	v_add_nc_u32_e32 v101, 1, v101
	v_pk_fma_f32 v[102:103], v[104:105], v[102:103], v[106:107] neg_lo:[0,0,1] neg_hi:[0,0,1]
	v_mov_b32_e32 v103, v109
	s_delay_alu instid0(VALU_DEP_3) | instskip(NEXT) | instid1(VALU_DEP_2)
	v_cmp_lt_u32_e32 vcc_lo, 10, v101
	v_pk_add_f32 v[96:97], v[96:97], v[102:103]
	s_or_b32 s3, vcc_lo, s3
	s_delay_alu instid0(SALU_CYCLE_1)
	s_and_not1_b32 exec_lo, exec_lo, s3
	s_cbranch_execnz .LBB45_567
; %bb.568:
	s_or_b32 exec_lo, exec_lo, s3
.LBB45_569:
	s_delay_alu instid0(SALU_CYCLE_1) | instskip(SKIP_4) | instid1(VALU_DEP_1)
	s_or_b32 exec_lo, exec_lo, s2
	v_mov_b32_e32 v99, 0
	ds_load_b64 v[100:101], v99 offset:96
	s_wait_dscnt 0x0
	v_pk_mul_f32 v[102:103], v[96:97], v[100:101] op_sel:[1,1] op_sel_hi:[0,1]
	v_pk_fma_f32 v[104:105], v[96:97], v[100:101], v[102:103] op_sel_hi:[1,0,1]
	v_pk_fma_f32 v[96:97], v[96:97], v[100:101], v[102:103] neg_lo:[0,0,1] neg_hi:[0,0,1]
	s_delay_alu instid0(VALU_DEP_2)
	v_mov_b32_e32 v97, v105
	scratch_store_b64 off, v[96:97], off offset:96
.LBB45_570:
	s_wait_xcnt 0x0
	s_or_b32 exec_lo, exec_lo, s0
	scratch_load_b64 v[96:97], off, off offset:104
	s_mov_b32 s0, exec_lo
	s_wait_loadcnt 0x0
	ds_store_b64 v1, v[96:97]
	s_wait_storecnt_dscnt 0x0
	s_barrier_signal -1
	s_barrier_wait -1
	s_wait_xcnt 0x0
	v_cmpx_gt_u32_e32 13, v0
	s_cbranch_execz .LBB45_580
; %bb.571:
	v_cmp_ne_u32_e32 vcc_lo, 1, v98
	s_cbranch_vccnz .LBB45_573
; %bb.572:
	scratch_load_b64 v[96:97], v39, off
	ds_load_b64 v[100:101], v1
	s_wait_loadcnt_dscnt 0x0
	v_pk_mul_f32 v[102:103], v[100:101], v[96:97] op_sel:[1,1] op_sel_hi:[0,1]
	s_delay_alu instid0(VALU_DEP_1) | instskip(SKIP_1) | instid1(VALU_DEP_2)
	v_pk_fma_f32 v[104:105], v[100:101], v[96:97], v[102:103] op_sel_hi:[1,0,1]
	v_pk_fma_f32 v[96:97], v[100:101], v[96:97], v[102:103] neg_lo:[0,0,1] neg_hi:[0,0,1]
	v_mov_b32_e32 v97, v105
	s_cbranch_execz .LBB45_574
	s_branch .LBB45_575
.LBB45_573:
                                        ; implicit-def: $vgpr96_vgpr97
.LBB45_574:
	ds_load_b64 v[96:97], v1
.LBB45_575:
	s_mov_b32 s2, exec_lo
	v_cmpx_ne_u32_e32 12, v0
	s_cbranch_execz .LBB45_579
; %bb.576:
	v_add_nc_u32_e32 v99, 0x178, v38
	v_add3_u32 v100, 0, v38, 8
	v_mov_b32_e32 v101, v0
	s_mov_b32 s3, 0
.LBB45_577:                             ; =>This Inner Loop Header: Depth=1
	scratch_load_b64 v[102:103], v100, off
	ds_load_b64 v[104:105], v99
	s_wait_xcnt 0x0
	v_dual_add_nc_u32 v99, 8, v99 :: v_dual_add_nc_u32 v100, 8, v100
	s_wait_loadcnt_dscnt 0x0
	v_pk_mul_f32 v[106:107], v[104:105], v[102:103] op_sel:[1,1] op_sel_hi:[0,1]
	s_delay_alu instid0(VALU_DEP_1) | instskip(SKIP_2) | instid1(VALU_DEP_3)
	v_pk_fma_f32 v[108:109], v[104:105], v[102:103], v[106:107] op_sel_hi:[1,0,1]
	v_add_nc_u32_e32 v101, 1, v101
	v_pk_fma_f32 v[102:103], v[104:105], v[102:103], v[106:107] neg_lo:[0,0,1] neg_hi:[0,0,1]
	v_mov_b32_e32 v103, v109
	s_delay_alu instid0(VALU_DEP_3) | instskip(NEXT) | instid1(VALU_DEP_2)
	v_cmp_lt_u32_e32 vcc_lo, 11, v101
	v_pk_add_f32 v[96:97], v[96:97], v[102:103]
	s_or_b32 s3, vcc_lo, s3
	s_delay_alu instid0(SALU_CYCLE_1)
	s_and_not1_b32 exec_lo, exec_lo, s3
	s_cbranch_execnz .LBB45_577
; %bb.578:
	s_or_b32 exec_lo, exec_lo, s3
.LBB45_579:
	s_delay_alu instid0(SALU_CYCLE_1) | instskip(SKIP_4) | instid1(VALU_DEP_1)
	s_or_b32 exec_lo, exec_lo, s2
	v_mov_b32_e32 v99, 0
	ds_load_b64 v[100:101], v99 offset:104
	s_wait_dscnt 0x0
	v_pk_mul_f32 v[102:103], v[96:97], v[100:101] op_sel:[1,1] op_sel_hi:[0,1]
	v_pk_fma_f32 v[104:105], v[96:97], v[100:101], v[102:103] op_sel_hi:[1,0,1]
	v_pk_fma_f32 v[96:97], v[96:97], v[100:101], v[102:103] neg_lo:[0,0,1] neg_hi:[0,0,1]
	s_delay_alu instid0(VALU_DEP_2)
	v_mov_b32_e32 v97, v105
	scratch_store_b64 off, v[96:97], off offset:104
.LBB45_580:
	s_wait_xcnt 0x0
	s_or_b32 exec_lo, exec_lo, s0
	scratch_load_b64 v[96:97], off, off offset:112
	s_mov_b32 s0, exec_lo
	s_wait_loadcnt 0x0
	ds_store_b64 v1, v[96:97]
	s_wait_storecnt_dscnt 0x0
	s_barrier_signal -1
	s_barrier_wait -1
	s_wait_xcnt 0x0
	v_cmpx_gt_u32_e32 14, v0
	s_cbranch_execz .LBB45_590
; %bb.581:
	v_cmp_ne_u32_e32 vcc_lo, 1, v98
	s_cbranch_vccnz .LBB45_583
; %bb.582:
	scratch_load_b64 v[96:97], v39, off
	ds_load_b64 v[100:101], v1
	s_wait_loadcnt_dscnt 0x0
	v_pk_mul_f32 v[102:103], v[100:101], v[96:97] op_sel:[1,1] op_sel_hi:[0,1]
	s_delay_alu instid0(VALU_DEP_1) | instskip(SKIP_1) | instid1(VALU_DEP_2)
	v_pk_fma_f32 v[104:105], v[100:101], v[96:97], v[102:103] op_sel_hi:[1,0,1]
	v_pk_fma_f32 v[96:97], v[100:101], v[96:97], v[102:103] neg_lo:[0,0,1] neg_hi:[0,0,1]
	v_mov_b32_e32 v97, v105
	s_cbranch_execz .LBB45_584
	s_branch .LBB45_585
.LBB45_583:
                                        ; implicit-def: $vgpr96_vgpr97
.LBB45_584:
	ds_load_b64 v[96:97], v1
.LBB45_585:
	s_mov_b32 s2, exec_lo
	v_cmpx_ne_u32_e32 13, v0
	s_cbranch_execz .LBB45_589
; %bb.586:
	v_add_nc_u32_e32 v99, 0x178, v38
	v_add3_u32 v100, 0, v38, 8
	v_mov_b32_e32 v101, v0
	s_mov_b32 s3, 0
.LBB45_587:                             ; =>This Inner Loop Header: Depth=1
	scratch_load_b64 v[102:103], v100, off
	ds_load_b64 v[104:105], v99
	s_wait_xcnt 0x0
	v_dual_add_nc_u32 v99, 8, v99 :: v_dual_add_nc_u32 v100, 8, v100
	s_wait_loadcnt_dscnt 0x0
	v_pk_mul_f32 v[106:107], v[104:105], v[102:103] op_sel:[1,1] op_sel_hi:[0,1]
	s_delay_alu instid0(VALU_DEP_1) | instskip(SKIP_2) | instid1(VALU_DEP_3)
	v_pk_fma_f32 v[108:109], v[104:105], v[102:103], v[106:107] op_sel_hi:[1,0,1]
	v_add_nc_u32_e32 v101, 1, v101
	v_pk_fma_f32 v[102:103], v[104:105], v[102:103], v[106:107] neg_lo:[0,0,1] neg_hi:[0,0,1]
	v_mov_b32_e32 v103, v109
	s_delay_alu instid0(VALU_DEP_3) | instskip(NEXT) | instid1(VALU_DEP_2)
	v_cmp_lt_u32_e32 vcc_lo, 12, v101
	v_pk_add_f32 v[96:97], v[96:97], v[102:103]
	s_or_b32 s3, vcc_lo, s3
	s_delay_alu instid0(SALU_CYCLE_1)
	s_and_not1_b32 exec_lo, exec_lo, s3
	s_cbranch_execnz .LBB45_587
; %bb.588:
	s_or_b32 exec_lo, exec_lo, s3
.LBB45_589:
	s_delay_alu instid0(SALU_CYCLE_1) | instskip(SKIP_4) | instid1(VALU_DEP_1)
	s_or_b32 exec_lo, exec_lo, s2
	v_mov_b32_e32 v99, 0
	ds_load_b64 v[100:101], v99 offset:112
	s_wait_dscnt 0x0
	v_pk_mul_f32 v[102:103], v[96:97], v[100:101] op_sel:[1,1] op_sel_hi:[0,1]
	v_pk_fma_f32 v[104:105], v[96:97], v[100:101], v[102:103] op_sel_hi:[1,0,1]
	v_pk_fma_f32 v[96:97], v[96:97], v[100:101], v[102:103] neg_lo:[0,0,1] neg_hi:[0,0,1]
	s_delay_alu instid0(VALU_DEP_2)
	v_mov_b32_e32 v97, v105
	scratch_store_b64 off, v[96:97], off offset:112
.LBB45_590:
	s_wait_xcnt 0x0
	s_or_b32 exec_lo, exec_lo, s0
	scratch_load_b64 v[96:97], off, off offset:120
	s_mov_b32 s0, exec_lo
	s_wait_loadcnt 0x0
	ds_store_b64 v1, v[96:97]
	s_wait_storecnt_dscnt 0x0
	s_barrier_signal -1
	s_barrier_wait -1
	s_wait_xcnt 0x0
	v_cmpx_gt_u32_e32 15, v0
	s_cbranch_execz .LBB45_600
; %bb.591:
	v_cmp_ne_u32_e32 vcc_lo, 1, v98
	s_cbranch_vccnz .LBB45_593
; %bb.592:
	scratch_load_b64 v[96:97], v39, off
	ds_load_b64 v[100:101], v1
	s_wait_loadcnt_dscnt 0x0
	v_pk_mul_f32 v[102:103], v[100:101], v[96:97] op_sel:[1,1] op_sel_hi:[0,1]
	s_delay_alu instid0(VALU_DEP_1) | instskip(SKIP_1) | instid1(VALU_DEP_2)
	v_pk_fma_f32 v[104:105], v[100:101], v[96:97], v[102:103] op_sel_hi:[1,0,1]
	v_pk_fma_f32 v[96:97], v[100:101], v[96:97], v[102:103] neg_lo:[0,0,1] neg_hi:[0,0,1]
	v_mov_b32_e32 v97, v105
	s_cbranch_execz .LBB45_594
	s_branch .LBB45_595
.LBB45_593:
                                        ; implicit-def: $vgpr96_vgpr97
.LBB45_594:
	ds_load_b64 v[96:97], v1
.LBB45_595:
	s_mov_b32 s2, exec_lo
	v_cmpx_ne_u32_e32 14, v0
	s_cbranch_execz .LBB45_599
; %bb.596:
	v_add_nc_u32_e32 v99, 0x178, v38
	v_add3_u32 v100, 0, v38, 8
	v_mov_b32_e32 v101, v0
	s_mov_b32 s3, 0
.LBB45_597:                             ; =>This Inner Loop Header: Depth=1
	scratch_load_b64 v[102:103], v100, off
	ds_load_b64 v[104:105], v99
	s_wait_xcnt 0x0
	v_dual_add_nc_u32 v99, 8, v99 :: v_dual_add_nc_u32 v100, 8, v100
	s_wait_loadcnt_dscnt 0x0
	v_pk_mul_f32 v[106:107], v[104:105], v[102:103] op_sel:[1,1] op_sel_hi:[0,1]
	s_delay_alu instid0(VALU_DEP_1) | instskip(SKIP_2) | instid1(VALU_DEP_3)
	v_pk_fma_f32 v[108:109], v[104:105], v[102:103], v[106:107] op_sel_hi:[1,0,1]
	v_add_nc_u32_e32 v101, 1, v101
	v_pk_fma_f32 v[102:103], v[104:105], v[102:103], v[106:107] neg_lo:[0,0,1] neg_hi:[0,0,1]
	v_mov_b32_e32 v103, v109
	s_delay_alu instid0(VALU_DEP_3) | instskip(NEXT) | instid1(VALU_DEP_2)
	v_cmp_lt_u32_e32 vcc_lo, 13, v101
	v_pk_add_f32 v[96:97], v[96:97], v[102:103]
	s_or_b32 s3, vcc_lo, s3
	s_delay_alu instid0(SALU_CYCLE_1)
	s_and_not1_b32 exec_lo, exec_lo, s3
	s_cbranch_execnz .LBB45_597
; %bb.598:
	s_or_b32 exec_lo, exec_lo, s3
.LBB45_599:
	s_delay_alu instid0(SALU_CYCLE_1) | instskip(SKIP_4) | instid1(VALU_DEP_1)
	s_or_b32 exec_lo, exec_lo, s2
	v_mov_b32_e32 v99, 0
	ds_load_b64 v[100:101], v99 offset:120
	s_wait_dscnt 0x0
	v_pk_mul_f32 v[102:103], v[96:97], v[100:101] op_sel:[1,1] op_sel_hi:[0,1]
	v_pk_fma_f32 v[104:105], v[96:97], v[100:101], v[102:103] op_sel_hi:[1,0,1]
	v_pk_fma_f32 v[96:97], v[96:97], v[100:101], v[102:103] neg_lo:[0,0,1] neg_hi:[0,0,1]
	s_delay_alu instid0(VALU_DEP_2)
	v_mov_b32_e32 v97, v105
	scratch_store_b64 off, v[96:97], off offset:120
.LBB45_600:
	s_wait_xcnt 0x0
	s_or_b32 exec_lo, exec_lo, s0
	scratch_load_b64 v[96:97], off, off offset:128
	s_mov_b32 s0, exec_lo
	s_wait_loadcnt 0x0
	ds_store_b64 v1, v[96:97]
	s_wait_storecnt_dscnt 0x0
	s_barrier_signal -1
	s_barrier_wait -1
	s_wait_xcnt 0x0
	v_cmpx_gt_u32_e32 16, v0
	s_cbranch_execz .LBB45_610
; %bb.601:
	v_cmp_ne_u32_e32 vcc_lo, 1, v98
	s_cbranch_vccnz .LBB45_603
; %bb.602:
	scratch_load_b64 v[96:97], v39, off
	ds_load_b64 v[100:101], v1
	s_wait_loadcnt_dscnt 0x0
	v_pk_mul_f32 v[102:103], v[100:101], v[96:97] op_sel:[1,1] op_sel_hi:[0,1]
	s_delay_alu instid0(VALU_DEP_1) | instskip(SKIP_1) | instid1(VALU_DEP_2)
	v_pk_fma_f32 v[104:105], v[100:101], v[96:97], v[102:103] op_sel_hi:[1,0,1]
	v_pk_fma_f32 v[96:97], v[100:101], v[96:97], v[102:103] neg_lo:[0,0,1] neg_hi:[0,0,1]
	v_mov_b32_e32 v97, v105
	s_cbranch_execz .LBB45_604
	s_branch .LBB45_605
.LBB45_603:
                                        ; implicit-def: $vgpr96_vgpr97
.LBB45_604:
	ds_load_b64 v[96:97], v1
.LBB45_605:
	s_mov_b32 s2, exec_lo
	v_cmpx_ne_u32_e32 15, v0
	s_cbranch_execz .LBB45_609
; %bb.606:
	v_add_nc_u32_e32 v99, 0x178, v38
	v_add3_u32 v100, 0, v38, 8
	v_mov_b32_e32 v101, v0
	s_mov_b32 s3, 0
.LBB45_607:                             ; =>This Inner Loop Header: Depth=1
	scratch_load_b64 v[102:103], v100, off
	ds_load_b64 v[104:105], v99
	s_wait_xcnt 0x0
	v_dual_add_nc_u32 v99, 8, v99 :: v_dual_add_nc_u32 v100, 8, v100
	s_wait_loadcnt_dscnt 0x0
	v_pk_mul_f32 v[106:107], v[104:105], v[102:103] op_sel:[1,1] op_sel_hi:[0,1]
	s_delay_alu instid0(VALU_DEP_1) | instskip(SKIP_2) | instid1(VALU_DEP_3)
	v_pk_fma_f32 v[108:109], v[104:105], v[102:103], v[106:107] op_sel_hi:[1,0,1]
	v_add_nc_u32_e32 v101, 1, v101
	v_pk_fma_f32 v[102:103], v[104:105], v[102:103], v[106:107] neg_lo:[0,0,1] neg_hi:[0,0,1]
	v_mov_b32_e32 v103, v109
	s_delay_alu instid0(VALU_DEP_3) | instskip(NEXT) | instid1(VALU_DEP_2)
	v_cmp_lt_u32_e32 vcc_lo, 14, v101
	v_pk_add_f32 v[96:97], v[96:97], v[102:103]
	s_or_b32 s3, vcc_lo, s3
	s_delay_alu instid0(SALU_CYCLE_1)
	s_and_not1_b32 exec_lo, exec_lo, s3
	s_cbranch_execnz .LBB45_607
; %bb.608:
	s_or_b32 exec_lo, exec_lo, s3
.LBB45_609:
	s_delay_alu instid0(SALU_CYCLE_1) | instskip(SKIP_4) | instid1(VALU_DEP_1)
	s_or_b32 exec_lo, exec_lo, s2
	v_mov_b32_e32 v99, 0
	ds_load_b64 v[100:101], v99 offset:128
	s_wait_dscnt 0x0
	v_pk_mul_f32 v[102:103], v[96:97], v[100:101] op_sel:[1,1] op_sel_hi:[0,1]
	v_pk_fma_f32 v[104:105], v[96:97], v[100:101], v[102:103] op_sel_hi:[1,0,1]
	v_pk_fma_f32 v[96:97], v[96:97], v[100:101], v[102:103] neg_lo:[0,0,1] neg_hi:[0,0,1]
	s_delay_alu instid0(VALU_DEP_2)
	v_mov_b32_e32 v97, v105
	scratch_store_b64 off, v[96:97], off offset:128
.LBB45_610:
	s_wait_xcnt 0x0
	s_or_b32 exec_lo, exec_lo, s0
	scratch_load_b64 v[96:97], off, off offset:136
	s_mov_b32 s0, exec_lo
	s_wait_loadcnt 0x0
	ds_store_b64 v1, v[96:97]
	s_wait_storecnt_dscnt 0x0
	s_barrier_signal -1
	s_barrier_wait -1
	s_wait_xcnt 0x0
	v_cmpx_gt_u32_e32 17, v0
	s_cbranch_execz .LBB45_620
; %bb.611:
	v_cmp_ne_u32_e32 vcc_lo, 1, v98
	s_cbranch_vccnz .LBB45_613
; %bb.612:
	scratch_load_b64 v[96:97], v39, off
	ds_load_b64 v[100:101], v1
	s_wait_loadcnt_dscnt 0x0
	v_pk_mul_f32 v[102:103], v[100:101], v[96:97] op_sel:[1,1] op_sel_hi:[0,1]
	s_delay_alu instid0(VALU_DEP_1) | instskip(SKIP_1) | instid1(VALU_DEP_2)
	v_pk_fma_f32 v[104:105], v[100:101], v[96:97], v[102:103] op_sel_hi:[1,0,1]
	v_pk_fma_f32 v[96:97], v[100:101], v[96:97], v[102:103] neg_lo:[0,0,1] neg_hi:[0,0,1]
	v_mov_b32_e32 v97, v105
	s_cbranch_execz .LBB45_614
	s_branch .LBB45_615
.LBB45_613:
                                        ; implicit-def: $vgpr96_vgpr97
.LBB45_614:
	ds_load_b64 v[96:97], v1
.LBB45_615:
	s_mov_b32 s2, exec_lo
	v_cmpx_ne_u32_e32 16, v0
	s_cbranch_execz .LBB45_619
; %bb.616:
	v_add_nc_u32_e32 v99, 0x178, v38
	v_add3_u32 v100, 0, v38, 8
	v_mov_b32_e32 v101, v0
	s_mov_b32 s3, 0
.LBB45_617:                             ; =>This Inner Loop Header: Depth=1
	scratch_load_b64 v[102:103], v100, off
	ds_load_b64 v[104:105], v99
	s_wait_xcnt 0x0
	v_dual_add_nc_u32 v99, 8, v99 :: v_dual_add_nc_u32 v100, 8, v100
	s_wait_loadcnt_dscnt 0x0
	v_pk_mul_f32 v[106:107], v[104:105], v[102:103] op_sel:[1,1] op_sel_hi:[0,1]
	s_delay_alu instid0(VALU_DEP_1) | instskip(SKIP_2) | instid1(VALU_DEP_3)
	v_pk_fma_f32 v[108:109], v[104:105], v[102:103], v[106:107] op_sel_hi:[1,0,1]
	v_add_nc_u32_e32 v101, 1, v101
	v_pk_fma_f32 v[102:103], v[104:105], v[102:103], v[106:107] neg_lo:[0,0,1] neg_hi:[0,0,1]
	v_mov_b32_e32 v103, v109
	s_delay_alu instid0(VALU_DEP_3) | instskip(NEXT) | instid1(VALU_DEP_2)
	v_cmp_lt_u32_e32 vcc_lo, 15, v101
	v_pk_add_f32 v[96:97], v[96:97], v[102:103]
	s_or_b32 s3, vcc_lo, s3
	s_delay_alu instid0(SALU_CYCLE_1)
	s_and_not1_b32 exec_lo, exec_lo, s3
	s_cbranch_execnz .LBB45_617
; %bb.618:
	s_or_b32 exec_lo, exec_lo, s3
.LBB45_619:
	s_delay_alu instid0(SALU_CYCLE_1) | instskip(SKIP_4) | instid1(VALU_DEP_1)
	s_or_b32 exec_lo, exec_lo, s2
	v_mov_b32_e32 v99, 0
	ds_load_b64 v[100:101], v99 offset:136
	s_wait_dscnt 0x0
	v_pk_mul_f32 v[102:103], v[96:97], v[100:101] op_sel:[1,1] op_sel_hi:[0,1]
	v_pk_fma_f32 v[104:105], v[96:97], v[100:101], v[102:103] op_sel_hi:[1,0,1]
	v_pk_fma_f32 v[96:97], v[96:97], v[100:101], v[102:103] neg_lo:[0,0,1] neg_hi:[0,0,1]
	s_delay_alu instid0(VALU_DEP_2)
	v_mov_b32_e32 v97, v105
	scratch_store_b64 off, v[96:97], off offset:136
.LBB45_620:
	s_wait_xcnt 0x0
	s_or_b32 exec_lo, exec_lo, s0
	scratch_load_b64 v[96:97], off, off offset:144
	s_mov_b32 s0, exec_lo
	s_wait_loadcnt 0x0
	ds_store_b64 v1, v[96:97]
	s_wait_storecnt_dscnt 0x0
	s_barrier_signal -1
	s_barrier_wait -1
	s_wait_xcnt 0x0
	v_cmpx_gt_u32_e32 18, v0
	s_cbranch_execz .LBB45_630
; %bb.621:
	v_cmp_ne_u32_e32 vcc_lo, 1, v98
	s_cbranch_vccnz .LBB45_623
; %bb.622:
	scratch_load_b64 v[96:97], v39, off
	ds_load_b64 v[100:101], v1
	s_wait_loadcnt_dscnt 0x0
	v_pk_mul_f32 v[102:103], v[100:101], v[96:97] op_sel:[1,1] op_sel_hi:[0,1]
	s_delay_alu instid0(VALU_DEP_1) | instskip(SKIP_1) | instid1(VALU_DEP_2)
	v_pk_fma_f32 v[104:105], v[100:101], v[96:97], v[102:103] op_sel_hi:[1,0,1]
	v_pk_fma_f32 v[96:97], v[100:101], v[96:97], v[102:103] neg_lo:[0,0,1] neg_hi:[0,0,1]
	v_mov_b32_e32 v97, v105
	s_cbranch_execz .LBB45_624
	s_branch .LBB45_625
.LBB45_623:
                                        ; implicit-def: $vgpr96_vgpr97
.LBB45_624:
	ds_load_b64 v[96:97], v1
.LBB45_625:
	s_mov_b32 s2, exec_lo
	v_cmpx_ne_u32_e32 17, v0
	s_cbranch_execz .LBB45_629
; %bb.626:
	v_add_nc_u32_e32 v99, 0x178, v38
	v_add3_u32 v100, 0, v38, 8
	v_mov_b32_e32 v101, v0
	s_mov_b32 s3, 0
.LBB45_627:                             ; =>This Inner Loop Header: Depth=1
	scratch_load_b64 v[102:103], v100, off
	ds_load_b64 v[104:105], v99
	s_wait_xcnt 0x0
	v_dual_add_nc_u32 v99, 8, v99 :: v_dual_add_nc_u32 v100, 8, v100
	s_wait_loadcnt_dscnt 0x0
	v_pk_mul_f32 v[106:107], v[104:105], v[102:103] op_sel:[1,1] op_sel_hi:[0,1]
	s_delay_alu instid0(VALU_DEP_1) | instskip(SKIP_2) | instid1(VALU_DEP_3)
	v_pk_fma_f32 v[108:109], v[104:105], v[102:103], v[106:107] op_sel_hi:[1,0,1]
	v_add_nc_u32_e32 v101, 1, v101
	v_pk_fma_f32 v[102:103], v[104:105], v[102:103], v[106:107] neg_lo:[0,0,1] neg_hi:[0,0,1]
	v_mov_b32_e32 v103, v109
	s_delay_alu instid0(VALU_DEP_3) | instskip(NEXT) | instid1(VALU_DEP_2)
	v_cmp_lt_u32_e32 vcc_lo, 16, v101
	v_pk_add_f32 v[96:97], v[96:97], v[102:103]
	s_or_b32 s3, vcc_lo, s3
	s_delay_alu instid0(SALU_CYCLE_1)
	s_and_not1_b32 exec_lo, exec_lo, s3
	s_cbranch_execnz .LBB45_627
; %bb.628:
	s_or_b32 exec_lo, exec_lo, s3
.LBB45_629:
	s_delay_alu instid0(SALU_CYCLE_1) | instskip(SKIP_4) | instid1(VALU_DEP_1)
	s_or_b32 exec_lo, exec_lo, s2
	v_mov_b32_e32 v99, 0
	ds_load_b64 v[100:101], v99 offset:144
	s_wait_dscnt 0x0
	v_pk_mul_f32 v[102:103], v[96:97], v[100:101] op_sel:[1,1] op_sel_hi:[0,1]
	v_pk_fma_f32 v[104:105], v[96:97], v[100:101], v[102:103] op_sel_hi:[1,0,1]
	v_pk_fma_f32 v[96:97], v[96:97], v[100:101], v[102:103] neg_lo:[0,0,1] neg_hi:[0,0,1]
	s_delay_alu instid0(VALU_DEP_2)
	v_mov_b32_e32 v97, v105
	scratch_store_b64 off, v[96:97], off offset:144
.LBB45_630:
	s_wait_xcnt 0x0
	s_or_b32 exec_lo, exec_lo, s0
	scratch_load_b64 v[96:97], off, off offset:152
	s_mov_b32 s0, exec_lo
	s_wait_loadcnt 0x0
	ds_store_b64 v1, v[96:97]
	s_wait_storecnt_dscnt 0x0
	s_barrier_signal -1
	s_barrier_wait -1
	s_wait_xcnt 0x0
	v_cmpx_gt_u32_e32 19, v0
	s_cbranch_execz .LBB45_640
; %bb.631:
	v_cmp_ne_u32_e32 vcc_lo, 1, v98
	s_cbranch_vccnz .LBB45_633
; %bb.632:
	scratch_load_b64 v[96:97], v39, off
	ds_load_b64 v[100:101], v1
	s_wait_loadcnt_dscnt 0x0
	v_pk_mul_f32 v[102:103], v[100:101], v[96:97] op_sel:[1,1] op_sel_hi:[0,1]
	s_delay_alu instid0(VALU_DEP_1) | instskip(SKIP_1) | instid1(VALU_DEP_2)
	v_pk_fma_f32 v[104:105], v[100:101], v[96:97], v[102:103] op_sel_hi:[1,0,1]
	v_pk_fma_f32 v[96:97], v[100:101], v[96:97], v[102:103] neg_lo:[0,0,1] neg_hi:[0,0,1]
	v_mov_b32_e32 v97, v105
	s_cbranch_execz .LBB45_634
	s_branch .LBB45_635
.LBB45_633:
                                        ; implicit-def: $vgpr96_vgpr97
.LBB45_634:
	ds_load_b64 v[96:97], v1
.LBB45_635:
	s_mov_b32 s2, exec_lo
	v_cmpx_ne_u32_e32 18, v0
	s_cbranch_execz .LBB45_639
; %bb.636:
	v_add_nc_u32_e32 v99, 0x178, v38
	v_add3_u32 v100, 0, v38, 8
	v_mov_b32_e32 v101, v0
	s_mov_b32 s3, 0
.LBB45_637:                             ; =>This Inner Loop Header: Depth=1
	scratch_load_b64 v[102:103], v100, off
	ds_load_b64 v[104:105], v99
	s_wait_xcnt 0x0
	v_dual_add_nc_u32 v99, 8, v99 :: v_dual_add_nc_u32 v100, 8, v100
	s_wait_loadcnt_dscnt 0x0
	v_pk_mul_f32 v[106:107], v[104:105], v[102:103] op_sel:[1,1] op_sel_hi:[0,1]
	s_delay_alu instid0(VALU_DEP_1) | instskip(SKIP_2) | instid1(VALU_DEP_3)
	v_pk_fma_f32 v[108:109], v[104:105], v[102:103], v[106:107] op_sel_hi:[1,0,1]
	v_add_nc_u32_e32 v101, 1, v101
	v_pk_fma_f32 v[102:103], v[104:105], v[102:103], v[106:107] neg_lo:[0,0,1] neg_hi:[0,0,1]
	v_mov_b32_e32 v103, v109
	s_delay_alu instid0(VALU_DEP_3) | instskip(NEXT) | instid1(VALU_DEP_2)
	v_cmp_lt_u32_e32 vcc_lo, 17, v101
	v_pk_add_f32 v[96:97], v[96:97], v[102:103]
	s_or_b32 s3, vcc_lo, s3
	s_delay_alu instid0(SALU_CYCLE_1)
	s_and_not1_b32 exec_lo, exec_lo, s3
	s_cbranch_execnz .LBB45_637
; %bb.638:
	s_or_b32 exec_lo, exec_lo, s3
.LBB45_639:
	s_delay_alu instid0(SALU_CYCLE_1) | instskip(SKIP_4) | instid1(VALU_DEP_1)
	s_or_b32 exec_lo, exec_lo, s2
	v_mov_b32_e32 v99, 0
	ds_load_b64 v[100:101], v99 offset:152
	s_wait_dscnt 0x0
	v_pk_mul_f32 v[102:103], v[96:97], v[100:101] op_sel:[1,1] op_sel_hi:[0,1]
	v_pk_fma_f32 v[104:105], v[96:97], v[100:101], v[102:103] op_sel_hi:[1,0,1]
	v_pk_fma_f32 v[96:97], v[96:97], v[100:101], v[102:103] neg_lo:[0,0,1] neg_hi:[0,0,1]
	s_delay_alu instid0(VALU_DEP_2)
	v_mov_b32_e32 v97, v105
	scratch_store_b64 off, v[96:97], off offset:152
.LBB45_640:
	s_wait_xcnt 0x0
	s_or_b32 exec_lo, exec_lo, s0
	scratch_load_b64 v[96:97], off, off offset:160
	s_mov_b32 s0, exec_lo
	s_wait_loadcnt 0x0
	ds_store_b64 v1, v[96:97]
	s_wait_storecnt_dscnt 0x0
	s_barrier_signal -1
	s_barrier_wait -1
	s_wait_xcnt 0x0
	v_cmpx_gt_u32_e32 20, v0
	s_cbranch_execz .LBB45_650
; %bb.641:
	v_cmp_ne_u32_e32 vcc_lo, 1, v98
	s_cbranch_vccnz .LBB45_643
; %bb.642:
	scratch_load_b64 v[96:97], v39, off
	ds_load_b64 v[100:101], v1
	s_wait_loadcnt_dscnt 0x0
	v_pk_mul_f32 v[102:103], v[100:101], v[96:97] op_sel:[1,1] op_sel_hi:[0,1]
	s_delay_alu instid0(VALU_DEP_1) | instskip(SKIP_1) | instid1(VALU_DEP_2)
	v_pk_fma_f32 v[104:105], v[100:101], v[96:97], v[102:103] op_sel_hi:[1,0,1]
	v_pk_fma_f32 v[96:97], v[100:101], v[96:97], v[102:103] neg_lo:[0,0,1] neg_hi:[0,0,1]
	v_mov_b32_e32 v97, v105
	s_cbranch_execz .LBB45_644
	s_branch .LBB45_645
.LBB45_643:
                                        ; implicit-def: $vgpr96_vgpr97
.LBB45_644:
	ds_load_b64 v[96:97], v1
.LBB45_645:
	s_mov_b32 s2, exec_lo
	v_cmpx_ne_u32_e32 19, v0
	s_cbranch_execz .LBB45_649
; %bb.646:
	v_add_nc_u32_e32 v99, 0x178, v38
	v_add3_u32 v100, 0, v38, 8
	v_mov_b32_e32 v101, v0
	s_mov_b32 s3, 0
.LBB45_647:                             ; =>This Inner Loop Header: Depth=1
	scratch_load_b64 v[102:103], v100, off
	ds_load_b64 v[104:105], v99
	s_wait_xcnt 0x0
	v_dual_add_nc_u32 v99, 8, v99 :: v_dual_add_nc_u32 v100, 8, v100
	s_wait_loadcnt_dscnt 0x0
	v_pk_mul_f32 v[106:107], v[104:105], v[102:103] op_sel:[1,1] op_sel_hi:[0,1]
	s_delay_alu instid0(VALU_DEP_1) | instskip(SKIP_2) | instid1(VALU_DEP_3)
	v_pk_fma_f32 v[108:109], v[104:105], v[102:103], v[106:107] op_sel_hi:[1,0,1]
	v_add_nc_u32_e32 v101, 1, v101
	v_pk_fma_f32 v[102:103], v[104:105], v[102:103], v[106:107] neg_lo:[0,0,1] neg_hi:[0,0,1]
	v_mov_b32_e32 v103, v109
	s_delay_alu instid0(VALU_DEP_3) | instskip(NEXT) | instid1(VALU_DEP_2)
	v_cmp_lt_u32_e32 vcc_lo, 18, v101
	v_pk_add_f32 v[96:97], v[96:97], v[102:103]
	s_or_b32 s3, vcc_lo, s3
	s_delay_alu instid0(SALU_CYCLE_1)
	s_and_not1_b32 exec_lo, exec_lo, s3
	s_cbranch_execnz .LBB45_647
; %bb.648:
	s_or_b32 exec_lo, exec_lo, s3
.LBB45_649:
	s_delay_alu instid0(SALU_CYCLE_1) | instskip(SKIP_4) | instid1(VALU_DEP_1)
	s_or_b32 exec_lo, exec_lo, s2
	v_mov_b32_e32 v99, 0
	ds_load_b64 v[100:101], v99 offset:160
	s_wait_dscnt 0x0
	v_pk_mul_f32 v[102:103], v[96:97], v[100:101] op_sel:[1,1] op_sel_hi:[0,1]
	v_pk_fma_f32 v[104:105], v[96:97], v[100:101], v[102:103] op_sel_hi:[1,0,1]
	v_pk_fma_f32 v[96:97], v[96:97], v[100:101], v[102:103] neg_lo:[0,0,1] neg_hi:[0,0,1]
	s_delay_alu instid0(VALU_DEP_2)
	v_mov_b32_e32 v97, v105
	scratch_store_b64 off, v[96:97], off offset:160
.LBB45_650:
	s_wait_xcnt 0x0
	s_or_b32 exec_lo, exec_lo, s0
	scratch_load_b64 v[96:97], off, off offset:168
	s_mov_b32 s0, exec_lo
	s_wait_loadcnt 0x0
	ds_store_b64 v1, v[96:97]
	s_wait_storecnt_dscnt 0x0
	s_barrier_signal -1
	s_barrier_wait -1
	s_wait_xcnt 0x0
	v_cmpx_gt_u32_e32 21, v0
	s_cbranch_execz .LBB45_660
; %bb.651:
	v_cmp_ne_u32_e32 vcc_lo, 1, v98
	s_cbranch_vccnz .LBB45_653
; %bb.652:
	scratch_load_b64 v[96:97], v39, off
	ds_load_b64 v[100:101], v1
	s_wait_loadcnt_dscnt 0x0
	v_pk_mul_f32 v[102:103], v[100:101], v[96:97] op_sel:[1,1] op_sel_hi:[0,1]
	s_delay_alu instid0(VALU_DEP_1) | instskip(SKIP_1) | instid1(VALU_DEP_2)
	v_pk_fma_f32 v[104:105], v[100:101], v[96:97], v[102:103] op_sel_hi:[1,0,1]
	v_pk_fma_f32 v[96:97], v[100:101], v[96:97], v[102:103] neg_lo:[0,0,1] neg_hi:[0,0,1]
	v_mov_b32_e32 v97, v105
	s_cbranch_execz .LBB45_654
	s_branch .LBB45_655
.LBB45_653:
                                        ; implicit-def: $vgpr96_vgpr97
.LBB45_654:
	ds_load_b64 v[96:97], v1
.LBB45_655:
	s_mov_b32 s2, exec_lo
	v_cmpx_ne_u32_e32 20, v0
	s_cbranch_execz .LBB45_659
; %bb.656:
	v_add_nc_u32_e32 v99, 0x178, v38
	v_add3_u32 v100, 0, v38, 8
	v_mov_b32_e32 v101, v0
	s_mov_b32 s3, 0
.LBB45_657:                             ; =>This Inner Loop Header: Depth=1
	scratch_load_b64 v[102:103], v100, off
	ds_load_b64 v[104:105], v99
	s_wait_xcnt 0x0
	v_dual_add_nc_u32 v99, 8, v99 :: v_dual_add_nc_u32 v100, 8, v100
	s_wait_loadcnt_dscnt 0x0
	v_pk_mul_f32 v[106:107], v[104:105], v[102:103] op_sel:[1,1] op_sel_hi:[0,1]
	s_delay_alu instid0(VALU_DEP_1) | instskip(SKIP_2) | instid1(VALU_DEP_3)
	v_pk_fma_f32 v[108:109], v[104:105], v[102:103], v[106:107] op_sel_hi:[1,0,1]
	v_add_nc_u32_e32 v101, 1, v101
	v_pk_fma_f32 v[102:103], v[104:105], v[102:103], v[106:107] neg_lo:[0,0,1] neg_hi:[0,0,1]
	v_mov_b32_e32 v103, v109
	s_delay_alu instid0(VALU_DEP_3) | instskip(NEXT) | instid1(VALU_DEP_2)
	v_cmp_lt_u32_e32 vcc_lo, 19, v101
	v_pk_add_f32 v[96:97], v[96:97], v[102:103]
	s_or_b32 s3, vcc_lo, s3
	s_delay_alu instid0(SALU_CYCLE_1)
	s_and_not1_b32 exec_lo, exec_lo, s3
	s_cbranch_execnz .LBB45_657
; %bb.658:
	s_or_b32 exec_lo, exec_lo, s3
.LBB45_659:
	s_delay_alu instid0(SALU_CYCLE_1) | instskip(SKIP_4) | instid1(VALU_DEP_1)
	s_or_b32 exec_lo, exec_lo, s2
	v_mov_b32_e32 v99, 0
	ds_load_b64 v[100:101], v99 offset:168
	s_wait_dscnt 0x0
	v_pk_mul_f32 v[102:103], v[96:97], v[100:101] op_sel:[1,1] op_sel_hi:[0,1]
	v_pk_fma_f32 v[104:105], v[96:97], v[100:101], v[102:103] op_sel_hi:[1,0,1]
	v_pk_fma_f32 v[96:97], v[96:97], v[100:101], v[102:103] neg_lo:[0,0,1] neg_hi:[0,0,1]
	s_delay_alu instid0(VALU_DEP_2)
	v_mov_b32_e32 v97, v105
	scratch_store_b64 off, v[96:97], off offset:168
.LBB45_660:
	s_wait_xcnt 0x0
	s_or_b32 exec_lo, exec_lo, s0
	scratch_load_b64 v[96:97], off, off offset:176
	s_mov_b32 s0, exec_lo
	s_wait_loadcnt 0x0
	ds_store_b64 v1, v[96:97]
	s_wait_storecnt_dscnt 0x0
	s_barrier_signal -1
	s_barrier_wait -1
	s_wait_xcnt 0x0
	v_cmpx_gt_u32_e32 22, v0
	s_cbranch_execz .LBB45_670
; %bb.661:
	v_cmp_ne_u32_e32 vcc_lo, 1, v98
	s_cbranch_vccnz .LBB45_663
; %bb.662:
	scratch_load_b64 v[96:97], v39, off
	ds_load_b64 v[100:101], v1
	s_wait_loadcnt_dscnt 0x0
	v_pk_mul_f32 v[102:103], v[100:101], v[96:97] op_sel:[1,1] op_sel_hi:[0,1]
	s_delay_alu instid0(VALU_DEP_1) | instskip(SKIP_1) | instid1(VALU_DEP_2)
	v_pk_fma_f32 v[104:105], v[100:101], v[96:97], v[102:103] op_sel_hi:[1,0,1]
	v_pk_fma_f32 v[96:97], v[100:101], v[96:97], v[102:103] neg_lo:[0,0,1] neg_hi:[0,0,1]
	v_mov_b32_e32 v97, v105
	s_cbranch_execz .LBB45_664
	s_branch .LBB45_665
.LBB45_663:
                                        ; implicit-def: $vgpr96_vgpr97
.LBB45_664:
	ds_load_b64 v[96:97], v1
.LBB45_665:
	s_mov_b32 s2, exec_lo
	v_cmpx_ne_u32_e32 21, v0
	s_cbranch_execz .LBB45_669
; %bb.666:
	v_add_nc_u32_e32 v99, 0x178, v38
	v_add3_u32 v100, 0, v38, 8
	v_mov_b32_e32 v101, v0
	s_mov_b32 s3, 0
.LBB45_667:                             ; =>This Inner Loop Header: Depth=1
	scratch_load_b64 v[102:103], v100, off
	ds_load_b64 v[104:105], v99
	s_wait_xcnt 0x0
	v_dual_add_nc_u32 v99, 8, v99 :: v_dual_add_nc_u32 v100, 8, v100
	s_wait_loadcnt_dscnt 0x0
	v_pk_mul_f32 v[106:107], v[104:105], v[102:103] op_sel:[1,1] op_sel_hi:[0,1]
	s_delay_alu instid0(VALU_DEP_1) | instskip(SKIP_2) | instid1(VALU_DEP_3)
	v_pk_fma_f32 v[108:109], v[104:105], v[102:103], v[106:107] op_sel_hi:[1,0,1]
	v_add_nc_u32_e32 v101, 1, v101
	v_pk_fma_f32 v[102:103], v[104:105], v[102:103], v[106:107] neg_lo:[0,0,1] neg_hi:[0,0,1]
	v_mov_b32_e32 v103, v109
	s_delay_alu instid0(VALU_DEP_3) | instskip(NEXT) | instid1(VALU_DEP_2)
	v_cmp_lt_u32_e32 vcc_lo, 20, v101
	v_pk_add_f32 v[96:97], v[96:97], v[102:103]
	s_or_b32 s3, vcc_lo, s3
	s_delay_alu instid0(SALU_CYCLE_1)
	s_and_not1_b32 exec_lo, exec_lo, s3
	s_cbranch_execnz .LBB45_667
; %bb.668:
	s_or_b32 exec_lo, exec_lo, s3
.LBB45_669:
	s_delay_alu instid0(SALU_CYCLE_1) | instskip(SKIP_4) | instid1(VALU_DEP_1)
	s_or_b32 exec_lo, exec_lo, s2
	v_mov_b32_e32 v99, 0
	ds_load_b64 v[100:101], v99 offset:176
	s_wait_dscnt 0x0
	v_pk_mul_f32 v[102:103], v[96:97], v[100:101] op_sel:[1,1] op_sel_hi:[0,1]
	v_pk_fma_f32 v[104:105], v[96:97], v[100:101], v[102:103] op_sel_hi:[1,0,1]
	v_pk_fma_f32 v[96:97], v[96:97], v[100:101], v[102:103] neg_lo:[0,0,1] neg_hi:[0,0,1]
	s_delay_alu instid0(VALU_DEP_2)
	v_mov_b32_e32 v97, v105
	scratch_store_b64 off, v[96:97], off offset:176
.LBB45_670:
	s_wait_xcnt 0x0
	s_or_b32 exec_lo, exec_lo, s0
	scratch_load_b64 v[96:97], off, off offset:184
	s_mov_b32 s0, exec_lo
	s_wait_loadcnt 0x0
	ds_store_b64 v1, v[96:97]
	s_wait_storecnt_dscnt 0x0
	s_barrier_signal -1
	s_barrier_wait -1
	s_wait_xcnt 0x0
	v_cmpx_gt_u32_e32 23, v0
	s_cbranch_execz .LBB45_680
; %bb.671:
	v_cmp_ne_u32_e32 vcc_lo, 1, v98
	s_cbranch_vccnz .LBB45_673
; %bb.672:
	scratch_load_b64 v[96:97], v39, off
	ds_load_b64 v[100:101], v1
	s_wait_loadcnt_dscnt 0x0
	v_pk_mul_f32 v[102:103], v[100:101], v[96:97] op_sel:[1,1] op_sel_hi:[0,1]
	s_delay_alu instid0(VALU_DEP_1) | instskip(SKIP_1) | instid1(VALU_DEP_2)
	v_pk_fma_f32 v[104:105], v[100:101], v[96:97], v[102:103] op_sel_hi:[1,0,1]
	v_pk_fma_f32 v[96:97], v[100:101], v[96:97], v[102:103] neg_lo:[0,0,1] neg_hi:[0,0,1]
	v_mov_b32_e32 v97, v105
	s_cbranch_execz .LBB45_674
	s_branch .LBB45_675
.LBB45_673:
                                        ; implicit-def: $vgpr96_vgpr97
.LBB45_674:
	ds_load_b64 v[96:97], v1
.LBB45_675:
	s_mov_b32 s2, exec_lo
	v_cmpx_ne_u32_e32 22, v0
	s_cbranch_execz .LBB45_679
; %bb.676:
	v_add_nc_u32_e32 v99, 0x178, v38
	v_add3_u32 v100, 0, v38, 8
	v_mov_b32_e32 v101, v0
	s_mov_b32 s3, 0
.LBB45_677:                             ; =>This Inner Loop Header: Depth=1
	scratch_load_b64 v[102:103], v100, off
	ds_load_b64 v[104:105], v99
	s_wait_xcnt 0x0
	v_dual_add_nc_u32 v99, 8, v99 :: v_dual_add_nc_u32 v100, 8, v100
	s_wait_loadcnt_dscnt 0x0
	v_pk_mul_f32 v[106:107], v[104:105], v[102:103] op_sel:[1,1] op_sel_hi:[0,1]
	s_delay_alu instid0(VALU_DEP_1) | instskip(SKIP_2) | instid1(VALU_DEP_3)
	v_pk_fma_f32 v[108:109], v[104:105], v[102:103], v[106:107] op_sel_hi:[1,0,1]
	v_add_nc_u32_e32 v101, 1, v101
	v_pk_fma_f32 v[102:103], v[104:105], v[102:103], v[106:107] neg_lo:[0,0,1] neg_hi:[0,0,1]
	v_mov_b32_e32 v103, v109
	s_delay_alu instid0(VALU_DEP_3) | instskip(NEXT) | instid1(VALU_DEP_2)
	v_cmp_lt_u32_e32 vcc_lo, 21, v101
	v_pk_add_f32 v[96:97], v[96:97], v[102:103]
	s_or_b32 s3, vcc_lo, s3
	s_delay_alu instid0(SALU_CYCLE_1)
	s_and_not1_b32 exec_lo, exec_lo, s3
	s_cbranch_execnz .LBB45_677
; %bb.678:
	s_or_b32 exec_lo, exec_lo, s3
.LBB45_679:
	s_delay_alu instid0(SALU_CYCLE_1) | instskip(SKIP_4) | instid1(VALU_DEP_1)
	s_or_b32 exec_lo, exec_lo, s2
	v_mov_b32_e32 v99, 0
	ds_load_b64 v[100:101], v99 offset:184
	s_wait_dscnt 0x0
	v_pk_mul_f32 v[102:103], v[96:97], v[100:101] op_sel:[1,1] op_sel_hi:[0,1]
	v_pk_fma_f32 v[104:105], v[96:97], v[100:101], v[102:103] op_sel_hi:[1,0,1]
	v_pk_fma_f32 v[96:97], v[96:97], v[100:101], v[102:103] neg_lo:[0,0,1] neg_hi:[0,0,1]
	s_delay_alu instid0(VALU_DEP_2)
	v_mov_b32_e32 v97, v105
	scratch_store_b64 off, v[96:97], off offset:184
.LBB45_680:
	s_wait_xcnt 0x0
	s_or_b32 exec_lo, exec_lo, s0
	scratch_load_b64 v[96:97], off, off offset:192
	s_mov_b32 s0, exec_lo
	s_wait_loadcnt 0x0
	ds_store_b64 v1, v[96:97]
	s_wait_storecnt_dscnt 0x0
	s_barrier_signal -1
	s_barrier_wait -1
	s_wait_xcnt 0x0
	v_cmpx_gt_u32_e32 24, v0
	s_cbranch_execz .LBB45_690
; %bb.681:
	v_cmp_ne_u32_e32 vcc_lo, 1, v98
	s_cbranch_vccnz .LBB45_683
; %bb.682:
	scratch_load_b64 v[96:97], v39, off
	ds_load_b64 v[100:101], v1
	s_wait_loadcnt_dscnt 0x0
	v_pk_mul_f32 v[102:103], v[100:101], v[96:97] op_sel:[1,1] op_sel_hi:[0,1]
	s_delay_alu instid0(VALU_DEP_1) | instskip(SKIP_1) | instid1(VALU_DEP_2)
	v_pk_fma_f32 v[104:105], v[100:101], v[96:97], v[102:103] op_sel_hi:[1,0,1]
	v_pk_fma_f32 v[96:97], v[100:101], v[96:97], v[102:103] neg_lo:[0,0,1] neg_hi:[0,0,1]
	v_mov_b32_e32 v97, v105
	s_cbranch_execz .LBB45_684
	s_branch .LBB45_685
.LBB45_683:
                                        ; implicit-def: $vgpr96_vgpr97
.LBB45_684:
	ds_load_b64 v[96:97], v1
.LBB45_685:
	s_mov_b32 s2, exec_lo
	v_cmpx_ne_u32_e32 23, v0
	s_cbranch_execz .LBB45_689
; %bb.686:
	v_add_nc_u32_e32 v99, 0x178, v38
	v_add3_u32 v100, 0, v38, 8
	v_mov_b32_e32 v101, v0
	s_mov_b32 s3, 0
.LBB45_687:                             ; =>This Inner Loop Header: Depth=1
	scratch_load_b64 v[102:103], v100, off
	ds_load_b64 v[104:105], v99
	s_wait_xcnt 0x0
	v_dual_add_nc_u32 v99, 8, v99 :: v_dual_add_nc_u32 v100, 8, v100
	s_wait_loadcnt_dscnt 0x0
	v_pk_mul_f32 v[106:107], v[104:105], v[102:103] op_sel:[1,1] op_sel_hi:[0,1]
	s_delay_alu instid0(VALU_DEP_1) | instskip(SKIP_2) | instid1(VALU_DEP_3)
	v_pk_fma_f32 v[108:109], v[104:105], v[102:103], v[106:107] op_sel_hi:[1,0,1]
	v_add_nc_u32_e32 v101, 1, v101
	v_pk_fma_f32 v[102:103], v[104:105], v[102:103], v[106:107] neg_lo:[0,0,1] neg_hi:[0,0,1]
	v_mov_b32_e32 v103, v109
	s_delay_alu instid0(VALU_DEP_3) | instskip(NEXT) | instid1(VALU_DEP_2)
	v_cmp_lt_u32_e32 vcc_lo, 22, v101
	v_pk_add_f32 v[96:97], v[96:97], v[102:103]
	s_or_b32 s3, vcc_lo, s3
	s_delay_alu instid0(SALU_CYCLE_1)
	s_and_not1_b32 exec_lo, exec_lo, s3
	s_cbranch_execnz .LBB45_687
; %bb.688:
	s_or_b32 exec_lo, exec_lo, s3
.LBB45_689:
	s_delay_alu instid0(SALU_CYCLE_1) | instskip(SKIP_4) | instid1(VALU_DEP_1)
	s_or_b32 exec_lo, exec_lo, s2
	v_mov_b32_e32 v99, 0
	ds_load_b64 v[100:101], v99 offset:192
	s_wait_dscnt 0x0
	v_pk_mul_f32 v[102:103], v[96:97], v[100:101] op_sel:[1,1] op_sel_hi:[0,1]
	v_pk_fma_f32 v[104:105], v[96:97], v[100:101], v[102:103] op_sel_hi:[1,0,1]
	v_pk_fma_f32 v[96:97], v[96:97], v[100:101], v[102:103] neg_lo:[0,0,1] neg_hi:[0,0,1]
	s_delay_alu instid0(VALU_DEP_2)
	v_mov_b32_e32 v97, v105
	scratch_store_b64 off, v[96:97], off offset:192
.LBB45_690:
	s_wait_xcnt 0x0
	s_or_b32 exec_lo, exec_lo, s0
	scratch_load_b64 v[96:97], off, off offset:200
	s_mov_b32 s0, exec_lo
	s_wait_loadcnt 0x0
	ds_store_b64 v1, v[96:97]
	s_wait_storecnt_dscnt 0x0
	s_barrier_signal -1
	s_barrier_wait -1
	s_wait_xcnt 0x0
	v_cmpx_gt_u32_e32 25, v0
	s_cbranch_execz .LBB45_700
; %bb.691:
	v_cmp_ne_u32_e32 vcc_lo, 1, v98
	s_cbranch_vccnz .LBB45_693
; %bb.692:
	scratch_load_b64 v[96:97], v39, off
	ds_load_b64 v[100:101], v1
	s_wait_loadcnt_dscnt 0x0
	v_pk_mul_f32 v[102:103], v[100:101], v[96:97] op_sel:[1,1] op_sel_hi:[0,1]
	s_delay_alu instid0(VALU_DEP_1) | instskip(SKIP_1) | instid1(VALU_DEP_2)
	v_pk_fma_f32 v[104:105], v[100:101], v[96:97], v[102:103] op_sel_hi:[1,0,1]
	v_pk_fma_f32 v[96:97], v[100:101], v[96:97], v[102:103] neg_lo:[0,0,1] neg_hi:[0,0,1]
	v_mov_b32_e32 v97, v105
	s_cbranch_execz .LBB45_694
	s_branch .LBB45_695
.LBB45_693:
                                        ; implicit-def: $vgpr96_vgpr97
.LBB45_694:
	ds_load_b64 v[96:97], v1
.LBB45_695:
	s_mov_b32 s2, exec_lo
	v_cmpx_ne_u32_e32 24, v0
	s_cbranch_execz .LBB45_699
; %bb.696:
	v_add_nc_u32_e32 v99, 0x178, v38
	v_add3_u32 v100, 0, v38, 8
	v_mov_b32_e32 v101, v0
	s_mov_b32 s3, 0
.LBB45_697:                             ; =>This Inner Loop Header: Depth=1
	scratch_load_b64 v[102:103], v100, off
	ds_load_b64 v[104:105], v99
	s_wait_xcnt 0x0
	v_dual_add_nc_u32 v99, 8, v99 :: v_dual_add_nc_u32 v100, 8, v100
	s_wait_loadcnt_dscnt 0x0
	v_pk_mul_f32 v[106:107], v[104:105], v[102:103] op_sel:[1,1] op_sel_hi:[0,1]
	s_delay_alu instid0(VALU_DEP_1) | instskip(SKIP_2) | instid1(VALU_DEP_3)
	v_pk_fma_f32 v[108:109], v[104:105], v[102:103], v[106:107] op_sel_hi:[1,0,1]
	v_add_nc_u32_e32 v101, 1, v101
	v_pk_fma_f32 v[102:103], v[104:105], v[102:103], v[106:107] neg_lo:[0,0,1] neg_hi:[0,0,1]
	v_mov_b32_e32 v103, v109
	s_delay_alu instid0(VALU_DEP_3) | instskip(NEXT) | instid1(VALU_DEP_2)
	v_cmp_lt_u32_e32 vcc_lo, 23, v101
	v_pk_add_f32 v[96:97], v[96:97], v[102:103]
	s_or_b32 s3, vcc_lo, s3
	s_delay_alu instid0(SALU_CYCLE_1)
	s_and_not1_b32 exec_lo, exec_lo, s3
	s_cbranch_execnz .LBB45_697
; %bb.698:
	s_or_b32 exec_lo, exec_lo, s3
.LBB45_699:
	s_delay_alu instid0(SALU_CYCLE_1) | instskip(SKIP_4) | instid1(VALU_DEP_1)
	s_or_b32 exec_lo, exec_lo, s2
	v_mov_b32_e32 v99, 0
	ds_load_b64 v[100:101], v99 offset:200
	s_wait_dscnt 0x0
	v_pk_mul_f32 v[102:103], v[96:97], v[100:101] op_sel:[1,1] op_sel_hi:[0,1]
	v_pk_fma_f32 v[104:105], v[96:97], v[100:101], v[102:103] op_sel_hi:[1,0,1]
	v_pk_fma_f32 v[96:97], v[96:97], v[100:101], v[102:103] neg_lo:[0,0,1] neg_hi:[0,0,1]
	s_delay_alu instid0(VALU_DEP_2)
	v_mov_b32_e32 v97, v105
	scratch_store_b64 off, v[96:97], off offset:200
.LBB45_700:
	s_wait_xcnt 0x0
	s_or_b32 exec_lo, exec_lo, s0
	scratch_load_b64 v[96:97], off, off offset:208
	s_mov_b32 s0, exec_lo
	s_wait_loadcnt 0x0
	ds_store_b64 v1, v[96:97]
	s_wait_storecnt_dscnt 0x0
	s_barrier_signal -1
	s_barrier_wait -1
	s_wait_xcnt 0x0
	v_cmpx_gt_u32_e32 26, v0
	s_cbranch_execz .LBB45_710
; %bb.701:
	v_cmp_ne_u32_e32 vcc_lo, 1, v98
	s_cbranch_vccnz .LBB45_703
; %bb.702:
	scratch_load_b64 v[96:97], v39, off
	ds_load_b64 v[100:101], v1
	s_wait_loadcnt_dscnt 0x0
	v_pk_mul_f32 v[102:103], v[100:101], v[96:97] op_sel:[1,1] op_sel_hi:[0,1]
	s_delay_alu instid0(VALU_DEP_1) | instskip(SKIP_1) | instid1(VALU_DEP_2)
	v_pk_fma_f32 v[104:105], v[100:101], v[96:97], v[102:103] op_sel_hi:[1,0,1]
	v_pk_fma_f32 v[96:97], v[100:101], v[96:97], v[102:103] neg_lo:[0,0,1] neg_hi:[0,0,1]
	v_mov_b32_e32 v97, v105
	s_cbranch_execz .LBB45_704
	s_branch .LBB45_705
.LBB45_703:
                                        ; implicit-def: $vgpr96_vgpr97
.LBB45_704:
	ds_load_b64 v[96:97], v1
.LBB45_705:
	s_mov_b32 s2, exec_lo
	v_cmpx_ne_u32_e32 25, v0
	s_cbranch_execz .LBB45_709
; %bb.706:
	v_add_nc_u32_e32 v99, 0x178, v38
	v_add3_u32 v100, 0, v38, 8
	v_mov_b32_e32 v101, v0
	s_mov_b32 s3, 0
.LBB45_707:                             ; =>This Inner Loop Header: Depth=1
	scratch_load_b64 v[102:103], v100, off
	ds_load_b64 v[104:105], v99
	s_wait_xcnt 0x0
	v_dual_add_nc_u32 v99, 8, v99 :: v_dual_add_nc_u32 v100, 8, v100
	s_wait_loadcnt_dscnt 0x0
	v_pk_mul_f32 v[106:107], v[104:105], v[102:103] op_sel:[1,1] op_sel_hi:[0,1]
	s_delay_alu instid0(VALU_DEP_1) | instskip(SKIP_2) | instid1(VALU_DEP_3)
	v_pk_fma_f32 v[108:109], v[104:105], v[102:103], v[106:107] op_sel_hi:[1,0,1]
	v_add_nc_u32_e32 v101, 1, v101
	v_pk_fma_f32 v[102:103], v[104:105], v[102:103], v[106:107] neg_lo:[0,0,1] neg_hi:[0,0,1]
	v_mov_b32_e32 v103, v109
	s_delay_alu instid0(VALU_DEP_3) | instskip(NEXT) | instid1(VALU_DEP_2)
	v_cmp_lt_u32_e32 vcc_lo, 24, v101
	v_pk_add_f32 v[96:97], v[96:97], v[102:103]
	s_or_b32 s3, vcc_lo, s3
	s_delay_alu instid0(SALU_CYCLE_1)
	s_and_not1_b32 exec_lo, exec_lo, s3
	s_cbranch_execnz .LBB45_707
; %bb.708:
	s_or_b32 exec_lo, exec_lo, s3
.LBB45_709:
	s_delay_alu instid0(SALU_CYCLE_1) | instskip(SKIP_4) | instid1(VALU_DEP_1)
	s_or_b32 exec_lo, exec_lo, s2
	v_mov_b32_e32 v99, 0
	ds_load_b64 v[100:101], v99 offset:208
	s_wait_dscnt 0x0
	v_pk_mul_f32 v[102:103], v[96:97], v[100:101] op_sel:[1,1] op_sel_hi:[0,1]
	v_pk_fma_f32 v[104:105], v[96:97], v[100:101], v[102:103] op_sel_hi:[1,0,1]
	v_pk_fma_f32 v[96:97], v[96:97], v[100:101], v[102:103] neg_lo:[0,0,1] neg_hi:[0,0,1]
	s_delay_alu instid0(VALU_DEP_2)
	v_mov_b32_e32 v97, v105
	scratch_store_b64 off, v[96:97], off offset:208
.LBB45_710:
	s_wait_xcnt 0x0
	s_or_b32 exec_lo, exec_lo, s0
	scratch_load_b64 v[96:97], off, off offset:216
	s_mov_b32 s0, exec_lo
	s_wait_loadcnt 0x0
	ds_store_b64 v1, v[96:97]
	s_wait_storecnt_dscnt 0x0
	s_barrier_signal -1
	s_barrier_wait -1
	s_wait_xcnt 0x0
	v_cmpx_gt_u32_e32 27, v0
	s_cbranch_execz .LBB45_720
; %bb.711:
	v_cmp_ne_u32_e32 vcc_lo, 1, v98
	s_cbranch_vccnz .LBB45_713
; %bb.712:
	scratch_load_b64 v[96:97], v39, off
	ds_load_b64 v[100:101], v1
	s_wait_loadcnt_dscnt 0x0
	v_pk_mul_f32 v[102:103], v[100:101], v[96:97] op_sel:[1,1] op_sel_hi:[0,1]
	s_delay_alu instid0(VALU_DEP_1) | instskip(SKIP_1) | instid1(VALU_DEP_2)
	v_pk_fma_f32 v[104:105], v[100:101], v[96:97], v[102:103] op_sel_hi:[1,0,1]
	v_pk_fma_f32 v[96:97], v[100:101], v[96:97], v[102:103] neg_lo:[0,0,1] neg_hi:[0,0,1]
	v_mov_b32_e32 v97, v105
	s_cbranch_execz .LBB45_714
	s_branch .LBB45_715
.LBB45_713:
                                        ; implicit-def: $vgpr96_vgpr97
.LBB45_714:
	ds_load_b64 v[96:97], v1
.LBB45_715:
	s_mov_b32 s2, exec_lo
	v_cmpx_ne_u32_e32 26, v0
	s_cbranch_execz .LBB45_719
; %bb.716:
	v_add_nc_u32_e32 v99, 0x178, v38
	v_add3_u32 v100, 0, v38, 8
	v_mov_b32_e32 v101, v0
	s_mov_b32 s3, 0
.LBB45_717:                             ; =>This Inner Loop Header: Depth=1
	scratch_load_b64 v[102:103], v100, off
	ds_load_b64 v[104:105], v99
	s_wait_xcnt 0x0
	v_dual_add_nc_u32 v99, 8, v99 :: v_dual_add_nc_u32 v100, 8, v100
	s_wait_loadcnt_dscnt 0x0
	v_pk_mul_f32 v[106:107], v[104:105], v[102:103] op_sel:[1,1] op_sel_hi:[0,1]
	s_delay_alu instid0(VALU_DEP_1) | instskip(SKIP_2) | instid1(VALU_DEP_3)
	v_pk_fma_f32 v[108:109], v[104:105], v[102:103], v[106:107] op_sel_hi:[1,0,1]
	v_add_nc_u32_e32 v101, 1, v101
	v_pk_fma_f32 v[102:103], v[104:105], v[102:103], v[106:107] neg_lo:[0,0,1] neg_hi:[0,0,1]
	v_mov_b32_e32 v103, v109
	s_delay_alu instid0(VALU_DEP_3) | instskip(NEXT) | instid1(VALU_DEP_2)
	v_cmp_lt_u32_e32 vcc_lo, 25, v101
	v_pk_add_f32 v[96:97], v[96:97], v[102:103]
	s_or_b32 s3, vcc_lo, s3
	s_delay_alu instid0(SALU_CYCLE_1)
	s_and_not1_b32 exec_lo, exec_lo, s3
	s_cbranch_execnz .LBB45_717
; %bb.718:
	s_or_b32 exec_lo, exec_lo, s3
.LBB45_719:
	s_delay_alu instid0(SALU_CYCLE_1) | instskip(SKIP_4) | instid1(VALU_DEP_1)
	s_or_b32 exec_lo, exec_lo, s2
	v_mov_b32_e32 v99, 0
	ds_load_b64 v[100:101], v99 offset:216
	s_wait_dscnt 0x0
	v_pk_mul_f32 v[102:103], v[96:97], v[100:101] op_sel:[1,1] op_sel_hi:[0,1]
	v_pk_fma_f32 v[104:105], v[96:97], v[100:101], v[102:103] op_sel_hi:[1,0,1]
	v_pk_fma_f32 v[96:97], v[96:97], v[100:101], v[102:103] neg_lo:[0,0,1] neg_hi:[0,0,1]
	s_delay_alu instid0(VALU_DEP_2)
	v_mov_b32_e32 v97, v105
	scratch_store_b64 off, v[96:97], off offset:216
.LBB45_720:
	s_wait_xcnt 0x0
	s_or_b32 exec_lo, exec_lo, s0
	scratch_load_b64 v[96:97], off, off offset:224
	s_mov_b32 s0, exec_lo
	s_wait_loadcnt 0x0
	ds_store_b64 v1, v[96:97]
	s_wait_storecnt_dscnt 0x0
	s_barrier_signal -1
	s_barrier_wait -1
	s_wait_xcnt 0x0
	v_cmpx_gt_u32_e32 28, v0
	s_cbranch_execz .LBB45_730
; %bb.721:
	v_cmp_ne_u32_e32 vcc_lo, 1, v98
	s_cbranch_vccnz .LBB45_723
; %bb.722:
	scratch_load_b64 v[96:97], v39, off
	ds_load_b64 v[100:101], v1
	s_wait_loadcnt_dscnt 0x0
	v_pk_mul_f32 v[102:103], v[100:101], v[96:97] op_sel:[1,1] op_sel_hi:[0,1]
	s_delay_alu instid0(VALU_DEP_1) | instskip(SKIP_1) | instid1(VALU_DEP_2)
	v_pk_fma_f32 v[104:105], v[100:101], v[96:97], v[102:103] op_sel_hi:[1,0,1]
	v_pk_fma_f32 v[96:97], v[100:101], v[96:97], v[102:103] neg_lo:[0,0,1] neg_hi:[0,0,1]
	v_mov_b32_e32 v97, v105
	s_cbranch_execz .LBB45_724
	s_branch .LBB45_725
.LBB45_723:
                                        ; implicit-def: $vgpr96_vgpr97
.LBB45_724:
	ds_load_b64 v[96:97], v1
.LBB45_725:
	s_mov_b32 s2, exec_lo
	v_cmpx_ne_u32_e32 27, v0
	s_cbranch_execz .LBB45_729
; %bb.726:
	v_add_nc_u32_e32 v99, 0x178, v38
	v_add3_u32 v100, 0, v38, 8
	v_mov_b32_e32 v101, v0
	s_mov_b32 s3, 0
.LBB45_727:                             ; =>This Inner Loop Header: Depth=1
	scratch_load_b64 v[102:103], v100, off
	ds_load_b64 v[104:105], v99
	s_wait_xcnt 0x0
	v_dual_add_nc_u32 v99, 8, v99 :: v_dual_add_nc_u32 v100, 8, v100
	s_wait_loadcnt_dscnt 0x0
	v_pk_mul_f32 v[106:107], v[104:105], v[102:103] op_sel:[1,1] op_sel_hi:[0,1]
	s_delay_alu instid0(VALU_DEP_1) | instskip(SKIP_2) | instid1(VALU_DEP_3)
	v_pk_fma_f32 v[108:109], v[104:105], v[102:103], v[106:107] op_sel_hi:[1,0,1]
	v_add_nc_u32_e32 v101, 1, v101
	v_pk_fma_f32 v[102:103], v[104:105], v[102:103], v[106:107] neg_lo:[0,0,1] neg_hi:[0,0,1]
	v_mov_b32_e32 v103, v109
	s_delay_alu instid0(VALU_DEP_3) | instskip(NEXT) | instid1(VALU_DEP_2)
	v_cmp_lt_u32_e32 vcc_lo, 26, v101
	v_pk_add_f32 v[96:97], v[96:97], v[102:103]
	s_or_b32 s3, vcc_lo, s3
	s_delay_alu instid0(SALU_CYCLE_1)
	s_and_not1_b32 exec_lo, exec_lo, s3
	s_cbranch_execnz .LBB45_727
; %bb.728:
	s_or_b32 exec_lo, exec_lo, s3
.LBB45_729:
	s_delay_alu instid0(SALU_CYCLE_1) | instskip(SKIP_4) | instid1(VALU_DEP_1)
	s_or_b32 exec_lo, exec_lo, s2
	v_mov_b32_e32 v99, 0
	ds_load_b64 v[100:101], v99 offset:224
	s_wait_dscnt 0x0
	v_pk_mul_f32 v[102:103], v[96:97], v[100:101] op_sel:[1,1] op_sel_hi:[0,1]
	v_pk_fma_f32 v[104:105], v[96:97], v[100:101], v[102:103] op_sel_hi:[1,0,1]
	v_pk_fma_f32 v[96:97], v[96:97], v[100:101], v[102:103] neg_lo:[0,0,1] neg_hi:[0,0,1]
	s_delay_alu instid0(VALU_DEP_2)
	v_mov_b32_e32 v97, v105
	scratch_store_b64 off, v[96:97], off offset:224
.LBB45_730:
	s_wait_xcnt 0x0
	s_or_b32 exec_lo, exec_lo, s0
	scratch_load_b64 v[96:97], off, off offset:232
	s_mov_b32 s0, exec_lo
	s_wait_loadcnt 0x0
	ds_store_b64 v1, v[96:97]
	s_wait_storecnt_dscnt 0x0
	s_barrier_signal -1
	s_barrier_wait -1
	s_wait_xcnt 0x0
	v_cmpx_gt_u32_e32 29, v0
	s_cbranch_execz .LBB45_740
; %bb.731:
	v_cmp_ne_u32_e32 vcc_lo, 1, v98
	s_cbranch_vccnz .LBB45_733
; %bb.732:
	scratch_load_b64 v[96:97], v39, off
	ds_load_b64 v[100:101], v1
	s_wait_loadcnt_dscnt 0x0
	v_pk_mul_f32 v[102:103], v[100:101], v[96:97] op_sel:[1,1] op_sel_hi:[0,1]
	s_delay_alu instid0(VALU_DEP_1) | instskip(SKIP_1) | instid1(VALU_DEP_2)
	v_pk_fma_f32 v[104:105], v[100:101], v[96:97], v[102:103] op_sel_hi:[1,0,1]
	v_pk_fma_f32 v[96:97], v[100:101], v[96:97], v[102:103] neg_lo:[0,0,1] neg_hi:[0,0,1]
	v_mov_b32_e32 v97, v105
	s_cbranch_execz .LBB45_734
	s_branch .LBB45_735
.LBB45_733:
                                        ; implicit-def: $vgpr96_vgpr97
.LBB45_734:
	ds_load_b64 v[96:97], v1
.LBB45_735:
	s_mov_b32 s2, exec_lo
	v_cmpx_ne_u32_e32 28, v0
	s_cbranch_execz .LBB45_739
; %bb.736:
	v_add_nc_u32_e32 v99, 0x178, v38
	v_add3_u32 v100, 0, v38, 8
	v_mov_b32_e32 v101, v0
	s_mov_b32 s3, 0
.LBB45_737:                             ; =>This Inner Loop Header: Depth=1
	scratch_load_b64 v[102:103], v100, off
	ds_load_b64 v[104:105], v99
	s_wait_xcnt 0x0
	v_dual_add_nc_u32 v99, 8, v99 :: v_dual_add_nc_u32 v100, 8, v100
	s_wait_loadcnt_dscnt 0x0
	v_pk_mul_f32 v[106:107], v[104:105], v[102:103] op_sel:[1,1] op_sel_hi:[0,1]
	s_delay_alu instid0(VALU_DEP_1) | instskip(SKIP_2) | instid1(VALU_DEP_3)
	v_pk_fma_f32 v[108:109], v[104:105], v[102:103], v[106:107] op_sel_hi:[1,0,1]
	v_add_nc_u32_e32 v101, 1, v101
	v_pk_fma_f32 v[102:103], v[104:105], v[102:103], v[106:107] neg_lo:[0,0,1] neg_hi:[0,0,1]
	v_mov_b32_e32 v103, v109
	s_delay_alu instid0(VALU_DEP_3) | instskip(NEXT) | instid1(VALU_DEP_2)
	v_cmp_lt_u32_e32 vcc_lo, 27, v101
	v_pk_add_f32 v[96:97], v[96:97], v[102:103]
	s_or_b32 s3, vcc_lo, s3
	s_delay_alu instid0(SALU_CYCLE_1)
	s_and_not1_b32 exec_lo, exec_lo, s3
	s_cbranch_execnz .LBB45_737
; %bb.738:
	s_or_b32 exec_lo, exec_lo, s3
.LBB45_739:
	s_delay_alu instid0(SALU_CYCLE_1) | instskip(SKIP_4) | instid1(VALU_DEP_1)
	s_or_b32 exec_lo, exec_lo, s2
	v_mov_b32_e32 v99, 0
	ds_load_b64 v[100:101], v99 offset:232
	s_wait_dscnt 0x0
	v_pk_mul_f32 v[102:103], v[96:97], v[100:101] op_sel:[1,1] op_sel_hi:[0,1]
	v_pk_fma_f32 v[104:105], v[96:97], v[100:101], v[102:103] op_sel_hi:[1,0,1]
	v_pk_fma_f32 v[96:97], v[96:97], v[100:101], v[102:103] neg_lo:[0,0,1] neg_hi:[0,0,1]
	s_delay_alu instid0(VALU_DEP_2)
	v_mov_b32_e32 v97, v105
	scratch_store_b64 off, v[96:97], off offset:232
.LBB45_740:
	s_wait_xcnt 0x0
	s_or_b32 exec_lo, exec_lo, s0
	scratch_load_b64 v[96:97], off, off offset:240
	s_mov_b32 s0, exec_lo
	s_wait_loadcnt 0x0
	ds_store_b64 v1, v[96:97]
	s_wait_storecnt_dscnt 0x0
	s_barrier_signal -1
	s_barrier_wait -1
	s_wait_xcnt 0x0
	v_cmpx_gt_u32_e32 30, v0
	s_cbranch_execz .LBB45_750
; %bb.741:
	v_cmp_ne_u32_e32 vcc_lo, 1, v98
	s_cbranch_vccnz .LBB45_743
; %bb.742:
	scratch_load_b64 v[96:97], v39, off
	ds_load_b64 v[100:101], v1
	s_wait_loadcnt_dscnt 0x0
	v_pk_mul_f32 v[102:103], v[100:101], v[96:97] op_sel:[1,1] op_sel_hi:[0,1]
	s_delay_alu instid0(VALU_DEP_1) | instskip(SKIP_1) | instid1(VALU_DEP_2)
	v_pk_fma_f32 v[104:105], v[100:101], v[96:97], v[102:103] op_sel_hi:[1,0,1]
	v_pk_fma_f32 v[96:97], v[100:101], v[96:97], v[102:103] neg_lo:[0,0,1] neg_hi:[0,0,1]
	v_mov_b32_e32 v97, v105
	s_cbranch_execz .LBB45_744
	s_branch .LBB45_745
.LBB45_743:
                                        ; implicit-def: $vgpr96_vgpr97
.LBB45_744:
	ds_load_b64 v[96:97], v1
.LBB45_745:
	s_mov_b32 s2, exec_lo
	v_cmpx_ne_u32_e32 29, v0
	s_cbranch_execz .LBB45_749
; %bb.746:
	v_add_nc_u32_e32 v99, 0x178, v38
	v_add3_u32 v100, 0, v38, 8
	v_mov_b32_e32 v101, v0
	s_mov_b32 s3, 0
.LBB45_747:                             ; =>This Inner Loop Header: Depth=1
	scratch_load_b64 v[102:103], v100, off
	ds_load_b64 v[104:105], v99
	s_wait_xcnt 0x0
	v_dual_add_nc_u32 v99, 8, v99 :: v_dual_add_nc_u32 v100, 8, v100
	s_wait_loadcnt_dscnt 0x0
	v_pk_mul_f32 v[106:107], v[104:105], v[102:103] op_sel:[1,1] op_sel_hi:[0,1]
	s_delay_alu instid0(VALU_DEP_1) | instskip(SKIP_2) | instid1(VALU_DEP_3)
	v_pk_fma_f32 v[108:109], v[104:105], v[102:103], v[106:107] op_sel_hi:[1,0,1]
	v_add_nc_u32_e32 v101, 1, v101
	v_pk_fma_f32 v[102:103], v[104:105], v[102:103], v[106:107] neg_lo:[0,0,1] neg_hi:[0,0,1]
	v_mov_b32_e32 v103, v109
	s_delay_alu instid0(VALU_DEP_3) | instskip(NEXT) | instid1(VALU_DEP_2)
	v_cmp_lt_u32_e32 vcc_lo, 28, v101
	v_pk_add_f32 v[96:97], v[96:97], v[102:103]
	s_or_b32 s3, vcc_lo, s3
	s_delay_alu instid0(SALU_CYCLE_1)
	s_and_not1_b32 exec_lo, exec_lo, s3
	s_cbranch_execnz .LBB45_747
; %bb.748:
	s_or_b32 exec_lo, exec_lo, s3
.LBB45_749:
	s_delay_alu instid0(SALU_CYCLE_1) | instskip(SKIP_4) | instid1(VALU_DEP_1)
	s_or_b32 exec_lo, exec_lo, s2
	v_mov_b32_e32 v99, 0
	ds_load_b64 v[100:101], v99 offset:240
	s_wait_dscnt 0x0
	v_pk_mul_f32 v[102:103], v[96:97], v[100:101] op_sel:[1,1] op_sel_hi:[0,1]
	v_pk_fma_f32 v[104:105], v[96:97], v[100:101], v[102:103] op_sel_hi:[1,0,1]
	v_pk_fma_f32 v[96:97], v[96:97], v[100:101], v[102:103] neg_lo:[0,0,1] neg_hi:[0,0,1]
	s_delay_alu instid0(VALU_DEP_2)
	v_mov_b32_e32 v97, v105
	scratch_store_b64 off, v[96:97], off offset:240
.LBB45_750:
	s_wait_xcnt 0x0
	s_or_b32 exec_lo, exec_lo, s0
	scratch_load_b64 v[96:97], off, off offset:248
	s_mov_b32 s0, exec_lo
	s_wait_loadcnt 0x0
	ds_store_b64 v1, v[96:97]
	s_wait_storecnt_dscnt 0x0
	s_barrier_signal -1
	s_barrier_wait -1
	s_wait_xcnt 0x0
	v_cmpx_gt_u32_e32 31, v0
	s_cbranch_execz .LBB45_760
; %bb.751:
	v_cmp_ne_u32_e32 vcc_lo, 1, v98
	s_cbranch_vccnz .LBB45_753
; %bb.752:
	scratch_load_b64 v[96:97], v39, off
	ds_load_b64 v[100:101], v1
	s_wait_loadcnt_dscnt 0x0
	v_pk_mul_f32 v[102:103], v[100:101], v[96:97] op_sel:[1,1] op_sel_hi:[0,1]
	s_delay_alu instid0(VALU_DEP_1) | instskip(SKIP_1) | instid1(VALU_DEP_2)
	v_pk_fma_f32 v[104:105], v[100:101], v[96:97], v[102:103] op_sel_hi:[1,0,1]
	v_pk_fma_f32 v[96:97], v[100:101], v[96:97], v[102:103] neg_lo:[0,0,1] neg_hi:[0,0,1]
	v_mov_b32_e32 v97, v105
	s_cbranch_execz .LBB45_754
	s_branch .LBB45_755
.LBB45_753:
                                        ; implicit-def: $vgpr96_vgpr97
.LBB45_754:
	ds_load_b64 v[96:97], v1
.LBB45_755:
	s_mov_b32 s2, exec_lo
	v_cmpx_ne_u32_e32 30, v0
	s_cbranch_execz .LBB45_759
; %bb.756:
	v_add_nc_u32_e32 v99, 0x178, v38
	v_add3_u32 v100, 0, v38, 8
	v_mov_b32_e32 v101, v0
	s_mov_b32 s3, 0
.LBB45_757:                             ; =>This Inner Loop Header: Depth=1
	scratch_load_b64 v[102:103], v100, off
	ds_load_b64 v[104:105], v99
	s_wait_xcnt 0x0
	v_dual_add_nc_u32 v99, 8, v99 :: v_dual_add_nc_u32 v100, 8, v100
	s_wait_loadcnt_dscnt 0x0
	v_pk_mul_f32 v[106:107], v[104:105], v[102:103] op_sel:[1,1] op_sel_hi:[0,1]
	s_delay_alu instid0(VALU_DEP_1) | instskip(SKIP_2) | instid1(VALU_DEP_3)
	v_pk_fma_f32 v[108:109], v[104:105], v[102:103], v[106:107] op_sel_hi:[1,0,1]
	v_add_nc_u32_e32 v101, 1, v101
	v_pk_fma_f32 v[102:103], v[104:105], v[102:103], v[106:107] neg_lo:[0,0,1] neg_hi:[0,0,1]
	v_mov_b32_e32 v103, v109
	s_delay_alu instid0(VALU_DEP_3) | instskip(NEXT) | instid1(VALU_DEP_2)
	v_cmp_lt_u32_e32 vcc_lo, 29, v101
	v_pk_add_f32 v[96:97], v[96:97], v[102:103]
	s_or_b32 s3, vcc_lo, s3
	s_delay_alu instid0(SALU_CYCLE_1)
	s_and_not1_b32 exec_lo, exec_lo, s3
	s_cbranch_execnz .LBB45_757
; %bb.758:
	s_or_b32 exec_lo, exec_lo, s3
.LBB45_759:
	s_delay_alu instid0(SALU_CYCLE_1) | instskip(SKIP_4) | instid1(VALU_DEP_1)
	s_or_b32 exec_lo, exec_lo, s2
	v_mov_b32_e32 v99, 0
	ds_load_b64 v[100:101], v99 offset:248
	s_wait_dscnt 0x0
	v_pk_mul_f32 v[102:103], v[96:97], v[100:101] op_sel:[1,1] op_sel_hi:[0,1]
	v_pk_fma_f32 v[104:105], v[96:97], v[100:101], v[102:103] op_sel_hi:[1,0,1]
	v_pk_fma_f32 v[96:97], v[96:97], v[100:101], v[102:103] neg_lo:[0,0,1] neg_hi:[0,0,1]
	s_delay_alu instid0(VALU_DEP_2)
	v_mov_b32_e32 v97, v105
	scratch_store_b64 off, v[96:97], off offset:248
.LBB45_760:
	s_wait_xcnt 0x0
	s_or_b32 exec_lo, exec_lo, s0
	scratch_load_b64 v[96:97], off, off offset:256
	s_mov_b32 s0, exec_lo
	s_wait_loadcnt 0x0
	ds_store_b64 v1, v[96:97]
	s_wait_storecnt_dscnt 0x0
	s_barrier_signal -1
	s_barrier_wait -1
	s_wait_xcnt 0x0
	v_cmpx_gt_u32_e32 32, v0
	s_cbranch_execz .LBB45_770
; %bb.761:
	v_cmp_ne_u32_e32 vcc_lo, 1, v98
	s_cbranch_vccnz .LBB45_763
; %bb.762:
	scratch_load_b64 v[96:97], v39, off
	ds_load_b64 v[100:101], v1
	s_wait_loadcnt_dscnt 0x0
	v_pk_mul_f32 v[102:103], v[100:101], v[96:97] op_sel:[1,1] op_sel_hi:[0,1]
	s_delay_alu instid0(VALU_DEP_1) | instskip(SKIP_1) | instid1(VALU_DEP_2)
	v_pk_fma_f32 v[104:105], v[100:101], v[96:97], v[102:103] op_sel_hi:[1,0,1]
	v_pk_fma_f32 v[96:97], v[100:101], v[96:97], v[102:103] neg_lo:[0,0,1] neg_hi:[0,0,1]
	v_mov_b32_e32 v97, v105
	s_cbranch_execz .LBB45_764
	s_branch .LBB45_765
.LBB45_763:
                                        ; implicit-def: $vgpr96_vgpr97
.LBB45_764:
	ds_load_b64 v[96:97], v1
.LBB45_765:
	s_mov_b32 s2, exec_lo
	v_cmpx_ne_u32_e32 31, v0
	s_cbranch_execz .LBB45_769
; %bb.766:
	v_add_nc_u32_e32 v99, 0x178, v38
	v_add3_u32 v100, 0, v38, 8
	v_mov_b32_e32 v101, v0
	s_mov_b32 s3, 0
.LBB45_767:                             ; =>This Inner Loop Header: Depth=1
	scratch_load_b64 v[102:103], v100, off
	ds_load_b64 v[104:105], v99
	s_wait_xcnt 0x0
	v_dual_add_nc_u32 v99, 8, v99 :: v_dual_add_nc_u32 v100, 8, v100
	s_wait_loadcnt_dscnt 0x0
	v_pk_mul_f32 v[106:107], v[104:105], v[102:103] op_sel:[1,1] op_sel_hi:[0,1]
	s_delay_alu instid0(VALU_DEP_1) | instskip(SKIP_2) | instid1(VALU_DEP_3)
	v_pk_fma_f32 v[108:109], v[104:105], v[102:103], v[106:107] op_sel_hi:[1,0,1]
	v_add_nc_u32_e32 v101, 1, v101
	v_pk_fma_f32 v[102:103], v[104:105], v[102:103], v[106:107] neg_lo:[0,0,1] neg_hi:[0,0,1]
	v_mov_b32_e32 v103, v109
	s_delay_alu instid0(VALU_DEP_3) | instskip(NEXT) | instid1(VALU_DEP_2)
	v_cmp_lt_u32_e32 vcc_lo, 30, v101
	v_pk_add_f32 v[96:97], v[96:97], v[102:103]
	s_or_b32 s3, vcc_lo, s3
	s_delay_alu instid0(SALU_CYCLE_1)
	s_and_not1_b32 exec_lo, exec_lo, s3
	s_cbranch_execnz .LBB45_767
; %bb.768:
	s_or_b32 exec_lo, exec_lo, s3
.LBB45_769:
	s_delay_alu instid0(SALU_CYCLE_1) | instskip(SKIP_4) | instid1(VALU_DEP_1)
	s_or_b32 exec_lo, exec_lo, s2
	v_mov_b32_e32 v99, 0
	ds_load_b64 v[100:101], v99 offset:256
	s_wait_dscnt 0x0
	v_pk_mul_f32 v[102:103], v[96:97], v[100:101] op_sel:[1,1] op_sel_hi:[0,1]
	v_pk_fma_f32 v[104:105], v[96:97], v[100:101], v[102:103] op_sel_hi:[1,0,1]
	v_pk_fma_f32 v[96:97], v[96:97], v[100:101], v[102:103] neg_lo:[0,0,1] neg_hi:[0,0,1]
	s_delay_alu instid0(VALU_DEP_2)
	v_mov_b32_e32 v97, v105
	scratch_store_b64 off, v[96:97], off offset:256
.LBB45_770:
	s_wait_xcnt 0x0
	s_or_b32 exec_lo, exec_lo, s0
	scratch_load_b64 v[96:97], off, off offset:264
	s_mov_b32 s0, exec_lo
	s_wait_loadcnt 0x0
	ds_store_b64 v1, v[96:97]
	s_wait_storecnt_dscnt 0x0
	s_barrier_signal -1
	s_barrier_wait -1
	s_wait_xcnt 0x0
	v_cmpx_gt_u32_e32 33, v0
	s_cbranch_execz .LBB45_780
; %bb.771:
	v_cmp_ne_u32_e32 vcc_lo, 1, v98
	s_cbranch_vccnz .LBB45_773
; %bb.772:
	scratch_load_b64 v[96:97], v39, off
	ds_load_b64 v[100:101], v1
	s_wait_loadcnt_dscnt 0x0
	v_pk_mul_f32 v[102:103], v[100:101], v[96:97] op_sel:[1,1] op_sel_hi:[0,1]
	s_delay_alu instid0(VALU_DEP_1) | instskip(SKIP_1) | instid1(VALU_DEP_2)
	v_pk_fma_f32 v[104:105], v[100:101], v[96:97], v[102:103] op_sel_hi:[1,0,1]
	v_pk_fma_f32 v[96:97], v[100:101], v[96:97], v[102:103] neg_lo:[0,0,1] neg_hi:[0,0,1]
	v_mov_b32_e32 v97, v105
	s_cbranch_execz .LBB45_774
	s_branch .LBB45_775
.LBB45_773:
                                        ; implicit-def: $vgpr96_vgpr97
.LBB45_774:
	ds_load_b64 v[96:97], v1
.LBB45_775:
	s_mov_b32 s2, exec_lo
	v_cmpx_ne_u32_e32 32, v0
	s_cbranch_execz .LBB45_779
; %bb.776:
	v_add_nc_u32_e32 v99, 0x178, v38
	v_add3_u32 v100, 0, v38, 8
	v_mov_b32_e32 v101, v0
	s_mov_b32 s3, 0
.LBB45_777:                             ; =>This Inner Loop Header: Depth=1
	scratch_load_b64 v[102:103], v100, off
	ds_load_b64 v[104:105], v99
	s_wait_xcnt 0x0
	v_dual_add_nc_u32 v99, 8, v99 :: v_dual_add_nc_u32 v100, 8, v100
	s_wait_loadcnt_dscnt 0x0
	v_pk_mul_f32 v[106:107], v[104:105], v[102:103] op_sel:[1,1] op_sel_hi:[0,1]
	s_delay_alu instid0(VALU_DEP_1) | instskip(SKIP_2) | instid1(VALU_DEP_3)
	v_pk_fma_f32 v[108:109], v[104:105], v[102:103], v[106:107] op_sel_hi:[1,0,1]
	v_add_nc_u32_e32 v101, 1, v101
	v_pk_fma_f32 v[102:103], v[104:105], v[102:103], v[106:107] neg_lo:[0,0,1] neg_hi:[0,0,1]
	v_mov_b32_e32 v103, v109
	s_delay_alu instid0(VALU_DEP_3) | instskip(NEXT) | instid1(VALU_DEP_2)
	v_cmp_lt_u32_e32 vcc_lo, 31, v101
	v_pk_add_f32 v[96:97], v[96:97], v[102:103]
	s_or_b32 s3, vcc_lo, s3
	s_delay_alu instid0(SALU_CYCLE_1)
	s_and_not1_b32 exec_lo, exec_lo, s3
	s_cbranch_execnz .LBB45_777
; %bb.778:
	s_or_b32 exec_lo, exec_lo, s3
.LBB45_779:
	s_delay_alu instid0(SALU_CYCLE_1) | instskip(SKIP_4) | instid1(VALU_DEP_1)
	s_or_b32 exec_lo, exec_lo, s2
	v_mov_b32_e32 v99, 0
	ds_load_b64 v[100:101], v99 offset:264
	s_wait_dscnt 0x0
	v_pk_mul_f32 v[102:103], v[96:97], v[100:101] op_sel:[1,1] op_sel_hi:[0,1]
	v_pk_fma_f32 v[104:105], v[96:97], v[100:101], v[102:103] op_sel_hi:[1,0,1]
	v_pk_fma_f32 v[96:97], v[96:97], v[100:101], v[102:103] neg_lo:[0,0,1] neg_hi:[0,0,1]
	s_delay_alu instid0(VALU_DEP_2)
	v_mov_b32_e32 v97, v105
	scratch_store_b64 off, v[96:97], off offset:264
.LBB45_780:
	s_wait_xcnt 0x0
	s_or_b32 exec_lo, exec_lo, s0
	scratch_load_b64 v[96:97], off, off offset:272
	s_mov_b32 s0, exec_lo
	s_wait_loadcnt 0x0
	ds_store_b64 v1, v[96:97]
	s_wait_storecnt_dscnt 0x0
	s_barrier_signal -1
	s_barrier_wait -1
	s_wait_xcnt 0x0
	v_cmpx_gt_u32_e32 34, v0
	s_cbranch_execz .LBB45_790
; %bb.781:
	v_cmp_ne_u32_e32 vcc_lo, 1, v98
	s_cbranch_vccnz .LBB45_783
; %bb.782:
	scratch_load_b64 v[96:97], v39, off
	ds_load_b64 v[100:101], v1
	s_wait_loadcnt_dscnt 0x0
	v_pk_mul_f32 v[102:103], v[100:101], v[96:97] op_sel:[1,1] op_sel_hi:[0,1]
	s_delay_alu instid0(VALU_DEP_1) | instskip(SKIP_1) | instid1(VALU_DEP_2)
	v_pk_fma_f32 v[104:105], v[100:101], v[96:97], v[102:103] op_sel_hi:[1,0,1]
	v_pk_fma_f32 v[96:97], v[100:101], v[96:97], v[102:103] neg_lo:[0,0,1] neg_hi:[0,0,1]
	v_mov_b32_e32 v97, v105
	s_cbranch_execz .LBB45_784
	s_branch .LBB45_785
.LBB45_783:
                                        ; implicit-def: $vgpr96_vgpr97
.LBB45_784:
	ds_load_b64 v[96:97], v1
.LBB45_785:
	s_mov_b32 s2, exec_lo
	v_cmpx_ne_u32_e32 33, v0
	s_cbranch_execz .LBB45_789
; %bb.786:
	v_add_nc_u32_e32 v99, 0x178, v38
	v_add3_u32 v100, 0, v38, 8
	v_mov_b32_e32 v101, v0
	s_mov_b32 s3, 0
.LBB45_787:                             ; =>This Inner Loop Header: Depth=1
	scratch_load_b64 v[102:103], v100, off
	ds_load_b64 v[104:105], v99
	s_wait_xcnt 0x0
	v_dual_add_nc_u32 v99, 8, v99 :: v_dual_add_nc_u32 v100, 8, v100
	s_wait_loadcnt_dscnt 0x0
	v_pk_mul_f32 v[106:107], v[104:105], v[102:103] op_sel:[1,1] op_sel_hi:[0,1]
	s_delay_alu instid0(VALU_DEP_1) | instskip(SKIP_2) | instid1(VALU_DEP_3)
	v_pk_fma_f32 v[108:109], v[104:105], v[102:103], v[106:107] op_sel_hi:[1,0,1]
	v_add_nc_u32_e32 v101, 1, v101
	v_pk_fma_f32 v[102:103], v[104:105], v[102:103], v[106:107] neg_lo:[0,0,1] neg_hi:[0,0,1]
	v_mov_b32_e32 v103, v109
	s_delay_alu instid0(VALU_DEP_3) | instskip(NEXT) | instid1(VALU_DEP_2)
	v_cmp_lt_u32_e32 vcc_lo, 32, v101
	v_pk_add_f32 v[96:97], v[96:97], v[102:103]
	s_or_b32 s3, vcc_lo, s3
	s_delay_alu instid0(SALU_CYCLE_1)
	s_and_not1_b32 exec_lo, exec_lo, s3
	s_cbranch_execnz .LBB45_787
; %bb.788:
	s_or_b32 exec_lo, exec_lo, s3
.LBB45_789:
	s_delay_alu instid0(SALU_CYCLE_1) | instskip(SKIP_4) | instid1(VALU_DEP_1)
	s_or_b32 exec_lo, exec_lo, s2
	v_mov_b32_e32 v99, 0
	ds_load_b64 v[100:101], v99 offset:272
	s_wait_dscnt 0x0
	v_pk_mul_f32 v[102:103], v[96:97], v[100:101] op_sel:[1,1] op_sel_hi:[0,1]
	v_pk_fma_f32 v[104:105], v[96:97], v[100:101], v[102:103] op_sel_hi:[1,0,1]
	v_pk_fma_f32 v[96:97], v[96:97], v[100:101], v[102:103] neg_lo:[0,0,1] neg_hi:[0,0,1]
	s_delay_alu instid0(VALU_DEP_2)
	v_mov_b32_e32 v97, v105
	scratch_store_b64 off, v[96:97], off offset:272
.LBB45_790:
	s_wait_xcnt 0x0
	s_or_b32 exec_lo, exec_lo, s0
	scratch_load_b64 v[96:97], off, off offset:280
	s_mov_b32 s0, exec_lo
	s_wait_loadcnt 0x0
	ds_store_b64 v1, v[96:97]
	s_wait_storecnt_dscnt 0x0
	s_barrier_signal -1
	s_barrier_wait -1
	s_wait_xcnt 0x0
	v_cmpx_gt_u32_e32 35, v0
	s_cbranch_execz .LBB45_800
; %bb.791:
	v_cmp_ne_u32_e32 vcc_lo, 1, v98
	s_cbranch_vccnz .LBB45_793
; %bb.792:
	scratch_load_b64 v[96:97], v39, off
	ds_load_b64 v[100:101], v1
	s_wait_loadcnt_dscnt 0x0
	v_pk_mul_f32 v[102:103], v[100:101], v[96:97] op_sel:[1,1] op_sel_hi:[0,1]
	s_delay_alu instid0(VALU_DEP_1) | instskip(SKIP_1) | instid1(VALU_DEP_2)
	v_pk_fma_f32 v[104:105], v[100:101], v[96:97], v[102:103] op_sel_hi:[1,0,1]
	v_pk_fma_f32 v[96:97], v[100:101], v[96:97], v[102:103] neg_lo:[0,0,1] neg_hi:[0,0,1]
	v_mov_b32_e32 v97, v105
	s_cbranch_execz .LBB45_794
	s_branch .LBB45_795
.LBB45_793:
                                        ; implicit-def: $vgpr96_vgpr97
.LBB45_794:
	ds_load_b64 v[96:97], v1
.LBB45_795:
	s_mov_b32 s2, exec_lo
	v_cmpx_ne_u32_e32 34, v0
	s_cbranch_execz .LBB45_799
; %bb.796:
	v_add_nc_u32_e32 v99, 0x178, v38
	v_add3_u32 v100, 0, v38, 8
	v_mov_b32_e32 v101, v0
	s_mov_b32 s3, 0
.LBB45_797:                             ; =>This Inner Loop Header: Depth=1
	scratch_load_b64 v[102:103], v100, off
	ds_load_b64 v[104:105], v99
	s_wait_xcnt 0x0
	v_dual_add_nc_u32 v99, 8, v99 :: v_dual_add_nc_u32 v100, 8, v100
	s_wait_loadcnt_dscnt 0x0
	v_pk_mul_f32 v[106:107], v[104:105], v[102:103] op_sel:[1,1] op_sel_hi:[0,1]
	s_delay_alu instid0(VALU_DEP_1) | instskip(SKIP_2) | instid1(VALU_DEP_3)
	v_pk_fma_f32 v[108:109], v[104:105], v[102:103], v[106:107] op_sel_hi:[1,0,1]
	v_add_nc_u32_e32 v101, 1, v101
	v_pk_fma_f32 v[102:103], v[104:105], v[102:103], v[106:107] neg_lo:[0,0,1] neg_hi:[0,0,1]
	v_mov_b32_e32 v103, v109
	s_delay_alu instid0(VALU_DEP_3) | instskip(NEXT) | instid1(VALU_DEP_2)
	v_cmp_lt_u32_e32 vcc_lo, 33, v101
	v_pk_add_f32 v[96:97], v[96:97], v[102:103]
	s_or_b32 s3, vcc_lo, s3
	s_delay_alu instid0(SALU_CYCLE_1)
	s_and_not1_b32 exec_lo, exec_lo, s3
	s_cbranch_execnz .LBB45_797
; %bb.798:
	s_or_b32 exec_lo, exec_lo, s3
.LBB45_799:
	s_delay_alu instid0(SALU_CYCLE_1) | instskip(SKIP_4) | instid1(VALU_DEP_1)
	s_or_b32 exec_lo, exec_lo, s2
	v_mov_b32_e32 v99, 0
	ds_load_b64 v[100:101], v99 offset:280
	s_wait_dscnt 0x0
	v_pk_mul_f32 v[102:103], v[96:97], v[100:101] op_sel:[1,1] op_sel_hi:[0,1]
	v_pk_fma_f32 v[104:105], v[96:97], v[100:101], v[102:103] op_sel_hi:[1,0,1]
	v_pk_fma_f32 v[96:97], v[96:97], v[100:101], v[102:103] neg_lo:[0,0,1] neg_hi:[0,0,1]
	s_delay_alu instid0(VALU_DEP_2)
	v_mov_b32_e32 v97, v105
	scratch_store_b64 off, v[96:97], off offset:280
.LBB45_800:
	s_wait_xcnt 0x0
	s_or_b32 exec_lo, exec_lo, s0
	scratch_load_b64 v[96:97], off, off offset:288
	s_mov_b32 s0, exec_lo
	s_wait_loadcnt 0x0
	ds_store_b64 v1, v[96:97]
	s_wait_storecnt_dscnt 0x0
	s_barrier_signal -1
	s_barrier_wait -1
	s_wait_xcnt 0x0
	v_cmpx_gt_u32_e32 36, v0
	s_cbranch_execz .LBB45_810
; %bb.801:
	v_cmp_ne_u32_e32 vcc_lo, 1, v98
	s_cbranch_vccnz .LBB45_803
; %bb.802:
	scratch_load_b64 v[96:97], v39, off
	ds_load_b64 v[100:101], v1
	s_wait_loadcnt_dscnt 0x0
	v_pk_mul_f32 v[102:103], v[100:101], v[96:97] op_sel:[1,1] op_sel_hi:[0,1]
	s_delay_alu instid0(VALU_DEP_1) | instskip(SKIP_1) | instid1(VALU_DEP_2)
	v_pk_fma_f32 v[104:105], v[100:101], v[96:97], v[102:103] op_sel_hi:[1,0,1]
	v_pk_fma_f32 v[96:97], v[100:101], v[96:97], v[102:103] neg_lo:[0,0,1] neg_hi:[0,0,1]
	v_mov_b32_e32 v97, v105
	s_cbranch_execz .LBB45_804
	s_branch .LBB45_805
.LBB45_803:
                                        ; implicit-def: $vgpr96_vgpr97
.LBB45_804:
	ds_load_b64 v[96:97], v1
.LBB45_805:
	s_mov_b32 s2, exec_lo
	v_cmpx_ne_u32_e32 35, v0
	s_cbranch_execz .LBB45_809
; %bb.806:
	v_add_nc_u32_e32 v99, 0x178, v38
	v_add3_u32 v100, 0, v38, 8
	v_mov_b32_e32 v101, v0
	s_mov_b32 s3, 0
.LBB45_807:                             ; =>This Inner Loop Header: Depth=1
	scratch_load_b64 v[102:103], v100, off
	ds_load_b64 v[104:105], v99
	s_wait_xcnt 0x0
	v_dual_add_nc_u32 v99, 8, v99 :: v_dual_add_nc_u32 v100, 8, v100
	s_wait_loadcnt_dscnt 0x0
	v_pk_mul_f32 v[106:107], v[104:105], v[102:103] op_sel:[1,1] op_sel_hi:[0,1]
	s_delay_alu instid0(VALU_DEP_1) | instskip(SKIP_2) | instid1(VALU_DEP_3)
	v_pk_fma_f32 v[108:109], v[104:105], v[102:103], v[106:107] op_sel_hi:[1,0,1]
	v_add_nc_u32_e32 v101, 1, v101
	v_pk_fma_f32 v[102:103], v[104:105], v[102:103], v[106:107] neg_lo:[0,0,1] neg_hi:[0,0,1]
	v_mov_b32_e32 v103, v109
	s_delay_alu instid0(VALU_DEP_3) | instskip(NEXT) | instid1(VALU_DEP_2)
	v_cmp_lt_u32_e32 vcc_lo, 34, v101
	v_pk_add_f32 v[96:97], v[96:97], v[102:103]
	s_or_b32 s3, vcc_lo, s3
	s_delay_alu instid0(SALU_CYCLE_1)
	s_and_not1_b32 exec_lo, exec_lo, s3
	s_cbranch_execnz .LBB45_807
; %bb.808:
	s_or_b32 exec_lo, exec_lo, s3
.LBB45_809:
	s_delay_alu instid0(SALU_CYCLE_1) | instskip(SKIP_4) | instid1(VALU_DEP_1)
	s_or_b32 exec_lo, exec_lo, s2
	v_mov_b32_e32 v99, 0
	ds_load_b64 v[100:101], v99 offset:288
	s_wait_dscnt 0x0
	v_pk_mul_f32 v[102:103], v[96:97], v[100:101] op_sel:[1,1] op_sel_hi:[0,1]
	v_pk_fma_f32 v[104:105], v[96:97], v[100:101], v[102:103] op_sel_hi:[1,0,1]
	v_pk_fma_f32 v[96:97], v[96:97], v[100:101], v[102:103] neg_lo:[0,0,1] neg_hi:[0,0,1]
	s_delay_alu instid0(VALU_DEP_2)
	v_mov_b32_e32 v97, v105
	scratch_store_b64 off, v[96:97], off offset:288
.LBB45_810:
	s_wait_xcnt 0x0
	s_or_b32 exec_lo, exec_lo, s0
	scratch_load_b64 v[96:97], off, off offset:296
	s_mov_b32 s0, exec_lo
	s_wait_loadcnt 0x0
	ds_store_b64 v1, v[96:97]
	s_wait_storecnt_dscnt 0x0
	s_barrier_signal -1
	s_barrier_wait -1
	s_wait_xcnt 0x0
	v_cmpx_gt_u32_e32 37, v0
	s_cbranch_execz .LBB45_820
; %bb.811:
	v_cmp_ne_u32_e32 vcc_lo, 1, v98
	s_cbranch_vccnz .LBB45_813
; %bb.812:
	scratch_load_b64 v[96:97], v39, off
	ds_load_b64 v[100:101], v1
	s_wait_loadcnt_dscnt 0x0
	v_pk_mul_f32 v[102:103], v[100:101], v[96:97] op_sel:[1,1] op_sel_hi:[0,1]
	s_delay_alu instid0(VALU_DEP_1) | instskip(SKIP_1) | instid1(VALU_DEP_2)
	v_pk_fma_f32 v[104:105], v[100:101], v[96:97], v[102:103] op_sel_hi:[1,0,1]
	v_pk_fma_f32 v[96:97], v[100:101], v[96:97], v[102:103] neg_lo:[0,0,1] neg_hi:[0,0,1]
	v_mov_b32_e32 v97, v105
	s_cbranch_execz .LBB45_814
	s_branch .LBB45_815
.LBB45_813:
                                        ; implicit-def: $vgpr96_vgpr97
.LBB45_814:
	ds_load_b64 v[96:97], v1
.LBB45_815:
	s_mov_b32 s2, exec_lo
	v_cmpx_ne_u32_e32 36, v0
	s_cbranch_execz .LBB45_819
; %bb.816:
	v_add_nc_u32_e32 v99, 0x178, v38
	v_add3_u32 v100, 0, v38, 8
	v_mov_b32_e32 v101, v0
	s_mov_b32 s3, 0
.LBB45_817:                             ; =>This Inner Loop Header: Depth=1
	scratch_load_b64 v[102:103], v100, off
	ds_load_b64 v[104:105], v99
	s_wait_xcnt 0x0
	v_dual_add_nc_u32 v99, 8, v99 :: v_dual_add_nc_u32 v100, 8, v100
	s_wait_loadcnt_dscnt 0x0
	v_pk_mul_f32 v[106:107], v[104:105], v[102:103] op_sel:[1,1] op_sel_hi:[0,1]
	s_delay_alu instid0(VALU_DEP_1) | instskip(SKIP_2) | instid1(VALU_DEP_3)
	v_pk_fma_f32 v[108:109], v[104:105], v[102:103], v[106:107] op_sel_hi:[1,0,1]
	v_add_nc_u32_e32 v101, 1, v101
	v_pk_fma_f32 v[102:103], v[104:105], v[102:103], v[106:107] neg_lo:[0,0,1] neg_hi:[0,0,1]
	v_mov_b32_e32 v103, v109
	s_delay_alu instid0(VALU_DEP_3) | instskip(NEXT) | instid1(VALU_DEP_2)
	v_cmp_lt_u32_e32 vcc_lo, 35, v101
	v_pk_add_f32 v[96:97], v[96:97], v[102:103]
	s_or_b32 s3, vcc_lo, s3
	s_delay_alu instid0(SALU_CYCLE_1)
	s_and_not1_b32 exec_lo, exec_lo, s3
	s_cbranch_execnz .LBB45_817
; %bb.818:
	s_or_b32 exec_lo, exec_lo, s3
.LBB45_819:
	s_delay_alu instid0(SALU_CYCLE_1) | instskip(SKIP_4) | instid1(VALU_DEP_1)
	s_or_b32 exec_lo, exec_lo, s2
	v_mov_b32_e32 v99, 0
	ds_load_b64 v[100:101], v99 offset:296
	s_wait_dscnt 0x0
	v_pk_mul_f32 v[102:103], v[96:97], v[100:101] op_sel:[1,1] op_sel_hi:[0,1]
	v_pk_fma_f32 v[104:105], v[96:97], v[100:101], v[102:103] op_sel_hi:[1,0,1]
	v_pk_fma_f32 v[96:97], v[96:97], v[100:101], v[102:103] neg_lo:[0,0,1] neg_hi:[0,0,1]
	s_delay_alu instid0(VALU_DEP_2)
	v_mov_b32_e32 v97, v105
	scratch_store_b64 off, v[96:97], off offset:296
.LBB45_820:
	s_wait_xcnt 0x0
	s_or_b32 exec_lo, exec_lo, s0
	scratch_load_b64 v[96:97], off, off offset:304
	s_mov_b32 s0, exec_lo
	s_wait_loadcnt 0x0
	ds_store_b64 v1, v[96:97]
	s_wait_storecnt_dscnt 0x0
	s_barrier_signal -1
	s_barrier_wait -1
	s_wait_xcnt 0x0
	v_cmpx_gt_u32_e32 38, v0
	s_cbranch_execz .LBB45_830
; %bb.821:
	v_cmp_ne_u32_e32 vcc_lo, 1, v98
	s_cbranch_vccnz .LBB45_823
; %bb.822:
	scratch_load_b64 v[96:97], v39, off
	ds_load_b64 v[100:101], v1
	s_wait_loadcnt_dscnt 0x0
	v_pk_mul_f32 v[102:103], v[100:101], v[96:97] op_sel:[1,1] op_sel_hi:[0,1]
	s_delay_alu instid0(VALU_DEP_1) | instskip(SKIP_1) | instid1(VALU_DEP_2)
	v_pk_fma_f32 v[104:105], v[100:101], v[96:97], v[102:103] op_sel_hi:[1,0,1]
	v_pk_fma_f32 v[96:97], v[100:101], v[96:97], v[102:103] neg_lo:[0,0,1] neg_hi:[0,0,1]
	v_mov_b32_e32 v97, v105
	s_cbranch_execz .LBB45_824
	s_branch .LBB45_825
.LBB45_823:
                                        ; implicit-def: $vgpr96_vgpr97
.LBB45_824:
	ds_load_b64 v[96:97], v1
.LBB45_825:
	s_mov_b32 s2, exec_lo
	v_cmpx_ne_u32_e32 37, v0
	s_cbranch_execz .LBB45_829
; %bb.826:
	v_add_nc_u32_e32 v99, 0x178, v38
	v_add3_u32 v100, 0, v38, 8
	v_mov_b32_e32 v101, v0
	s_mov_b32 s3, 0
.LBB45_827:                             ; =>This Inner Loop Header: Depth=1
	scratch_load_b64 v[102:103], v100, off
	ds_load_b64 v[104:105], v99
	s_wait_xcnt 0x0
	v_dual_add_nc_u32 v99, 8, v99 :: v_dual_add_nc_u32 v100, 8, v100
	s_wait_loadcnt_dscnt 0x0
	v_pk_mul_f32 v[106:107], v[104:105], v[102:103] op_sel:[1,1] op_sel_hi:[0,1]
	s_delay_alu instid0(VALU_DEP_1) | instskip(SKIP_2) | instid1(VALU_DEP_3)
	v_pk_fma_f32 v[108:109], v[104:105], v[102:103], v[106:107] op_sel_hi:[1,0,1]
	v_add_nc_u32_e32 v101, 1, v101
	v_pk_fma_f32 v[102:103], v[104:105], v[102:103], v[106:107] neg_lo:[0,0,1] neg_hi:[0,0,1]
	v_mov_b32_e32 v103, v109
	s_delay_alu instid0(VALU_DEP_3) | instskip(NEXT) | instid1(VALU_DEP_2)
	v_cmp_lt_u32_e32 vcc_lo, 36, v101
	v_pk_add_f32 v[96:97], v[96:97], v[102:103]
	s_or_b32 s3, vcc_lo, s3
	s_delay_alu instid0(SALU_CYCLE_1)
	s_and_not1_b32 exec_lo, exec_lo, s3
	s_cbranch_execnz .LBB45_827
; %bb.828:
	s_or_b32 exec_lo, exec_lo, s3
.LBB45_829:
	s_delay_alu instid0(SALU_CYCLE_1) | instskip(SKIP_4) | instid1(VALU_DEP_1)
	s_or_b32 exec_lo, exec_lo, s2
	v_mov_b32_e32 v99, 0
	ds_load_b64 v[100:101], v99 offset:304
	s_wait_dscnt 0x0
	v_pk_mul_f32 v[102:103], v[96:97], v[100:101] op_sel:[1,1] op_sel_hi:[0,1]
	v_pk_fma_f32 v[104:105], v[96:97], v[100:101], v[102:103] op_sel_hi:[1,0,1]
	v_pk_fma_f32 v[96:97], v[96:97], v[100:101], v[102:103] neg_lo:[0,0,1] neg_hi:[0,0,1]
	s_delay_alu instid0(VALU_DEP_2)
	v_mov_b32_e32 v97, v105
	scratch_store_b64 off, v[96:97], off offset:304
.LBB45_830:
	s_wait_xcnt 0x0
	s_or_b32 exec_lo, exec_lo, s0
	scratch_load_b64 v[96:97], off, off offset:312
	s_mov_b32 s0, exec_lo
	s_wait_loadcnt 0x0
	ds_store_b64 v1, v[96:97]
	s_wait_storecnt_dscnt 0x0
	s_barrier_signal -1
	s_barrier_wait -1
	s_wait_xcnt 0x0
	v_cmpx_gt_u32_e32 39, v0
	s_cbranch_execz .LBB45_840
; %bb.831:
	v_cmp_ne_u32_e32 vcc_lo, 1, v98
	s_cbranch_vccnz .LBB45_833
; %bb.832:
	scratch_load_b64 v[96:97], v39, off
	ds_load_b64 v[100:101], v1
	s_wait_loadcnt_dscnt 0x0
	v_pk_mul_f32 v[102:103], v[100:101], v[96:97] op_sel:[1,1] op_sel_hi:[0,1]
	s_delay_alu instid0(VALU_DEP_1) | instskip(SKIP_1) | instid1(VALU_DEP_2)
	v_pk_fma_f32 v[104:105], v[100:101], v[96:97], v[102:103] op_sel_hi:[1,0,1]
	v_pk_fma_f32 v[96:97], v[100:101], v[96:97], v[102:103] neg_lo:[0,0,1] neg_hi:[0,0,1]
	v_mov_b32_e32 v97, v105
	s_cbranch_execz .LBB45_834
	s_branch .LBB45_835
.LBB45_833:
                                        ; implicit-def: $vgpr96_vgpr97
.LBB45_834:
	ds_load_b64 v[96:97], v1
.LBB45_835:
	s_mov_b32 s2, exec_lo
	v_cmpx_ne_u32_e32 38, v0
	s_cbranch_execz .LBB45_839
; %bb.836:
	v_add_nc_u32_e32 v99, 0x178, v38
	v_add3_u32 v100, 0, v38, 8
	v_mov_b32_e32 v101, v0
	s_mov_b32 s3, 0
.LBB45_837:                             ; =>This Inner Loop Header: Depth=1
	scratch_load_b64 v[102:103], v100, off
	ds_load_b64 v[104:105], v99
	s_wait_xcnt 0x0
	v_dual_add_nc_u32 v99, 8, v99 :: v_dual_add_nc_u32 v100, 8, v100
	s_wait_loadcnt_dscnt 0x0
	v_pk_mul_f32 v[106:107], v[104:105], v[102:103] op_sel:[1,1] op_sel_hi:[0,1]
	s_delay_alu instid0(VALU_DEP_1) | instskip(SKIP_2) | instid1(VALU_DEP_3)
	v_pk_fma_f32 v[108:109], v[104:105], v[102:103], v[106:107] op_sel_hi:[1,0,1]
	v_add_nc_u32_e32 v101, 1, v101
	v_pk_fma_f32 v[102:103], v[104:105], v[102:103], v[106:107] neg_lo:[0,0,1] neg_hi:[0,0,1]
	v_mov_b32_e32 v103, v109
	s_delay_alu instid0(VALU_DEP_3) | instskip(NEXT) | instid1(VALU_DEP_2)
	v_cmp_lt_u32_e32 vcc_lo, 37, v101
	v_pk_add_f32 v[96:97], v[96:97], v[102:103]
	s_or_b32 s3, vcc_lo, s3
	s_delay_alu instid0(SALU_CYCLE_1)
	s_and_not1_b32 exec_lo, exec_lo, s3
	s_cbranch_execnz .LBB45_837
; %bb.838:
	s_or_b32 exec_lo, exec_lo, s3
.LBB45_839:
	s_delay_alu instid0(SALU_CYCLE_1) | instskip(SKIP_4) | instid1(VALU_DEP_1)
	s_or_b32 exec_lo, exec_lo, s2
	v_mov_b32_e32 v99, 0
	ds_load_b64 v[100:101], v99 offset:312
	s_wait_dscnt 0x0
	v_pk_mul_f32 v[102:103], v[96:97], v[100:101] op_sel:[1,1] op_sel_hi:[0,1]
	v_pk_fma_f32 v[104:105], v[96:97], v[100:101], v[102:103] op_sel_hi:[1,0,1]
	v_pk_fma_f32 v[96:97], v[96:97], v[100:101], v[102:103] neg_lo:[0,0,1] neg_hi:[0,0,1]
	s_delay_alu instid0(VALU_DEP_2)
	v_mov_b32_e32 v97, v105
	scratch_store_b64 off, v[96:97], off offset:312
.LBB45_840:
	s_wait_xcnt 0x0
	s_or_b32 exec_lo, exec_lo, s0
	scratch_load_b64 v[96:97], off, off offset:320
	s_mov_b32 s0, exec_lo
	s_wait_loadcnt 0x0
	ds_store_b64 v1, v[96:97]
	s_wait_storecnt_dscnt 0x0
	s_barrier_signal -1
	s_barrier_wait -1
	s_wait_xcnt 0x0
	v_cmpx_gt_u32_e32 40, v0
	s_cbranch_execz .LBB45_850
; %bb.841:
	v_cmp_ne_u32_e32 vcc_lo, 1, v98
	s_cbranch_vccnz .LBB45_843
; %bb.842:
	scratch_load_b64 v[96:97], v39, off
	ds_load_b64 v[100:101], v1
	s_wait_loadcnt_dscnt 0x0
	v_pk_mul_f32 v[102:103], v[100:101], v[96:97] op_sel:[1,1] op_sel_hi:[0,1]
	s_delay_alu instid0(VALU_DEP_1) | instskip(SKIP_1) | instid1(VALU_DEP_2)
	v_pk_fma_f32 v[104:105], v[100:101], v[96:97], v[102:103] op_sel_hi:[1,0,1]
	v_pk_fma_f32 v[96:97], v[100:101], v[96:97], v[102:103] neg_lo:[0,0,1] neg_hi:[0,0,1]
	v_mov_b32_e32 v97, v105
	s_cbranch_execz .LBB45_844
	s_branch .LBB45_845
.LBB45_843:
                                        ; implicit-def: $vgpr96_vgpr97
.LBB45_844:
	ds_load_b64 v[96:97], v1
.LBB45_845:
	s_mov_b32 s2, exec_lo
	v_cmpx_ne_u32_e32 39, v0
	s_cbranch_execz .LBB45_849
; %bb.846:
	v_add_nc_u32_e32 v99, 0x178, v38
	v_add3_u32 v100, 0, v38, 8
	v_mov_b32_e32 v101, v0
	s_mov_b32 s3, 0
.LBB45_847:                             ; =>This Inner Loop Header: Depth=1
	scratch_load_b64 v[102:103], v100, off
	ds_load_b64 v[104:105], v99
	s_wait_xcnt 0x0
	v_dual_add_nc_u32 v99, 8, v99 :: v_dual_add_nc_u32 v100, 8, v100
	s_wait_loadcnt_dscnt 0x0
	v_pk_mul_f32 v[106:107], v[104:105], v[102:103] op_sel:[1,1] op_sel_hi:[0,1]
	s_delay_alu instid0(VALU_DEP_1) | instskip(SKIP_2) | instid1(VALU_DEP_3)
	v_pk_fma_f32 v[108:109], v[104:105], v[102:103], v[106:107] op_sel_hi:[1,0,1]
	v_add_nc_u32_e32 v101, 1, v101
	v_pk_fma_f32 v[102:103], v[104:105], v[102:103], v[106:107] neg_lo:[0,0,1] neg_hi:[0,0,1]
	v_mov_b32_e32 v103, v109
	s_delay_alu instid0(VALU_DEP_3) | instskip(NEXT) | instid1(VALU_DEP_2)
	v_cmp_lt_u32_e32 vcc_lo, 38, v101
	v_pk_add_f32 v[96:97], v[96:97], v[102:103]
	s_or_b32 s3, vcc_lo, s3
	s_delay_alu instid0(SALU_CYCLE_1)
	s_and_not1_b32 exec_lo, exec_lo, s3
	s_cbranch_execnz .LBB45_847
; %bb.848:
	s_or_b32 exec_lo, exec_lo, s3
.LBB45_849:
	s_delay_alu instid0(SALU_CYCLE_1) | instskip(SKIP_4) | instid1(VALU_DEP_1)
	s_or_b32 exec_lo, exec_lo, s2
	v_mov_b32_e32 v99, 0
	ds_load_b64 v[100:101], v99 offset:320
	s_wait_dscnt 0x0
	v_pk_mul_f32 v[102:103], v[96:97], v[100:101] op_sel:[1,1] op_sel_hi:[0,1]
	v_pk_fma_f32 v[104:105], v[96:97], v[100:101], v[102:103] op_sel_hi:[1,0,1]
	v_pk_fma_f32 v[96:97], v[96:97], v[100:101], v[102:103] neg_lo:[0,0,1] neg_hi:[0,0,1]
	s_delay_alu instid0(VALU_DEP_2)
	v_mov_b32_e32 v97, v105
	scratch_store_b64 off, v[96:97], off offset:320
.LBB45_850:
	s_wait_xcnt 0x0
	s_or_b32 exec_lo, exec_lo, s0
	scratch_load_b64 v[96:97], off, off offset:328
	s_mov_b32 s0, exec_lo
	s_wait_loadcnt 0x0
	ds_store_b64 v1, v[96:97]
	s_wait_storecnt_dscnt 0x0
	s_barrier_signal -1
	s_barrier_wait -1
	s_wait_xcnt 0x0
	v_cmpx_gt_u32_e32 41, v0
	s_cbranch_execz .LBB45_860
; %bb.851:
	v_cmp_ne_u32_e32 vcc_lo, 1, v98
	s_cbranch_vccnz .LBB45_853
; %bb.852:
	scratch_load_b64 v[96:97], v39, off
	ds_load_b64 v[100:101], v1
	s_wait_loadcnt_dscnt 0x0
	v_pk_mul_f32 v[102:103], v[100:101], v[96:97] op_sel:[1,1] op_sel_hi:[0,1]
	s_delay_alu instid0(VALU_DEP_1) | instskip(SKIP_1) | instid1(VALU_DEP_2)
	v_pk_fma_f32 v[104:105], v[100:101], v[96:97], v[102:103] op_sel_hi:[1,0,1]
	v_pk_fma_f32 v[96:97], v[100:101], v[96:97], v[102:103] neg_lo:[0,0,1] neg_hi:[0,0,1]
	v_mov_b32_e32 v97, v105
	s_cbranch_execz .LBB45_854
	s_branch .LBB45_855
.LBB45_853:
                                        ; implicit-def: $vgpr96_vgpr97
.LBB45_854:
	ds_load_b64 v[96:97], v1
.LBB45_855:
	s_mov_b32 s2, exec_lo
	v_cmpx_ne_u32_e32 40, v0
	s_cbranch_execz .LBB45_859
; %bb.856:
	v_add_nc_u32_e32 v99, 0x178, v38
	v_add3_u32 v100, 0, v38, 8
	v_mov_b32_e32 v101, v0
	s_mov_b32 s3, 0
.LBB45_857:                             ; =>This Inner Loop Header: Depth=1
	scratch_load_b64 v[102:103], v100, off
	ds_load_b64 v[104:105], v99
	s_wait_xcnt 0x0
	v_dual_add_nc_u32 v99, 8, v99 :: v_dual_add_nc_u32 v100, 8, v100
	s_wait_loadcnt_dscnt 0x0
	v_pk_mul_f32 v[106:107], v[104:105], v[102:103] op_sel:[1,1] op_sel_hi:[0,1]
	s_delay_alu instid0(VALU_DEP_1) | instskip(SKIP_2) | instid1(VALU_DEP_3)
	v_pk_fma_f32 v[108:109], v[104:105], v[102:103], v[106:107] op_sel_hi:[1,0,1]
	v_add_nc_u32_e32 v101, 1, v101
	v_pk_fma_f32 v[102:103], v[104:105], v[102:103], v[106:107] neg_lo:[0,0,1] neg_hi:[0,0,1]
	v_mov_b32_e32 v103, v109
	s_delay_alu instid0(VALU_DEP_3) | instskip(NEXT) | instid1(VALU_DEP_2)
	v_cmp_lt_u32_e32 vcc_lo, 39, v101
	v_pk_add_f32 v[96:97], v[96:97], v[102:103]
	s_or_b32 s3, vcc_lo, s3
	s_delay_alu instid0(SALU_CYCLE_1)
	s_and_not1_b32 exec_lo, exec_lo, s3
	s_cbranch_execnz .LBB45_857
; %bb.858:
	s_or_b32 exec_lo, exec_lo, s3
.LBB45_859:
	s_delay_alu instid0(SALU_CYCLE_1) | instskip(SKIP_4) | instid1(VALU_DEP_1)
	s_or_b32 exec_lo, exec_lo, s2
	v_mov_b32_e32 v99, 0
	ds_load_b64 v[100:101], v99 offset:328
	s_wait_dscnt 0x0
	v_pk_mul_f32 v[102:103], v[96:97], v[100:101] op_sel:[1,1] op_sel_hi:[0,1]
	v_pk_fma_f32 v[104:105], v[96:97], v[100:101], v[102:103] op_sel_hi:[1,0,1]
	v_pk_fma_f32 v[96:97], v[96:97], v[100:101], v[102:103] neg_lo:[0,0,1] neg_hi:[0,0,1]
	s_delay_alu instid0(VALU_DEP_2)
	v_mov_b32_e32 v97, v105
	scratch_store_b64 off, v[96:97], off offset:328
.LBB45_860:
	s_wait_xcnt 0x0
	s_or_b32 exec_lo, exec_lo, s0
	scratch_load_b64 v[96:97], off, off offset:336
	s_mov_b32 s0, exec_lo
	s_wait_loadcnt 0x0
	ds_store_b64 v1, v[96:97]
	s_wait_storecnt_dscnt 0x0
	s_barrier_signal -1
	s_barrier_wait -1
	s_wait_xcnt 0x0
	v_cmpx_gt_u32_e32 42, v0
	s_cbranch_execz .LBB45_870
; %bb.861:
	v_cmp_ne_u32_e32 vcc_lo, 1, v98
	s_cbranch_vccnz .LBB45_863
; %bb.862:
	scratch_load_b64 v[96:97], v39, off
	ds_load_b64 v[100:101], v1
	s_wait_loadcnt_dscnt 0x0
	v_pk_mul_f32 v[102:103], v[100:101], v[96:97] op_sel:[1,1] op_sel_hi:[0,1]
	s_delay_alu instid0(VALU_DEP_1) | instskip(SKIP_1) | instid1(VALU_DEP_2)
	v_pk_fma_f32 v[104:105], v[100:101], v[96:97], v[102:103] op_sel_hi:[1,0,1]
	v_pk_fma_f32 v[96:97], v[100:101], v[96:97], v[102:103] neg_lo:[0,0,1] neg_hi:[0,0,1]
	v_mov_b32_e32 v97, v105
	s_cbranch_execz .LBB45_864
	s_branch .LBB45_865
.LBB45_863:
                                        ; implicit-def: $vgpr96_vgpr97
.LBB45_864:
	ds_load_b64 v[96:97], v1
.LBB45_865:
	s_mov_b32 s2, exec_lo
	v_cmpx_ne_u32_e32 41, v0
	s_cbranch_execz .LBB45_869
; %bb.866:
	v_add_nc_u32_e32 v99, 0x178, v38
	v_add3_u32 v100, 0, v38, 8
	v_mov_b32_e32 v101, v0
	s_mov_b32 s3, 0
.LBB45_867:                             ; =>This Inner Loop Header: Depth=1
	scratch_load_b64 v[102:103], v100, off
	ds_load_b64 v[104:105], v99
	s_wait_xcnt 0x0
	v_dual_add_nc_u32 v99, 8, v99 :: v_dual_add_nc_u32 v100, 8, v100
	s_wait_loadcnt_dscnt 0x0
	v_pk_mul_f32 v[106:107], v[104:105], v[102:103] op_sel:[1,1] op_sel_hi:[0,1]
	s_delay_alu instid0(VALU_DEP_1) | instskip(SKIP_2) | instid1(VALU_DEP_3)
	v_pk_fma_f32 v[108:109], v[104:105], v[102:103], v[106:107] op_sel_hi:[1,0,1]
	v_add_nc_u32_e32 v101, 1, v101
	v_pk_fma_f32 v[102:103], v[104:105], v[102:103], v[106:107] neg_lo:[0,0,1] neg_hi:[0,0,1]
	v_mov_b32_e32 v103, v109
	s_delay_alu instid0(VALU_DEP_3) | instskip(NEXT) | instid1(VALU_DEP_2)
	v_cmp_lt_u32_e32 vcc_lo, 40, v101
	v_pk_add_f32 v[96:97], v[96:97], v[102:103]
	s_or_b32 s3, vcc_lo, s3
	s_delay_alu instid0(SALU_CYCLE_1)
	s_and_not1_b32 exec_lo, exec_lo, s3
	s_cbranch_execnz .LBB45_867
; %bb.868:
	s_or_b32 exec_lo, exec_lo, s3
.LBB45_869:
	s_delay_alu instid0(SALU_CYCLE_1) | instskip(SKIP_4) | instid1(VALU_DEP_1)
	s_or_b32 exec_lo, exec_lo, s2
	v_mov_b32_e32 v99, 0
	ds_load_b64 v[100:101], v99 offset:336
	s_wait_dscnt 0x0
	v_pk_mul_f32 v[102:103], v[96:97], v[100:101] op_sel:[1,1] op_sel_hi:[0,1]
	v_pk_fma_f32 v[104:105], v[96:97], v[100:101], v[102:103] op_sel_hi:[1,0,1]
	v_pk_fma_f32 v[96:97], v[96:97], v[100:101], v[102:103] neg_lo:[0,0,1] neg_hi:[0,0,1]
	s_delay_alu instid0(VALU_DEP_2)
	v_mov_b32_e32 v97, v105
	scratch_store_b64 off, v[96:97], off offset:336
.LBB45_870:
	s_wait_xcnt 0x0
	s_or_b32 exec_lo, exec_lo, s0
	scratch_load_b64 v[96:97], off, off offset:344
	s_mov_b32 s0, exec_lo
	s_wait_loadcnt 0x0
	ds_store_b64 v1, v[96:97]
	s_wait_storecnt_dscnt 0x0
	s_barrier_signal -1
	s_barrier_wait -1
	s_wait_xcnt 0x0
	v_cmpx_gt_u32_e32 43, v0
	s_cbranch_execz .LBB45_880
; %bb.871:
	v_cmp_ne_u32_e32 vcc_lo, 1, v98
	s_cbranch_vccnz .LBB45_873
; %bb.872:
	scratch_load_b64 v[96:97], v39, off
	ds_load_b64 v[100:101], v1
	s_wait_loadcnt_dscnt 0x0
	v_pk_mul_f32 v[102:103], v[100:101], v[96:97] op_sel:[1,1] op_sel_hi:[0,1]
	s_delay_alu instid0(VALU_DEP_1) | instskip(SKIP_1) | instid1(VALU_DEP_2)
	v_pk_fma_f32 v[104:105], v[100:101], v[96:97], v[102:103] op_sel_hi:[1,0,1]
	v_pk_fma_f32 v[96:97], v[100:101], v[96:97], v[102:103] neg_lo:[0,0,1] neg_hi:[0,0,1]
	v_mov_b32_e32 v97, v105
	s_cbranch_execz .LBB45_874
	s_branch .LBB45_875
.LBB45_873:
                                        ; implicit-def: $vgpr96_vgpr97
.LBB45_874:
	ds_load_b64 v[96:97], v1
.LBB45_875:
	s_mov_b32 s2, exec_lo
	v_cmpx_ne_u32_e32 42, v0
	s_cbranch_execz .LBB45_879
; %bb.876:
	v_add_nc_u32_e32 v99, 0x178, v38
	v_add3_u32 v100, 0, v38, 8
	v_mov_b32_e32 v101, v0
	s_mov_b32 s3, 0
.LBB45_877:                             ; =>This Inner Loop Header: Depth=1
	scratch_load_b64 v[102:103], v100, off
	ds_load_b64 v[104:105], v99
	s_wait_xcnt 0x0
	v_dual_add_nc_u32 v99, 8, v99 :: v_dual_add_nc_u32 v100, 8, v100
	s_wait_loadcnt_dscnt 0x0
	v_pk_mul_f32 v[106:107], v[104:105], v[102:103] op_sel:[1,1] op_sel_hi:[0,1]
	s_delay_alu instid0(VALU_DEP_1) | instskip(SKIP_2) | instid1(VALU_DEP_3)
	v_pk_fma_f32 v[108:109], v[104:105], v[102:103], v[106:107] op_sel_hi:[1,0,1]
	v_add_nc_u32_e32 v101, 1, v101
	v_pk_fma_f32 v[102:103], v[104:105], v[102:103], v[106:107] neg_lo:[0,0,1] neg_hi:[0,0,1]
	v_mov_b32_e32 v103, v109
	s_delay_alu instid0(VALU_DEP_3) | instskip(NEXT) | instid1(VALU_DEP_2)
	v_cmp_lt_u32_e32 vcc_lo, 41, v101
	v_pk_add_f32 v[96:97], v[96:97], v[102:103]
	s_or_b32 s3, vcc_lo, s3
	s_delay_alu instid0(SALU_CYCLE_1)
	s_and_not1_b32 exec_lo, exec_lo, s3
	s_cbranch_execnz .LBB45_877
; %bb.878:
	s_or_b32 exec_lo, exec_lo, s3
.LBB45_879:
	s_delay_alu instid0(SALU_CYCLE_1) | instskip(SKIP_4) | instid1(VALU_DEP_1)
	s_or_b32 exec_lo, exec_lo, s2
	v_mov_b32_e32 v99, 0
	ds_load_b64 v[100:101], v99 offset:344
	s_wait_dscnt 0x0
	v_pk_mul_f32 v[102:103], v[96:97], v[100:101] op_sel:[1,1] op_sel_hi:[0,1]
	v_pk_fma_f32 v[104:105], v[96:97], v[100:101], v[102:103] op_sel_hi:[1,0,1]
	v_pk_fma_f32 v[96:97], v[96:97], v[100:101], v[102:103] neg_lo:[0,0,1] neg_hi:[0,0,1]
	s_delay_alu instid0(VALU_DEP_2)
	v_mov_b32_e32 v97, v105
	scratch_store_b64 off, v[96:97], off offset:344
.LBB45_880:
	s_wait_xcnt 0x0
	s_or_b32 exec_lo, exec_lo, s0
	scratch_load_b64 v[96:97], off, off offset:352
	v_cmp_gt_u32_e64 s0, 44, v0
	s_wait_loadcnt 0x0
	ds_store_b64 v1, v[96:97]
	s_wait_storecnt_dscnt 0x0
	s_barrier_signal -1
	s_barrier_wait -1
	s_wait_xcnt 0x0
	s_and_saveexec_b32 s2, s0
	s_cbranch_execz .LBB45_890
; %bb.881:
	v_cmp_ne_u32_e32 vcc_lo, 1, v98
	s_cbranch_vccnz .LBB45_883
; %bb.882:
	scratch_load_b64 v[96:97], v39, off
	ds_load_b64 v[100:101], v1
	s_wait_loadcnt_dscnt 0x0
	v_pk_mul_f32 v[102:103], v[100:101], v[96:97] op_sel:[1,1] op_sel_hi:[0,1]
	s_delay_alu instid0(VALU_DEP_1) | instskip(SKIP_1) | instid1(VALU_DEP_2)
	v_pk_fma_f32 v[104:105], v[100:101], v[96:97], v[102:103] op_sel_hi:[1,0,1]
	v_pk_fma_f32 v[96:97], v[100:101], v[96:97], v[102:103] neg_lo:[0,0,1] neg_hi:[0,0,1]
	v_mov_b32_e32 v97, v105
	s_cbranch_execz .LBB45_884
	s_branch .LBB45_885
.LBB45_883:
                                        ; implicit-def: $vgpr96_vgpr97
.LBB45_884:
	ds_load_b64 v[96:97], v1
.LBB45_885:
	s_mov_b32 s3, exec_lo
	v_cmpx_ne_u32_e32 43, v0
	s_cbranch_execz .LBB45_889
; %bb.886:
	v_add_nc_u32_e32 v99, 0x178, v38
	v_add3_u32 v100, 0, v38, 8
	v_mov_b32_e32 v101, v0
	s_mov_b32 s4, 0
.LBB45_887:                             ; =>This Inner Loop Header: Depth=1
	scratch_load_b64 v[102:103], v100, off
	ds_load_b64 v[104:105], v99
	s_wait_xcnt 0x0
	v_dual_add_nc_u32 v99, 8, v99 :: v_dual_add_nc_u32 v100, 8, v100
	s_wait_loadcnt_dscnt 0x0
	v_pk_mul_f32 v[106:107], v[104:105], v[102:103] op_sel:[1,1] op_sel_hi:[0,1]
	s_delay_alu instid0(VALU_DEP_1) | instskip(SKIP_2) | instid1(VALU_DEP_3)
	v_pk_fma_f32 v[108:109], v[104:105], v[102:103], v[106:107] op_sel_hi:[1,0,1]
	v_add_nc_u32_e32 v101, 1, v101
	v_pk_fma_f32 v[102:103], v[104:105], v[102:103], v[106:107] neg_lo:[0,0,1] neg_hi:[0,0,1]
	v_mov_b32_e32 v103, v109
	s_delay_alu instid0(VALU_DEP_3) | instskip(NEXT) | instid1(VALU_DEP_2)
	v_cmp_lt_u32_e32 vcc_lo, 42, v101
	v_pk_add_f32 v[96:97], v[96:97], v[102:103]
	s_or_b32 s4, vcc_lo, s4
	s_delay_alu instid0(SALU_CYCLE_1)
	s_and_not1_b32 exec_lo, exec_lo, s4
	s_cbranch_execnz .LBB45_887
; %bb.888:
	s_or_b32 exec_lo, exec_lo, s4
.LBB45_889:
	s_delay_alu instid0(SALU_CYCLE_1) | instskip(SKIP_4) | instid1(VALU_DEP_1)
	s_or_b32 exec_lo, exec_lo, s3
	v_mov_b32_e32 v99, 0
	ds_load_b64 v[100:101], v99 offset:352
	s_wait_dscnt 0x0
	v_pk_mul_f32 v[102:103], v[96:97], v[100:101] op_sel:[1,1] op_sel_hi:[0,1]
	v_pk_fma_f32 v[104:105], v[96:97], v[100:101], v[102:103] op_sel_hi:[1,0,1]
	v_pk_fma_f32 v[96:97], v[96:97], v[100:101], v[102:103] neg_lo:[0,0,1] neg_hi:[0,0,1]
	s_delay_alu instid0(VALU_DEP_2)
	v_mov_b32_e32 v97, v105
	scratch_store_b64 off, v[96:97], off offset:352
.LBB45_890:
	s_wait_xcnt 0x0
	s_or_b32 exec_lo, exec_lo, s2
	scratch_load_b64 v[96:97], off, off offset:360
	s_mov_b32 s2, exec_lo
                                        ; implicit-def: $vgpr132
                                        ; implicit-def: $sgpr4
	s_wait_loadcnt 0x0
	ds_store_b64 v1, v[96:97]
	s_wait_storecnt_dscnt 0x0
	s_barrier_signal -1
	s_barrier_wait -1
	s_wait_xcnt 0x0
	v_cmpx_ne_u32_e32 45, v0
	s_cbranch_execz .LBB45_900
; %bb.891:
	v_cmp_ne_u32_e32 vcc_lo, 1, v98
	s_cbranch_vccnz .LBB45_893
; %bb.892:
	scratch_load_b64 v[98:99], v39, off
	ds_load_b64 v[100:101], v1
	s_wait_loadcnt_dscnt 0x0
	v_dual_mul_f32 v39, v101, v99 :: v_dual_mul_f32 v97, v100, v99
	s_delay_alu instid0(VALU_DEP_1)
	v_dual_fma_f32 v96, v100, v98, -v39 :: v_dual_fmac_f32 v97, v101, v98
	s_cbranch_execz .LBB45_894
	s_branch .LBB45_895
.LBB45_893:
                                        ; implicit-def: $vgpr97
.LBB45_894:
	ds_load_b64 v[96:97], v1
.LBB45_895:
	s_and_saveexec_b32 s3, s0
	s_cbranch_execz .LBB45_899
; %bb.896:
	v_add_nc_u32_e32 v1, 0x178, v38
	v_add3_u32 v38, 0, v38, 8
	s_mov_b32 s0, 0
.LBB45_897:                             ; =>This Inner Loop Header: Depth=1
	scratch_load_b64 v[98:99], v38, off
	ds_load_b64 v[100:101], v1
	s_wait_loadcnt_dscnt 0x0
	v_dual_add_nc_u32 v1, 8, v1 :: v_dual_mul_f32 v39, v101, v99
	v_dual_mul_f32 v99, v100, v99 :: v_dual_add_nc_u32 v0, 1, v0
	s_delay_alu instid0(VALU_DEP_2) | instskip(NEXT) | instid1(VALU_DEP_2)
	v_fma_f32 v39, v100, v98, -v39
	v_fmac_f32_e32 v99, v101, v98
	s_delay_alu instid0(VALU_DEP_3) | instskip(NEXT) | instid1(VALU_DEP_3)
	v_cmp_lt_u32_e32 vcc_lo, 43, v0
	v_dual_add_nc_u32 v38, 8, v38 :: v_dual_add_f32 v96, v96, v39
	s_delay_alu instid0(VALU_DEP_3) | instskip(SKIP_1) | instid1(SALU_CYCLE_1)
	v_add_f32_e32 v97, v97, v99
	s_or_b32 s0, vcc_lo, s0
	s_and_not1_b32 exec_lo, exec_lo, s0
	s_cbranch_execnz .LBB45_897
; %bb.898:
	s_or_b32 exec_lo, exec_lo, s0
.LBB45_899:
	s_delay_alu instid0(SALU_CYCLE_1)
	s_or_b32 exec_lo, exec_lo, s3
	v_mov_b32_e32 v0, 0
	s_movk_i32 s4, 0x16c
	s_or_b32 s1, s1, exec_lo
	ds_load_b64 v[0:1], v0 offset:360
	s_wait_dscnt 0x0
	v_dual_mul_f32 v38, v97, v1 :: v_dual_mul_f32 v132, v96, v1
	s_delay_alu instid0(VALU_DEP_1)
	v_dual_fma_f32 v1, v96, v0, -v38 :: v_dual_fmac_f32 v132, v97, v0
	scratch_store_b32 off, v1, off offset:360
.LBB45_900:
	s_wait_xcnt 0x0
	s_or_b32 exec_lo, exec_lo, s2
.LBB45_901:
	v_lshl_add_u64 v[128:129], v[6:7], 3, s[6:7]
	v_lshl_add_u64 v[130:131], v[8:9], 3, s[6:7]
	v_lshl_add_u64 v[124:125], v[10:11], 3, s[6:7]
	v_lshl_add_u64 v[126:127], v[12:13], 3, s[6:7]
	v_lshl_add_u64 v[120:121], v[14:15], 3, s[6:7]
	v_lshl_add_u64 v[122:123], v[16:17], 3, s[6:7]
	v_lshl_add_u64 v[116:117], v[18:19], 3, s[6:7]
	v_lshl_add_u64 v[118:119], v[20:21], 3, s[6:7]
	v_lshl_add_u64 v[112:113], v[22:23], 3, s[6:7]
	v_lshl_add_u64 v[114:115], v[24:25], 3, s[6:7]
	v_lshl_add_u64 v[108:109], v[26:27], 3, s[6:7]
	v_lshl_add_u64 v[110:111], v[28:29], 3, s[6:7]
	v_lshl_add_u64 v[104:105], v[30:31], 3, s[6:7]
	v_lshl_add_u64 v[106:107], v[32:33], 3, s[6:7]
	v_lshl_add_u64 v[100:101], v[34:35], 3, s[6:7]
	v_lshl_add_u64 v[102:103], v[36:37], 3, s[6:7]
	v_lshl_add_u64 v[96:97], v[40:41], 3, s[6:7]
	v_lshl_add_u64 v[98:99], v[42:43], 3, s[6:7]
	v_lshl_add_u64 v[8:9], v[44:45], 3, s[6:7]
	v_lshl_add_u64 v[10:11], v[46:47], 3, s[6:7]
	v_lshl_add_u64 v[12:13], v[48:49], 3, s[6:7]
	v_lshl_add_u64 v[14:15], v[50:51], 3, s[6:7]
	v_lshl_add_u64 v[16:17], v[52:53], 3, s[6:7]
	v_lshl_add_u64 v[18:19], v[54:55], 3, s[6:7]
	v_lshl_add_u64 v[20:21], v[56:57], 3, s[6:7]
	v_lshl_add_u64 v[22:23], v[58:59], 3, s[6:7]
	v_lshl_add_u64 v[24:25], v[60:61], 3, s[6:7]
	v_lshl_add_u64 v[26:27], v[62:63], 3, s[6:7]
	v_lshl_add_u64 v[28:29], v[64:65], 3, s[6:7]
	v_lshl_add_u64 v[30:31], v[66:67], 3, s[6:7]
	v_lshl_add_u64 v[32:33], v[68:69], 3, s[6:7]
	v_lshl_add_u64 v[34:35], v[70:71], 3, s[6:7]
	v_lshl_add_u64 v[36:37], v[72:73], 3, s[6:7]
	v_lshl_add_u64 v[38:39], v[74:75], 3, s[6:7]
	v_lshl_add_u64 v[40:41], v[76:77], 3, s[6:7]
	v_lshl_add_u64 v[42:43], v[78:79], 3, s[6:7]
	v_lshl_add_u64 v[44:45], v[80:81], 3, s[6:7]
	v_lshl_add_u64 v[46:47], v[82:83], 3, s[6:7]
	v_lshl_add_u64 v[48:49], v[84:85], 3, s[6:7]
	v_lshl_add_u64 v[50:51], v[86:87], 3, s[6:7]
	v_lshl_add_u64 v[52:53], v[88:89], 3, s[6:7]
	v_lshl_add_u64 v[54:55], v[90:91], 3, s[6:7]
	v_lshl_add_u64 v[0:1], v[92:93], 3, s[6:7]
	v_lshl_add_u64 v[6:7], v[94:95], 3, s[6:7]
	s_and_saveexec_b32 s0, s1
	s_cbranch_execz .LBB45_903
; %bb.902:
	scratch_store_b32 off, v132, s4
.LBB45_903:
	s_wait_xcnt 0x0
	s_or_b32 exec_lo, exec_lo, s0
	s_clause 0x3
	scratch_load_b128 v[56:59], off, off
	scratch_load_b128 v[60:63], off, off offset:16
	scratch_load_b128 v[64:67], off, off offset:32
	;; [unrolled: 1-line block ×3, first 2 shown]
	s_wait_loadcnt 0x3
	s_clause 0x1
	global_store_b64 v[2:3], v[56:57], off
	global_store_b64 v[4:5], v[58:59], off
	s_clause 0x1
	scratch_load_b128 v[2:5], off, off offset:64
	scratch_load_b128 v[56:59], off, off offset:80
	s_wait_loadcnt 0x4
	s_clause 0x1
	global_store_b64 v[128:129], v[60:61], off
	global_store_b64 v[130:131], v[62:63], off
	s_clause 0x1
	scratch_load_b128 v[60:63], off, off offset:96
	scratch_load_b128 v[72:75], off, off offset:112
	;; [unrolled: 7-line block ×9, first 2 shown]
	s_wait_loadcnt 0xc
	s_clause 0x1
	global_store_b64 v[96:97], v[76:77], off
	global_store_b64 v[98:99], v[78:79], off
	scratch_load_b128 v[76:79], off, off offset:352
	s_wait_loadcnt 0xc
	s_clause 0x1
	global_store_b64 v[8:9], v[68:69], off
	global_store_b64 v[10:11], v[70:71], off
	s_wait_loadcnt 0xb
	s_clause 0x1
	global_store_b64 v[12:13], v[80:81], off
	global_store_b64 v[14:15], v[82:83], off
	;; [unrolled: 4-line block ×13, first 2 shown]
.LBB45_904:
	s_sendmsg sendmsg(MSG_DEALLOC_VGPRS)
	s_endpgm
	.section	.rodata,"a",@progbits
	.p2align	6, 0x0
	.amdhsa_kernel _ZN9rocsolver6v33100L18trti2_kernel_smallILi46E19rocblas_complex_numIfEPS3_EEv13rocblas_fill_17rocblas_diagonal_T1_iil
		.amdhsa_group_segment_fixed_size 736
		.amdhsa_private_segment_fixed_size 384
		.amdhsa_kernarg_size 32
		.amdhsa_user_sgpr_count 2
		.amdhsa_user_sgpr_dispatch_ptr 0
		.amdhsa_user_sgpr_queue_ptr 0
		.amdhsa_user_sgpr_kernarg_segment_ptr 1
		.amdhsa_user_sgpr_dispatch_id 0
		.amdhsa_user_sgpr_kernarg_preload_length 0
		.amdhsa_user_sgpr_kernarg_preload_offset 0
		.amdhsa_user_sgpr_private_segment_size 0
		.amdhsa_wavefront_size32 1
		.amdhsa_uses_dynamic_stack 0
		.amdhsa_enable_private_segment 1
		.amdhsa_system_sgpr_workgroup_id_x 1
		.amdhsa_system_sgpr_workgroup_id_y 0
		.amdhsa_system_sgpr_workgroup_id_z 0
		.amdhsa_system_sgpr_workgroup_info 0
		.amdhsa_system_vgpr_workitem_id 0
		.amdhsa_next_free_vgpr 133
		.amdhsa_next_free_sgpr 30
		.amdhsa_named_barrier_count 0
		.amdhsa_reserve_vcc 1
		.amdhsa_float_round_mode_32 0
		.amdhsa_float_round_mode_16_64 0
		.amdhsa_float_denorm_mode_32 3
		.amdhsa_float_denorm_mode_16_64 3
		.amdhsa_fp16_overflow 0
		.amdhsa_memory_ordered 1
		.amdhsa_forward_progress 1
		.amdhsa_inst_pref_size 255
		.amdhsa_round_robin_scheduling 0
		.amdhsa_exception_fp_ieee_invalid_op 0
		.amdhsa_exception_fp_denorm_src 0
		.amdhsa_exception_fp_ieee_div_zero 0
		.amdhsa_exception_fp_ieee_overflow 0
		.amdhsa_exception_fp_ieee_underflow 0
		.amdhsa_exception_fp_ieee_inexact 0
		.amdhsa_exception_int_div_zero 0
	.end_amdhsa_kernel
	.section	.text._ZN9rocsolver6v33100L18trti2_kernel_smallILi46E19rocblas_complex_numIfEPS3_EEv13rocblas_fill_17rocblas_diagonal_T1_iil,"axG",@progbits,_ZN9rocsolver6v33100L18trti2_kernel_smallILi46E19rocblas_complex_numIfEPS3_EEv13rocblas_fill_17rocblas_diagonal_T1_iil,comdat
.Lfunc_end45:
	.size	_ZN9rocsolver6v33100L18trti2_kernel_smallILi46E19rocblas_complex_numIfEPS3_EEv13rocblas_fill_17rocblas_diagonal_T1_iil, .Lfunc_end45-_ZN9rocsolver6v33100L18trti2_kernel_smallILi46E19rocblas_complex_numIfEPS3_EEv13rocblas_fill_17rocblas_diagonal_T1_iil
                                        ; -- End function
	.set _ZN9rocsolver6v33100L18trti2_kernel_smallILi46E19rocblas_complex_numIfEPS3_EEv13rocblas_fill_17rocblas_diagonal_T1_iil.num_vgpr, 133
	.set _ZN9rocsolver6v33100L18trti2_kernel_smallILi46E19rocblas_complex_numIfEPS3_EEv13rocblas_fill_17rocblas_diagonal_T1_iil.num_agpr, 0
	.set _ZN9rocsolver6v33100L18trti2_kernel_smallILi46E19rocblas_complex_numIfEPS3_EEv13rocblas_fill_17rocblas_diagonal_T1_iil.numbered_sgpr, 30
	.set _ZN9rocsolver6v33100L18trti2_kernel_smallILi46E19rocblas_complex_numIfEPS3_EEv13rocblas_fill_17rocblas_diagonal_T1_iil.num_named_barrier, 0
	.set _ZN9rocsolver6v33100L18trti2_kernel_smallILi46E19rocblas_complex_numIfEPS3_EEv13rocblas_fill_17rocblas_diagonal_T1_iil.private_seg_size, 384
	.set _ZN9rocsolver6v33100L18trti2_kernel_smallILi46E19rocblas_complex_numIfEPS3_EEv13rocblas_fill_17rocblas_diagonal_T1_iil.uses_vcc, 1
	.set _ZN9rocsolver6v33100L18trti2_kernel_smallILi46E19rocblas_complex_numIfEPS3_EEv13rocblas_fill_17rocblas_diagonal_T1_iil.uses_flat_scratch, 1
	.set _ZN9rocsolver6v33100L18trti2_kernel_smallILi46E19rocblas_complex_numIfEPS3_EEv13rocblas_fill_17rocblas_diagonal_T1_iil.has_dyn_sized_stack, 0
	.set _ZN9rocsolver6v33100L18trti2_kernel_smallILi46E19rocblas_complex_numIfEPS3_EEv13rocblas_fill_17rocblas_diagonal_T1_iil.has_recursion, 0
	.set _ZN9rocsolver6v33100L18trti2_kernel_smallILi46E19rocblas_complex_numIfEPS3_EEv13rocblas_fill_17rocblas_diagonal_T1_iil.has_indirect_call, 0
	.section	.AMDGPU.csdata,"",@progbits
; Kernel info:
; codeLenInByte = 34856
; TotalNumSgprs: 32
; NumVgprs: 133
; ScratchSize: 384
; MemoryBound: 0
; FloatMode: 240
; IeeeMode: 1
; LDSByteSize: 736 bytes/workgroup (compile time only)
; SGPRBlocks: 0
; VGPRBlocks: 8
; NumSGPRsForWavesPerEU: 32
; NumVGPRsForWavesPerEU: 133
; NamedBarCnt: 0
; Occupancy: 7
; WaveLimiterHint : 0
; COMPUTE_PGM_RSRC2:SCRATCH_EN: 1
; COMPUTE_PGM_RSRC2:USER_SGPR: 2
; COMPUTE_PGM_RSRC2:TRAP_HANDLER: 0
; COMPUTE_PGM_RSRC2:TGID_X_EN: 1
; COMPUTE_PGM_RSRC2:TGID_Y_EN: 0
; COMPUTE_PGM_RSRC2:TGID_Z_EN: 0
; COMPUTE_PGM_RSRC2:TIDIG_COMP_CNT: 0
	.section	.text._ZN9rocsolver6v33100L18trti2_kernel_smallILi47E19rocblas_complex_numIfEPS3_EEv13rocblas_fill_17rocblas_diagonal_T1_iil,"axG",@progbits,_ZN9rocsolver6v33100L18trti2_kernel_smallILi47E19rocblas_complex_numIfEPS3_EEv13rocblas_fill_17rocblas_diagonal_T1_iil,comdat
	.globl	_ZN9rocsolver6v33100L18trti2_kernel_smallILi47E19rocblas_complex_numIfEPS3_EEv13rocblas_fill_17rocblas_diagonal_T1_iil ; -- Begin function _ZN9rocsolver6v33100L18trti2_kernel_smallILi47E19rocblas_complex_numIfEPS3_EEv13rocblas_fill_17rocblas_diagonal_T1_iil
	.p2align	8
	.type	_ZN9rocsolver6v33100L18trti2_kernel_smallILi47E19rocblas_complex_numIfEPS3_EEv13rocblas_fill_17rocblas_diagonal_T1_iil,@function
_ZN9rocsolver6v33100L18trti2_kernel_smallILi47E19rocblas_complex_numIfEPS3_EEv13rocblas_fill_17rocblas_diagonal_T1_iil: ; @_ZN9rocsolver6v33100L18trti2_kernel_smallILi47E19rocblas_complex_numIfEPS3_EEv13rocblas_fill_17rocblas_diagonal_T1_iil
; %bb.0:
	s_mov_b32 s2, exec_lo
	v_cmpx_gt_u32_e32 47, v0
	s_cbranch_execz .LBB46_924
; %bb.1:
	s_load_b256 s[4:11], s[0:1], 0x0
	s_wait_xcnt 0x0
	s_bfe_u32 s0, ttmp6, 0x4000c
	s_and_b32 s1, ttmp6, 15
	s_add_co_i32 s0, s0, 1
	s_getreg_b32 s2, hwreg(HW_REG_IB_STS2, 6, 4)
	s_mul_i32 s0, ttmp9, s0
	v_dual_mov_b32 v39, 0 :: v_dual_lshlrev_b32 v38, 3, v0
	s_add_co_i32 s0, s1, s0
	s_wait_kmcnt 0x0
	v_add3_u32 v6, s9, s9, v0
	s_ashr_i32 s1, s8, 31
	s_cmp_eq_u32 s2, 0
	s_cselect_b32 s2, ttmp9, s0
	s_delay_alu instid0(VALU_DEP_1)
	v_add_nc_u32_e32 v8, s9, v6
	s_ashr_i32 s3, s2, 31
	s_mov_b32 s0, s8
	s_mul_u64 s[2:3], s[10:11], s[2:3]
	s_lshl_b64 s[0:1], s[0:1], 3
	v_add_nc_u32_e32 v10, s9, v8
	s_lshl_b64 s[2:3], s[2:3], 3
	s_delay_alu instid0(SALU_CYCLE_1) | instskip(NEXT) | instid1(SALU_CYCLE_1)
	s_add_nc_u64 s[2:3], s[6:7], s[2:3]
	s_add_nc_u64 s[6:7], s[2:3], s[0:1]
	s_delay_alu instid0(VALU_DEP_1)
	v_add_nc_u32_e32 v12, s9, v10
	v_add_nc_u64_e32 v[2:3], s[6:7], v[38:39]
	s_mov_b32 s0, s9
	s_ashr_i32 s1, s9, 31
	s_cmp_lg_u32 s5, 0x84
	v_add_nc_u32_e32 v14, s9, v12
	s_cselect_b32 s3, -1, 0
	s_delay_alu instid0(VALU_DEP_2) | instskip(SKIP_1) | instid1(VALU_DEP_2)
	v_lshl_add_u64 v[4:5], s[0:1], 3, v[2:3]
	s_mov_b32 s0, -1
	v_add_nc_u32_e32 v16, s9, v14
	s_and_b32 vcc_lo, exec_lo, s3
	s_delay_alu instid0(VALU_DEP_1)
	v_add_nc_u32_e32 v18, s9, v16
	s_clause 0x7
	global_load_b64 v[68:69], v10, s[6:7] scale_offset
	global_load_b64 v[70:71], v12, s[6:7] scale_offset
	;; [unrolled: 1-line block ×3, first 2 shown]
	global_load_b64 v[74:75], v[4:5], off
	global_load_b64 v[76:77], v6, s[6:7] scale_offset
	global_load_b64 v[78:79], v8, s[6:7] scale_offset
	;; [unrolled: 1-line block ×4, first 2 shown]
	v_add_nc_u32_e32 v20, s9, v18
	s_delay_alu instid0(VALU_DEP_1) | instskip(NEXT) | instid1(VALU_DEP_1)
	v_add_nc_u32_e32 v22, s9, v20
	v_add_nc_u32_e32 v24, s9, v22
	s_delay_alu instid0(VALU_DEP_1) | instskip(SKIP_4) | instid1(VALU_DEP_1)
	v_add_nc_u32_e32 v26, s9, v24
	s_clause 0x1
	global_load_b64 v[84:85], v18, s[6:7] scale_offset
	global_load_b64 v[86:87], v20, s[6:7] scale_offset
	v_add_nc_u32_e32 v28, s9, v26
	v_add_nc_u32_e32 v30, s9, v28
	s_clause 0x3
	global_load_b64 v[88:89], v22, s[6:7] scale_offset
	global_load_b64 v[90:91], v24, s[6:7] scale_offset
	;; [unrolled: 1-line block ×4, first 2 shown]
	v_add_nc_u32_e32 v32, s9, v30
	s_delay_alu instid0(VALU_DEP_1) | instskip(NEXT) | instid1(VALU_DEP_1)
	v_add_nc_u32_e32 v34, s9, v32
	v_add_nc_u32_e32 v36, s9, v34
	s_delay_alu instid0(VALU_DEP_1) | instskip(SKIP_4) | instid1(VALU_DEP_1)
	v_add_nc_u32_e32 v40, s9, v36
	s_clause 0x1
	global_load_b64 v[96:97], v30, s[6:7] scale_offset
	global_load_b64 v[98:99], v32, s[6:7] scale_offset
	v_add_nc_u32_e32 v42, s9, v40
	v_add_nc_u32_e32 v44, s9, v42
	s_clause 0x3
	global_load_b64 v[100:101], v34, s[6:7] scale_offset
	global_load_b64 v[102:103], v36, s[6:7] scale_offset
	global_load_b64 v[104:105], v40, s[6:7] scale_offset
	global_load_b64 v[106:107], v42, s[6:7] scale_offset
	v_add_nc_u32_e32 v46, s9, v44
	s_delay_alu instid0(VALU_DEP_1) | instskip(NEXT) | instid1(VALU_DEP_1)
	v_add_nc_u32_e32 v48, s9, v46
	v_add_nc_u32_e32 v50, s9, v48
	s_delay_alu instid0(VALU_DEP_1) | instskip(NEXT) | instid1(VALU_DEP_1)
	v_add_nc_u32_e32 v52, s9, v50
	v_add_nc_u32_e32 v54, s9, v52
	s_delay_alu instid0(VALU_DEP_1)
	v_add_nc_u32_e32 v56, s9, v54
	s_clause 0x3
	global_load_b64 v[108:109], v44, s[6:7] scale_offset
	global_load_b64 v[110:111], v46, s[6:7] scale_offset
	;; [unrolled: 1-line block ×4, first 2 shown]
	v_add_nc_u32_e32 v58, s9, v56
	s_delay_alu instid0(VALU_DEP_1) | instskip(NEXT) | instid1(VALU_DEP_1)
	v_add_nc_u32_e32 v60, s9, v58
	v_add_nc_u32_e32 v62, s9, v60
	s_delay_alu instid0(VALU_DEP_1)
	v_add_nc_u32_e32 v64, s9, v62
	s_clause 0x3
	global_load_b64 v[116:117], v52, s[6:7] scale_offset
	global_load_b64 v[118:119], v54, s[6:7] scale_offset
	;; [unrolled: 1-line block ×4, first 2 shown]
	v_add_nc_u32_e32 v66, s9, v64
	s_wait_loadcnt 0x1a
	scratch_store_b128 off, v[68:71], off offset:32
	s_wait_xcnt 0x0
	v_add_nc_u32_e32 v68, s9, v66
	s_wait_loadcnt 0x18
	scratch_store_b128 off, v[72:75], off
	s_wait_loadcnt 0x16
	scratch_store_b128 off, v[76:79], off offset:16
	s_clause 0x3
	global_load_b64 v[124:125], v60, s[6:7] scale_offset
	global_load_b64 v[126:127], v62, s[6:7] scale_offset
	;; [unrolled: 1-line block ×4, first 2 shown]
	v_add_nc_u32_e32 v70, s9, v68
	s_wait_loadcnt 0x18
	scratch_store_b128 off, v[80:83], off offset:48
	s_wait_xcnt 0x6
	v_add_nc_u32_e32 v72, s9, v70
	s_delay_alu instid0(VALU_DEP_1) | instskip(SKIP_1) | instid1(VALU_DEP_1)
	v_add_nc_u32_e32 v74, s9, v72
	s_wait_xcnt 0x5
	v_add_nc_u32_e32 v76, s9, v74
	s_clause 0x1
	global_load_b64 v[132:133], v68, s[6:7] scale_offset
	global_load_b64 v[134:135], v70, s[6:7] scale_offset
	s_wait_loadcnt 0x18
	scratch_store_b128 off, v[84:87], off offset:64
	v_add_nc_u32_e32 v78, s9, v76
	s_wait_xcnt 0x3
	s_delay_alu instid0(VALU_DEP_1)
	v_add_nc_u32_e32 v80, s9, v78
	s_wait_loadcnt 0x16
	scratch_store_b128 off, v[88:91], off offset:80
	s_wait_loadcnt 0x14
	scratch_store_b128 off, v[92:95], off offset:96
	v_add_nc_u32_e32 v82, s9, v80
	s_wait_xcnt 0x2
	s_delay_alu instid0(VALU_DEP_1) | instskip(NEXT) | instid1(VALU_DEP_1)
	v_add_nc_u32_e32 v84, s9, v82
	v_add_nc_u32_e32 v86, s9, v84
	s_wait_xcnt 0x1
	s_delay_alu instid0(VALU_DEP_1) | instskip(SKIP_4) | instid1(VALU_DEP_1)
	v_add_nc_u32_e32 v88, s9, v86
	s_wait_loadcnt 0x12
	scratch_store_b128 off, v[96:99], off offset:112
	v_add_nc_u32_e32 v90, s9, v88
	s_wait_xcnt 0x1
	v_add_nc_u32_e32 v92, s9, v90
	s_wait_loadcnt 0x10
	scratch_store_b128 off, v[100:103], off offset:128
	s_wait_loadcnt 0xe
	scratch_store_b128 off, v[104:107], off offset:144
	v_add_nc_u32_e32 v94, s9, v92
	s_wait_xcnt 0x2
	s_delay_alu instid0(VALU_DEP_1)
	v_add_nc_u32_e32 v96, s9, v94
	s_wait_loadcnt 0xc
	scratch_store_b128 off, v[108:111], off offset:160
	s_clause 0x1
	global_load_b64 v[98:99], v72, s[6:7] scale_offset
	global_load_b64 v[100:101], v74, s[6:7] scale_offset
	s_wait_loadcnt 0xc
	scratch_store_b128 off, v[112:115], off offset:176
	s_wait_loadcnt 0xa
	scratch_store_b128 off, v[116:119], off offset:192
	s_clause 0x3
	global_load_b64 v[102:103], v76, s[6:7] scale_offset
	global_load_b64 v[104:105], v78, s[6:7] scale_offset
	;; [unrolled: 1-line block ×4, first 2 shown]
	s_wait_loadcnt 0xc
	scratch_store_b128 off, v[120:123], off offset:208
	s_wait_loadcnt 0xa
	scratch_store_b128 off, v[124:127], off offset:224
	s_wait_loadcnt 0x8
	scratch_store_b128 off, v[128:131], off offset:240
	s_clause 0x3
	global_load_b64 v[110:111], v84, s[6:7] scale_offset
	global_load_b64 v[112:113], v86, s[6:7] scale_offset
	;; [unrolled: 1-line block ×4, first 2 shown]
	s_wait_loadcnt 0xa
	scratch_store_b128 off, v[132:135], off offset:256
	s_clause 0x2
	global_load_b64 v[118:119], v92, s[6:7] scale_offset
	global_load_b64 v[120:121], v94, s[6:7] scale_offset
	;; [unrolled: 1-line block ×3, first 2 shown]
	s_wait_loadcnt 0xb
	scratch_store_b128 off, v[98:101], off offset:272
	s_wait_loadcnt 0x9
	scratch_store_b128 off, v[102:105], off offset:288
	;; [unrolled: 2-line block ×6, first 2 shown]
	s_wait_loadcnt 0x0
	scratch_store_b64 off, v[122:123], off offset:368
	s_cbranch_vccz .LBB46_7
; %bb.2:
	scratch_load_b64 v[98:99], v0, off scale_offset
                                        ; implicit-def: $vgpr103
                                        ; implicit-def: $vgpr100
	s_wait_loadcnt 0x0
	v_cmp_ngt_f32_e64 s0, |v98|, |v99|
	s_wait_xcnt 0x0
	s_and_saveexec_b32 s1, s0
	s_delay_alu instid0(SALU_CYCLE_1)
	s_xor_b32 s0, exec_lo, s1
	s_cbranch_execz .LBB46_4
; %bb.3:
	v_div_scale_f32 v1, null, v99, v99, v98
	v_div_scale_f32 v11, vcc_lo, v98, v99, v98
	s_delay_alu instid0(VALU_DEP_2) | instskip(SKIP_1) | instid1(TRANS32_DEP_1)
	v_rcp_f32_e32 v7, v1
	v_nop
	v_fma_f32 v9, -v1, v7, 1.0
	s_delay_alu instid0(VALU_DEP_1) | instskip(NEXT) | instid1(VALU_DEP_1)
	v_fmac_f32_e32 v7, v9, v7
	v_mul_f32_e32 v9, v11, v7
	s_delay_alu instid0(VALU_DEP_1) | instskip(NEXT) | instid1(VALU_DEP_1)
	v_fma_f32 v13, -v1, v9, v11
	v_fmac_f32_e32 v9, v13, v7
	s_delay_alu instid0(VALU_DEP_1) | instskip(NEXT) | instid1(VALU_DEP_1)
	v_fma_f32 v1, -v1, v9, v11
	v_div_fmas_f32 v1, v1, v7, v9
	s_delay_alu instid0(VALU_DEP_1) | instskip(NEXT) | instid1(VALU_DEP_1)
	v_div_fixup_f32 v1, v1, v99, v98
	v_fmac_f32_e32 v99, v98, v1
	s_delay_alu instid0(VALU_DEP_1) | instskip(NEXT) | instid1(VALU_DEP_1)
	v_div_scale_f32 v7, null, v99, v99, -1.0
	v_rcp_f32_e32 v9, v7
	v_nop
	s_delay_alu instid0(TRANS32_DEP_1) | instskip(NEXT) | instid1(VALU_DEP_1)
	v_fma_f32 v11, -v7, v9, 1.0
	v_fmac_f32_e32 v9, v11, v9
	v_div_scale_f32 v11, vcc_lo, -1.0, v99, -1.0
	s_delay_alu instid0(VALU_DEP_1) | instskip(NEXT) | instid1(VALU_DEP_1)
	v_mul_f32_e32 v13, v11, v9
	v_fma_f32 v15, -v7, v13, v11
	s_delay_alu instid0(VALU_DEP_1) | instskip(NEXT) | instid1(VALU_DEP_1)
	v_fmac_f32_e32 v13, v15, v9
	v_fma_f32 v7, -v7, v13, v11
	s_delay_alu instid0(VALU_DEP_1) | instskip(NEXT) | instid1(VALU_DEP_1)
	v_div_fmas_f32 v7, v7, v9, v13
	v_div_fixup_f32 v103, v7, v99, -1.0
                                        ; implicit-def: $vgpr98_vgpr99
	s_delay_alu instid0(VALU_DEP_1) | instskip(NEXT) | instid1(VALU_DEP_1)
	v_mul_f32_e32 v100, v1, v103
	v_xor_b32_e32 v102, 0x80000000, v100
.LBB46_4:
	s_or_saveexec_b32 s0, s0
	v_lshl_add_u32 v1, v0, 3, 0
	s_xor_b32 exec_lo, exec_lo, s0
	s_cbranch_execz .LBB46_6
; %bb.5:
	v_div_scale_f32 v7, null, v98, v98, v99
	v_div_scale_f32 v13, vcc_lo, v99, v98, v99
	s_delay_alu instid0(VALU_DEP_2) | instskip(SKIP_1) | instid1(TRANS32_DEP_1)
	v_rcp_f32_e32 v9, v7
	v_nop
	v_fma_f32 v11, -v7, v9, 1.0
	s_delay_alu instid0(VALU_DEP_1) | instskip(NEXT) | instid1(VALU_DEP_1)
	v_fmac_f32_e32 v9, v11, v9
	v_mul_f32_e32 v11, v13, v9
	s_delay_alu instid0(VALU_DEP_1) | instskip(NEXT) | instid1(VALU_DEP_1)
	v_fma_f32 v15, -v7, v11, v13
	v_fmac_f32_e32 v11, v15, v9
	s_delay_alu instid0(VALU_DEP_1) | instskip(NEXT) | instid1(VALU_DEP_1)
	v_fma_f32 v7, -v7, v11, v13
	v_div_fmas_f32 v7, v7, v9, v11
	s_delay_alu instid0(VALU_DEP_1) | instskip(NEXT) | instid1(VALU_DEP_1)
	v_div_fixup_f32 v7, v7, v98, v99
	v_fmac_f32_e32 v98, v99, v7
	s_delay_alu instid0(VALU_DEP_1) | instskip(SKIP_1) | instid1(VALU_DEP_2)
	v_div_scale_f32 v9, null, v98, v98, 1.0
	v_div_scale_f32 v15, vcc_lo, 1.0, v98, 1.0
	v_rcp_f32_e32 v11, v9
	v_nop
	s_delay_alu instid0(TRANS32_DEP_1) | instskip(NEXT) | instid1(VALU_DEP_1)
	v_fma_f32 v13, -v9, v11, 1.0
	v_fmac_f32_e32 v11, v13, v11
	s_delay_alu instid0(VALU_DEP_1) | instskip(NEXT) | instid1(VALU_DEP_1)
	v_mul_f32_e32 v13, v15, v11
	v_fma_f32 v17, -v9, v13, v15
	s_delay_alu instid0(VALU_DEP_1) | instskip(NEXT) | instid1(VALU_DEP_1)
	v_fmac_f32_e32 v13, v17, v11
	v_fma_f32 v9, -v9, v13, v15
	s_delay_alu instid0(VALU_DEP_1) | instskip(NEXT) | instid1(VALU_DEP_1)
	v_div_fmas_f32 v9, v9, v11, v13
	v_div_fixup_f32 v102, v9, v98, 1.0
	s_delay_alu instid0(VALU_DEP_1)
	v_xor_b32_e32 v100, 0x80000000, v102
	v_mul_f32_e64 v103, v7, -v102
.LBB46_6:
	s_or_b32 exec_lo, exec_lo, s0
	s_delay_alu instid0(VALU_DEP_1)
	v_xor_b32_e32 v101, 0x80000000, v103
	s_mov_b32 s0, 0
	scratch_store_b64 v1, v[102:103], off
	ds_store_b64 v38, v[100:101]
.LBB46_7:
	s_and_b32 vcc_lo, exec_lo, s0
	s_cbranch_vccz .LBB46_9
; %bb.8:
	s_mov_b64 s[0:1], 0xbf800000
	s_wait_xcnt 0x6
	v_mov_b64_e32 v[98:99], s[0:1]
	ds_store_b64 v38, v[98:99]
.LBB46_9:
	v_dual_ashrrev_i32 v7, 31, v6 :: v_dual_ashrrev_i32 v9, 31, v8
	v_dual_ashrrev_i32 v11, 31, v10 :: v_dual_ashrrev_i32 v13, 31, v12
	;; [unrolled: 1-line block ×22, first 2 shown]
	v_dual_ashrrev_i32 v97, 31, v96 :: v_dual_mov_b32 v39, v38
	s_wait_xcnt 0x0
	v_add_nc_u32_e32 v1, 0x180, v38
	s_cmp_eq_u32 s4, 0x79
	s_cbranch_scc1 .LBB46_13
; %bb.10:
	scratch_load_b64 v[98:99], off, off offset:360
	v_cmp_eq_u32_e64 s0, 46, v0
	s_movk_i32 s1, 0x50
	s_movk_i32 s2, 0x60
	;; [unrolled: 1-line block ×18, first 2 shown]
	s_wait_loadcnt 0x0
	ds_store_b64 v1, v[98:99]
	s_wait_storecnt_dscnt 0x0
	s_barrier_signal -1
	s_barrier_wait -1
	s_wait_xcnt 0x0
	s_and_saveexec_b32 s4, s0
	s_cbranch_execz .LBB46_17
; %bb.11:
	s_and_b32 vcc_lo, exec_lo, s3
	s_cbranch_vccz .LBB46_14
; %bb.12:
	scratch_load_b64 v[98:99], v39, off
	ds_load_b64 v[100:101], v1
	s_wait_loadcnt_dscnt 0x0
	v_pk_mul_f32 v[102:103], v[100:101], v[98:99] op_sel:[1,1] op_sel_hi:[0,1]
	v_pk_mul_f32 v[104:105], v[100:101], v[98:99] op_sel_hi:[1,0]
	s_delay_alu instid0(VALU_DEP_2) | instskip(NEXT) | instid1(VALU_DEP_2)
	v_pk_fma_f32 v[98:99], v[100:101], v[98:99], v[102:103] op_sel_hi:[1,0,1]
	v_sub_f32_e32 v98, v104, v102
	s_cbranch_execz .LBB46_15
	s_branch .LBB46_16
.LBB46_13:
	s_mov_b32 s1, 0
                                        ; implicit-def: $vgpr126
                                        ; implicit-def: $sgpr4
	s_cbranch_execnz .LBB46_466
	s_branch .LBB46_921
.LBB46_14:
                                        ; implicit-def: $vgpr99
.LBB46_15:
	ds_load_b64 v[98:99], v1
.LBB46_16:
	s_wait_dscnt 0x0
	v_dual_mov_b32 v100, 0 :: v_dual_mov_b32 v102, v99
	v_mov_b32_e32 v103, v98
	ds_load_b64 v[100:101], v100 offset:360
	s_wait_dscnt 0x0
	v_pk_mul_f32 v[102:103], v[102:103], v[100:101] op_sel:[0,1]
	s_delay_alu instid0(VALU_DEP_1) | instskip(SKIP_1) | instid1(VALU_DEP_2)
	v_pk_fma_f32 v[104:105], v[98:99], v[100:101], v[102:103] op_sel_hi:[1,0,1]
	v_pk_fma_f32 v[98:99], v[98:99], v[100:101], v[102:103] neg_lo:[0,0,1] neg_hi:[0,0,1]
	v_mov_b32_e32 v99, v105
	scratch_store_b64 off, v[98:99], off offset:360
.LBB46_17:
	s_wait_xcnt 0x0
	s_or_b32 exec_lo, exec_lo, s4
	scratch_load_b64 v[98:99], off, off offset:352
	s_mov_b32 s11, s2
	v_cmp_lt_u32_e64 s2, 44, v0
	s_mov_b32 s4, 16
	s_mov_b32 s5, 32
	;; [unrolled: 1-line block ×5, first 2 shown]
	s_wait_loadcnt 0x0
	ds_store_b64 v1, v[98:99]
	s_wait_storecnt_dscnt 0x0
	s_barrier_signal -1
	s_barrier_wait -1
	s_wait_xcnt 0x0
	s_and_saveexec_b32 s1, s2
	s_cbranch_execz .LBB46_25
; %bb.18:
	s_and_not1_b32 vcc_lo, exec_lo, s3
	s_cbranch_vccnz .LBB46_20
; %bb.19:
	scratch_load_b64 v[98:99], v39, off
	ds_load_b64 v[100:101], v1
	s_wait_loadcnt_dscnt 0x0
	v_pk_mul_f32 v[102:103], v[100:101], v[98:99] op_sel:[1,1] op_sel_hi:[0,1]
	s_delay_alu instid0(VALU_DEP_1) | instskip(SKIP_1) | instid1(VALU_DEP_2)
	v_pk_fma_f32 v[104:105], v[100:101], v[98:99], v[102:103] op_sel_hi:[1,0,1]
	v_pk_fma_f32 v[98:99], v[100:101], v[98:99], v[102:103] neg_lo:[0,0,1] neg_hi:[0,0,1]
	v_mov_b32_e32 v99, v105
	s_cbranch_execz .LBB46_21
	s_branch .LBB46_22
.LBB46_20:
                                        ; implicit-def: $vgpr98_vgpr99
.LBB46_21:
	ds_load_b64 v[98:99], v1
.LBB46_22:
	s_and_saveexec_b32 s28, s0
	s_cbranch_execz .LBB46_24
; %bb.23:
	scratch_load_b64 v[100:101], off, off offset:360
	v_mov_b32_e32 v102, 0
	ds_load_b64 v[102:103], v102 offset:744
	s_wait_loadcnt_dscnt 0x0
	v_pk_mul_f32 v[104:105], v[102:103], v[100:101] op_sel:[1,1] op_sel_hi:[0,1]
	s_delay_alu instid0(VALU_DEP_1) | instskip(SKIP_1) | instid1(VALU_DEP_2)
	v_pk_fma_f32 v[106:107], v[102:103], v[100:101], v[104:105] op_sel_hi:[1,0,1]
	v_pk_fma_f32 v[100:101], v[102:103], v[100:101], v[104:105] neg_lo:[0,0,1] neg_hi:[0,0,1]
	v_mov_b32_e32 v101, v107
	s_delay_alu instid0(VALU_DEP_1)
	v_pk_add_f32 v[98:99], v[98:99], v[100:101]
.LBB46_24:
	s_or_b32 exec_lo, exec_lo, s28
	v_mov_b32_e32 v100, 0
	ds_load_b64 v[100:101], v100 offset:352
	s_wait_dscnt 0x0
	v_pk_mul_f32 v[102:103], v[98:99], v[100:101] op_sel:[1,1] op_sel_hi:[0,1]
	s_delay_alu instid0(VALU_DEP_1) | instskip(SKIP_1) | instid1(VALU_DEP_2)
	v_pk_fma_f32 v[104:105], v[98:99], v[100:101], v[102:103] op_sel_hi:[1,0,1]
	v_pk_fma_f32 v[98:99], v[98:99], v[100:101], v[102:103] neg_lo:[0,0,1] neg_hi:[0,0,1]
	v_mov_b32_e32 v99, v105
	scratch_store_b64 off, v[98:99], off offset:352
.LBB46_25:
	s_wait_xcnt 0x0
	s_or_b32 exec_lo, exec_lo, s1
	scratch_load_b64 v[98:99], off, off offset:344
	v_cmp_lt_u32_e64 s1, 43, v0
	s_wait_loadcnt 0x0
	ds_store_b64 v1, v[98:99]
	s_wait_storecnt_dscnt 0x0
	s_barrier_signal -1
	s_barrier_wait -1
	s_wait_xcnt 0x0
	s_and_saveexec_b32 s0, s1
	s_cbranch_execz .LBB46_35
; %bb.26:
	s_and_not1_b32 vcc_lo, exec_lo, s3
	s_cbranch_vccnz .LBB46_28
; %bb.27:
	scratch_load_b64 v[98:99], v39, off
	ds_load_b64 v[100:101], v1
	s_wait_loadcnt_dscnt 0x0
	v_pk_mul_f32 v[102:103], v[100:101], v[98:99] op_sel:[1,1] op_sel_hi:[0,1]
	s_delay_alu instid0(VALU_DEP_1) | instskip(SKIP_1) | instid1(VALU_DEP_2)
	v_pk_fma_f32 v[104:105], v[100:101], v[98:99], v[102:103] op_sel_hi:[1,0,1]
	v_pk_fma_f32 v[98:99], v[100:101], v[98:99], v[102:103] neg_lo:[0,0,1] neg_hi:[0,0,1]
	v_mov_b32_e32 v99, v105
	s_cbranch_execz .LBB46_29
	s_branch .LBB46_30
.LBB46_28:
                                        ; implicit-def: $vgpr98_vgpr99
.LBB46_29:
	ds_load_b64 v[98:99], v1
.LBB46_30:
	s_and_saveexec_b32 s28, s2
	s_cbranch_execz .LBB46_34
; %bb.31:
	v_subrev_nc_u32_e32 v100, 44, v0
	s_movk_i32 s29, 0x2e0
	s_mov_b32 s2, 0
.LBB46_32:                              ; =>This Inner Loop Header: Depth=1
	scratch_load_b64 v[102:103], off, s27
	v_dual_mov_b32 v101, s29 :: v_dual_add_nc_u32 v100, -1, v100
	s_add_co_i32 s29, s29, 8
	s_wait_xcnt 0x0
	s_add_co_i32 s27, s27, 8
	ds_load_b64 v[104:105], v101
	v_cmp_eq_u32_e32 vcc_lo, 0, v100
	s_or_b32 s2, vcc_lo, s2
	s_wait_loadcnt_dscnt 0x0
	v_pk_mul_f32 v[106:107], v[104:105], v[102:103] op_sel:[1,1] op_sel_hi:[0,1]
	s_delay_alu instid0(VALU_DEP_1) | instskip(SKIP_1) | instid1(VALU_DEP_2)
	v_pk_fma_f32 v[108:109], v[104:105], v[102:103], v[106:107] op_sel_hi:[1,0,1]
	v_pk_fma_f32 v[102:103], v[104:105], v[102:103], v[106:107] neg_lo:[0,0,1] neg_hi:[0,0,1]
	v_mov_b32_e32 v103, v109
	s_delay_alu instid0(VALU_DEP_1)
	v_pk_add_f32 v[98:99], v[98:99], v[102:103]
	s_and_not1_b32 exec_lo, exec_lo, s2
	s_cbranch_execnz .LBB46_32
; %bb.33:
	s_or_b32 exec_lo, exec_lo, s2
.LBB46_34:
	s_delay_alu instid0(SALU_CYCLE_1) | instskip(SKIP_4) | instid1(VALU_DEP_1)
	s_or_b32 exec_lo, exec_lo, s28
	v_mov_b32_e32 v100, 0
	ds_load_b64 v[100:101], v100 offset:344
	s_wait_dscnt 0x0
	v_pk_mul_f32 v[102:103], v[98:99], v[100:101] op_sel:[1,1] op_sel_hi:[0,1]
	v_pk_fma_f32 v[104:105], v[98:99], v[100:101], v[102:103] op_sel_hi:[1,0,1]
	v_pk_fma_f32 v[98:99], v[98:99], v[100:101], v[102:103] neg_lo:[0,0,1] neg_hi:[0,0,1]
	s_delay_alu instid0(VALU_DEP_2)
	v_mov_b32_e32 v99, v105
	scratch_store_b64 off, v[98:99], off offset:344
.LBB46_35:
	s_wait_xcnt 0x0
	s_or_b32 exec_lo, exec_lo, s0
	scratch_load_b64 v[98:99], off, off offset:336
	v_cmp_lt_u32_e64 s0, 42, v0
	s_wait_loadcnt 0x0
	ds_store_b64 v1, v[98:99]
	s_wait_storecnt_dscnt 0x0
	s_barrier_signal -1
	s_barrier_wait -1
	s_wait_xcnt 0x0
	s_and_saveexec_b32 s2, s0
	s_cbranch_execz .LBB46_45
; %bb.36:
	s_and_not1_b32 vcc_lo, exec_lo, s3
	s_cbranch_vccnz .LBB46_38
; %bb.37:
	scratch_load_b64 v[98:99], v39, off
	ds_load_b64 v[100:101], v1
	s_wait_loadcnt_dscnt 0x0
	v_pk_mul_f32 v[102:103], v[100:101], v[98:99] op_sel:[1,1] op_sel_hi:[0,1]
	s_delay_alu instid0(VALU_DEP_1) | instskip(SKIP_1) | instid1(VALU_DEP_2)
	v_pk_fma_f32 v[104:105], v[100:101], v[98:99], v[102:103] op_sel_hi:[1,0,1]
	v_pk_fma_f32 v[98:99], v[100:101], v[98:99], v[102:103] neg_lo:[0,0,1] neg_hi:[0,0,1]
	v_mov_b32_e32 v99, v105
	s_cbranch_execz .LBB46_39
	s_branch .LBB46_40
.LBB46_38:
                                        ; implicit-def: $vgpr98_vgpr99
.LBB46_39:
	ds_load_b64 v[98:99], v1
.LBB46_40:
	s_and_saveexec_b32 s27, s1
	s_cbranch_execz .LBB46_44
; %bb.41:
	v_subrev_nc_u32_e32 v100, 43, v0
	s_movk_i32 s1, 0x158
	s_movk_i32 s29, 0x2d8
	s_mov_b32 s28, 0
.LBB46_42:                              ; =>This Inner Loop Header: Depth=1
	scratch_load_b64 v[102:103], off, s1
	v_dual_mov_b32 v101, s29 :: v_dual_add_nc_u32 v100, -1, v100
	s_add_co_i32 s29, s29, 8
	s_wait_xcnt 0x0
	s_add_co_i32 s1, s1, 8
	ds_load_b64 v[104:105], v101
	v_cmp_eq_u32_e32 vcc_lo, 0, v100
	s_or_b32 s28, vcc_lo, s28
	s_wait_loadcnt_dscnt 0x0
	v_pk_mul_f32 v[106:107], v[104:105], v[102:103] op_sel:[1,1] op_sel_hi:[0,1]
	s_delay_alu instid0(VALU_DEP_1) | instskip(SKIP_1) | instid1(VALU_DEP_2)
	v_pk_fma_f32 v[108:109], v[104:105], v[102:103], v[106:107] op_sel_hi:[1,0,1]
	v_pk_fma_f32 v[102:103], v[104:105], v[102:103], v[106:107] neg_lo:[0,0,1] neg_hi:[0,0,1]
	v_mov_b32_e32 v103, v109
	s_delay_alu instid0(VALU_DEP_1)
	v_pk_add_f32 v[98:99], v[98:99], v[102:103]
	s_and_not1_b32 exec_lo, exec_lo, s28
	s_cbranch_execnz .LBB46_42
; %bb.43:
	s_or_b32 exec_lo, exec_lo, s28
.LBB46_44:
	s_delay_alu instid0(SALU_CYCLE_1) | instskip(SKIP_4) | instid1(VALU_DEP_1)
	s_or_b32 exec_lo, exec_lo, s27
	v_mov_b32_e32 v100, 0
	ds_load_b64 v[100:101], v100 offset:336
	s_wait_dscnt 0x0
	v_pk_mul_f32 v[102:103], v[98:99], v[100:101] op_sel:[1,1] op_sel_hi:[0,1]
	v_pk_fma_f32 v[104:105], v[98:99], v[100:101], v[102:103] op_sel_hi:[1,0,1]
	v_pk_fma_f32 v[98:99], v[98:99], v[100:101], v[102:103] neg_lo:[0,0,1] neg_hi:[0,0,1]
	s_delay_alu instid0(VALU_DEP_2)
	v_mov_b32_e32 v99, v105
	scratch_store_b64 off, v[98:99], off offset:336
.LBB46_45:
	s_wait_xcnt 0x0
	s_or_b32 exec_lo, exec_lo, s2
	scratch_load_b64 v[98:99], off, off offset:328
	v_cmp_lt_u32_e64 s1, 41, v0
	s_wait_loadcnt 0x0
	ds_store_b64 v1, v[98:99]
	s_wait_storecnt_dscnt 0x0
	s_barrier_signal -1
	s_barrier_wait -1
	s_wait_xcnt 0x0
	s_and_saveexec_b32 s2, s1
	s_cbranch_execz .LBB46_55
; %bb.46:
	s_and_not1_b32 vcc_lo, exec_lo, s3
	s_cbranch_vccnz .LBB46_48
; %bb.47:
	scratch_load_b64 v[98:99], v39, off
	ds_load_b64 v[100:101], v1
	s_wait_loadcnt_dscnt 0x0
	v_pk_mul_f32 v[102:103], v[100:101], v[98:99] op_sel:[1,1] op_sel_hi:[0,1]
	s_delay_alu instid0(VALU_DEP_1) | instskip(SKIP_1) | instid1(VALU_DEP_2)
	v_pk_fma_f32 v[104:105], v[100:101], v[98:99], v[102:103] op_sel_hi:[1,0,1]
	v_pk_fma_f32 v[98:99], v[100:101], v[98:99], v[102:103] neg_lo:[0,0,1] neg_hi:[0,0,1]
	v_mov_b32_e32 v99, v105
	s_cbranch_execz .LBB46_49
	s_branch .LBB46_50
.LBB46_48:
                                        ; implicit-def: $vgpr98_vgpr99
.LBB46_49:
	ds_load_b64 v[98:99], v1
.LBB46_50:
	s_and_saveexec_b32 s27, s0
	s_cbranch_execz .LBB46_54
; %bb.51:
	v_subrev_nc_u32_e32 v100, 42, v0
	s_movk_i32 s28, 0x2d0
	s_mov_b32 s0, 0
.LBB46_52:                              ; =>This Inner Loop Header: Depth=1
	scratch_load_b64 v[102:103], off, s26
	v_dual_mov_b32 v101, s28 :: v_dual_add_nc_u32 v100, -1, v100
	s_add_co_i32 s28, s28, 8
	s_wait_xcnt 0x0
	s_add_co_i32 s26, s26, 8
	ds_load_b64 v[104:105], v101
	v_cmp_eq_u32_e32 vcc_lo, 0, v100
	s_or_b32 s0, vcc_lo, s0
	s_wait_loadcnt_dscnt 0x0
	v_pk_mul_f32 v[106:107], v[104:105], v[102:103] op_sel:[1,1] op_sel_hi:[0,1]
	s_delay_alu instid0(VALU_DEP_1) | instskip(SKIP_1) | instid1(VALU_DEP_2)
	v_pk_fma_f32 v[108:109], v[104:105], v[102:103], v[106:107] op_sel_hi:[1,0,1]
	v_pk_fma_f32 v[102:103], v[104:105], v[102:103], v[106:107] neg_lo:[0,0,1] neg_hi:[0,0,1]
	v_mov_b32_e32 v103, v109
	s_delay_alu instid0(VALU_DEP_1)
	v_pk_add_f32 v[98:99], v[98:99], v[102:103]
	s_and_not1_b32 exec_lo, exec_lo, s0
	s_cbranch_execnz .LBB46_52
; %bb.53:
	s_or_b32 exec_lo, exec_lo, s0
.LBB46_54:
	s_delay_alu instid0(SALU_CYCLE_1) | instskip(SKIP_4) | instid1(VALU_DEP_1)
	s_or_b32 exec_lo, exec_lo, s27
	v_mov_b32_e32 v100, 0
	ds_load_b64 v[100:101], v100 offset:328
	s_wait_dscnt 0x0
	v_pk_mul_f32 v[102:103], v[98:99], v[100:101] op_sel:[1,1] op_sel_hi:[0,1]
	v_pk_fma_f32 v[104:105], v[98:99], v[100:101], v[102:103] op_sel_hi:[1,0,1]
	v_pk_fma_f32 v[98:99], v[98:99], v[100:101], v[102:103] neg_lo:[0,0,1] neg_hi:[0,0,1]
	s_delay_alu instid0(VALU_DEP_2)
	v_mov_b32_e32 v99, v105
	scratch_store_b64 off, v[98:99], off offset:328
.LBB46_55:
	s_wait_xcnt 0x0
	s_or_b32 exec_lo, exec_lo, s2
	scratch_load_b64 v[98:99], off, off offset:320
	v_cmp_lt_u32_e64 s0, 40, v0
	s_wait_loadcnt 0x0
	ds_store_b64 v1, v[98:99]
	s_wait_storecnt_dscnt 0x0
	s_barrier_signal -1
	s_barrier_wait -1
	s_wait_xcnt 0x0
	s_and_saveexec_b32 s2, s0
	s_cbranch_execz .LBB46_65
; %bb.56:
	s_and_not1_b32 vcc_lo, exec_lo, s3
	s_cbranch_vccnz .LBB46_58
; %bb.57:
	scratch_load_b64 v[98:99], v39, off
	ds_load_b64 v[100:101], v1
	s_wait_loadcnt_dscnt 0x0
	v_pk_mul_f32 v[102:103], v[100:101], v[98:99] op_sel:[1,1] op_sel_hi:[0,1]
	s_delay_alu instid0(VALU_DEP_1) | instskip(SKIP_1) | instid1(VALU_DEP_2)
	v_pk_fma_f32 v[104:105], v[100:101], v[98:99], v[102:103] op_sel_hi:[1,0,1]
	v_pk_fma_f32 v[98:99], v[100:101], v[98:99], v[102:103] neg_lo:[0,0,1] neg_hi:[0,0,1]
	v_mov_b32_e32 v99, v105
	s_cbranch_execz .LBB46_59
	s_branch .LBB46_60
.LBB46_58:
                                        ; implicit-def: $vgpr98_vgpr99
.LBB46_59:
	ds_load_b64 v[98:99], v1
.LBB46_60:
	s_and_saveexec_b32 s26, s1
	s_cbranch_execz .LBB46_64
; %bb.61:
	v_subrev_nc_u32_e32 v100, 41, v0
	s_movk_i32 s1, 0x148
	s_movk_i32 s28, 0x2c8
	s_mov_b32 s27, 0
.LBB46_62:                              ; =>This Inner Loop Header: Depth=1
	scratch_load_b64 v[102:103], off, s1
	v_dual_mov_b32 v101, s28 :: v_dual_add_nc_u32 v100, -1, v100
	s_add_co_i32 s28, s28, 8
	s_wait_xcnt 0x0
	s_add_co_i32 s1, s1, 8
	ds_load_b64 v[104:105], v101
	v_cmp_eq_u32_e32 vcc_lo, 0, v100
	s_or_b32 s27, vcc_lo, s27
	s_wait_loadcnt_dscnt 0x0
	v_pk_mul_f32 v[106:107], v[104:105], v[102:103] op_sel:[1,1] op_sel_hi:[0,1]
	s_delay_alu instid0(VALU_DEP_1) | instskip(SKIP_1) | instid1(VALU_DEP_2)
	v_pk_fma_f32 v[108:109], v[104:105], v[102:103], v[106:107] op_sel_hi:[1,0,1]
	v_pk_fma_f32 v[102:103], v[104:105], v[102:103], v[106:107] neg_lo:[0,0,1] neg_hi:[0,0,1]
	v_mov_b32_e32 v103, v109
	s_delay_alu instid0(VALU_DEP_1)
	v_pk_add_f32 v[98:99], v[98:99], v[102:103]
	s_and_not1_b32 exec_lo, exec_lo, s27
	s_cbranch_execnz .LBB46_62
; %bb.63:
	s_or_b32 exec_lo, exec_lo, s27
.LBB46_64:
	s_delay_alu instid0(SALU_CYCLE_1) | instskip(SKIP_4) | instid1(VALU_DEP_1)
	s_or_b32 exec_lo, exec_lo, s26
	v_mov_b32_e32 v100, 0
	ds_load_b64 v[100:101], v100 offset:320
	s_wait_dscnt 0x0
	v_pk_mul_f32 v[102:103], v[98:99], v[100:101] op_sel:[1,1] op_sel_hi:[0,1]
	v_pk_fma_f32 v[104:105], v[98:99], v[100:101], v[102:103] op_sel_hi:[1,0,1]
	v_pk_fma_f32 v[98:99], v[98:99], v[100:101], v[102:103] neg_lo:[0,0,1] neg_hi:[0,0,1]
	s_delay_alu instid0(VALU_DEP_2)
	v_mov_b32_e32 v99, v105
	scratch_store_b64 off, v[98:99], off offset:320
.LBB46_65:
	s_wait_xcnt 0x0
	s_or_b32 exec_lo, exec_lo, s2
	scratch_load_b64 v[98:99], off, off offset:312
	v_cmp_lt_u32_e64 s1, 39, v0
	s_wait_loadcnt 0x0
	ds_store_b64 v1, v[98:99]
	s_wait_storecnt_dscnt 0x0
	s_barrier_signal -1
	s_barrier_wait -1
	s_wait_xcnt 0x0
	s_and_saveexec_b32 s2, s1
	s_cbranch_execz .LBB46_75
; %bb.66:
	s_and_not1_b32 vcc_lo, exec_lo, s3
	s_cbranch_vccnz .LBB46_68
; %bb.67:
	scratch_load_b64 v[98:99], v39, off
	ds_load_b64 v[100:101], v1
	s_wait_loadcnt_dscnt 0x0
	v_pk_mul_f32 v[102:103], v[100:101], v[98:99] op_sel:[1,1] op_sel_hi:[0,1]
	s_delay_alu instid0(VALU_DEP_1) | instskip(SKIP_1) | instid1(VALU_DEP_2)
	v_pk_fma_f32 v[104:105], v[100:101], v[98:99], v[102:103] op_sel_hi:[1,0,1]
	v_pk_fma_f32 v[98:99], v[100:101], v[98:99], v[102:103] neg_lo:[0,0,1] neg_hi:[0,0,1]
	v_mov_b32_e32 v99, v105
	s_cbranch_execz .LBB46_69
	s_branch .LBB46_70
.LBB46_68:
                                        ; implicit-def: $vgpr98_vgpr99
.LBB46_69:
	ds_load_b64 v[98:99], v1
.LBB46_70:
	s_and_saveexec_b32 s26, s0
	s_cbranch_execz .LBB46_74
; %bb.71:
	v_subrev_nc_u32_e32 v100, 40, v0
	s_movk_i32 s27, 0x2c0
	s_mov_b32 s0, 0
.LBB46_72:                              ; =>This Inner Loop Header: Depth=1
	scratch_load_b64 v[102:103], off, s25
	v_dual_mov_b32 v101, s27 :: v_dual_add_nc_u32 v100, -1, v100
	s_add_co_i32 s27, s27, 8
	s_wait_xcnt 0x0
	s_add_co_i32 s25, s25, 8
	ds_load_b64 v[104:105], v101
	v_cmp_eq_u32_e32 vcc_lo, 0, v100
	s_or_b32 s0, vcc_lo, s0
	s_wait_loadcnt_dscnt 0x0
	v_pk_mul_f32 v[106:107], v[104:105], v[102:103] op_sel:[1,1] op_sel_hi:[0,1]
	s_delay_alu instid0(VALU_DEP_1) | instskip(SKIP_1) | instid1(VALU_DEP_2)
	v_pk_fma_f32 v[108:109], v[104:105], v[102:103], v[106:107] op_sel_hi:[1,0,1]
	v_pk_fma_f32 v[102:103], v[104:105], v[102:103], v[106:107] neg_lo:[0,0,1] neg_hi:[0,0,1]
	v_mov_b32_e32 v103, v109
	s_delay_alu instid0(VALU_DEP_1)
	v_pk_add_f32 v[98:99], v[98:99], v[102:103]
	s_and_not1_b32 exec_lo, exec_lo, s0
	s_cbranch_execnz .LBB46_72
; %bb.73:
	s_or_b32 exec_lo, exec_lo, s0
.LBB46_74:
	s_delay_alu instid0(SALU_CYCLE_1) | instskip(SKIP_4) | instid1(VALU_DEP_1)
	s_or_b32 exec_lo, exec_lo, s26
	v_mov_b32_e32 v100, 0
	ds_load_b64 v[100:101], v100 offset:312
	s_wait_dscnt 0x0
	v_pk_mul_f32 v[102:103], v[98:99], v[100:101] op_sel:[1,1] op_sel_hi:[0,1]
	v_pk_fma_f32 v[104:105], v[98:99], v[100:101], v[102:103] op_sel_hi:[1,0,1]
	v_pk_fma_f32 v[98:99], v[98:99], v[100:101], v[102:103] neg_lo:[0,0,1] neg_hi:[0,0,1]
	s_delay_alu instid0(VALU_DEP_2)
	v_mov_b32_e32 v99, v105
	scratch_store_b64 off, v[98:99], off offset:312
.LBB46_75:
	s_wait_xcnt 0x0
	s_or_b32 exec_lo, exec_lo, s2
	scratch_load_b64 v[98:99], off, off offset:304
	v_cmp_lt_u32_e64 s0, 38, v0
	s_wait_loadcnt 0x0
	ds_store_b64 v1, v[98:99]
	s_wait_storecnt_dscnt 0x0
	s_barrier_signal -1
	s_barrier_wait -1
	s_wait_xcnt 0x0
	s_and_saveexec_b32 s2, s0
	s_cbranch_execz .LBB46_85
; %bb.76:
	s_and_not1_b32 vcc_lo, exec_lo, s3
	s_cbranch_vccnz .LBB46_78
; %bb.77:
	scratch_load_b64 v[98:99], v39, off
	ds_load_b64 v[100:101], v1
	s_wait_loadcnt_dscnt 0x0
	v_pk_mul_f32 v[102:103], v[100:101], v[98:99] op_sel:[1,1] op_sel_hi:[0,1]
	s_delay_alu instid0(VALU_DEP_1) | instskip(SKIP_1) | instid1(VALU_DEP_2)
	v_pk_fma_f32 v[104:105], v[100:101], v[98:99], v[102:103] op_sel_hi:[1,0,1]
	v_pk_fma_f32 v[98:99], v[100:101], v[98:99], v[102:103] neg_lo:[0,0,1] neg_hi:[0,0,1]
	v_mov_b32_e32 v99, v105
	s_cbranch_execz .LBB46_79
	s_branch .LBB46_80
.LBB46_78:
                                        ; implicit-def: $vgpr98_vgpr99
.LBB46_79:
	ds_load_b64 v[98:99], v1
.LBB46_80:
	s_and_saveexec_b32 s25, s1
	s_cbranch_execz .LBB46_84
; %bb.81:
	v_subrev_nc_u32_e32 v100, 39, v0
	s_movk_i32 s1, 0x138
	s_movk_i32 s27, 0x2b8
	s_mov_b32 s26, 0
.LBB46_82:                              ; =>This Inner Loop Header: Depth=1
	scratch_load_b64 v[102:103], off, s1
	v_dual_mov_b32 v101, s27 :: v_dual_add_nc_u32 v100, -1, v100
	s_add_co_i32 s27, s27, 8
	s_wait_xcnt 0x0
	s_add_co_i32 s1, s1, 8
	ds_load_b64 v[104:105], v101
	v_cmp_eq_u32_e32 vcc_lo, 0, v100
	s_or_b32 s26, vcc_lo, s26
	s_wait_loadcnt_dscnt 0x0
	v_pk_mul_f32 v[106:107], v[104:105], v[102:103] op_sel:[1,1] op_sel_hi:[0,1]
	s_delay_alu instid0(VALU_DEP_1) | instskip(SKIP_1) | instid1(VALU_DEP_2)
	v_pk_fma_f32 v[108:109], v[104:105], v[102:103], v[106:107] op_sel_hi:[1,0,1]
	v_pk_fma_f32 v[102:103], v[104:105], v[102:103], v[106:107] neg_lo:[0,0,1] neg_hi:[0,0,1]
	v_mov_b32_e32 v103, v109
	s_delay_alu instid0(VALU_DEP_1)
	v_pk_add_f32 v[98:99], v[98:99], v[102:103]
	s_and_not1_b32 exec_lo, exec_lo, s26
	s_cbranch_execnz .LBB46_82
; %bb.83:
	s_or_b32 exec_lo, exec_lo, s26
.LBB46_84:
	s_delay_alu instid0(SALU_CYCLE_1) | instskip(SKIP_4) | instid1(VALU_DEP_1)
	s_or_b32 exec_lo, exec_lo, s25
	v_mov_b32_e32 v100, 0
	ds_load_b64 v[100:101], v100 offset:304
	s_wait_dscnt 0x0
	v_pk_mul_f32 v[102:103], v[98:99], v[100:101] op_sel:[1,1] op_sel_hi:[0,1]
	v_pk_fma_f32 v[104:105], v[98:99], v[100:101], v[102:103] op_sel_hi:[1,0,1]
	v_pk_fma_f32 v[98:99], v[98:99], v[100:101], v[102:103] neg_lo:[0,0,1] neg_hi:[0,0,1]
	s_delay_alu instid0(VALU_DEP_2)
	v_mov_b32_e32 v99, v105
	scratch_store_b64 off, v[98:99], off offset:304
.LBB46_85:
	s_wait_xcnt 0x0
	s_or_b32 exec_lo, exec_lo, s2
	scratch_load_b64 v[98:99], off, off offset:296
	v_cmp_lt_u32_e64 s1, 37, v0
	s_wait_loadcnt 0x0
	ds_store_b64 v1, v[98:99]
	s_wait_storecnt_dscnt 0x0
	s_barrier_signal -1
	s_barrier_wait -1
	s_wait_xcnt 0x0
	s_and_saveexec_b32 s2, s1
	s_cbranch_execz .LBB46_95
; %bb.86:
	s_and_not1_b32 vcc_lo, exec_lo, s3
	s_cbranch_vccnz .LBB46_88
; %bb.87:
	scratch_load_b64 v[98:99], v39, off
	ds_load_b64 v[100:101], v1
	s_wait_loadcnt_dscnt 0x0
	v_pk_mul_f32 v[102:103], v[100:101], v[98:99] op_sel:[1,1] op_sel_hi:[0,1]
	s_delay_alu instid0(VALU_DEP_1) | instskip(SKIP_1) | instid1(VALU_DEP_2)
	v_pk_fma_f32 v[104:105], v[100:101], v[98:99], v[102:103] op_sel_hi:[1,0,1]
	v_pk_fma_f32 v[98:99], v[100:101], v[98:99], v[102:103] neg_lo:[0,0,1] neg_hi:[0,0,1]
	v_mov_b32_e32 v99, v105
	s_cbranch_execz .LBB46_89
	s_branch .LBB46_90
.LBB46_88:
                                        ; implicit-def: $vgpr98_vgpr99
.LBB46_89:
	ds_load_b64 v[98:99], v1
.LBB46_90:
	s_and_saveexec_b32 s25, s0
	s_cbranch_execz .LBB46_94
; %bb.91:
	v_subrev_nc_u32_e32 v100, 38, v0
	s_movk_i32 s26, 0x2b0
	s_mov_b32 s0, 0
.LBB46_92:                              ; =>This Inner Loop Header: Depth=1
	scratch_load_b64 v[102:103], off, s24
	v_dual_mov_b32 v101, s26 :: v_dual_add_nc_u32 v100, -1, v100
	s_add_co_i32 s26, s26, 8
	s_wait_xcnt 0x0
	s_add_co_i32 s24, s24, 8
	ds_load_b64 v[104:105], v101
	v_cmp_eq_u32_e32 vcc_lo, 0, v100
	s_or_b32 s0, vcc_lo, s0
	s_wait_loadcnt_dscnt 0x0
	v_pk_mul_f32 v[106:107], v[104:105], v[102:103] op_sel:[1,1] op_sel_hi:[0,1]
	s_delay_alu instid0(VALU_DEP_1) | instskip(SKIP_1) | instid1(VALU_DEP_2)
	v_pk_fma_f32 v[108:109], v[104:105], v[102:103], v[106:107] op_sel_hi:[1,0,1]
	v_pk_fma_f32 v[102:103], v[104:105], v[102:103], v[106:107] neg_lo:[0,0,1] neg_hi:[0,0,1]
	v_mov_b32_e32 v103, v109
	s_delay_alu instid0(VALU_DEP_1)
	v_pk_add_f32 v[98:99], v[98:99], v[102:103]
	s_and_not1_b32 exec_lo, exec_lo, s0
	s_cbranch_execnz .LBB46_92
; %bb.93:
	s_or_b32 exec_lo, exec_lo, s0
.LBB46_94:
	s_delay_alu instid0(SALU_CYCLE_1) | instskip(SKIP_4) | instid1(VALU_DEP_1)
	s_or_b32 exec_lo, exec_lo, s25
	v_mov_b32_e32 v100, 0
	ds_load_b64 v[100:101], v100 offset:296
	s_wait_dscnt 0x0
	v_pk_mul_f32 v[102:103], v[98:99], v[100:101] op_sel:[1,1] op_sel_hi:[0,1]
	v_pk_fma_f32 v[104:105], v[98:99], v[100:101], v[102:103] op_sel_hi:[1,0,1]
	v_pk_fma_f32 v[98:99], v[98:99], v[100:101], v[102:103] neg_lo:[0,0,1] neg_hi:[0,0,1]
	s_delay_alu instid0(VALU_DEP_2)
	v_mov_b32_e32 v99, v105
	scratch_store_b64 off, v[98:99], off offset:296
.LBB46_95:
	s_wait_xcnt 0x0
	s_or_b32 exec_lo, exec_lo, s2
	scratch_load_b64 v[98:99], off, off offset:288
	v_cmp_lt_u32_e64 s0, 36, v0
	s_wait_loadcnt 0x0
	ds_store_b64 v1, v[98:99]
	s_wait_storecnt_dscnt 0x0
	s_barrier_signal -1
	s_barrier_wait -1
	s_wait_xcnt 0x0
	s_and_saveexec_b32 s2, s0
	s_cbranch_execz .LBB46_105
; %bb.96:
	s_and_not1_b32 vcc_lo, exec_lo, s3
	s_cbranch_vccnz .LBB46_98
; %bb.97:
	scratch_load_b64 v[98:99], v39, off
	ds_load_b64 v[100:101], v1
	s_wait_loadcnt_dscnt 0x0
	v_pk_mul_f32 v[102:103], v[100:101], v[98:99] op_sel:[1,1] op_sel_hi:[0,1]
	s_delay_alu instid0(VALU_DEP_1) | instskip(SKIP_1) | instid1(VALU_DEP_2)
	v_pk_fma_f32 v[104:105], v[100:101], v[98:99], v[102:103] op_sel_hi:[1,0,1]
	v_pk_fma_f32 v[98:99], v[100:101], v[98:99], v[102:103] neg_lo:[0,0,1] neg_hi:[0,0,1]
	v_mov_b32_e32 v99, v105
	s_cbranch_execz .LBB46_99
	s_branch .LBB46_100
.LBB46_98:
                                        ; implicit-def: $vgpr98_vgpr99
.LBB46_99:
	ds_load_b64 v[98:99], v1
.LBB46_100:
	s_and_saveexec_b32 s24, s1
	s_cbranch_execz .LBB46_104
; %bb.101:
	v_subrev_nc_u32_e32 v100, 37, v0
	s_movk_i32 s1, 0x128
	s_movk_i32 s26, 0x2a8
	s_mov_b32 s25, 0
.LBB46_102:                             ; =>This Inner Loop Header: Depth=1
	scratch_load_b64 v[102:103], off, s1
	v_dual_mov_b32 v101, s26 :: v_dual_add_nc_u32 v100, -1, v100
	s_add_co_i32 s26, s26, 8
	s_wait_xcnt 0x0
	s_add_co_i32 s1, s1, 8
	ds_load_b64 v[104:105], v101
	v_cmp_eq_u32_e32 vcc_lo, 0, v100
	s_or_b32 s25, vcc_lo, s25
	s_wait_loadcnt_dscnt 0x0
	v_pk_mul_f32 v[106:107], v[104:105], v[102:103] op_sel:[1,1] op_sel_hi:[0,1]
	s_delay_alu instid0(VALU_DEP_1) | instskip(SKIP_1) | instid1(VALU_DEP_2)
	v_pk_fma_f32 v[108:109], v[104:105], v[102:103], v[106:107] op_sel_hi:[1,0,1]
	v_pk_fma_f32 v[102:103], v[104:105], v[102:103], v[106:107] neg_lo:[0,0,1] neg_hi:[0,0,1]
	v_mov_b32_e32 v103, v109
	s_delay_alu instid0(VALU_DEP_1)
	v_pk_add_f32 v[98:99], v[98:99], v[102:103]
	s_and_not1_b32 exec_lo, exec_lo, s25
	s_cbranch_execnz .LBB46_102
; %bb.103:
	s_or_b32 exec_lo, exec_lo, s25
.LBB46_104:
	s_delay_alu instid0(SALU_CYCLE_1) | instskip(SKIP_4) | instid1(VALU_DEP_1)
	s_or_b32 exec_lo, exec_lo, s24
	v_mov_b32_e32 v100, 0
	ds_load_b64 v[100:101], v100 offset:288
	s_wait_dscnt 0x0
	v_pk_mul_f32 v[102:103], v[98:99], v[100:101] op_sel:[1,1] op_sel_hi:[0,1]
	v_pk_fma_f32 v[104:105], v[98:99], v[100:101], v[102:103] op_sel_hi:[1,0,1]
	v_pk_fma_f32 v[98:99], v[98:99], v[100:101], v[102:103] neg_lo:[0,0,1] neg_hi:[0,0,1]
	s_delay_alu instid0(VALU_DEP_2)
	v_mov_b32_e32 v99, v105
	scratch_store_b64 off, v[98:99], off offset:288
.LBB46_105:
	s_wait_xcnt 0x0
	s_or_b32 exec_lo, exec_lo, s2
	scratch_load_b64 v[98:99], off, off offset:280
	v_cmp_lt_u32_e64 s1, 35, v0
	s_wait_loadcnt 0x0
	ds_store_b64 v1, v[98:99]
	s_wait_storecnt_dscnt 0x0
	s_barrier_signal -1
	s_barrier_wait -1
	s_wait_xcnt 0x0
	s_and_saveexec_b32 s2, s1
	s_cbranch_execz .LBB46_115
; %bb.106:
	s_and_not1_b32 vcc_lo, exec_lo, s3
	s_cbranch_vccnz .LBB46_108
; %bb.107:
	scratch_load_b64 v[98:99], v39, off
	ds_load_b64 v[100:101], v1
	s_wait_loadcnt_dscnt 0x0
	v_pk_mul_f32 v[102:103], v[100:101], v[98:99] op_sel:[1,1] op_sel_hi:[0,1]
	s_delay_alu instid0(VALU_DEP_1) | instskip(SKIP_1) | instid1(VALU_DEP_2)
	v_pk_fma_f32 v[104:105], v[100:101], v[98:99], v[102:103] op_sel_hi:[1,0,1]
	v_pk_fma_f32 v[98:99], v[100:101], v[98:99], v[102:103] neg_lo:[0,0,1] neg_hi:[0,0,1]
	v_mov_b32_e32 v99, v105
	s_cbranch_execz .LBB46_109
	s_branch .LBB46_110
.LBB46_108:
                                        ; implicit-def: $vgpr98_vgpr99
.LBB46_109:
	ds_load_b64 v[98:99], v1
.LBB46_110:
	s_and_saveexec_b32 s24, s0
	s_cbranch_execz .LBB46_114
; %bb.111:
	v_subrev_nc_u32_e32 v100, 36, v0
	s_movk_i32 s25, 0x2a0
	s_mov_b32 s0, 0
.LBB46_112:                             ; =>This Inner Loop Header: Depth=1
	scratch_load_b64 v[102:103], off, s23
	v_dual_mov_b32 v101, s25 :: v_dual_add_nc_u32 v100, -1, v100
	s_add_co_i32 s25, s25, 8
	s_wait_xcnt 0x0
	s_add_co_i32 s23, s23, 8
	ds_load_b64 v[104:105], v101
	v_cmp_eq_u32_e32 vcc_lo, 0, v100
	s_or_b32 s0, vcc_lo, s0
	s_wait_loadcnt_dscnt 0x0
	v_pk_mul_f32 v[106:107], v[104:105], v[102:103] op_sel:[1,1] op_sel_hi:[0,1]
	s_delay_alu instid0(VALU_DEP_1) | instskip(SKIP_1) | instid1(VALU_DEP_2)
	v_pk_fma_f32 v[108:109], v[104:105], v[102:103], v[106:107] op_sel_hi:[1,0,1]
	v_pk_fma_f32 v[102:103], v[104:105], v[102:103], v[106:107] neg_lo:[0,0,1] neg_hi:[0,0,1]
	v_mov_b32_e32 v103, v109
	s_delay_alu instid0(VALU_DEP_1)
	v_pk_add_f32 v[98:99], v[98:99], v[102:103]
	s_and_not1_b32 exec_lo, exec_lo, s0
	s_cbranch_execnz .LBB46_112
; %bb.113:
	s_or_b32 exec_lo, exec_lo, s0
.LBB46_114:
	s_delay_alu instid0(SALU_CYCLE_1) | instskip(SKIP_4) | instid1(VALU_DEP_1)
	s_or_b32 exec_lo, exec_lo, s24
	v_mov_b32_e32 v100, 0
	ds_load_b64 v[100:101], v100 offset:280
	s_wait_dscnt 0x0
	v_pk_mul_f32 v[102:103], v[98:99], v[100:101] op_sel:[1,1] op_sel_hi:[0,1]
	v_pk_fma_f32 v[104:105], v[98:99], v[100:101], v[102:103] op_sel_hi:[1,0,1]
	v_pk_fma_f32 v[98:99], v[98:99], v[100:101], v[102:103] neg_lo:[0,0,1] neg_hi:[0,0,1]
	s_delay_alu instid0(VALU_DEP_2)
	v_mov_b32_e32 v99, v105
	scratch_store_b64 off, v[98:99], off offset:280
.LBB46_115:
	s_wait_xcnt 0x0
	s_or_b32 exec_lo, exec_lo, s2
	scratch_load_b64 v[98:99], off, off offset:272
	v_cmp_lt_u32_e64 s0, 34, v0
	s_wait_loadcnt 0x0
	ds_store_b64 v1, v[98:99]
	s_wait_storecnt_dscnt 0x0
	s_barrier_signal -1
	s_barrier_wait -1
	s_wait_xcnt 0x0
	s_and_saveexec_b32 s2, s0
	s_cbranch_execz .LBB46_125
; %bb.116:
	s_and_not1_b32 vcc_lo, exec_lo, s3
	s_cbranch_vccnz .LBB46_118
; %bb.117:
	scratch_load_b64 v[98:99], v39, off
	ds_load_b64 v[100:101], v1
	s_wait_loadcnt_dscnt 0x0
	v_pk_mul_f32 v[102:103], v[100:101], v[98:99] op_sel:[1,1] op_sel_hi:[0,1]
	s_delay_alu instid0(VALU_DEP_1) | instskip(SKIP_1) | instid1(VALU_DEP_2)
	v_pk_fma_f32 v[104:105], v[100:101], v[98:99], v[102:103] op_sel_hi:[1,0,1]
	v_pk_fma_f32 v[98:99], v[100:101], v[98:99], v[102:103] neg_lo:[0,0,1] neg_hi:[0,0,1]
	v_mov_b32_e32 v99, v105
	s_cbranch_execz .LBB46_119
	s_branch .LBB46_120
.LBB46_118:
                                        ; implicit-def: $vgpr98_vgpr99
.LBB46_119:
	ds_load_b64 v[98:99], v1
.LBB46_120:
	s_and_saveexec_b32 s23, s1
	s_cbranch_execz .LBB46_124
; %bb.121:
	v_subrev_nc_u32_e32 v100, 35, v0
	s_movk_i32 s1, 0x118
	s_movk_i32 s25, 0x298
	s_mov_b32 s24, 0
.LBB46_122:                             ; =>This Inner Loop Header: Depth=1
	scratch_load_b64 v[102:103], off, s1
	v_dual_mov_b32 v101, s25 :: v_dual_add_nc_u32 v100, -1, v100
	s_add_co_i32 s25, s25, 8
	s_wait_xcnt 0x0
	s_add_co_i32 s1, s1, 8
	ds_load_b64 v[104:105], v101
	v_cmp_eq_u32_e32 vcc_lo, 0, v100
	s_or_b32 s24, vcc_lo, s24
	s_wait_loadcnt_dscnt 0x0
	v_pk_mul_f32 v[106:107], v[104:105], v[102:103] op_sel:[1,1] op_sel_hi:[0,1]
	s_delay_alu instid0(VALU_DEP_1) | instskip(SKIP_1) | instid1(VALU_DEP_2)
	v_pk_fma_f32 v[108:109], v[104:105], v[102:103], v[106:107] op_sel_hi:[1,0,1]
	v_pk_fma_f32 v[102:103], v[104:105], v[102:103], v[106:107] neg_lo:[0,0,1] neg_hi:[0,0,1]
	v_mov_b32_e32 v103, v109
	s_delay_alu instid0(VALU_DEP_1)
	v_pk_add_f32 v[98:99], v[98:99], v[102:103]
	s_and_not1_b32 exec_lo, exec_lo, s24
	s_cbranch_execnz .LBB46_122
; %bb.123:
	s_or_b32 exec_lo, exec_lo, s24
.LBB46_124:
	s_delay_alu instid0(SALU_CYCLE_1) | instskip(SKIP_4) | instid1(VALU_DEP_1)
	s_or_b32 exec_lo, exec_lo, s23
	v_mov_b32_e32 v100, 0
	ds_load_b64 v[100:101], v100 offset:272
	s_wait_dscnt 0x0
	v_pk_mul_f32 v[102:103], v[98:99], v[100:101] op_sel:[1,1] op_sel_hi:[0,1]
	v_pk_fma_f32 v[104:105], v[98:99], v[100:101], v[102:103] op_sel_hi:[1,0,1]
	v_pk_fma_f32 v[98:99], v[98:99], v[100:101], v[102:103] neg_lo:[0,0,1] neg_hi:[0,0,1]
	s_delay_alu instid0(VALU_DEP_2)
	v_mov_b32_e32 v99, v105
	scratch_store_b64 off, v[98:99], off offset:272
.LBB46_125:
	s_wait_xcnt 0x0
	s_or_b32 exec_lo, exec_lo, s2
	scratch_load_b64 v[98:99], off, off offset:264
	v_cmp_lt_u32_e64 s1, 33, v0
	s_wait_loadcnt 0x0
	ds_store_b64 v1, v[98:99]
	s_wait_storecnt_dscnt 0x0
	s_barrier_signal -1
	s_barrier_wait -1
	s_wait_xcnt 0x0
	s_and_saveexec_b32 s2, s1
	s_cbranch_execz .LBB46_135
; %bb.126:
	s_and_not1_b32 vcc_lo, exec_lo, s3
	s_cbranch_vccnz .LBB46_128
; %bb.127:
	scratch_load_b64 v[98:99], v39, off
	ds_load_b64 v[100:101], v1
	s_wait_loadcnt_dscnt 0x0
	v_pk_mul_f32 v[102:103], v[100:101], v[98:99] op_sel:[1,1] op_sel_hi:[0,1]
	s_delay_alu instid0(VALU_DEP_1) | instskip(SKIP_1) | instid1(VALU_DEP_2)
	v_pk_fma_f32 v[104:105], v[100:101], v[98:99], v[102:103] op_sel_hi:[1,0,1]
	v_pk_fma_f32 v[98:99], v[100:101], v[98:99], v[102:103] neg_lo:[0,0,1] neg_hi:[0,0,1]
	v_mov_b32_e32 v99, v105
	s_cbranch_execz .LBB46_129
	s_branch .LBB46_130
.LBB46_128:
                                        ; implicit-def: $vgpr98_vgpr99
.LBB46_129:
	ds_load_b64 v[98:99], v1
.LBB46_130:
	s_and_saveexec_b32 s23, s0
	s_cbranch_execz .LBB46_134
; %bb.131:
	v_subrev_nc_u32_e32 v100, 34, v0
	s_movk_i32 s24, 0x290
	s_mov_b32 s0, 0
.LBB46_132:                             ; =>This Inner Loop Header: Depth=1
	scratch_load_b64 v[102:103], off, s22
	v_dual_mov_b32 v101, s24 :: v_dual_add_nc_u32 v100, -1, v100
	s_add_co_i32 s24, s24, 8
	s_wait_xcnt 0x0
	s_add_co_i32 s22, s22, 8
	ds_load_b64 v[104:105], v101
	v_cmp_eq_u32_e32 vcc_lo, 0, v100
	s_or_b32 s0, vcc_lo, s0
	s_wait_loadcnt_dscnt 0x0
	v_pk_mul_f32 v[106:107], v[104:105], v[102:103] op_sel:[1,1] op_sel_hi:[0,1]
	s_delay_alu instid0(VALU_DEP_1) | instskip(SKIP_1) | instid1(VALU_DEP_2)
	v_pk_fma_f32 v[108:109], v[104:105], v[102:103], v[106:107] op_sel_hi:[1,0,1]
	v_pk_fma_f32 v[102:103], v[104:105], v[102:103], v[106:107] neg_lo:[0,0,1] neg_hi:[0,0,1]
	v_mov_b32_e32 v103, v109
	s_delay_alu instid0(VALU_DEP_1)
	v_pk_add_f32 v[98:99], v[98:99], v[102:103]
	s_and_not1_b32 exec_lo, exec_lo, s0
	s_cbranch_execnz .LBB46_132
; %bb.133:
	s_or_b32 exec_lo, exec_lo, s0
.LBB46_134:
	s_delay_alu instid0(SALU_CYCLE_1) | instskip(SKIP_4) | instid1(VALU_DEP_1)
	s_or_b32 exec_lo, exec_lo, s23
	v_mov_b32_e32 v100, 0
	ds_load_b64 v[100:101], v100 offset:264
	s_wait_dscnt 0x0
	v_pk_mul_f32 v[102:103], v[98:99], v[100:101] op_sel:[1,1] op_sel_hi:[0,1]
	v_pk_fma_f32 v[104:105], v[98:99], v[100:101], v[102:103] op_sel_hi:[1,0,1]
	v_pk_fma_f32 v[98:99], v[98:99], v[100:101], v[102:103] neg_lo:[0,0,1] neg_hi:[0,0,1]
	s_delay_alu instid0(VALU_DEP_2)
	v_mov_b32_e32 v99, v105
	scratch_store_b64 off, v[98:99], off offset:264
.LBB46_135:
	s_wait_xcnt 0x0
	s_or_b32 exec_lo, exec_lo, s2
	scratch_load_b64 v[98:99], off, off offset:256
	v_cmp_lt_u32_e64 s0, 32, v0
	s_wait_loadcnt 0x0
	ds_store_b64 v1, v[98:99]
	s_wait_storecnt_dscnt 0x0
	s_barrier_signal -1
	s_barrier_wait -1
	s_wait_xcnt 0x0
	s_and_saveexec_b32 s2, s0
	s_cbranch_execz .LBB46_145
; %bb.136:
	s_and_not1_b32 vcc_lo, exec_lo, s3
	s_cbranch_vccnz .LBB46_138
; %bb.137:
	scratch_load_b64 v[98:99], v39, off
	ds_load_b64 v[100:101], v1
	s_wait_loadcnt_dscnt 0x0
	v_pk_mul_f32 v[102:103], v[100:101], v[98:99] op_sel:[1,1] op_sel_hi:[0,1]
	s_delay_alu instid0(VALU_DEP_1) | instskip(SKIP_1) | instid1(VALU_DEP_2)
	v_pk_fma_f32 v[104:105], v[100:101], v[98:99], v[102:103] op_sel_hi:[1,0,1]
	v_pk_fma_f32 v[98:99], v[100:101], v[98:99], v[102:103] neg_lo:[0,0,1] neg_hi:[0,0,1]
	v_mov_b32_e32 v99, v105
	s_cbranch_execz .LBB46_139
	s_branch .LBB46_140
.LBB46_138:
                                        ; implicit-def: $vgpr98_vgpr99
.LBB46_139:
	ds_load_b64 v[98:99], v1
.LBB46_140:
	s_and_saveexec_b32 s22, s1
	s_cbranch_execz .LBB46_144
; %bb.141:
	v_subrev_nc_u32_e32 v100, 33, v0
	s_movk_i32 s1, 0x108
	s_movk_i32 s24, 0x288
	s_mov_b32 s23, 0
.LBB46_142:                             ; =>This Inner Loop Header: Depth=1
	scratch_load_b64 v[102:103], off, s1
	v_dual_mov_b32 v101, s24 :: v_dual_add_nc_u32 v100, -1, v100
	s_add_co_i32 s24, s24, 8
	s_wait_xcnt 0x0
	s_add_co_i32 s1, s1, 8
	ds_load_b64 v[104:105], v101
	v_cmp_eq_u32_e32 vcc_lo, 0, v100
	s_or_b32 s23, vcc_lo, s23
	s_wait_loadcnt_dscnt 0x0
	v_pk_mul_f32 v[106:107], v[104:105], v[102:103] op_sel:[1,1] op_sel_hi:[0,1]
	s_delay_alu instid0(VALU_DEP_1) | instskip(SKIP_1) | instid1(VALU_DEP_2)
	v_pk_fma_f32 v[108:109], v[104:105], v[102:103], v[106:107] op_sel_hi:[1,0,1]
	v_pk_fma_f32 v[102:103], v[104:105], v[102:103], v[106:107] neg_lo:[0,0,1] neg_hi:[0,0,1]
	v_mov_b32_e32 v103, v109
	s_delay_alu instid0(VALU_DEP_1)
	v_pk_add_f32 v[98:99], v[98:99], v[102:103]
	s_and_not1_b32 exec_lo, exec_lo, s23
	s_cbranch_execnz .LBB46_142
; %bb.143:
	s_or_b32 exec_lo, exec_lo, s23
.LBB46_144:
	s_delay_alu instid0(SALU_CYCLE_1) | instskip(SKIP_4) | instid1(VALU_DEP_1)
	s_or_b32 exec_lo, exec_lo, s22
	v_mov_b32_e32 v100, 0
	ds_load_b64 v[100:101], v100 offset:256
	s_wait_dscnt 0x0
	v_pk_mul_f32 v[102:103], v[98:99], v[100:101] op_sel:[1,1] op_sel_hi:[0,1]
	v_pk_fma_f32 v[104:105], v[98:99], v[100:101], v[102:103] op_sel_hi:[1,0,1]
	v_pk_fma_f32 v[98:99], v[98:99], v[100:101], v[102:103] neg_lo:[0,0,1] neg_hi:[0,0,1]
	s_delay_alu instid0(VALU_DEP_2)
	v_mov_b32_e32 v99, v105
	scratch_store_b64 off, v[98:99], off offset:256
.LBB46_145:
	s_wait_xcnt 0x0
	s_or_b32 exec_lo, exec_lo, s2
	scratch_load_b64 v[98:99], off, off offset:248
	v_cmp_lt_u32_e64 s1, 31, v0
	s_wait_loadcnt 0x0
	ds_store_b64 v1, v[98:99]
	s_wait_storecnt_dscnt 0x0
	s_barrier_signal -1
	s_barrier_wait -1
	s_wait_xcnt 0x0
	s_and_saveexec_b32 s2, s1
	s_cbranch_execz .LBB46_155
; %bb.146:
	s_and_not1_b32 vcc_lo, exec_lo, s3
	s_cbranch_vccnz .LBB46_148
; %bb.147:
	scratch_load_b64 v[98:99], v39, off
	ds_load_b64 v[100:101], v1
	s_wait_loadcnt_dscnt 0x0
	v_pk_mul_f32 v[102:103], v[100:101], v[98:99] op_sel:[1,1] op_sel_hi:[0,1]
	s_delay_alu instid0(VALU_DEP_1) | instskip(SKIP_1) | instid1(VALU_DEP_2)
	v_pk_fma_f32 v[104:105], v[100:101], v[98:99], v[102:103] op_sel_hi:[1,0,1]
	v_pk_fma_f32 v[98:99], v[100:101], v[98:99], v[102:103] neg_lo:[0,0,1] neg_hi:[0,0,1]
	v_mov_b32_e32 v99, v105
	s_cbranch_execz .LBB46_149
	s_branch .LBB46_150
.LBB46_148:
                                        ; implicit-def: $vgpr98_vgpr99
.LBB46_149:
	ds_load_b64 v[98:99], v1
.LBB46_150:
	s_and_saveexec_b32 s22, s0
	s_cbranch_execz .LBB46_154
; %bb.151:
	v_subrev_nc_u32_e32 v100, 32, v0
	s_movk_i32 s23, 0x280
	s_mov_b32 s0, 0
.LBB46_152:                             ; =>This Inner Loop Header: Depth=1
	scratch_load_b64 v[102:103], off, s21
	v_dual_mov_b32 v101, s23 :: v_dual_add_nc_u32 v100, -1, v100
	s_add_co_i32 s23, s23, 8
	s_wait_xcnt 0x0
	s_add_co_i32 s21, s21, 8
	ds_load_b64 v[104:105], v101
	v_cmp_eq_u32_e32 vcc_lo, 0, v100
	s_or_b32 s0, vcc_lo, s0
	s_wait_loadcnt_dscnt 0x0
	v_pk_mul_f32 v[106:107], v[104:105], v[102:103] op_sel:[1,1] op_sel_hi:[0,1]
	s_delay_alu instid0(VALU_DEP_1) | instskip(SKIP_1) | instid1(VALU_DEP_2)
	v_pk_fma_f32 v[108:109], v[104:105], v[102:103], v[106:107] op_sel_hi:[1,0,1]
	v_pk_fma_f32 v[102:103], v[104:105], v[102:103], v[106:107] neg_lo:[0,0,1] neg_hi:[0,0,1]
	v_mov_b32_e32 v103, v109
	s_delay_alu instid0(VALU_DEP_1)
	v_pk_add_f32 v[98:99], v[98:99], v[102:103]
	s_and_not1_b32 exec_lo, exec_lo, s0
	s_cbranch_execnz .LBB46_152
; %bb.153:
	s_or_b32 exec_lo, exec_lo, s0
.LBB46_154:
	s_delay_alu instid0(SALU_CYCLE_1) | instskip(SKIP_4) | instid1(VALU_DEP_1)
	s_or_b32 exec_lo, exec_lo, s22
	v_mov_b32_e32 v100, 0
	ds_load_b64 v[100:101], v100 offset:248
	s_wait_dscnt 0x0
	v_pk_mul_f32 v[102:103], v[98:99], v[100:101] op_sel:[1,1] op_sel_hi:[0,1]
	v_pk_fma_f32 v[104:105], v[98:99], v[100:101], v[102:103] op_sel_hi:[1,0,1]
	v_pk_fma_f32 v[98:99], v[98:99], v[100:101], v[102:103] neg_lo:[0,0,1] neg_hi:[0,0,1]
	s_delay_alu instid0(VALU_DEP_2)
	v_mov_b32_e32 v99, v105
	scratch_store_b64 off, v[98:99], off offset:248
.LBB46_155:
	s_wait_xcnt 0x0
	s_or_b32 exec_lo, exec_lo, s2
	scratch_load_b64 v[98:99], off, off offset:240
	v_cmp_lt_u32_e64 s0, 30, v0
	s_wait_loadcnt 0x0
	ds_store_b64 v1, v[98:99]
	s_wait_storecnt_dscnt 0x0
	s_barrier_signal -1
	s_barrier_wait -1
	s_wait_xcnt 0x0
	s_and_saveexec_b32 s2, s0
	s_cbranch_execz .LBB46_165
; %bb.156:
	s_and_not1_b32 vcc_lo, exec_lo, s3
	s_cbranch_vccnz .LBB46_158
; %bb.157:
	scratch_load_b64 v[98:99], v39, off
	ds_load_b64 v[100:101], v1
	s_wait_loadcnt_dscnt 0x0
	v_pk_mul_f32 v[102:103], v[100:101], v[98:99] op_sel:[1,1] op_sel_hi:[0,1]
	s_delay_alu instid0(VALU_DEP_1) | instskip(SKIP_1) | instid1(VALU_DEP_2)
	v_pk_fma_f32 v[104:105], v[100:101], v[98:99], v[102:103] op_sel_hi:[1,0,1]
	v_pk_fma_f32 v[98:99], v[100:101], v[98:99], v[102:103] neg_lo:[0,0,1] neg_hi:[0,0,1]
	v_mov_b32_e32 v99, v105
	s_cbranch_execz .LBB46_159
	s_branch .LBB46_160
.LBB46_158:
                                        ; implicit-def: $vgpr98_vgpr99
.LBB46_159:
	ds_load_b64 v[98:99], v1
.LBB46_160:
	s_and_saveexec_b32 s21, s1
	s_cbranch_execz .LBB46_164
; %bb.161:
	v_subrev_nc_u32_e32 v100, 31, v0
	s_movk_i32 s1, 0xf8
	s_movk_i32 s23, 0x278
	s_mov_b32 s22, 0
.LBB46_162:                             ; =>This Inner Loop Header: Depth=1
	scratch_load_b64 v[102:103], off, s1
	v_dual_mov_b32 v101, s23 :: v_dual_add_nc_u32 v100, -1, v100
	s_add_co_i32 s23, s23, 8
	s_wait_xcnt 0x0
	s_add_co_i32 s1, s1, 8
	ds_load_b64 v[104:105], v101
	v_cmp_eq_u32_e32 vcc_lo, 0, v100
	s_or_b32 s22, vcc_lo, s22
	s_wait_loadcnt_dscnt 0x0
	v_pk_mul_f32 v[106:107], v[104:105], v[102:103] op_sel:[1,1] op_sel_hi:[0,1]
	s_delay_alu instid0(VALU_DEP_1) | instskip(SKIP_1) | instid1(VALU_DEP_2)
	v_pk_fma_f32 v[108:109], v[104:105], v[102:103], v[106:107] op_sel_hi:[1,0,1]
	v_pk_fma_f32 v[102:103], v[104:105], v[102:103], v[106:107] neg_lo:[0,0,1] neg_hi:[0,0,1]
	v_mov_b32_e32 v103, v109
	s_delay_alu instid0(VALU_DEP_1)
	v_pk_add_f32 v[98:99], v[98:99], v[102:103]
	s_and_not1_b32 exec_lo, exec_lo, s22
	s_cbranch_execnz .LBB46_162
; %bb.163:
	s_or_b32 exec_lo, exec_lo, s22
.LBB46_164:
	s_delay_alu instid0(SALU_CYCLE_1) | instskip(SKIP_4) | instid1(VALU_DEP_1)
	s_or_b32 exec_lo, exec_lo, s21
	v_mov_b32_e32 v100, 0
	ds_load_b64 v[100:101], v100 offset:240
	s_wait_dscnt 0x0
	v_pk_mul_f32 v[102:103], v[98:99], v[100:101] op_sel:[1,1] op_sel_hi:[0,1]
	v_pk_fma_f32 v[104:105], v[98:99], v[100:101], v[102:103] op_sel_hi:[1,0,1]
	v_pk_fma_f32 v[98:99], v[98:99], v[100:101], v[102:103] neg_lo:[0,0,1] neg_hi:[0,0,1]
	s_delay_alu instid0(VALU_DEP_2)
	v_mov_b32_e32 v99, v105
	scratch_store_b64 off, v[98:99], off offset:240
.LBB46_165:
	s_wait_xcnt 0x0
	s_or_b32 exec_lo, exec_lo, s2
	scratch_load_b64 v[98:99], off, off offset:232
	v_cmp_lt_u32_e64 s1, 29, v0
	s_wait_loadcnt 0x0
	ds_store_b64 v1, v[98:99]
	s_wait_storecnt_dscnt 0x0
	s_barrier_signal -1
	s_barrier_wait -1
	s_wait_xcnt 0x0
	s_and_saveexec_b32 s2, s1
	s_cbranch_execz .LBB46_175
; %bb.166:
	s_and_not1_b32 vcc_lo, exec_lo, s3
	s_cbranch_vccnz .LBB46_168
; %bb.167:
	scratch_load_b64 v[98:99], v39, off
	ds_load_b64 v[100:101], v1
	s_wait_loadcnt_dscnt 0x0
	v_pk_mul_f32 v[102:103], v[100:101], v[98:99] op_sel:[1,1] op_sel_hi:[0,1]
	s_delay_alu instid0(VALU_DEP_1) | instskip(SKIP_1) | instid1(VALU_DEP_2)
	v_pk_fma_f32 v[104:105], v[100:101], v[98:99], v[102:103] op_sel_hi:[1,0,1]
	v_pk_fma_f32 v[98:99], v[100:101], v[98:99], v[102:103] neg_lo:[0,0,1] neg_hi:[0,0,1]
	v_mov_b32_e32 v99, v105
	s_cbranch_execz .LBB46_169
	s_branch .LBB46_170
.LBB46_168:
                                        ; implicit-def: $vgpr98_vgpr99
.LBB46_169:
	ds_load_b64 v[98:99], v1
.LBB46_170:
	s_and_saveexec_b32 s21, s0
	s_cbranch_execz .LBB46_174
; %bb.171:
	v_subrev_nc_u32_e32 v100, 30, v0
	s_movk_i32 s22, 0x270
	s_mov_b32 s0, 0
.LBB46_172:                             ; =>This Inner Loop Header: Depth=1
	scratch_load_b64 v[102:103], off, s20
	v_dual_mov_b32 v101, s22 :: v_dual_add_nc_u32 v100, -1, v100
	s_add_co_i32 s22, s22, 8
	s_wait_xcnt 0x0
	s_add_co_i32 s20, s20, 8
	ds_load_b64 v[104:105], v101
	v_cmp_eq_u32_e32 vcc_lo, 0, v100
	s_or_b32 s0, vcc_lo, s0
	s_wait_loadcnt_dscnt 0x0
	v_pk_mul_f32 v[106:107], v[104:105], v[102:103] op_sel:[1,1] op_sel_hi:[0,1]
	s_delay_alu instid0(VALU_DEP_1) | instskip(SKIP_1) | instid1(VALU_DEP_2)
	v_pk_fma_f32 v[108:109], v[104:105], v[102:103], v[106:107] op_sel_hi:[1,0,1]
	v_pk_fma_f32 v[102:103], v[104:105], v[102:103], v[106:107] neg_lo:[0,0,1] neg_hi:[0,0,1]
	v_mov_b32_e32 v103, v109
	s_delay_alu instid0(VALU_DEP_1)
	v_pk_add_f32 v[98:99], v[98:99], v[102:103]
	s_and_not1_b32 exec_lo, exec_lo, s0
	s_cbranch_execnz .LBB46_172
; %bb.173:
	s_or_b32 exec_lo, exec_lo, s0
.LBB46_174:
	s_delay_alu instid0(SALU_CYCLE_1) | instskip(SKIP_4) | instid1(VALU_DEP_1)
	s_or_b32 exec_lo, exec_lo, s21
	v_mov_b32_e32 v100, 0
	ds_load_b64 v[100:101], v100 offset:232
	s_wait_dscnt 0x0
	v_pk_mul_f32 v[102:103], v[98:99], v[100:101] op_sel:[1,1] op_sel_hi:[0,1]
	v_pk_fma_f32 v[104:105], v[98:99], v[100:101], v[102:103] op_sel_hi:[1,0,1]
	v_pk_fma_f32 v[98:99], v[98:99], v[100:101], v[102:103] neg_lo:[0,0,1] neg_hi:[0,0,1]
	s_delay_alu instid0(VALU_DEP_2)
	v_mov_b32_e32 v99, v105
	scratch_store_b64 off, v[98:99], off offset:232
.LBB46_175:
	s_wait_xcnt 0x0
	s_or_b32 exec_lo, exec_lo, s2
	scratch_load_b64 v[98:99], off, off offset:224
	v_cmp_lt_u32_e64 s0, 28, v0
	s_wait_loadcnt 0x0
	ds_store_b64 v1, v[98:99]
	s_wait_storecnt_dscnt 0x0
	s_barrier_signal -1
	s_barrier_wait -1
	s_wait_xcnt 0x0
	s_and_saveexec_b32 s2, s0
	s_cbranch_execz .LBB46_185
; %bb.176:
	s_and_not1_b32 vcc_lo, exec_lo, s3
	s_cbranch_vccnz .LBB46_178
; %bb.177:
	scratch_load_b64 v[98:99], v39, off
	ds_load_b64 v[100:101], v1
	s_wait_loadcnt_dscnt 0x0
	v_pk_mul_f32 v[102:103], v[100:101], v[98:99] op_sel:[1,1] op_sel_hi:[0,1]
	s_delay_alu instid0(VALU_DEP_1) | instskip(SKIP_1) | instid1(VALU_DEP_2)
	v_pk_fma_f32 v[104:105], v[100:101], v[98:99], v[102:103] op_sel_hi:[1,0,1]
	v_pk_fma_f32 v[98:99], v[100:101], v[98:99], v[102:103] neg_lo:[0,0,1] neg_hi:[0,0,1]
	v_mov_b32_e32 v99, v105
	s_cbranch_execz .LBB46_179
	s_branch .LBB46_180
.LBB46_178:
                                        ; implicit-def: $vgpr98_vgpr99
.LBB46_179:
	ds_load_b64 v[98:99], v1
.LBB46_180:
	s_and_saveexec_b32 s20, s1
	s_cbranch_execz .LBB46_184
; %bb.181:
	v_subrev_nc_u32_e32 v100, 29, v0
	s_movk_i32 s1, 0xe8
	s_movk_i32 s22, 0x268
	s_mov_b32 s21, 0
.LBB46_182:                             ; =>This Inner Loop Header: Depth=1
	scratch_load_b64 v[102:103], off, s1
	v_dual_mov_b32 v101, s22 :: v_dual_add_nc_u32 v100, -1, v100
	s_add_co_i32 s22, s22, 8
	s_wait_xcnt 0x0
	s_add_co_i32 s1, s1, 8
	ds_load_b64 v[104:105], v101
	v_cmp_eq_u32_e32 vcc_lo, 0, v100
	s_or_b32 s21, vcc_lo, s21
	s_wait_loadcnt_dscnt 0x0
	v_pk_mul_f32 v[106:107], v[104:105], v[102:103] op_sel:[1,1] op_sel_hi:[0,1]
	s_delay_alu instid0(VALU_DEP_1) | instskip(SKIP_1) | instid1(VALU_DEP_2)
	v_pk_fma_f32 v[108:109], v[104:105], v[102:103], v[106:107] op_sel_hi:[1,0,1]
	v_pk_fma_f32 v[102:103], v[104:105], v[102:103], v[106:107] neg_lo:[0,0,1] neg_hi:[0,0,1]
	v_mov_b32_e32 v103, v109
	s_delay_alu instid0(VALU_DEP_1)
	v_pk_add_f32 v[98:99], v[98:99], v[102:103]
	s_and_not1_b32 exec_lo, exec_lo, s21
	s_cbranch_execnz .LBB46_182
; %bb.183:
	s_or_b32 exec_lo, exec_lo, s21
.LBB46_184:
	s_delay_alu instid0(SALU_CYCLE_1) | instskip(SKIP_4) | instid1(VALU_DEP_1)
	s_or_b32 exec_lo, exec_lo, s20
	v_mov_b32_e32 v100, 0
	ds_load_b64 v[100:101], v100 offset:224
	s_wait_dscnt 0x0
	v_pk_mul_f32 v[102:103], v[98:99], v[100:101] op_sel:[1,1] op_sel_hi:[0,1]
	v_pk_fma_f32 v[104:105], v[98:99], v[100:101], v[102:103] op_sel_hi:[1,0,1]
	v_pk_fma_f32 v[98:99], v[98:99], v[100:101], v[102:103] neg_lo:[0,0,1] neg_hi:[0,0,1]
	s_delay_alu instid0(VALU_DEP_2)
	v_mov_b32_e32 v99, v105
	scratch_store_b64 off, v[98:99], off offset:224
.LBB46_185:
	s_wait_xcnt 0x0
	s_or_b32 exec_lo, exec_lo, s2
	scratch_load_b64 v[98:99], off, off offset:216
	v_cmp_lt_u32_e64 s1, 27, v0
	s_wait_loadcnt 0x0
	ds_store_b64 v1, v[98:99]
	s_wait_storecnt_dscnt 0x0
	s_barrier_signal -1
	s_barrier_wait -1
	s_wait_xcnt 0x0
	s_and_saveexec_b32 s2, s1
	s_cbranch_execz .LBB46_195
; %bb.186:
	s_and_not1_b32 vcc_lo, exec_lo, s3
	s_cbranch_vccnz .LBB46_188
; %bb.187:
	scratch_load_b64 v[98:99], v39, off
	ds_load_b64 v[100:101], v1
	s_wait_loadcnt_dscnt 0x0
	v_pk_mul_f32 v[102:103], v[100:101], v[98:99] op_sel:[1,1] op_sel_hi:[0,1]
	s_delay_alu instid0(VALU_DEP_1) | instskip(SKIP_1) | instid1(VALU_DEP_2)
	v_pk_fma_f32 v[104:105], v[100:101], v[98:99], v[102:103] op_sel_hi:[1,0,1]
	v_pk_fma_f32 v[98:99], v[100:101], v[98:99], v[102:103] neg_lo:[0,0,1] neg_hi:[0,0,1]
	v_mov_b32_e32 v99, v105
	s_cbranch_execz .LBB46_189
	s_branch .LBB46_190
.LBB46_188:
                                        ; implicit-def: $vgpr98_vgpr99
.LBB46_189:
	ds_load_b64 v[98:99], v1
.LBB46_190:
	s_and_saveexec_b32 s20, s0
	s_cbranch_execz .LBB46_194
; %bb.191:
	v_subrev_nc_u32_e32 v100, 28, v0
	s_movk_i32 s21, 0x260
	s_mov_b32 s0, 0
.LBB46_192:                             ; =>This Inner Loop Header: Depth=1
	scratch_load_b64 v[102:103], off, s19
	v_dual_mov_b32 v101, s21 :: v_dual_add_nc_u32 v100, -1, v100
	s_add_co_i32 s21, s21, 8
	s_wait_xcnt 0x0
	s_add_co_i32 s19, s19, 8
	ds_load_b64 v[104:105], v101
	v_cmp_eq_u32_e32 vcc_lo, 0, v100
	s_or_b32 s0, vcc_lo, s0
	s_wait_loadcnt_dscnt 0x0
	v_pk_mul_f32 v[106:107], v[104:105], v[102:103] op_sel:[1,1] op_sel_hi:[0,1]
	s_delay_alu instid0(VALU_DEP_1) | instskip(SKIP_1) | instid1(VALU_DEP_2)
	v_pk_fma_f32 v[108:109], v[104:105], v[102:103], v[106:107] op_sel_hi:[1,0,1]
	v_pk_fma_f32 v[102:103], v[104:105], v[102:103], v[106:107] neg_lo:[0,0,1] neg_hi:[0,0,1]
	v_mov_b32_e32 v103, v109
	s_delay_alu instid0(VALU_DEP_1)
	v_pk_add_f32 v[98:99], v[98:99], v[102:103]
	s_and_not1_b32 exec_lo, exec_lo, s0
	s_cbranch_execnz .LBB46_192
; %bb.193:
	s_or_b32 exec_lo, exec_lo, s0
.LBB46_194:
	s_delay_alu instid0(SALU_CYCLE_1) | instskip(SKIP_4) | instid1(VALU_DEP_1)
	s_or_b32 exec_lo, exec_lo, s20
	v_mov_b32_e32 v100, 0
	ds_load_b64 v[100:101], v100 offset:216
	s_wait_dscnt 0x0
	v_pk_mul_f32 v[102:103], v[98:99], v[100:101] op_sel:[1,1] op_sel_hi:[0,1]
	v_pk_fma_f32 v[104:105], v[98:99], v[100:101], v[102:103] op_sel_hi:[1,0,1]
	v_pk_fma_f32 v[98:99], v[98:99], v[100:101], v[102:103] neg_lo:[0,0,1] neg_hi:[0,0,1]
	s_delay_alu instid0(VALU_DEP_2)
	v_mov_b32_e32 v99, v105
	scratch_store_b64 off, v[98:99], off offset:216
.LBB46_195:
	s_wait_xcnt 0x0
	s_or_b32 exec_lo, exec_lo, s2
	scratch_load_b64 v[98:99], off, off offset:208
	v_cmp_lt_u32_e64 s0, 26, v0
	s_wait_loadcnt 0x0
	ds_store_b64 v1, v[98:99]
	s_wait_storecnt_dscnt 0x0
	s_barrier_signal -1
	s_barrier_wait -1
	s_wait_xcnt 0x0
	s_and_saveexec_b32 s2, s0
	s_cbranch_execz .LBB46_205
; %bb.196:
	s_and_not1_b32 vcc_lo, exec_lo, s3
	s_cbranch_vccnz .LBB46_198
; %bb.197:
	scratch_load_b64 v[98:99], v39, off
	ds_load_b64 v[100:101], v1
	s_wait_loadcnt_dscnt 0x0
	v_pk_mul_f32 v[102:103], v[100:101], v[98:99] op_sel:[1,1] op_sel_hi:[0,1]
	s_delay_alu instid0(VALU_DEP_1) | instskip(SKIP_1) | instid1(VALU_DEP_2)
	v_pk_fma_f32 v[104:105], v[100:101], v[98:99], v[102:103] op_sel_hi:[1,0,1]
	v_pk_fma_f32 v[98:99], v[100:101], v[98:99], v[102:103] neg_lo:[0,0,1] neg_hi:[0,0,1]
	v_mov_b32_e32 v99, v105
	s_cbranch_execz .LBB46_199
	s_branch .LBB46_200
.LBB46_198:
                                        ; implicit-def: $vgpr98_vgpr99
.LBB46_199:
	ds_load_b64 v[98:99], v1
.LBB46_200:
	s_and_saveexec_b32 s19, s1
	s_cbranch_execz .LBB46_204
; %bb.201:
	v_subrev_nc_u32_e32 v100, 27, v0
	s_movk_i32 s1, 0xd8
	s_movk_i32 s21, 0x258
	s_mov_b32 s20, 0
.LBB46_202:                             ; =>This Inner Loop Header: Depth=1
	scratch_load_b64 v[102:103], off, s1
	v_dual_mov_b32 v101, s21 :: v_dual_add_nc_u32 v100, -1, v100
	s_add_co_i32 s21, s21, 8
	s_wait_xcnt 0x0
	s_add_co_i32 s1, s1, 8
	ds_load_b64 v[104:105], v101
	v_cmp_eq_u32_e32 vcc_lo, 0, v100
	s_or_b32 s20, vcc_lo, s20
	s_wait_loadcnt_dscnt 0x0
	v_pk_mul_f32 v[106:107], v[104:105], v[102:103] op_sel:[1,1] op_sel_hi:[0,1]
	s_delay_alu instid0(VALU_DEP_1) | instskip(SKIP_1) | instid1(VALU_DEP_2)
	v_pk_fma_f32 v[108:109], v[104:105], v[102:103], v[106:107] op_sel_hi:[1,0,1]
	v_pk_fma_f32 v[102:103], v[104:105], v[102:103], v[106:107] neg_lo:[0,0,1] neg_hi:[0,0,1]
	v_mov_b32_e32 v103, v109
	s_delay_alu instid0(VALU_DEP_1)
	v_pk_add_f32 v[98:99], v[98:99], v[102:103]
	s_and_not1_b32 exec_lo, exec_lo, s20
	s_cbranch_execnz .LBB46_202
; %bb.203:
	s_or_b32 exec_lo, exec_lo, s20
.LBB46_204:
	s_delay_alu instid0(SALU_CYCLE_1) | instskip(SKIP_4) | instid1(VALU_DEP_1)
	s_or_b32 exec_lo, exec_lo, s19
	v_mov_b32_e32 v100, 0
	ds_load_b64 v[100:101], v100 offset:208
	s_wait_dscnt 0x0
	v_pk_mul_f32 v[102:103], v[98:99], v[100:101] op_sel:[1,1] op_sel_hi:[0,1]
	v_pk_fma_f32 v[104:105], v[98:99], v[100:101], v[102:103] op_sel_hi:[1,0,1]
	v_pk_fma_f32 v[98:99], v[98:99], v[100:101], v[102:103] neg_lo:[0,0,1] neg_hi:[0,0,1]
	s_delay_alu instid0(VALU_DEP_2)
	v_mov_b32_e32 v99, v105
	scratch_store_b64 off, v[98:99], off offset:208
.LBB46_205:
	s_wait_xcnt 0x0
	s_or_b32 exec_lo, exec_lo, s2
	scratch_load_b64 v[98:99], off, off offset:200
	v_cmp_lt_u32_e64 s1, 25, v0
	s_wait_loadcnt 0x0
	ds_store_b64 v1, v[98:99]
	s_wait_storecnt_dscnt 0x0
	s_barrier_signal -1
	s_barrier_wait -1
	s_wait_xcnt 0x0
	s_and_saveexec_b32 s2, s1
	s_cbranch_execz .LBB46_215
; %bb.206:
	s_and_not1_b32 vcc_lo, exec_lo, s3
	s_cbranch_vccnz .LBB46_208
; %bb.207:
	scratch_load_b64 v[98:99], v39, off
	ds_load_b64 v[100:101], v1
	s_wait_loadcnt_dscnt 0x0
	v_pk_mul_f32 v[102:103], v[100:101], v[98:99] op_sel:[1,1] op_sel_hi:[0,1]
	s_delay_alu instid0(VALU_DEP_1) | instskip(SKIP_1) | instid1(VALU_DEP_2)
	v_pk_fma_f32 v[104:105], v[100:101], v[98:99], v[102:103] op_sel_hi:[1,0,1]
	v_pk_fma_f32 v[98:99], v[100:101], v[98:99], v[102:103] neg_lo:[0,0,1] neg_hi:[0,0,1]
	v_mov_b32_e32 v99, v105
	s_cbranch_execz .LBB46_209
	s_branch .LBB46_210
.LBB46_208:
                                        ; implicit-def: $vgpr98_vgpr99
.LBB46_209:
	ds_load_b64 v[98:99], v1
.LBB46_210:
	s_and_saveexec_b32 s19, s0
	s_cbranch_execz .LBB46_214
; %bb.211:
	v_subrev_nc_u32_e32 v100, 26, v0
	s_movk_i32 s20, 0x250
	s_mov_b32 s0, 0
.LBB46_212:                             ; =>This Inner Loop Header: Depth=1
	scratch_load_b64 v[102:103], off, s18
	v_dual_mov_b32 v101, s20 :: v_dual_add_nc_u32 v100, -1, v100
	s_add_co_i32 s20, s20, 8
	s_wait_xcnt 0x0
	s_add_co_i32 s18, s18, 8
	ds_load_b64 v[104:105], v101
	v_cmp_eq_u32_e32 vcc_lo, 0, v100
	s_or_b32 s0, vcc_lo, s0
	s_wait_loadcnt_dscnt 0x0
	v_pk_mul_f32 v[106:107], v[104:105], v[102:103] op_sel:[1,1] op_sel_hi:[0,1]
	s_delay_alu instid0(VALU_DEP_1) | instskip(SKIP_1) | instid1(VALU_DEP_2)
	v_pk_fma_f32 v[108:109], v[104:105], v[102:103], v[106:107] op_sel_hi:[1,0,1]
	v_pk_fma_f32 v[102:103], v[104:105], v[102:103], v[106:107] neg_lo:[0,0,1] neg_hi:[0,0,1]
	v_mov_b32_e32 v103, v109
	s_delay_alu instid0(VALU_DEP_1)
	v_pk_add_f32 v[98:99], v[98:99], v[102:103]
	s_and_not1_b32 exec_lo, exec_lo, s0
	s_cbranch_execnz .LBB46_212
; %bb.213:
	s_or_b32 exec_lo, exec_lo, s0
.LBB46_214:
	s_delay_alu instid0(SALU_CYCLE_1) | instskip(SKIP_4) | instid1(VALU_DEP_1)
	s_or_b32 exec_lo, exec_lo, s19
	v_mov_b32_e32 v100, 0
	ds_load_b64 v[100:101], v100 offset:200
	s_wait_dscnt 0x0
	v_pk_mul_f32 v[102:103], v[98:99], v[100:101] op_sel:[1,1] op_sel_hi:[0,1]
	v_pk_fma_f32 v[104:105], v[98:99], v[100:101], v[102:103] op_sel_hi:[1,0,1]
	v_pk_fma_f32 v[98:99], v[98:99], v[100:101], v[102:103] neg_lo:[0,0,1] neg_hi:[0,0,1]
	s_delay_alu instid0(VALU_DEP_2)
	v_mov_b32_e32 v99, v105
	scratch_store_b64 off, v[98:99], off offset:200
.LBB46_215:
	s_wait_xcnt 0x0
	s_or_b32 exec_lo, exec_lo, s2
	scratch_load_b64 v[98:99], off, off offset:192
	v_cmp_lt_u32_e64 s0, 24, v0
	s_wait_loadcnt 0x0
	ds_store_b64 v1, v[98:99]
	s_wait_storecnt_dscnt 0x0
	s_barrier_signal -1
	s_barrier_wait -1
	s_wait_xcnt 0x0
	s_and_saveexec_b32 s2, s0
	s_cbranch_execz .LBB46_225
; %bb.216:
	s_and_not1_b32 vcc_lo, exec_lo, s3
	s_cbranch_vccnz .LBB46_218
; %bb.217:
	scratch_load_b64 v[98:99], v39, off
	ds_load_b64 v[100:101], v1
	s_wait_loadcnt_dscnt 0x0
	v_pk_mul_f32 v[102:103], v[100:101], v[98:99] op_sel:[1,1] op_sel_hi:[0,1]
	s_delay_alu instid0(VALU_DEP_1) | instskip(SKIP_1) | instid1(VALU_DEP_2)
	v_pk_fma_f32 v[104:105], v[100:101], v[98:99], v[102:103] op_sel_hi:[1,0,1]
	v_pk_fma_f32 v[98:99], v[100:101], v[98:99], v[102:103] neg_lo:[0,0,1] neg_hi:[0,0,1]
	v_mov_b32_e32 v99, v105
	s_cbranch_execz .LBB46_219
	s_branch .LBB46_220
.LBB46_218:
                                        ; implicit-def: $vgpr98_vgpr99
.LBB46_219:
	ds_load_b64 v[98:99], v1
.LBB46_220:
	s_and_saveexec_b32 s18, s1
	s_cbranch_execz .LBB46_224
; %bb.221:
	v_subrev_nc_u32_e32 v100, 25, v0
	s_movk_i32 s1, 0xc8
	s_movk_i32 s20, 0x248
	s_mov_b32 s19, 0
.LBB46_222:                             ; =>This Inner Loop Header: Depth=1
	scratch_load_b64 v[102:103], off, s1
	v_dual_mov_b32 v101, s20 :: v_dual_add_nc_u32 v100, -1, v100
	s_add_co_i32 s20, s20, 8
	s_wait_xcnt 0x0
	s_add_co_i32 s1, s1, 8
	ds_load_b64 v[104:105], v101
	v_cmp_eq_u32_e32 vcc_lo, 0, v100
	s_or_b32 s19, vcc_lo, s19
	s_wait_loadcnt_dscnt 0x0
	v_pk_mul_f32 v[106:107], v[104:105], v[102:103] op_sel:[1,1] op_sel_hi:[0,1]
	s_delay_alu instid0(VALU_DEP_1) | instskip(SKIP_1) | instid1(VALU_DEP_2)
	v_pk_fma_f32 v[108:109], v[104:105], v[102:103], v[106:107] op_sel_hi:[1,0,1]
	v_pk_fma_f32 v[102:103], v[104:105], v[102:103], v[106:107] neg_lo:[0,0,1] neg_hi:[0,0,1]
	v_mov_b32_e32 v103, v109
	s_delay_alu instid0(VALU_DEP_1)
	v_pk_add_f32 v[98:99], v[98:99], v[102:103]
	s_and_not1_b32 exec_lo, exec_lo, s19
	s_cbranch_execnz .LBB46_222
; %bb.223:
	s_or_b32 exec_lo, exec_lo, s19
.LBB46_224:
	s_delay_alu instid0(SALU_CYCLE_1) | instskip(SKIP_4) | instid1(VALU_DEP_1)
	s_or_b32 exec_lo, exec_lo, s18
	v_mov_b32_e32 v100, 0
	ds_load_b64 v[100:101], v100 offset:192
	s_wait_dscnt 0x0
	v_pk_mul_f32 v[102:103], v[98:99], v[100:101] op_sel:[1,1] op_sel_hi:[0,1]
	v_pk_fma_f32 v[104:105], v[98:99], v[100:101], v[102:103] op_sel_hi:[1,0,1]
	v_pk_fma_f32 v[98:99], v[98:99], v[100:101], v[102:103] neg_lo:[0,0,1] neg_hi:[0,0,1]
	s_delay_alu instid0(VALU_DEP_2)
	v_mov_b32_e32 v99, v105
	scratch_store_b64 off, v[98:99], off offset:192
.LBB46_225:
	s_wait_xcnt 0x0
	s_or_b32 exec_lo, exec_lo, s2
	scratch_load_b64 v[98:99], off, off offset:184
	v_cmp_lt_u32_e64 s1, 23, v0
	s_wait_loadcnt 0x0
	ds_store_b64 v1, v[98:99]
	s_wait_storecnt_dscnt 0x0
	s_barrier_signal -1
	s_barrier_wait -1
	s_wait_xcnt 0x0
	s_and_saveexec_b32 s2, s1
	s_cbranch_execz .LBB46_235
; %bb.226:
	s_and_not1_b32 vcc_lo, exec_lo, s3
	s_cbranch_vccnz .LBB46_228
; %bb.227:
	scratch_load_b64 v[98:99], v39, off
	ds_load_b64 v[100:101], v1
	s_wait_loadcnt_dscnt 0x0
	v_pk_mul_f32 v[102:103], v[100:101], v[98:99] op_sel:[1,1] op_sel_hi:[0,1]
	s_delay_alu instid0(VALU_DEP_1) | instskip(SKIP_1) | instid1(VALU_DEP_2)
	v_pk_fma_f32 v[104:105], v[100:101], v[98:99], v[102:103] op_sel_hi:[1,0,1]
	v_pk_fma_f32 v[98:99], v[100:101], v[98:99], v[102:103] neg_lo:[0,0,1] neg_hi:[0,0,1]
	v_mov_b32_e32 v99, v105
	s_cbranch_execz .LBB46_229
	s_branch .LBB46_230
.LBB46_228:
                                        ; implicit-def: $vgpr98_vgpr99
.LBB46_229:
	ds_load_b64 v[98:99], v1
.LBB46_230:
	s_and_saveexec_b32 s18, s0
	s_cbranch_execz .LBB46_234
; %bb.231:
	v_subrev_nc_u32_e32 v100, 24, v0
	s_movk_i32 s19, 0x240
	s_mov_b32 s0, 0
.LBB46_232:                             ; =>This Inner Loop Header: Depth=1
	scratch_load_b64 v[102:103], off, s17
	v_dual_mov_b32 v101, s19 :: v_dual_add_nc_u32 v100, -1, v100
	s_add_co_i32 s19, s19, 8
	s_wait_xcnt 0x0
	s_add_co_i32 s17, s17, 8
	ds_load_b64 v[104:105], v101
	v_cmp_eq_u32_e32 vcc_lo, 0, v100
	s_or_b32 s0, vcc_lo, s0
	s_wait_loadcnt_dscnt 0x0
	v_pk_mul_f32 v[106:107], v[104:105], v[102:103] op_sel:[1,1] op_sel_hi:[0,1]
	s_delay_alu instid0(VALU_DEP_1) | instskip(SKIP_1) | instid1(VALU_DEP_2)
	v_pk_fma_f32 v[108:109], v[104:105], v[102:103], v[106:107] op_sel_hi:[1,0,1]
	v_pk_fma_f32 v[102:103], v[104:105], v[102:103], v[106:107] neg_lo:[0,0,1] neg_hi:[0,0,1]
	v_mov_b32_e32 v103, v109
	s_delay_alu instid0(VALU_DEP_1)
	v_pk_add_f32 v[98:99], v[98:99], v[102:103]
	s_and_not1_b32 exec_lo, exec_lo, s0
	s_cbranch_execnz .LBB46_232
; %bb.233:
	s_or_b32 exec_lo, exec_lo, s0
.LBB46_234:
	s_delay_alu instid0(SALU_CYCLE_1) | instskip(SKIP_4) | instid1(VALU_DEP_1)
	s_or_b32 exec_lo, exec_lo, s18
	v_mov_b32_e32 v100, 0
	ds_load_b64 v[100:101], v100 offset:184
	s_wait_dscnt 0x0
	v_pk_mul_f32 v[102:103], v[98:99], v[100:101] op_sel:[1,1] op_sel_hi:[0,1]
	v_pk_fma_f32 v[104:105], v[98:99], v[100:101], v[102:103] op_sel_hi:[1,0,1]
	v_pk_fma_f32 v[98:99], v[98:99], v[100:101], v[102:103] neg_lo:[0,0,1] neg_hi:[0,0,1]
	s_delay_alu instid0(VALU_DEP_2)
	v_mov_b32_e32 v99, v105
	scratch_store_b64 off, v[98:99], off offset:184
.LBB46_235:
	s_wait_xcnt 0x0
	s_or_b32 exec_lo, exec_lo, s2
	scratch_load_b64 v[98:99], off, off offset:176
	v_cmp_lt_u32_e64 s0, 22, v0
	s_wait_loadcnt 0x0
	ds_store_b64 v1, v[98:99]
	s_wait_storecnt_dscnt 0x0
	s_barrier_signal -1
	s_barrier_wait -1
	s_wait_xcnt 0x0
	s_and_saveexec_b32 s2, s0
	s_cbranch_execz .LBB46_245
; %bb.236:
	s_and_not1_b32 vcc_lo, exec_lo, s3
	s_cbranch_vccnz .LBB46_238
; %bb.237:
	scratch_load_b64 v[98:99], v39, off
	ds_load_b64 v[100:101], v1
	s_wait_loadcnt_dscnt 0x0
	v_pk_mul_f32 v[102:103], v[100:101], v[98:99] op_sel:[1,1] op_sel_hi:[0,1]
	s_delay_alu instid0(VALU_DEP_1) | instskip(SKIP_1) | instid1(VALU_DEP_2)
	v_pk_fma_f32 v[104:105], v[100:101], v[98:99], v[102:103] op_sel_hi:[1,0,1]
	v_pk_fma_f32 v[98:99], v[100:101], v[98:99], v[102:103] neg_lo:[0,0,1] neg_hi:[0,0,1]
	v_mov_b32_e32 v99, v105
	s_cbranch_execz .LBB46_239
	s_branch .LBB46_240
.LBB46_238:
                                        ; implicit-def: $vgpr98_vgpr99
.LBB46_239:
	ds_load_b64 v[98:99], v1
.LBB46_240:
	s_and_saveexec_b32 s17, s1
	s_cbranch_execz .LBB46_244
; %bb.241:
	v_subrev_nc_u32_e32 v100, 23, v0
	s_movk_i32 s1, 0xb8
	s_movk_i32 s19, 0x238
	s_mov_b32 s18, 0
.LBB46_242:                             ; =>This Inner Loop Header: Depth=1
	scratch_load_b64 v[102:103], off, s1
	v_dual_mov_b32 v101, s19 :: v_dual_add_nc_u32 v100, -1, v100
	s_add_co_i32 s19, s19, 8
	s_wait_xcnt 0x0
	s_add_co_i32 s1, s1, 8
	ds_load_b64 v[104:105], v101
	v_cmp_eq_u32_e32 vcc_lo, 0, v100
	s_or_b32 s18, vcc_lo, s18
	s_wait_loadcnt_dscnt 0x0
	v_pk_mul_f32 v[106:107], v[104:105], v[102:103] op_sel:[1,1] op_sel_hi:[0,1]
	s_delay_alu instid0(VALU_DEP_1) | instskip(SKIP_1) | instid1(VALU_DEP_2)
	v_pk_fma_f32 v[108:109], v[104:105], v[102:103], v[106:107] op_sel_hi:[1,0,1]
	v_pk_fma_f32 v[102:103], v[104:105], v[102:103], v[106:107] neg_lo:[0,0,1] neg_hi:[0,0,1]
	v_mov_b32_e32 v103, v109
	s_delay_alu instid0(VALU_DEP_1)
	v_pk_add_f32 v[98:99], v[98:99], v[102:103]
	s_and_not1_b32 exec_lo, exec_lo, s18
	s_cbranch_execnz .LBB46_242
; %bb.243:
	s_or_b32 exec_lo, exec_lo, s18
.LBB46_244:
	s_delay_alu instid0(SALU_CYCLE_1) | instskip(SKIP_4) | instid1(VALU_DEP_1)
	s_or_b32 exec_lo, exec_lo, s17
	v_mov_b32_e32 v100, 0
	ds_load_b64 v[100:101], v100 offset:176
	s_wait_dscnt 0x0
	v_pk_mul_f32 v[102:103], v[98:99], v[100:101] op_sel:[1,1] op_sel_hi:[0,1]
	v_pk_fma_f32 v[104:105], v[98:99], v[100:101], v[102:103] op_sel_hi:[1,0,1]
	v_pk_fma_f32 v[98:99], v[98:99], v[100:101], v[102:103] neg_lo:[0,0,1] neg_hi:[0,0,1]
	s_delay_alu instid0(VALU_DEP_2)
	v_mov_b32_e32 v99, v105
	scratch_store_b64 off, v[98:99], off offset:176
.LBB46_245:
	s_wait_xcnt 0x0
	s_or_b32 exec_lo, exec_lo, s2
	scratch_load_b64 v[98:99], off, off offset:168
	v_cmp_lt_u32_e64 s1, 21, v0
	s_wait_loadcnt 0x0
	ds_store_b64 v1, v[98:99]
	s_wait_storecnt_dscnt 0x0
	s_barrier_signal -1
	s_barrier_wait -1
	s_wait_xcnt 0x0
	s_and_saveexec_b32 s2, s1
	s_cbranch_execz .LBB46_255
; %bb.246:
	s_and_not1_b32 vcc_lo, exec_lo, s3
	s_cbranch_vccnz .LBB46_248
; %bb.247:
	scratch_load_b64 v[98:99], v39, off
	ds_load_b64 v[100:101], v1
	s_wait_loadcnt_dscnt 0x0
	v_pk_mul_f32 v[102:103], v[100:101], v[98:99] op_sel:[1,1] op_sel_hi:[0,1]
	s_delay_alu instid0(VALU_DEP_1) | instskip(SKIP_1) | instid1(VALU_DEP_2)
	v_pk_fma_f32 v[104:105], v[100:101], v[98:99], v[102:103] op_sel_hi:[1,0,1]
	v_pk_fma_f32 v[98:99], v[100:101], v[98:99], v[102:103] neg_lo:[0,0,1] neg_hi:[0,0,1]
	v_mov_b32_e32 v99, v105
	s_cbranch_execz .LBB46_249
	s_branch .LBB46_250
.LBB46_248:
                                        ; implicit-def: $vgpr98_vgpr99
.LBB46_249:
	ds_load_b64 v[98:99], v1
.LBB46_250:
	s_and_saveexec_b32 s17, s0
	s_cbranch_execz .LBB46_254
; %bb.251:
	v_subrev_nc_u32_e32 v100, 22, v0
	s_movk_i32 s18, 0x230
	s_mov_b32 s0, 0
.LBB46_252:                             ; =>This Inner Loop Header: Depth=1
	scratch_load_b64 v[102:103], off, s16
	v_dual_mov_b32 v101, s18 :: v_dual_add_nc_u32 v100, -1, v100
	s_add_co_i32 s18, s18, 8
	s_wait_xcnt 0x0
	s_add_co_i32 s16, s16, 8
	ds_load_b64 v[104:105], v101
	v_cmp_eq_u32_e32 vcc_lo, 0, v100
	s_or_b32 s0, vcc_lo, s0
	s_wait_loadcnt_dscnt 0x0
	v_pk_mul_f32 v[106:107], v[104:105], v[102:103] op_sel:[1,1] op_sel_hi:[0,1]
	s_delay_alu instid0(VALU_DEP_1) | instskip(SKIP_1) | instid1(VALU_DEP_2)
	v_pk_fma_f32 v[108:109], v[104:105], v[102:103], v[106:107] op_sel_hi:[1,0,1]
	v_pk_fma_f32 v[102:103], v[104:105], v[102:103], v[106:107] neg_lo:[0,0,1] neg_hi:[0,0,1]
	v_mov_b32_e32 v103, v109
	s_delay_alu instid0(VALU_DEP_1)
	v_pk_add_f32 v[98:99], v[98:99], v[102:103]
	s_and_not1_b32 exec_lo, exec_lo, s0
	s_cbranch_execnz .LBB46_252
; %bb.253:
	s_or_b32 exec_lo, exec_lo, s0
.LBB46_254:
	s_delay_alu instid0(SALU_CYCLE_1) | instskip(SKIP_4) | instid1(VALU_DEP_1)
	s_or_b32 exec_lo, exec_lo, s17
	v_mov_b32_e32 v100, 0
	ds_load_b64 v[100:101], v100 offset:168
	s_wait_dscnt 0x0
	v_pk_mul_f32 v[102:103], v[98:99], v[100:101] op_sel:[1,1] op_sel_hi:[0,1]
	v_pk_fma_f32 v[104:105], v[98:99], v[100:101], v[102:103] op_sel_hi:[1,0,1]
	v_pk_fma_f32 v[98:99], v[98:99], v[100:101], v[102:103] neg_lo:[0,0,1] neg_hi:[0,0,1]
	s_delay_alu instid0(VALU_DEP_2)
	v_mov_b32_e32 v99, v105
	scratch_store_b64 off, v[98:99], off offset:168
.LBB46_255:
	s_wait_xcnt 0x0
	s_or_b32 exec_lo, exec_lo, s2
	scratch_load_b64 v[98:99], off, off offset:160
	v_cmp_lt_u32_e64 s0, 20, v0
	s_wait_loadcnt 0x0
	ds_store_b64 v1, v[98:99]
	s_wait_storecnt_dscnt 0x0
	s_barrier_signal -1
	s_barrier_wait -1
	s_wait_xcnt 0x0
	s_and_saveexec_b32 s2, s0
	s_cbranch_execz .LBB46_265
; %bb.256:
	s_and_not1_b32 vcc_lo, exec_lo, s3
	s_cbranch_vccnz .LBB46_258
; %bb.257:
	scratch_load_b64 v[98:99], v39, off
	ds_load_b64 v[100:101], v1
	s_wait_loadcnt_dscnt 0x0
	v_pk_mul_f32 v[102:103], v[100:101], v[98:99] op_sel:[1,1] op_sel_hi:[0,1]
	s_delay_alu instid0(VALU_DEP_1) | instskip(SKIP_1) | instid1(VALU_DEP_2)
	v_pk_fma_f32 v[104:105], v[100:101], v[98:99], v[102:103] op_sel_hi:[1,0,1]
	v_pk_fma_f32 v[98:99], v[100:101], v[98:99], v[102:103] neg_lo:[0,0,1] neg_hi:[0,0,1]
	v_mov_b32_e32 v99, v105
	s_cbranch_execz .LBB46_259
	s_branch .LBB46_260
.LBB46_258:
                                        ; implicit-def: $vgpr98_vgpr99
.LBB46_259:
	ds_load_b64 v[98:99], v1
.LBB46_260:
	s_and_saveexec_b32 s16, s1
	s_cbranch_execz .LBB46_264
; %bb.261:
	v_subrev_nc_u32_e32 v100, 21, v0
	s_movk_i32 s1, 0xa8
	s_movk_i32 s18, 0x228
	s_mov_b32 s17, 0
.LBB46_262:                             ; =>This Inner Loop Header: Depth=1
	scratch_load_b64 v[102:103], off, s1
	v_dual_mov_b32 v101, s18 :: v_dual_add_nc_u32 v100, -1, v100
	s_add_co_i32 s18, s18, 8
	s_wait_xcnt 0x0
	s_add_co_i32 s1, s1, 8
	ds_load_b64 v[104:105], v101
	v_cmp_eq_u32_e32 vcc_lo, 0, v100
	s_or_b32 s17, vcc_lo, s17
	s_wait_loadcnt_dscnt 0x0
	v_pk_mul_f32 v[106:107], v[104:105], v[102:103] op_sel:[1,1] op_sel_hi:[0,1]
	s_delay_alu instid0(VALU_DEP_1) | instskip(SKIP_1) | instid1(VALU_DEP_2)
	v_pk_fma_f32 v[108:109], v[104:105], v[102:103], v[106:107] op_sel_hi:[1,0,1]
	v_pk_fma_f32 v[102:103], v[104:105], v[102:103], v[106:107] neg_lo:[0,0,1] neg_hi:[0,0,1]
	v_mov_b32_e32 v103, v109
	s_delay_alu instid0(VALU_DEP_1)
	v_pk_add_f32 v[98:99], v[98:99], v[102:103]
	s_and_not1_b32 exec_lo, exec_lo, s17
	s_cbranch_execnz .LBB46_262
; %bb.263:
	s_or_b32 exec_lo, exec_lo, s17
.LBB46_264:
	s_delay_alu instid0(SALU_CYCLE_1) | instskip(SKIP_4) | instid1(VALU_DEP_1)
	s_or_b32 exec_lo, exec_lo, s16
	v_mov_b32_e32 v100, 0
	ds_load_b64 v[100:101], v100 offset:160
	s_wait_dscnt 0x0
	v_pk_mul_f32 v[102:103], v[98:99], v[100:101] op_sel:[1,1] op_sel_hi:[0,1]
	v_pk_fma_f32 v[104:105], v[98:99], v[100:101], v[102:103] op_sel_hi:[1,0,1]
	v_pk_fma_f32 v[98:99], v[98:99], v[100:101], v[102:103] neg_lo:[0,0,1] neg_hi:[0,0,1]
	s_delay_alu instid0(VALU_DEP_2)
	v_mov_b32_e32 v99, v105
	scratch_store_b64 off, v[98:99], off offset:160
.LBB46_265:
	s_wait_xcnt 0x0
	s_or_b32 exec_lo, exec_lo, s2
	scratch_load_b64 v[98:99], off, off offset:152
	v_cmp_lt_u32_e64 s1, 19, v0
	s_wait_loadcnt 0x0
	ds_store_b64 v1, v[98:99]
	s_wait_storecnt_dscnt 0x0
	s_barrier_signal -1
	s_barrier_wait -1
	s_wait_xcnt 0x0
	s_and_saveexec_b32 s2, s1
	s_cbranch_execz .LBB46_275
; %bb.266:
	s_and_not1_b32 vcc_lo, exec_lo, s3
	s_cbranch_vccnz .LBB46_268
; %bb.267:
	scratch_load_b64 v[98:99], v39, off
	ds_load_b64 v[100:101], v1
	s_wait_loadcnt_dscnt 0x0
	v_pk_mul_f32 v[102:103], v[100:101], v[98:99] op_sel:[1,1] op_sel_hi:[0,1]
	s_delay_alu instid0(VALU_DEP_1) | instskip(SKIP_1) | instid1(VALU_DEP_2)
	v_pk_fma_f32 v[104:105], v[100:101], v[98:99], v[102:103] op_sel_hi:[1,0,1]
	v_pk_fma_f32 v[98:99], v[100:101], v[98:99], v[102:103] neg_lo:[0,0,1] neg_hi:[0,0,1]
	v_mov_b32_e32 v99, v105
	s_cbranch_execz .LBB46_269
	s_branch .LBB46_270
.LBB46_268:
                                        ; implicit-def: $vgpr98_vgpr99
.LBB46_269:
	ds_load_b64 v[98:99], v1
.LBB46_270:
	s_and_saveexec_b32 s16, s0
	s_cbranch_execz .LBB46_274
; %bb.271:
	v_subrev_nc_u32_e32 v100, 20, v0
	s_movk_i32 s17, 0x220
	s_mov_b32 s0, 0
.LBB46_272:                             ; =>This Inner Loop Header: Depth=1
	scratch_load_b64 v[102:103], off, s15
	v_dual_mov_b32 v101, s17 :: v_dual_add_nc_u32 v100, -1, v100
	s_add_co_i32 s17, s17, 8
	s_wait_xcnt 0x0
	s_add_co_i32 s15, s15, 8
	ds_load_b64 v[104:105], v101
	v_cmp_eq_u32_e32 vcc_lo, 0, v100
	s_or_b32 s0, vcc_lo, s0
	s_wait_loadcnt_dscnt 0x0
	v_pk_mul_f32 v[106:107], v[104:105], v[102:103] op_sel:[1,1] op_sel_hi:[0,1]
	s_delay_alu instid0(VALU_DEP_1) | instskip(SKIP_1) | instid1(VALU_DEP_2)
	v_pk_fma_f32 v[108:109], v[104:105], v[102:103], v[106:107] op_sel_hi:[1,0,1]
	v_pk_fma_f32 v[102:103], v[104:105], v[102:103], v[106:107] neg_lo:[0,0,1] neg_hi:[0,0,1]
	v_mov_b32_e32 v103, v109
	s_delay_alu instid0(VALU_DEP_1)
	v_pk_add_f32 v[98:99], v[98:99], v[102:103]
	s_and_not1_b32 exec_lo, exec_lo, s0
	s_cbranch_execnz .LBB46_272
; %bb.273:
	s_or_b32 exec_lo, exec_lo, s0
.LBB46_274:
	s_delay_alu instid0(SALU_CYCLE_1) | instskip(SKIP_4) | instid1(VALU_DEP_1)
	s_or_b32 exec_lo, exec_lo, s16
	v_mov_b32_e32 v100, 0
	ds_load_b64 v[100:101], v100 offset:152
	s_wait_dscnt 0x0
	v_pk_mul_f32 v[102:103], v[98:99], v[100:101] op_sel:[1,1] op_sel_hi:[0,1]
	v_pk_fma_f32 v[104:105], v[98:99], v[100:101], v[102:103] op_sel_hi:[1,0,1]
	v_pk_fma_f32 v[98:99], v[98:99], v[100:101], v[102:103] neg_lo:[0,0,1] neg_hi:[0,0,1]
	s_delay_alu instid0(VALU_DEP_2)
	v_mov_b32_e32 v99, v105
	scratch_store_b64 off, v[98:99], off offset:152
.LBB46_275:
	s_wait_xcnt 0x0
	s_or_b32 exec_lo, exec_lo, s2
	scratch_load_b64 v[98:99], off, off offset:144
	v_cmp_lt_u32_e64 s0, 18, v0
	s_wait_loadcnt 0x0
	ds_store_b64 v1, v[98:99]
	s_wait_storecnt_dscnt 0x0
	s_barrier_signal -1
	s_barrier_wait -1
	s_wait_xcnt 0x0
	s_and_saveexec_b32 s2, s0
	s_cbranch_execz .LBB46_285
; %bb.276:
	s_and_not1_b32 vcc_lo, exec_lo, s3
	s_cbranch_vccnz .LBB46_278
; %bb.277:
	scratch_load_b64 v[98:99], v39, off
	ds_load_b64 v[100:101], v1
	s_wait_loadcnt_dscnt 0x0
	v_pk_mul_f32 v[102:103], v[100:101], v[98:99] op_sel:[1,1] op_sel_hi:[0,1]
	s_delay_alu instid0(VALU_DEP_1) | instskip(SKIP_1) | instid1(VALU_DEP_2)
	v_pk_fma_f32 v[104:105], v[100:101], v[98:99], v[102:103] op_sel_hi:[1,0,1]
	v_pk_fma_f32 v[98:99], v[100:101], v[98:99], v[102:103] neg_lo:[0,0,1] neg_hi:[0,0,1]
	v_mov_b32_e32 v99, v105
	s_cbranch_execz .LBB46_279
	s_branch .LBB46_280
.LBB46_278:
                                        ; implicit-def: $vgpr98_vgpr99
.LBB46_279:
	ds_load_b64 v[98:99], v1
.LBB46_280:
	s_and_saveexec_b32 s15, s1
	s_cbranch_execz .LBB46_284
; %bb.281:
	v_subrev_nc_u32_e32 v100, 19, v0
	s_movk_i32 s1, 0x98
	s_movk_i32 s17, 0x218
	s_mov_b32 s16, 0
.LBB46_282:                             ; =>This Inner Loop Header: Depth=1
	scratch_load_b64 v[102:103], off, s1
	v_dual_mov_b32 v101, s17 :: v_dual_add_nc_u32 v100, -1, v100
	s_add_co_i32 s17, s17, 8
	s_wait_xcnt 0x0
	s_add_co_i32 s1, s1, 8
	ds_load_b64 v[104:105], v101
	v_cmp_eq_u32_e32 vcc_lo, 0, v100
	s_or_b32 s16, vcc_lo, s16
	s_wait_loadcnt_dscnt 0x0
	v_pk_mul_f32 v[106:107], v[104:105], v[102:103] op_sel:[1,1] op_sel_hi:[0,1]
	s_delay_alu instid0(VALU_DEP_1) | instskip(SKIP_1) | instid1(VALU_DEP_2)
	v_pk_fma_f32 v[108:109], v[104:105], v[102:103], v[106:107] op_sel_hi:[1,0,1]
	v_pk_fma_f32 v[102:103], v[104:105], v[102:103], v[106:107] neg_lo:[0,0,1] neg_hi:[0,0,1]
	v_mov_b32_e32 v103, v109
	s_delay_alu instid0(VALU_DEP_1)
	v_pk_add_f32 v[98:99], v[98:99], v[102:103]
	s_and_not1_b32 exec_lo, exec_lo, s16
	s_cbranch_execnz .LBB46_282
; %bb.283:
	s_or_b32 exec_lo, exec_lo, s16
.LBB46_284:
	s_delay_alu instid0(SALU_CYCLE_1) | instskip(SKIP_4) | instid1(VALU_DEP_1)
	s_or_b32 exec_lo, exec_lo, s15
	v_mov_b32_e32 v100, 0
	ds_load_b64 v[100:101], v100 offset:144
	s_wait_dscnt 0x0
	v_pk_mul_f32 v[102:103], v[98:99], v[100:101] op_sel:[1,1] op_sel_hi:[0,1]
	v_pk_fma_f32 v[104:105], v[98:99], v[100:101], v[102:103] op_sel_hi:[1,0,1]
	v_pk_fma_f32 v[98:99], v[98:99], v[100:101], v[102:103] neg_lo:[0,0,1] neg_hi:[0,0,1]
	s_delay_alu instid0(VALU_DEP_2)
	v_mov_b32_e32 v99, v105
	scratch_store_b64 off, v[98:99], off offset:144
.LBB46_285:
	s_wait_xcnt 0x0
	s_or_b32 exec_lo, exec_lo, s2
	scratch_load_b64 v[98:99], off, off offset:136
	v_cmp_lt_u32_e64 s1, 17, v0
	s_wait_loadcnt 0x0
	ds_store_b64 v1, v[98:99]
	s_wait_storecnt_dscnt 0x0
	s_barrier_signal -1
	s_barrier_wait -1
	s_wait_xcnt 0x0
	s_and_saveexec_b32 s2, s1
	s_cbranch_execz .LBB46_295
; %bb.286:
	s_and_not1_b32 vcc_lo, exec_lo, s3
	s_cbranch_vccnz .LBB46_288
; %bb.287:
	scratch_load_b64 v[98:99], v39, off
	ds_load_b64 v[100:101], v1
	s_wait_loadcnt_dscnt 0x0
	v_pk_mul_f32 v[102:103], v[100:101], v[98:99] op_sel:[1,1] op_sel_hi:[0,1]
	s_delay_alu instid0(VALU_DEP_1) | instskip(SKIP_1) | instid1(VALU_DEP_2)
	v_pk_fma_f32 v[104:105], v[100:101], v[98:99], v[102:103] op_sel_hi:[1,0,1]
	v_pk_fma_f32 v[98:99], v[100:101], v[98:99], v[102:103] neg_lo:[0,0,1] neg_hi:[0,0,1]
	v_mov_b32_e32 v99, v105
	s_cbranch_execz .LBB46_289
	s_branch .LBB46_290
.LBB46_288:
                                        ; implicit-def: $vgpr98_vgpr99
.LBB46_289:
	ds_load_b64 v[98:99], v1
.LBB46_290:
	s_and_saveexec_b32 s15, s0
	s_cbranch_execz .LBB46_294
; %bb.291:
	v_subrev_nc_u32_e32 v100, 18, v0
	s_movk_i32 s16, 0x210
	s_mov_b32 s0, 0
.LBB46_292:                             ; =>This Inner Loop Header: Depth=1
	scratch_load_b64 v[102:103], off, s14
	v_dual_mov_b32 v101, s16 :: v_dual_add_nc_u32 v100, -1, v100
	s_add_co_i32 s16, s16, 8
	s_wait_xcnt 0x0
	s_add_co_i32 s14, s14, 8
	ds_load_b64 v[104:105], v101
	v_cmp_eq_u32_e32 vcc_lo, 0, v100
	s_or_b32 s0, vcc_lo, s0
	s_wait_loadcnt_dscnt 0x0
	v_pk_mul_f32 v[106:107], v[104:105], v[102:103] op_sel:[1,1] op_sel_hi:[0,1]
	s_delay_alu instid0(VALU_DEP_1) | instskip(SKIP_1) | instid1(VALU_DEP_2)
	v_pk_fma_f32 v[108:109], v[104:105], v[102:103], v[106:107] op_sel_hi:[1,0,1]
	v_pk_fma_f32 v[102:103], v[104:105], v[102:103], v[106:107] neg_lo:[0,0,1] neg_hi:[0,0,1]
	v_mov_b32_e32 v103, v109
	s_delay_alu instid0(VALU_DEP_1)
	v_pk_add_f32 v[98:99], v[98:99], v[102:103]
	s_and_not1_b32 exec_lo, exec_lo, s0
	s_cbranch_execnz .LBB46_292
; %bb.293:
	s_or_b32 exec_lo, exec_lo, s0
.LBB46_294:
	s_delay_alu instid0(SALU_CYCLE_1) | instskip(SKIP_4) | instid1(VALU_DEP_1)
	s_or_b32 exec_lo, exec_lo, s15
	v_mov_b32_e32 v100, 0
	ds_load_b64 v[100:101], v100 offset:136
	s_wait_dscnt 0x0
	v_pk_mul_f32 v[102:103], v[98:99], v[100:101] op_sel:[1,1] op_sel_hi:[0,1]
	v_pk_fma_f32 v[104:105], v[98:99], v[100:101], v[102:103] op_sel_hi:[1,0,1]
	v_pk_fma_f32 v[98:99], v[98:99], v[100:101], v[102:103] neg_lo:[0,0,1] neg_hi:[0,0,1]
	s_delay_alu instid0(VALU_DEP_2)
	v_mov_b32_e32 v99, v105
	scratch_store_b64 off, v[98:99], off offset:136
.LBB46_295:
	s_wait_xcnt 0x0
	s_or_b32 exec_lo, exec_lo, s2
	scratch_load_b64 v[98:99], off, off offset:128
	v_cmp_lt_u32_e64 s0, 16, v0
	s_wait_loadcnt 0x0
	ds_store_b64 v1, v[98:99]
	s_wait_storecnt_dscnt 0x0
	s_barrier_signal -1
	s_barrier_wait -1
	s_wait_xcnt 0x0
	s_and_saveexec_b32 s2, s0
	s_cbranch_execz .LBB46_305
; %bb.296:
	s_and_not1_b32 vcc_lo, exec_lo, s3
	s_cbranch_vccnz .LBB46_298
; %bb.297:
	scratch_load_b64 v[98:99], v39, off
	ds_load_b64 v[100:101], v1
	s_wait_loadcnt_dscnt 0x0
	v_pk_mul_f32 v[102:103], v[100:101], v[98:99] op_sel:[1,1] op_sel_hi:[0,1]
	s_delay_alu instid0(VALU_DEP_1) | instskip(SKIP_1) | instid1(VALU_DEP_2)
	v_pk_fma_f32 v[104:105], v[100:101], v[98:99], v[102:103] op_sel_hi:[1,0,1]
	v_pk_fma_f32 v[98:99], v[100:101], v[98:99], v[102:103] neg_lo:[0,0,1] neg_hi:[0,0,1]
	v_mov_b32_e32 v99, v105
	s_cbranch_execz .LBB46_299
	s_branch .LBB46_300
.LBB46_298:
                                        ; implicit-def: $vgpr98_vgpr99
.LBB46_299:
	ds_load_b64 v[98:99], v1
.LBB46_300:
	s_and_saveexec_b32 s14, s1
	s_cbranch_execz .LBB46_304
; %bb.301:
	v_subrev_nc_u32_e32 v100, 17, v0
	s_movk_i32 s1, 0x88
	s_movk_i32 s16, 0x208
	s_mov_b32 s15, 0
.LBB46_302:                             ; =>This Inner Loop Header: Depth=1
	scratch_load_b64 v[102:103], off, s1
	v_dual_mov_b32 v101, s16 :: v_dual_add_nc_u32 v100, -1, v100
	s_add_co_i32 s16, s16, 8
	s_wait_xcnt 0x0
	s_add_co_i32 s1, s1, 8
	ds_load_b64 v[104:105], v101
	v_cmp_eq_u32_e32 vcc_lo, 0, v100
	s_or_b32 s15, vcc_lo, s15
	s_wait_loadcnt_dscnt 0x0
	v_pk_mul_f32 v[106:107], v[104:105], v[102:103] op_sel:[1,1] op_sel_hi:[0,1]
	s_delay_alu instid0(VALU_DEP_1) | instskip(SKIP_1) | instid1(VALU_DEP_2)
	v_pk_fma_f32 v[108:109], v[104:105], v[102:103], v[106:107] op_sel_hi:[1,0,1]
	v_pk_fma_f32 v[102:103], v[104:105], v[102:103], v[106:107] neg_lo:[0,0,1] neg_hi:[0,0,1]
	v_mov_b32_e32 v103, v109
	s_delay_alu instid0(VALU_DEP_1)
	v_pk_add_f32 v[98:99], v[98:99], v[102:103]
	s_and_not1_b32 exec_lo, exec_lo, s15
	s_cbranch_execnz .LBB46_302
; %bb.303:
	s_or_b32 exec_lo, exec_lo, s15
.LBB46_304:
	s_delay_alu instid0(SALU_CYCLE_1) | instskip(SKIP_4) | instid1(VALU_DEP_1)
	s_or_b32 exec_lo, exec_lo, s14
	v_mov_b32_e32 v100, 0
	ds_load_b64 v[100:101], v100 offset:128
	s_wait_dscnt 0x0
	v_pk_mul_f32 v[102:103], v[98:99], v[100:101] op_sel:[1,1] op_sel_hi:[0,1]
	v_pk_fma_f32 v[104:105], v[98:99], v[100:101], v[102:103] op_sel_hi:[1,0,1]
	v_pk_fma_f32 v[98:99], v[98:99], v[100:101], v[102:103] neg_lo:[0,0,1] neg_hi:[0,0,1]
	s_delay_alu instid0(VALU_DEP_2)
	v_mov_b32_e32 v99, v105
	scratch_store_b64 off, v[98:99], off offset:128
.LBB46_305:
	s_wait_xcnt 0x0
	s_or_b32 exec_lo, exec_lo, s2
	scratch_load_b64 v[98:99], off, off offset:120
	v_cmp_lt_u32_e64 s1, 15, v0
	s_wait_loadcnt 0x0
	ds_store_b64 v1, v[98:99]
	s_wait_storecnt_dscnt 0x0
	s_barrier_signal -1
	s_barrier_wait -1
	s_wait_xcnt 0x0
	s_and_saveexec_b32 s2, s1
	s_cbranch_execz .LBB46_315
; %bb.306:
	s_and_not1_b32 vcc_lo, exec_lo, s3
	s_cbranch_vccnz .LBB46_308
; %bb.307:
	scratch_load_b64 v[98:99], v39, off
	ds_load_b64 v[100:101], v1
	s_wait_loadcnt_dscnt 0x0
	v_pk_mul_f32 v[102:103], v[100:101], v[98:99] op_sel:[1,1] op_sel_hi:[0,1]
	s_delay_alu instid0(VALU_DEP_1) | instskip(SKIP_1) | instid1(VALU_DEP_2)
	v_pk_fma_f32 v[104:105], v[100:101], v[98:99], v[102:103] op_sel_hi:[1,0,1]
	v_pk_fma_f32 v[98:99], v[100:101], v[98:99], v[102:103] neg_lo:[0,0,1] neg_hi:[0,0,1]
	v_mov_b32_e32 v99, v105
	s_cbranch_execz .LBB46_309
	s_branch .LBB46_310
.LBB46_308:
                                        ; implicit-def: $vgpr98_vgpr99
.LBB46_309:
	ds_load_b64 v[98:99], v1
.LBB46_310:
	s_and_saveexec_b32 s14, s0
	s_cbranch_execz .LBB46_314
; %bb.311:
	v_add_nc_u32_e32 v100, -16, v0
	s_movk_i32 s15, 0x200
	s_mov_b32 s0, 0
.LBB46_312:                             ; =>This Inner Loop Header: Depth=1
	scratch_load_b64 v[102:103], off, s13
	v_dual_mov_b32 v101, s15 :: v_dual_add_nc_u32 v100, -1, v100
	s_add_co_i32 s15, s15, 8
	s_wait_xcnt 0x0
	s_add_co_i32 s13, s13, 8
	ds_load_b64 v[104:105], v101
	v_cmp_eq_u32_e32 vcc_lo, 0, v100
	s_or_b32 s0, vcc_lo, s0
	s_wait_loadcnt_dscnt 0x0
	v_pk_mul_f32 v[106:107], v[104:105], v[102:103] op_sel:[1,1] op_sel_hi:[0,1]
	s_delay_alu instid0(VALU_DEP_1) | instskip(SKIP_1) | instid1(VALU_DEP_2)
	v_pk_fma_f32 v[108:109], v[104:105], v[102:103], v[106:107] op_sel_hi:[1,0,1]
	v_pk_fma_f32 v[102:103], v[104:105], v[102:103], v[106:107] neg_lo:[0,0,1] neg_hi:[0,0,1]
	v_mov_b32_e32 v103, v109
	s_delay_alu instid0(VALU_DEP_1)
	v_pk_add_f32 v[98:99], v[98:99], v[102:103]
	s_and_not1_b32 exec_lo, exec_lo, s0
	s_cbranch_execnz .LBB46_312
; %bb.313:
	s_or_b32 exec_lo, exec_lo, s0
.LBB46_314:
	s_delay_alu instid0(SALU_CYCLE_1) | instskip(SKIP_4) | instid1(VALU_DEP_1)
	s_or_b32 exec_lo, exec_lo, s14
	v_mov_b32_e32 v100, 0
	ds_load_b64 v[100:101], v100 offset:120
	s_wait_dscnt 0x0
	v_pk_mul_f32 v[102:103], v[98:99], v[100:101] op_sel:[1,1] op_sel_hi:[0,1]
	v_pk_fma_f32 v[104:105], v[98:99], v[100:101], v[102:103] op_sel_hi:[1,0,1]
	v_pk_fma_f32 v[98:99], v[98:99], v[100:101], v[102:103] neg_lo:[0,0,1] neg_hi:[0,0,1]
	s_delay_alu instid0(VALU_DEP_2)
	v_mov_b32_e32 v99, v105
	scratch_store_b64 off, v[98:99], off offset:120
.LBB46_315:
	s_wait_xcnt 0x0
	s_or_b32 exec_lo, exec_lo, s2
	scratch_load_b64 v[98:99], off, off offset:112
	v_cmp_lt_u32_e64 s0, 14, v0
	s_wait_loadcnt 0x0
	ds_store_b64 v1, v[98:99]
	s_wait_storecnt_dscnt 0x0
	s_barrier_signal -1
	s_barrier_wait -1
	s_wait_xcnt 0x0
	s_and_saveexec_b32 s2, s0
	s_cbranch_execz .LBB46_325
; %bb.316:
	s_and_not1_b32 vcc_lo, exec_lo, s3
	s_cbranch_vccnz .LBB46_318
; %bb.317:
	scratch_load_b64 v[98:99], v39, off
	ds_load_b64 v[100:101], v1
	s_wait_loadcnt_dscnt 0x0
	v_pk_mul_f32 v[102:103], v[100:101], v[98:99] op_sel:[1,1] op_sel_hi:[0,1]
	s_delay_alu instid0(VALU_DEP_1) | instskip(SKIP_1) | instid1(VALU_DEP_2)
	v_pk_fma_f32 v[104:105], v[100:101], v[98:99], v[102:103] op_sel_hi:[1,0,1]
	v_pk_fma_f32 v[98:99], v[100:101], v[98:99], v[102:103] neg_lo:[0,0,1] neg_hi:[0,0,1]
	v_mov_b32_e32 v99, v105
	s_cbranch_execz .LBB46_319
	s_branch .LBB46_320
.LBB46_318:
                                        ; implicit-def: $vgpr98_vgpr99
.LBB46_319:
	ds_load_b64 v[98:99], v1
.LBB46_320:
	s_and_saveexec_b32 s13, s1
	s_cbranch_execz .LBB46_324
; %bb.321:
	v_add_nc_u32_e32 v100, -15, v0
	s_movk_i32 s1, 0x78
	s_movk_i32 s15, 0x1f8
	s_mov_b32 s14, 0
.LBB46_322:                             ; =>This Inner Loop Header: Depth=1
	scratch_load_b64 v[102:103], off, s1
	v_dual_mov_b32 v101, s15 :: v_dual_add_nc_u32 v100, -1, v100
	s_add_co_i32 s15, s15, 8
	s_wait_xcnt 0x0
	s_add_co_i32 s1, s1, 8
	ds_load_b64 v[104:105], v101
	v_cmp_eq_u32_e32 vcc_lo, 0, v100
	s_or_b32 s14, vcc_lo, s14
	s_wait_loadcnt_dscnt 0x0
	v_pk_mul_f32 v[106:107], v[104:105], v[102:103] op_sel:[1,1] op_sel_hi:[0,1]
	s_delay_alu instid0(VALU_DEP_1) | instskip(SKIP_1) | instid1(VALU_DEP_2)
	v_pk_fma_f32 v[108:109], v[104:105], v[102:103], v[106:107] op_sel_hi:[1,0,1]
	v_pk_fma_f32 v[102:103], v[104:105], v[102:103], v[106:107] neg_lo:[0,0,1] neg_hi:[0,0,1]
	v_mov_b32_e32 v103, v109
	s_delay_alu instid0(VALU_DEP_1)
	v_pk_add_f32 v[98:99], v[98:99], v[102:103]
	s_and_not1_b32 exec_lo, exec_lo, s14
	s_cbranch_execnz .LBB46_322
; %bb.323:
	s_or_b32 exec_lo, exec_lo, s14
.LBB46_324:
	s_delay_alu instid0(SALU_CYCLE_1) | instskip(SKIP_4) | instid1(VALU_DEP_1)
	s_or_b32 exec_lo, exec_lo, s13
	v_mov_b32_e32 v100, 0
	ds_load_b64 v[100:101], v100 offset:112
	s_wait_dscnt 0x0
	v_pk_mul_f32 v[102:103], v[98:99], v[100:101] op_sel:[1,1] op_sel_hi:[0,1]
	v_pk_fma_f32 v[104:105], v[98:99], v[100:101], v[102:103] op_sel_hi:[1,0,1]
	v_pk_fma_f32 v[98:99], v[98:99], v[100:101], v[102:103] neg_lo:[0,0,1] neg_hi:[0,0,1]
	s_delay_alu instid0(VALU_DEP_2)
	v_mov_b32_e32 v99, v105
	scratch_store_b64 off, v[98:99], off offset:112
.LBB46_325:
	s_wait_xcnt 0x0
	s_or_b32 exec_lo, exec_lo, s2
	scratch_load_b64 v[98:99], off, off offset:104
	v_cmp_lt_u32_e64 s1, 13, v0
	s_wait_loadcnt 0x0
	ds_store_b64 v1, v[98:99]
	s_wait_storecnt_dscnt 0x0
	s_barrier_signal -1
	s_barrier_wait -1
	s_wait_xcnt 0x0
	s_and_saveexec_b32 s2, s1
	s_cbranch_execz .LBB46_335
; %bb.326:
	s_and_not1_b32 vcc_lo, exec_lo, s3
	s_cbranch_vccnz .LBB46_328
; %bb.327:
	scratch_load_b64 v[98:99], v39, off
	ds_load_b64 v[100:101], v1
	s_wait_loadcnt_dscnt 0x0
	v_pk_mul_f32 v[102:103], v[100:101], v[98:99] op_sel:[1,1] op_sel_hi:[0,1]
	s_delay_alu instid0(VALU_DEP_1) | instskip(SKIP_1) | instid1(VALU_DEP_2)
	v_pk_fma_f32 v[104:105], v[100:101], v[98:99], v[102:103] op_sel_hi:[1,0,1]
	v_pk_fma_f32 v[98:99], v[100:101], v[98:99], v[102:103] neg_lo:[0,0,1] neg_hi:[0,0,1]
	v_mov_b32_e32 v99, v105
	s_cbranch_execz .LBB46_329
	s_branch .LBB46_330
.LBB46_328:
                                        ; implicit-def: $vgpr98_vgpr99
.LBB46_329:
	ds_load_b64 v[98:99], v1
.LBB46_330:
	s_and_saveexec_b32 s13, s0
	s_cbranch_execz .LBB46_334
; %bb.331:
	v_add_nc_u32_e32 v100, -14, v0
	s_movk_i32 s14, 0x1f0
	s_mov_b32 s0, 0
.LBB46_332:                             ; =>This Inner Loop Header: Depth=1
	scratch_load_b64 v[102:103], off, s12
	v_dual_mov_b32 v101, s14 :: v_dual_add_nc_u32 v100, -1, v100
	s_add_co_i32 s14, s14, 8
	s_wait_xcnt 0x0
	s_add_co_i32 s12, s12, 8
	ds_load_b64 v[104:105], v101
	v_cmp_eq_u32_e32 vcc_lo, 0, v100
	s_or_b32 s0, vcc_lo, s0
	s_wait_loadcnt_dscnt 0x0
	v_pk_mul_f32 v[106:107], v[104:105], v[102:103] op_sel:[1,1] op_sel_hi:[0,1]
	s_delay_alu instid0(VALU_DEP_1) | instskip(SKIP_1) | instid1(VALU_DEP_2)
	v_pk_fma_f32 v[108:109], v[104:105], v[102:103], v[106:107] op_sel_hi:[1,0,1]
	v_pk_fma_f32 v[102:103], v[104:105], v[102:103], v[106:107] neg_lo:[0,0,1] neg_hi:[0,0,1]
	v_mov_b32_e32 v103, v109
	s_delay_alu instid0(VALU_DEP_1)
	v_pk_add_f32 v[98:99], v[98:99], v[102:103]
	s_and_not1_b32 exec_lo, exec_lo, s0
	s_cbranch_execnz .LBB46_332
; %bb.333:
	s_or_b32 exec_lo, exec_lo, s0
.LBB46_334:
	s_delay_alu instid0(SALU_CYCLE_1) | instskip(SKIP_4) | instid1(VALU_DEP_1)
	s_or_b32 exec_lo, exec_lo, s13
	v_mov_b32_e32 v100, 0
	ds_load_b64 v[100:101], v100 offset:104
	s_wait_dscnt 0x0
	v_pk_mul_f32 v[102:103], v[98:99], v[100:101] op_sel:[1,1] op_sel_hi:[0,1]
	v_pk_fma_f32 v[104:105], v[98:99], v[100:101], v[102:103] op_sel_hi:[1,0,1]
	v_pk_fma_f32 v[98:99], v[98:99], v[100:101], v[102:103] neg_lo:[0,0,1] neg_hi:[0,0,1]
	s_delay_alu instid0(VALU_DEP_2)
	v_mov_b32_e32 v99, v105
	scratch_store_b64 off, v[98:99], off offset:104
.LBB46_335:
	s_wait_xcnt 0x0
	s_or_b32 exec_lo, exec_lo, s2
	scratch_load_b64 v[98:99], off, off offset:96
	v_cmp_lt_u32_e64 s0, 12, v0
	s_wait_loadcnt 0x0
	ds_store_b64 v1, v[98:99]
	s_wait_storecnt_dscnt 0x0
	s_barrier_signal -1
	s_barrier_wait -1
	s_wait_xcnt 0x0
	s_and_saveexec_b32 s2, s0
	s_cbranch_execz .LBB46_345
; %bb.336:
	s_and_not1_b32 vcc_lo, exec_lo, s3
	s_cbranch_vccnz .LBB46_338
; %bb.337:
	scratch_load_b64 v[98:99], v39, off
	ds_load_b64 v[100:101], v1
	s_wait_loadcnt_dscnt 0x0
	v_pk_mul_f32 v[102:103], v[100:101], v[98:99] op_sel:[1,1] op_sel_hi:[0,1]
	s_delay_alu instid0(VALU_DEP_1) | instskip(SKIP_1) | instid1(VALU_DEP_2)
	v_pk_fma_f32 v[104:105], v[100:101], v[98:99], v[102:103] op_sel_hi:[1,0,1]
	v_pk_fma_f32 v[98:99], v[100:101], v[98:99], v[102:103] neg_lo:[0,0,1] neg_hi:[0,0,1]
	v_mov_b32_e32 v99, v105
	s_cbranch_execz .LBB46_339
	s_branch .LBB46_340
.LBB46_338:
                                        ; implicit-def: $vgpr98_vgpr99
.LBB46_339:
	ds_load_b64 v[98:99], v1
.LBB46_340:
	s_and_saveexec_b32 s12, s1
	s_cbranch_execz .LBB46_344
; %bb.341:
	v_add_nc_u32_e32 v100, -13, v0
	s_movk_i32 s1, 0x68
	s_movk_i32 s14, 0x1e8
	s_mov_b32 s13, 0
.LBB46_342:                             ; =>This Inner Loop Header: Depth=1
	scratch_load_b64 v[102:103], off, s1
	v_dual_mov_b32 v101, s14 :: v_dual_add_nc_u32 v100, -1, v100
	s_add_co_i32 s14, s14, 8
	s_wait_xcnt 0x0
	s_add_co_i32 s1, s1, 8
	ds_load_b64 v[104:105], v101
	v_cmp_eq_u32_e32 vcc_lo, 0, v100
	s_or_b32 s13, vcc_lo, s13
	s_wait_loadcnt_dscnt 0x0
	v_pk_mul_f32 v[106:107], v[104:105], v[102:103] op_sel:[1,1] op_sel_hi:[0,1]
	s_delay_alu instid0(VALU_DEP_1) | instskip(SKIP_1) | instid1(VALU_DEP_2)
	v_pk_fma_f32 v[108:109], v[104:105], v[102:103], v[106:107] op_sel_hi:[1,0,1]
	v_pk_fma_f32 v[102:103], v[104:105], v[102:103], v[106:107] neg_lo:[0,0,1] neg_hi:[0,0,1]
	v_mov_b32_e32 v103, v109
	s_delay_alu instid0(VALU_DEP_1)
	v_pk_add_f32 v[98:99], v[98:99], v[102:103]
	s_and_not1_b32 exec_lo, exec_lo, s13
	s_cbranch_execnz .LBB46_342
; %bb.343:
	s_or_b32 exec_lo, exec_lo, s13
.LBB46_344:
	s_delay_alu instid0(SALU_CYCLE_1) | instskip(SKIP_4) | instid1(VALU_DEP_1)
	s_or_b32 exec_lo, exec_lo, s12
	v_mov_b32_e32 v100, 0
	ds_load_b64 v[100:101], v100 offset:96
	s_wait_dscnt 0x0
	v_pk_mul_f32 v[102:103], v[98:99], v[100:101] op_sel:[1,1] op_sel_hi:[0,1]
	v_pk_fma_f32 v[104:105], v[98:99], v[100:101], v[102:103] op_sel_hi:[1,0,1]
	v_pk_fma_f32 v[98:99], v[98:99], v[100:101], v[102:103] neg_lo:[0,0,1] neg_hi:[0,0,1]
	s_delay_alu instid0(VALU_DEP_2)
	v_mov_b32_e32 v99, v105
	scratch_store_b64 off, v[98:99], off offset:96
.LBB46_345:
	s_wait_xcnt 0x0
	s_or_b32 exec_lo, exec_lo, s2
	scratch_load_b64 v[98:99], off, off offset:88
	v_cmp_lt_u32_e64 s1, 11, v0
	s_wait_loadcnt 0x0
	ds_store_b64 v1, v[98:99]
	s_wait_storecnt_dscnt 0x0
	s_barrier_signal -1
	s_barrier_wait -1
	s_wait_xcnt 0x0
	s_and_saveexec_b32 s2, s1
	s_cbranch_execz .LBB46_355
; %bb.346:
	s_and_not1_b32 vcc_lo, exec_lo, s3
	s_cbranch_vccnz .LBB46_348
; %bb.347:
	scratch_load_b64 v[98:99], v39, off
	ds_load_b64 v[100:101], v1
	s_wait_loadcnt_dscnt 0x0
	v_pk_mul_f32 v[102:103], v[100:101], v[98:99] op_sel:[1,1] op_sel_hi:[0,1]
	s_delay_alu instid0(VALU_DEP_1) | instskip(SKIP_1) | instid1(VALU_DEP_2)
	v_pk_fma_f32 v[104:105], v[100:101], v[98:99], v[102:103] op_sel_hi:[1,0,1]
	v_pk_fma_f32 v[98:99], v[100:101], v[98:99], v[102:103] neg_lo:[0,0,1] neg_hi:[0,0,1]
	v_mov_b32_e32 v99, v105
	s_cbranch_execz .LBB46_349
	s_branch .LBB46_350
.LBB46_348:
                                        ; implicit-def: $vgpr98_vgpr99
.LBB46_349:
	ds_load_b64 v[98:99], v1
.LBB46_350:
	s_and_saveexec_b32 s12, s0
	s_cbranch_execz .LBB46_354
; %bb.351:
	v_add_nc_u32_e32 v100, -12, v0
	s_movk_i32 s13, 0x1e0
	s_mov_b32 s0, 0
.LBB46_352:                             ; =>This Inner Loop Header: Depth=1
	scratch_load_b64 v[102:103], off, s11
	v_dual_mov_b32 v101, s13 :: v_dual_add_nc_u32 v100, -1, v100
	s_add_co_i32 s13, s13, 8
	s_wait_xcnt 0x0
	s_add_co_i32 s11, s11, 8
	ds_load_b64 v[104:105], v101
	v_cmp_eq_u32_e32 vcc_lo, 0, v100
	s_or_b32 s0, vcc_lo, s0
	s_wait_loadcnt_dscnt 0x0
	v_pk_mul_f32 v[106:107], v[104:105], v[102:103] op_sel:[1,1] op_sel_hi:[0,1]
	s_delay_alu instid0(VALU_DEP_1) | instskip(SKIP_1) | instid1(VALU_DEP_2)
	v_pk_fma_f32 v[108:109], v[104:105], v[102:103], v[106:107] op_sel_hi:[1,0,1]
	v_pk_fma_f32 v[102:103], v[104:105], v[102:103], v[106:107] neg_lo:[0,0,1] neg_hi:[0,0,1]
	v_mov_b32_e32 v103, v109
	s_delay_alu instid0(VALU_DEP_1)
	v_pk_add_f32 v[98:99], v[98:99], v[102:103]
	s_and_not1_b32 exec_lo, exec_lo, s0
	s_cbranch_execnz .LBB46_352
; %bb.353:
	s_or_b32 exec_lo, exec_lo, s0
.LBB46_354:
	s_delay_alu instid0(SALU_CYCLE_1) | instskip(SKIP_4) | instid1(VALU_DEP_1)
	s_or_b32 exec_lo, exec_lo, s12
	v_mov_b32_e32 v100, 0
	ds_load_b64 v[100:101], v100 offset:88
	s_wait_dscnt 0x0
	v_pk_mul_f32 v[102:103], v[98:99], v[100:101] op_sel:[1,1] op_sel_hi:[0,1]
	v_pk_fma_f32 v[104:105], v[98:99], v[100:101], v[102:103] op_sel_hi:[1,0,1]
	v_pk_fma_f32 v[98:99], v[98:99], v[100:101], v[102:103] neg_lo:[0,0,1] neg_hi:[0,0,1]
	s_delay_alu instid0(VALU_DEP_2)
	v_mov_b32_e32 v99, v105
	scratch_store_b64 off, v[98:99], off offset:88
.LBB46_355:
	s_wait_xcnt 0x0
	s_or_b32 exec_lo, exec_lo, s2
	scratch_load_b64 v[98:99], off, off offset:80
	v_cmp_lt_u32_e64 s0, 10, v0
	s_wait_loadcnt 0x0
	ds_store_b64 v1, v[98:99]
	s_wait_storecnt_dscnt 0x0
	s_barrier_signal -1
	s_barrier_wait -1
	s_wait_xcnt 0x0
	s_and_saveexec_b32 s2, s0
	s_cbranch_execz .LBB46_365
; %bb.356:
	s_and_not1_b32 vcc_lo, exec_lo, s3
	s_cbranch_vccnz .LBB46_358
; %bb.357:
	scratch_load_b64 v[98:99], v39, off
	ds_load_b64 v[100:101], v1
	s_wait_loadcnt_dscnt 0x0
	v_pk_mul_f32 v[102:103], v[100:101], v[98:99] op_sel:[1,1] op_sel_hi:[0,1]
	s_delay_alu instid0(VALU_DEP_1) | instskip(SKIP_1) | instid1(VALU_DEP_2)
	v_pk_fma_f32 v[104:105], v[100:101], v[98:99], v[102:103] op_sel_hi:[1,0,1]
	v_pk_fma_f32 v[98:99], v[100:101], v[98:99], v[102:103] neg_lo:[0,0,1] neg_hi:[0,0,1]
	v_mov_b32_e32 v99, v105
	s_cbranch_execz .LBB46_359
	s_branch .LBB46_360
.LBB46_358:
                                        ; implicit-def: $vgpr98_vgpr99
.LBB46_359:
	ds_load_b64 v[98:99], v1
.LBB46_360:
	s_and_saveexec_b32 s11, s1
	s_cbranch_execz .LBB46_364
; %bb.361:
	v_add_nc_u32_e32 v100, -11, v0
	s_movk_i32 s1, 0x58
	s_movk_i32 s13, 0x1d8
	s_mov_b32 s12, 0
.LBB46_362:                             ; =>This Inner Loop Header: Depth=1
	scratch_load_b64 v[102:103], off, s1
	v_dual_mov_b32 v101, s13 :: v_dual_add_nc_u32 v100, -1, v100
	s_add_co_i32 s13, s13, 8
	s_wait_xcnt 0x0
	s_add_co_i32 s1, s1, 8
	ds_load_b64 v[104:105], v101
	v_cmp_eq_u32_e32 vcc_lo, 0, v100
	s_or_b32 s12, vcc_lo, s12
	s_wait_loadcnt_dscnt 0x0
	v_pk_mul_f32 v[106:107], v[104:105], v[102:103] op_sel:[1,1] op_sel_hi:[0,1]
	s_delay_alu instid0(VALU_DEP_1) | instskip(SKIP_1) | instid1(VALU_DEP_2)
	v_pk_fma_f32 v[108:109], v[104:105], v[102:103], v[106:107] op_sel_hi:[1,0,1]
	v_pk_fma_f32 v[102:103], v[104:105], v[102:103], v[106:107] neg_lo:[0,0,1] neg_hi:[0,0,1]
	v_mov_b32_e32 v103, v109
	s_delay_alu instid0(VALU_DEP_1)
	v_pk_add_f32 v[98:99], v[98:99], v[102:103]
	s_and_not1_b32 exec_lo, exec_lo, s12
	s_cbranch_execnz .LBB46_362
; %bb.363:
	s_or_b32 exec_lo, exec_lo, s12
.LBB46_364:
	s_delay_alu instid0(SALU_CYCLE_1) | instskip(SKIP_4) | instid1(VALU_DEP_1)
	s_or_b32 exec_lo, exec_lo, s11
	v_mov_b32_e32 v100, 0
	ds_load_b64 v[100:101], v100 offset:80
	s_wait_dscnt 0x0
	v_pk_mul_f32 v[102:103], v[98:99], v[100:101] op_sel:[1,1] op_sel_hi:[0,1]
	v_pk_fma_f32 v[104:105], v[98:99], v[100:101], v[102:103] op_sel_hi:[1,0,1]
	v_pk_fma_f32 v[98:99], v[98:99], v[100:101], v[102:103] neg_lo:[0,0,1] neg_hi:[0,0,1]
	s_delay_alu instid0(VALU_DEP_2)
	v_mov_b32_e32 v99, v105
	scratch_store_b64 off, v[98:99], off offset:80
.LBB46_365:
	s_wait_xcnt 0x0
	s_or_b32 exec_lo, exec_lo, s2
	scratch_load_b64 v[98:99], off, off offset:72
	v_cmp_lt_u32_e64 s1, 9, v0
	s_wait_loadcnt 0x0
	ds_store_b64 v1, v[98:99]
	s_wait_storecnt_dscnt 0x0
	s_barrier_signal -1
	s_barrier_wait -1
	s_wait_xcnt 0x0
	s_and_saveexec_b32 s2, s1
	s_cbranch_execz .LBB46_375
; %bb.366:
	s_and_not1_b32 vcc_lo, exec_lo, s3
	s_cbranch_vccnz .LBB46_368
; %bb.367:
	scratch_load_b64 v[98:99], v39, off
	ds_load_b64 v[100:101], v1
	s_wait_loadcnt_dscnt 0x0
	v_pk_mul_f32 v[102:103], v[100:101], v[98:99] op_sel:[1,1] op_sel_hi:[0,1]
	s_delay_alu instid0(VALU_DEP_1) | instskip(SKIP_1) | instid1(VALU_DEP_2)
	v_pk_fma_f32 v[104:105], v[100:101], v[98:99], v[102:103] op_sel_hi:[1,0,1]
	v_pk_fma_f32 v[98:99], v[100:101], v[98:99], v[102:103] neg_lo:[0,0,1] neg_hi:[0,0,1]
	v_mov_b32_e32 v99, v105
	s_cbranch_execz .LBB46_369
	s_branch .LBB46_370
.LBB46_368:
                                        ; implicit-def: $vgpr98_vgpr99
.LBB46_369:
	ds_load_b64 v[98:99], v1
.LBB46_370:
	s_and_saveexec_b32 s11, s0
	s_cbranch_execz .LBB46_374
; %bb.371:
	v_add_nc_u32_e32 v100, -10, v0
	s_movk_i32 s12, 0x1d0
	s_mov_b32 s0, 0
.LBB46_372:                             ; =>This Inner Loop Header: Depth=1
	scratch_load_b64 v[102:103], off, s10
	v_dual_mov_b32 v101, s12 :: v_dual_add_nc_u32 v100, -1, v100
	s_add_co_i32 s12, s12, 8
	s_wait_xcnt 0x0
	s_add_co_i32 s10, s10, 8
	ds_load_b64 v[104:105], v101
	v_cmp_eq_u32_e32 vcc_lo, 0, v100
	s_or_b32 s0, vcc_lo, s0
	s_wait_loadcnt_dscnt 0x0
	v_pk_mul_f32 v[106:107], v[104:105], v[102:103] op_sel:[1,1] op_sel_hi:[0,1]
	s_delay_alu instid0(VALU_DEP_1) | instskip(SKIP_1) | instid1(VALU_DEP_2)
	v_pk_fma_f32 v[108:109], v[104:105], v[102:103], v[106:107] op_sel_hi:[1,0,1]
	v_pk_fma_f32 v[102:103], v[104:105], v[102:103], v[106:107] neg_lo:[0,0,1] neg_hi:[0,0,1]
	v_mov_b32_e32 v103, v109
	s_delay_alu instid0(VALU_DEP_1)
	v_pk_add_f32 v[98:99], v[98:99], v[102:103]
	s_and_not1_b32 exec_lo, exec_lo, s0
	s_cbranch_execnz .LBB46_372
; %bb.373:
	s_or_b32 exec_lo, exec_lo, s0
.LBB46_374:
	s_delay_alu instid0(SALU_CYCLE_1) | instskip(SKIP_4) | instid1(VALU_DEP_1)
	s_or_b32 exec_lo, exec_lo, s11
	v_mov_b32_e32 v100, 0
	ds_load_b64 v[100:101], v100 offset:72
	s_wait_dscnt 0x0
	v_pk_mul_f32 v[102:103], v[98:99], v[100:101] op_sel:[1,1] op_sel_hi:[0,1]
	v_pk_fma_f32 v[104:105], v[98:99], v[100:101], v[102:103] op_sel_hi:[1,0,1]
	v_pk_fma_f32 v[98:99], v[98:99], v[100:101], v[102:103] neg_lo:[0,0,1] neg_hi:[0,0,1]
	s_delay_alu instid0(VALU_DEP_2)
	v_mov_b32_e32 v99, v105
	scratch_store_b64 off, v[98:99], off offset:72
.LBB46_375:
	s_wait_xcnt 0x0
	s_or_b32 exec_lo, exec_lo, s2
	scratch_load_b64 v[98:99], off, off offset:64
	v_cmp_lt_u32_e64 s0, 8, v0
	s_wait_loadcnt 0x0
	ds_store_b64 v1, v[98:99]
	s_wait_storecnt_dscnt 0x0
	s_barrier_signal -1
	s_barrier_wait -1
	s_wait_xcnt 0x0
	s_and_saveexec_b32 s2, s0
	s_cbranch_execz .LBB46_385
; %bb.376:
	s_and_not1_b32 vcc_lo, exec_lo, s3
	s_cbranch_vccnz .LBB46_378
; %bb.377:
	scratch_load_b64 v[98:99], v39, off
	ds_load_b64 v[100:101], v1
	s_wait_loadcnt_dscnt 0x0
	v_pk_mul_f32 v[102:103], v[100:101], v[98:99] op_sel:[1,1] op_sel_hi:[0,1]
	s_delay_alu instid0(VALU_DEP_1) | instskip(SKIP_1) | instid1(VALU_DEP_2)
	v_pk_fma_f32 v[104:105], v[100:101], v[98:99], v[102:103] op_sel_hi:[1,0,1]
	v_pk_fma_f32 v[98:99], v[100:101], v[98:99], v[102:103] neg_lo:[0,0,1] neg_hi:[0,0,1]
	v_mov_b32_e32 v99, v105
	s_cbranch_execz .LBB46_379
	s_branch .LBB46_380
.LBB46_378:
                                        ; implicit-def: $vgpr98_vgpr99
.LBB46_379:
	ds_load_b64 v[98:99], v1
.LBB46_380:
	s_and_saveexec_b32 s10, s1
	s_cbranch_execz .LBB46_384
; %bb.381:
	v_add_nc_u32_e32 v100, -9, v0
	s_movk_i32 s1, 0x48
	s_movk_i32 s12, 0x1c8
	s_mov_b32 s11, 0
.LBB46_382:                             ; =>This Inner Loop Header: Depth=1
	scratch_load_b64 v[102:103], off, s1
	v_dual_mov_b32 v101, s12 :: v_dual_add_nc_u32 v100, -1, v100
	s_add_co_i32 s12, s12, 8
	s_wait_xcnt 0x0
	s_add_co_i32 s1, s1, 8
	ds_load_b64 v[104:105], v101
	v_cmp_eq_u32_e32 vcc_lo, 0, v100
	s_or_b32 s11, vcc_lo, s11
	s_wait_loadcnt_dscnt 0x0
	v_pk_mul_f32 v[106:107], v[104:105], v[102:103] op_sel:[1,1] op_sel_hi:[0,1]
	s_delay_alu instid0(VALU_DEP_1) | instskip(SKIP_1) | instid1(VALU_DEP_2)
	v_pk_fma_f32 v[108:109], v[104:105], v[102:103], v[106:107] op_sel_hi:[1,0,1]
	v_pk_fma_f32 v[102:103], v[104:105], v[102:103], v[106:107] neg_lo:[0,0,1] neg_hi:[0,0,1]
	v_mov_b32_e32 v103, v109
	s_delay_alu instid0(VALU_DEP_1)
	v_pk_add_f32 v[98:99], v[98:99], v[102:103]
	s_and_not1_b32 exec_lo, exec_lo, s11
	s_cbranch_execnz .LBB46_382
; %bb.383:
	s_or_b32 exec_lo, exec_lo, s11
.LBB46_384:
	s_delay_alu instid0(SALU_CYCLE_1) | instskip(SKIP_4) | instid1(VALU_DEP_1)
	s_or_b32 exec_lo, exec_lo, s10
	v_mov_b32_e32 v100, 0
	ds_load_b64 v[100:101], v100 offset:64
	s_wait_dscnt 0x0
	v_pk_mul_f32 v[102:103], v[98:99], v[100:101] op_sel:[1,1] op_sel_hi:[0,1]
	v_pk_fma_f32 v[104:105], v[98:99], v[100:101], v[102:103] op_sel_hi:[1,0,1]
	v_pk_fma_f32 v[98:99], v[98:99], v[100:101], v[102:103] neg_lo:[0,0,1] neg_hi:[0,0,1]
	s_delay_alu instid0(VALU_DEP_2)
	v_mov_b32_e32 v99, v105
	scratch_store_b64 off, v[98:99], off offset:64
.LBB46_385:
	s_wait_xcnt 0x0
	s_or_b32 exec_lo, exec_lo, s2
	scratch_load_b64 v[98:99], off, off offset:56
	v_cmp_lt_u32_e64 s1, 7, v0
	s_wait_loadcnt 0x0
	ds_store_b64 v1, v[98:99]
	s_wait_storecnt_dscnt 0x0
	s_barrier_signal -1
	s_barrier_wait -1
	s_wait_xcnt 0x0
	s_and_saveexec_b32 s2, s1
	s_cbranch_execz .LBB46_395
; %bb.386:
	s_and_not1_b32 vcc_lo, exec_lo, s3
	s_cbranch_vccnz .LBB46_388
; %bb.387:
	scratch_load_b64 v[98:99], v39, off
	ds_load_b64 v[100:101], v1
	s_wait_loadcnt_dscnt 0x0
	v_pk_mul_f32 v[102:103], v[100:101], v[98:99] op_sel:[1,1] op_sel_hi:[0,1]
	s_delay_alu instid0(VALU_DEP_1) | instskip(SKIP_1) | instid1(VALU_DEP_2)
	v_pk_fma_f32 v[104:105], v[100:101], v[98:99], v[102:103] op_sel_hi:[1,0,1]
	v_pk_fma_f32 v[98:99], v[100:101], v[98:99], v[102:103] neg_lo:[0,0,1] neg_hi:[0,0,1]
	v_mov_b32_e32 v99, v105
	s_cbranch_execz .LBB46_389
	s_branch .LBB46_390
.LBB46_388:
                                        ; implicit-def: $vgpr98_vgpr99
.LBB46_389:
	ds_load_b64 v[98:99], v1
.LBB46_390:
	s_and_saveexec_b32 s10, s0
	s_cbranch_execz .LBB46_394
; %bb.391:
	v_add_nc_u32_e32 v100, -8, v0
	s_movk_i32 s11, 0x1c0
	s_mov_b32 s0, 0
.LBB46_392:                             ; =>This Inner Loop Header: Depth=1
	scratch_load_b64 v[102:103], off, s9
	v_dual_mov_b32 v101, s11 :: v_dual_add_nc_u32 v100, -1, v100
	s_add_co_i32 s11, s11, 8
	s_wait_xcnt 0x0
	s_add_co_i32 s9, s9, 8
	ds_load_b64 v[104:105], v101
	v_cmp_eq_u32_e32 vcc_lo, 0, v100
	s_or_b32 s0, vcc_lo, s0
	s_wait_loadcnt_dscnt 0x0
	v_pk_mul_f32 v[106:107], v[104:105], v[102:103] op_sel:[1,1] op_sel_hi:[0,1]
	s_delay_alu instid0(VALU_DEP_1) | instskip(SKIP_1) | instid1(VALU_DEP_2)
	v_pk_fma_f32 v[108:109], v[104:105], v[102:103], v[106:107] op_sel_hi:[1,0,1]
	v_pk_fma_f32 v[102:103], v[104:105], v[102:103], v[106:107] neg_lo:[0,0,1] neg_hi:[0,0,1]
	v_mov_b32_e32 v103, v109
	s_delay_alu instid0(VALU_DEP_1)
	v_pk_add_f32 v[98:99], v[98:99], v[102:103]
	s_and_not1_b32 exec_lo, exec_lo, s0
	s_cbranch_execnz .LBB46_392
; %bb.393:
	s_or_b32 exec_lo, exec_lo, s0
.LBB46_394:
	s_delay_alu instid0(SALU_CYCLE_1) | instskip(SKIP_4) | instid1(VALU_DEP_1)
	s_or_b32 exec_lo, exec_lo, s10
	v_mov_b32_e32 v100, 0
	ds_load_b64 v[100:101], v100 offset:56
	s_wait_dscnt 0x0
	v_pk_mul_f32 v[102:103], v[98:99], v[100:101] op_sel:[1,1] op_sel_hi:[0,1]
	v_pk_fma_f32 v[104:105], v[98:99], v[100:101], v[102:103] op_sel_hi:[1,0,1]
	v_pk_fma_f32 v[98:99], v[98:99], v[100:101], v[102:103] neg_lo:[0,0,1] neg_hi:[0,0,1]
	s_delay_alu instid0(VALU_DEP_2)
	v_mov_b32_e32 v99, v105
	scratch_store_b64 off, v[98:99], off offset:56
.LBB46_395:
	s_wait_xcnt 0x0
	s_or_b32 exec_lo, exec_lo, s2
	scratch_load_b64 v[98:99], off, off offset:48
	v_cmp_lt_u32_e64 s0, 6, v0
	s_wait_loadcnt 0x0
	ds_store_b64 v1, v[98:99]
	s_wait_storecnt_dscnt 0x0
	s_barrier_signal -1
	s_barrier_wait -1
	s_wait_xcnt 0x0
	s_and_saveexec_b32 s2, s0
	s_cbranch_execz .LBB46_405
; %bb.396:
	s_and_not1_b32 vcc_lo, exec_lo, s3
	s_cbranch_vccnz .LBB46_398
; %bb.397:
	scratch_load_b64 v[98:99], v39, off
	ds_load_b64 v[100:101], v1
	s_wait_loadcnt_dscnt 0x0
	v_pk_mul_f32 v[102:103], v[100:101], v[98:99] op_sel:[1,1] op_sel_hi:[0,1]
	s_delay_alu instid0(VALU_DEP_1) | instskip(SKIP_1) | instid1(VALU_DEP_2)
	v_pk_fma_f32 v[104:105], v[100:101], v[98:99], v[102:103] op_sel_hi:[1,0,1]
	v_pk_fma_f32 v[98:99], v[100:101], v[98:99], v[102:103] neg_lo:[0,0,1] neg_hi:[0,0,1]
	v_mov_b32_e32 v99, v105
	s_cbranch_execz .LBB46_399
	s_branch .LBB46_400
.LBB46_398:
                                        ; implicit-def: $vgpr98_vgpr99
.LBB46_399:
	ds_load_b64 v[98:99], v1
.LBB46_400:
	s_and_saveexec_b32 s9, s1
	s_cbranch_execz .LBB46_404
; %bb.401:
	v_add_nc_u32_e32 v100, -7, v0
	s_mov_b32 s1, 56
	s_movk_i32 s11, 0x1b8
	s_mov_b32 s10, 0
.LBB46_402:                             ; =>This Inner Loop Header: Depth=1
	scratch_load_b64 v[102:103], off, s1
	v_dual_mov_b32 v101, s11 :: v_dual_add_nc_u32 v100, -1, v100
	s_add_co_i32 s11, s11, 8
	s_wait_xcnt 0x0
	s_add_co_i32 s1, s1, 8
	ds_load_b64 v[104:105], v101
	v_cmp_eq_u32_e32 vcc_lo, 0, v100
	s_or_b32 s10, vcc_lo, s10
	s_wait_loadcnt_dscnt 0x0
	v_pk_mul_f32 v[106:107], v[104:105], v[102:103] op_sel:[1,1] op_sel_hi:[0,1]
	s_delay_alu instid0(VALU_DEP_1) | instskip(SKIP_1) | instid1(VALU_DEP_2)
	v_pk_fma_f32 v[108:109], v[104:105], v[102:103], v[106:107] op_sel_hi:[1,0,1]
	v_pk_fma_f32 v[102:103], v[104:105], v[102:103], v[106:107] neg_lo:[0,0,1] neg_hi:[0,0,1]
	v_mov_b32_e32 v103, v109
	s_delay_alu instid0(VALU_DEP_1)
	v_pk_add_f32 v[98:99], v[98:99], v[102:103]
	s_and_not1_b32 exec_lo, exec_lo, s10
	s_cbranch_execnz .LBB46_402
; %bb.403:
	s_or_b32 exec_lo, exec_lo, s10
.LBB46_404:
	s_delay_alu instid0(SALU_CYCLE_1) | instskip(SKIP_4) | instid1(VALU_DEP_1)
	s_or_b32 exec_lo, exec_lo, s9
	v_mov_b32_e32 v100, 0
	ds_load_b64 v[100:101], v100 offset:48
	s_wait_dscnt 0x0
	v_pk_mul_f32 v[102:103], v[98:99], v[100:101] op_sel:[1,1] op_sel_hi:[0,1]
	v_pk_fma_f32 v[104:105], v[98:99], v[100:101], v[102:103] op_sel_hi:[1,0,1]
	v_pk_fma_f32 v[98:99], v[98:99], v[100:101], v[102:103] neg_lo:[0,0,1] neg_hi:[0,0,1]
	s_delay_alu instid0(VALU_DEP_2)
	v_mov_b32_e32 v99, v105
	scratch_store_b64 off, v[98:99], off offset:48
.LBB46_405:
	s_wait_xcnt 0x0
	s_or_b32 exec_lo, exec_lo, s2
	scratch_load_b64 v[98:99], off, off offset:40
	v_cmp_lt_u32_e64 s1, 5, v0
	s_wait_loadcnt 0x0
	ds_store_b64 v1, v[98:99]
	s_wait_storecnt_dscnt 0x0
	s_barrier_signal -1
	s_barrier_wait -1
	s_wait_xcnt 0x0
	s_and_saveexec_b32 s2, s1
	s_cbranch_execz .LBB46_415
; %bb.406:
	s_and_not1_b32 vcc_lo, exec_lo, s3
	s_cbranch_vccnz .LBB46_408
; %bb.407:
	scratch_load_b64 v[98:99], v39, off
	ds_load_b64 v[100:101], v1
	s_wait_loadcnt_dscnt 0x0
	v_pk_mul_f32 v[102:103], v[100:101], v[98:99] op_sel:[1,1] op_sel_hi:[0,1]
	s_delay_alu instid0(VALU_DEP_1) | instskip(SKIP_1) | instid1(VALU_DEP_2)
	v_pk_fma_f32 v[104:105], v[100:101], v[98:99], v[102:103] op_sel_hi:[1,0,1]
	v_pk_fma_f32 v[98:99], v[100:101], v[98:99], v[102:103] neg_lo:[0,0,1] neg_hi:[0,0,1]
	v_mov_b32_e32 v99, v105
	s_cbranch_execz .LBB46_409
	s_branch .LBB46_410
.LBB46_408:
                                        ; implicit-def: $vgpr98_vgpr99
.LBB46_409:
	ds_load_b64 v[98:99], v1
.LBB46_410:
	s_and_saveexec_b32 s9, s0
	s_cbranch_execz .LBB46_414
; %bb.411:
	v_add_nc_u32_e32 v100, -6, v0
	s_movk_i32 s10, 0x1b0
	s_mov_b32 s0, 0
.LBB46_412:                             ; =>This Inner Loop Header: Depth=1
	scratch_load_b64 v[102:103], off, s8
	v_dual_mov_b32 v101, s10 :: v_dual_add_nc_u32 v100, -1, v100
	s_add_co_i32 s10, s10, 8
	s_wait_xcnt 0x0
	s_add_co_i32 s8, s8, 8
	ds_load_b64 v[104:105], v101
	v_cmp_eq_u32_e32 vcc_lo, 0, v100
	s_or_b32 s0, vcc_lo, s0
	s_wait_loadcnt_dscnt 0x0
	v_pk_mul_f32 v[106:107], v[104:105], v[102:103] op_sel:[1,1] op_sel_hi:[0,1]
	s_delay_alu instid0(VALU_DEP_1) | instskip(SKIP_1) | instid1(VALU_DEP_2)
	v_pk_fma_f32 v[108:109], v[104:105], v[102:103], v[106:107] op_sel_hi:[1,0,1]
	v_pk_fma_f32 v[102:103], v[104:105], v[102:103], v[106:107] neg_lo:[0,0,1] neg_hi:[0,0,1]
	v_mov_b32_e32 v103, v109
	s_delay_alu instid0(VALU_DEP_1)
	v_pk_add_f32 v[98:99], v[98:99], v[102:103]
	s_and_not1_b32 exec_lo, exec_lo, s0
	s_cbranch_execnz .LBB46_412
; %bb.413:
	s_or_b32 exec_lo, exec_lo, s0
.LBB46_414:
	s_delay_alu instid0(SALU_CYCLE_1) | instskip(SKIP_4) | instid1(VALU_DEP_1)
	s_or_b32 exec_lo, exec_lo, s9
	v_mov_b32_e32 v100, 0
	ds_load_b64 v[100:101], v100 offset:40
	s_wait_dscnt 0x0
	v_pk_mul_f32 v[102:103], v[98:99], v[100:101] op_sel:[1,1] op_sel_hi:[0,1]
	v_pk_fma_f32 v[104:105], v[98:99], v[100:101], v[102:103] op_sel_hi:[1,0,1]
	v_pk_fma_f32 v[98:99], v[98:99], v[100:101], v[102:103] neg_lo:[0,0,1] neg_hi:[0,0,1]
	s_delay_alu instid0(VALU_DEP_2)
	v_mov_b32_e32 v99, v105
	scratch_store_b64 off, v[98:99], off offset:40
.LBB46_415:
	s_wait_xcnt 0x0
	s_or_b32 exec_lo, exec_lo, s2
	scratch_load_b64 v[98:99], off, off offset:32
	v_cmp_lt_u32_e64 s0, 4, v0
	s_wait_loadcnt 0x0
	ds_store_b64 v1, v[98:99]
	s_wait_storecnt_dscnt 0x0
	s_barrier_signal -1
	s_barrier_wait -1
	s_wait_xcnt 0x0
	s_and_saveexec_b32 s2, s0
	s_cbranch_execz .LBB46_425
; %bb.416:
	s_and_not1_b32 vcc_lo, exec_lo, s3
	s_cbranch_vccnz .LBB46_418
; %bb.417:
	scratch_load_b64 v[98:99], v39, off
	ds_load_b64 v[100:101], v1
	s_wait_loadcnt_dscnt 0x0
	v_pk_mul_f32 v[102:103], v[100:101], v[98:99] op_sel:[1,1] op_sel_hi:[0,1]
	s_delay_alu instid0(VALU_DEP_1) | instskip(SKIP_1) | instid1(VALU_DEP_2)
	v_pk_fma_f32 v[104:105], v[100:101], v[98:99], v[102:103] op_sel_hi:[1,0,1]
	v_pk_fma_f32 v[98:99], v[100:101], v[98:99], v[102:103] neg_lo:[0,0,1] neg_hi:[0,0,1]
	v_mov_b32_e32 v99, v105
	s_cbranch_execz .LBB46_419
	s_branch .LBB46_420
.LBB46_418:
                                        ; implicit-def: $vgpr98_vgpr99
.LBB46_419:
	ds_load_b64 v[98:99], v1
.LBB46_420:
	s_and_saveexec_b32 s8, s1
	s_cbranch_execz .LBB46_424
; %bb.421:
	v_add_nc_u32_e32 v100, -5, v0
	s_mov_b32 s1, 40
	s_movk_i32 s10, 0x1a8
	s_mov_b32 s9, 0
.LBB46_422:                             ; =>This Inner Loop Header: Depth=1
	scratch_load_b64 v[102:103], off, s1
	v_dual_mov_b32 v101, s10 :: v_dual_add_nc_u32 v100, -1, v100
	s_add_co_i32 s10, s10, 8
	s_wait_xcnt 0x0
	s_add_co_i32 s1, s1, 8
	ds_load_b64 v[104:105], v101
	v_cmp_eq_u32_e32 vcc_lo, 0, v100
	s_or_b32 s9, vcc_lo, s9
	s_wait_loadcnt_dscnt 0x0
	v_pk_mul_f32 v[106:107], v[104:105], v[102:103] op_sel:[1,1] op_sel_hi:[0,1]
	s_delay_alu instid0(VALU_DEP_1) | instskip(SKIP_1) | instid1(VALU_DEP_2)
	v_pk_fma_f32 v[108:109], v[104:105], v[102:103], v[106:107] op_sel_hi:[1,0,1]
	v_pk_fma_f32 v[102:103], v[104:105], v[102:103], v[106:107] neg_lo:[0,0,1] neg_hi:[0,0,1]
	v_mov_b32_e32 v103, v109
	s_delay_alu instid0(VALU_DEP_1)
	v_pk_add_f32 v[98:99], v[98:99], v[102:103]
	s_and_not1_b32 exec_lo, exec_lo, s9
	s_cbranch_execnz .LBB46_422
; %bb.423:
	s_or_b32 exec_lo, exec_lo, s9
.LBB46_424:
	s_delay_alu instid0(SALU_CYCLE_1) | instskip(SKIP_4) | instid1(VALU_DEP_1)
	s_or_b32 exec_lo, exec_lo, s8
	v_mov_b32_e32 v100, 0
	ds_load_b64 v[100:101], v100 offset:32
	s_wait_dscnt 0x0
	v_pk_mul_f32 v[102:103], v[98:99], v[100:101] op_sel:[1,1] op_sel_hi:[0,1]
	v_pk_fma_f32 v[104:105], v[98:99], v[100:101], v[102:103] op_sel_hi:[1,0,1]
	v_pk_fma_f32 v[98:99], v[98:99], v[100:101], v[102:103] neg_lo:[0,0,1] neg_hi:[0,0,1]
	s_delay_alu instid0(VALU_DEP_2)
	v_mov_b32_e32 v99, v105
	scratch_store_b64 off, v[98:99], off offset:32
.LBB46_425:
	s_wait_xcnt 0x0
	s_or_b32 exec_lo, exec_lo, s2
	scratch_load_b64 v[98:99], off, off offset:24
	v_cmp_lt_u32_e64 s2, 3, v0
	s_wait_loadcnt 0x0
	ds_store_b64 v1, v[98:99]
	s_wait_storecnt_dscnt 0x0
	s_barrier_signal -1
	s_barrier_wait -1
	s_wait_xcnt 0x0
	s_and_saveexec_b32 s1, s2
	s_cbranch_execz .LBB46_435
; %bb.426:
	s_and_not1_b32 vcc_lo, exec_lo, s3
	s_cbranch_vccnz .LBB46_428
; %bb.427:
	scratch_load_b64 v[98:99], v39, off
	ds_load_b64 v[100:101], v1
	s_wait_loadcnt_dscnt 0x0
	v_pk_mul_f32 v[102:103], v[100:101], v[98:99] op_sel:[1,1] op_sel_hi:[0,1]
	s_delay_alu instid0(VALU_DEP_1) | instskip(SKIP_1) | instid1(VALU_DEP_2)
	v_pk_fma_f32 v[104:105], v[100:101], v[98:99], v[102:103] op_sel_hi:[1,0,1]
	v_pk_fma_f32 v[98:99], v[100:101], v[98:99], v[102:103] neg_lo:[0,0,1] neg_hi:[0,0,1]
	v_mov_b32_e32 v99, v105
	s_cbranch_execz .LBB46_429
	s_branch .LBB46_430
.LBB46_428:
                                        ; implicit-def: $vgpr98_vgpr99
.LBB46_429:
	ds_load_b64 v[98:99], v1
.LBB46_430:
	s_and_saveexec_b32 s8, s0
	s_cbranch_execz .LBB46_434
; %bb.431:
	v_add_nc_u32_e32 v100, -4, v0
	s_movk_i32 s9, 0x1a0
	s_mov_b32 s0, 0
.LBB46_432:                             ; =>This Inner Loop Header: Depth=1
	scratch_load_b64 v[102:103], off, s5
	v_dual_mov_b32 v101, s9 :: v_dual_add_nc_u32 v100, -1, v100
	s_add_co_i32 s9, s9, 8
	s_wait_xcnt 0x0
	s_add_co_i32 s5, s5, 8
	ds_load_b64 v[104:105], v101
	v_cmp_eq_u32_e32 vcc_lo, 0, v100
	s_or_b32 s0, vcc_lo, s0
	s_wait_loadcnt_dscnt 0x0
	v_pk_mul_f32 v[106:107], v[104:105], v[102:103] op_sel:[1,1] op_sel_hi:[0,1]
	s_delay_alu instid0(VALU_DEP_1) | instskip(SKIP_1) | instid1(VALU_DEP_2)
	v_pk_fma_f32 v[108:109], v[104:105], v[102:103], v[106:107] op_sel_hi:[1,0,1]
	v_pk_fma_f32 v[102:103], v[104:105], v[102:103], v[106:107] neg_lo:[0,0,1] neg_hi:[0,0,1]
	v_mov_b32_e32 v103, v109
	s_delay_alu instid0(VALU_DEP_1)
	v_pk_add_f32 v[98:99], v[98:99], v[102:103]
	s_and_not1_b32 exec_lo, exec_lo, s0
	s_cbranch_execnz .LBB46_432
; %bb.433:
	s_or_b32 exec_lo, exec_lo, s0
.LBB46_434:
	s_delay_alu instid0(SALU_CYCLE_1) | instskip(SKIP_4) | instid1(VALU_DEP_1)
	s_or_b32 exec_lo, exec_lo, s8
	v_mov_b32_e32 v100, 0
	ds_load_b64 v[100:101], v100 offset:24
	s_wait_dscnt 0x0
	v_pk_mul_f32 v[102:103], v[98:99], v[100:101] op_sel:[1,1] op_sel_hi:[0,1]
	v_pk_fma_f32 v[104:105], v[98:99], v[100:101], v[102:103] op_sel_hi:[1,0,1]
	v_pk_fma_f32 v[98:99], v[98:99], v[100:101], v[102:103] neg_lo:[0,0,1] neg_hi:[0,0,1]
	s_delay_alu instid0(VALU_DEP_2)
	v_mov_b32_e32 v99, v105
	scratch_store_b64 off, v[98:99], off offset:24
.LBB46_435:
	s_wait_xcnt 0x0
	s_or_b32 exec_lo, exec_lo, s1
	scratch_load_b64 v[98:99], off, off offset:16
	v_cmp_lt_u32_e64 s1, 2, v0
	s_wait_loadcnt 0x0
	ds_store_b64 v1, v[98:99]
	s_wait_storecnt_dscnt 0x0
	s_barrier_signal -1
	s_barrier_wait -1
	s_wait_xcnt 0x0
	s_and_saveexec_b32 s0, s1
	s_cbranch_execz .LBB46_445
; %bb.436:
	s_and_not1_b32 vcc_lo, exec_lo, s3
	s_cbranch_vccnz .LBB46_438
; %bb.437:
	scratch_load_b64 v[98:99], v39, off
	ds_load_b64 v[100:101], v1
	s_wait_loadcnt_dscnt 0x0
	v_pk_mul_f32 v[102:103], v[100:101], v[98:99] op_sel:[1,1] op_sel_hi:[0,1]
	s_delay_alu instid0(VALU_DEP_1) | instskip(SKIP_1) | instid1(VALU_DEP_2)
	v_pk_fma_f32 v[104:105], v[100:101], v[98:99], v[102:103] op_sel_hi:[1,0,1]
	v_pk_fma_f32 v[98:99], v[100:101], v[98:99], v[102:103] neg_lo:[0,0,1] neg_hi:[0,0,1]
	v_mov_b32_e32 v99, v105
	s_cbranch_execz .LBB46_439
	s_branch .LBB46_440
.LBB46_438:
                                        ; implicit-def: $vgpr98_vgpr99
.LBB46_439:
	ds_load_b64 v[98:99], v1
.LBB46_440:
	s_and_saveexec_b32 s5, s2
	s_cbranch_execz .LBB46_444
; %bb.441:
	v_add_nc_u32_e32 v100, -3, v0
	s_mov_b32 s2, 24
	s_movk_i32 s9, 0x198
	s_mov_b32 s8, 0
.LBB46_442:                             ; =>This Inner Loop Header: Depth=1
	scratch_load_b64 v[102:103], off, s2
	v_dual_mov_b32 v101, s9 :: v_dual_add_nc_u32 v100, -1, v100
	s_add_co_i32 s9, s9, 8
	s_wait_xcnt 0x0
	s_add_co_i32 s2, s2, 8
	ds_load_b64 v[104:105], v101
	v_cmp_eq_u32_e32 vcc_lo, 0, v100
	s_or_b32 s8, vcc_lo, s8
	s_wait_loadcnt_dscnt 0x0
	v_pk_mul_f32 v[106:107], v[104:105], v[102:103] op_sel:[1,1] op_sel_hi:[0,1]
	s_delay_alu instid0(VALU_DEP_1) | instskip(SKIP_1) | instid1(VALU_DEP_2)
	v_pk_fma_f32 v[108:109], v[104:105], v[102:103], v[106:107] op_sel_hi:[1,0,1]
	v_pk_fma_f32 v[102:103], v[104:105], v[102:103], v[106:107] neg_lo:[0,0,1] neg_hi:[0,0,1]
	v_mov_b32_e32 v103, v109
	s_delay_alu instid0(VALU_DEP_1)
	v_pk_add_f32 v[98:99], v[98:99], v[102:103]
	s_and_not1_b32 exec_lo, exec_lo, s8
	s_cbranch_execnz .LBB46_442
; %bb.443:
	s_or_b32 exec_lo, exec_lo, s8
.LBB46_444:
	s_delay_alu instid0(SALU_CYCLE_1) | instskip(SKIP_4) | instid1(VALU_DEP_1)
	s_or_b32 exec_lo, exec_lo, s5
	v_mov_b32_e32 v100, 0
	ds_load_b64 v[100:101], v100 offset:16
	s_wait_dscnt 0x0
	v_pk_mul_f32 v[102:103], v[98:99], v[100:101] op_sel:[1,1] op_sel_hi:[0,1]
	v_pk_fma_f32 v[104:105], v[98:99], v[100:101], v[102:103] op_sel_hi:[1,0,1]
	v_pk_fma_f32 v[98:99], v[98:99], v[100:101], v[102:103] neg_lo:[0,0,1] neg_hi:[0,0,1]
	s_delay_alu instid0(VALU_DEP_2)
	v_mov_b32_e32 v99, v105
	scratch_store_b64 off, v[98:99], off offset:16
.LBB46_445:
	s_wait_xcnt 0x0
	s_or_b32 exec_lo, exec_lo, s0
	scratch_load_b64 v[98:99], off, off offset:8
	v_cmp_lt_u32_e64 s0, 1, v0
	s_wait_loadcnt 0x0
	ds_store_b64 v1, v[98:99]
	s_wait_storecnt_dscnt 0x0
	s_barrier_signal -1
	s_barrier_wait -1
	s_wait_xcnt 0x0
	s_and_saveexec_b32 s2, s0
	s_cbranch_execz .LBB46_455
; %bb.446:
	s_and_not1_b32 vcc_lo, exec_lo, s3
	s_cbranch_vccnz .LBB46_448
; %bb.447:
	scratch_load_b64 v[98:99], v39, off
	ds_load_b64 v[100:101], v1
	s_wait_loadcnt_dscnt 0x0
	v_pk_mul_f32 v[102:103], v[100:101], v[98:99] op_sel:[1,1] op_sel_hi:[0,1]
	s_delay_alu instid0(VALU_DEP_1) | instskip(SKIP_1) | instid1(VALU_DEP_2)
	v_pk_fma_f32 v[104:105], v[100:101], v[98:99], v[102:103] op_sel_hi:[1,0,1]
	v_pk_fma_f32 v[98:99], v[100:101], v[98:99], v[102:103] neg_lo:[0,0,1] neg_hi:[0,0,1]
	v_mov_b32_e32 v99, v105
	s_cbranch_execz .LBB46_449
	s_branch .LBB46_450
.LBB46_448:
                                        ; implicit-def: $vgpr98_vgpr99
.LBB46_449:
	ds_load_b64 v[98:99], v1
.LBB46_450:
	s_and_saveexec_b32 s5, s1
	s_cbranch_execz .LBB46_454
; %bb.451:
	v_add_nc_u32_e32 v100, -2, v0
	s_movk_i32 s8, 0x190
	s_mov_b32 s1, 0
.LBB46_452:                             ; =>This Inner Loop Header: Depth=1
	scratch_load_b64 v[102:103], off, s4
	v_dual_mov_b32 v101, s8 :: v_dual_add_nc_u32 v100, -1, v100
	s_add_co_i32 s8, s8, 8
	s_wait_xcnt 0x0
	s_add_co_i32 s4, s4, 8
	ds_load_b64 v[104:105], v101
	v_cmp_eq_u32_e32 vcc_lo, 0, v100
	s_or_b32 s1, vcc_lo, s1
	s_wait_loadcnt_dscnt 0x0
	v_pk_mul_f32 v[106:107], v[104:105], v[102:103] op_sel:[1,1] op_sel_hi:[0,1]
	s_delay_alu instid0(VALU_DEP_1) | instskip(SKIP_1) | instid1(VALU_DEP_2)
	v_pk_fma_f32 v[108:109], v[104:105], v[102:103], v[106:107] op_sel_hi:[1,0,1]
	v_pk_fma_f32 v[102:103], v[104:105], v[102:103], v[106:107] neg_lo:[0,0,1] neg_hi:[0,0,1]
	v_mov_b32_e32 v103, v109
	s_delay_alu instid0(VALU_DEP_1)
	v_pk_add_f32 v[98:99], v[98:99], v[102:103]
	s_and_not1_b32 exec_lo, exec_lo, s1
	s_cbranch_execnz .LBB46_452
; %bb.453:
	s_or_b32 exec_lo, exec_lo, s1
.LBB46_454:
	s_delay_alu instid0(SALU_CYCLE_1) | instskip(SKIP_4) | instid1(VALU_DEP_1)
	s_or_b32 exec_lo, exec_lo, s5
	v_mov_b32_e32 v100, 0
	ds_load_b64 v[100:101], v100 offset:8
	s_wait_dscnt 0x0
	v_pk_mul_f32 v[102:103], v[98:99], v[100:101] op_sel:[1,1] op_sel_hi:[0,1]
	v_pk_fma_f32 v[104:105], v[98:99], v[100:101], v[102:103] op_sel_hi:[1,0,1]
	v_pk_fma_f32 v[98:99], v[98:99], v[100:101], v[102:103] neg_lo:[0,0,1] neg_hi:[0,0,1]
	s_delay_alu instid0(VALU_DEP_2)
	v_mov_b32_e32 v99, v105
	scratch_store_b64 off, v[98:99], off offset:8
.LBB46_455:
	s_wait_xcnt 0x0
	s_or_b32 exec_lo, exec_lo, s2
	scratch_load_b64 v[98:99], off, off
	s_mov_b32 s2, 0
	s_mov_b32 s1, 0
	s_mov_b32 s5, exec_lo
                                        ; implicit-def: $vgpr126
                                        ; implicit-def: $sgpr4
	s_wait_loadcnt 0x0
	ds_store_b64 v1, v[98:99]
	s_wait_storecnt_dscnt 0x0
	s_barrier_signal -1
	s_barrier_wait -1
	s_wait_xcnt 0x0
	v_cmpx_ne_u32_e32 0, v0
	s_cbranch_execz .LBB46_465
; %bb.456:
	s_and_not1_b32 vcc_lo, exec_lo, s3
	s_cbranch_vccnz .LBB46_458
; %bb.457:
	scratch_load_b64 v[100:101], v39, off
	ds_load_b64 v[102:103], v1
	s_wait_loadcnt_dscnt 0x0
	v_dual_mul_f32 v98, v103, v101 :: v_dual_mul_f32 v99, v102, v101
	s_delay_alu instid0(VALU_DEP_1)
	v_dual_fma_f32 v98, v102, v100, -v98 :: v_dual_fmac_f32 v99, v103, v100
	s_and_not1_b32 vcc_lo, exec_lo, s1
	s_cbranch_vccz .LBB46_459
	s_branch .LBB46_460
.LBB46_458:
                                        ; implicit-def: $vgpr98
.LBB46_459:
	ds_load_b64 v[98:99], v1
.LBB46_460:
	s_and_saveexec_b32 s1, s0
	s_cbranch_execz .LBB46_464
; %bb.461:
	v_add_nc_u32_e32 v100, -1, v0
	s_or_b32 s0, 0, 8
	s_movk_i32 s8, 0x188
	s_mov_b32 s4, 0
.LBB46_462:                             ; =>This Inner Loop Header: Depth=1
	scratch_load_b64 v[102:103], off, s0
	v_mov_b32_e32 v101, s8
	s_add_co_i32 s8, s8, 8
	s_wait_xcnt 0x0
	s_add_co_i32 s0, s0, 8
	v_add_nc_u32_e32 v100, -1, v100
	ds_load_b64 v[104:105], v101
	v_cmp_eq_u32_e32 vcc_lo, 0, v100
	s_or_b32 s4, vcc_lo, s4
	s_wait_loadcnt_dscnt 0x0
	v_dual_mul_f32 v101, v105, v103 :: v_dual_mul_f32 v103, v104, v103
	s_delay_alu instid0(VALU_DEP_1) | instskip(NEXT) | instid1(VALU_DEP_1)
	v_dual_fma_f32 v101, v104, v102, -v101 :: v_dual_fmac_f32 v103, v105, v102
	v_dual_add_f32 v98, v98, v101 :: v_dual_add_f32 v99, v99, v103
	s_and_not1_b32 exec_lo, exec_lo, s4
	s_cbranch_execnz .LBB46_462
; %bb.463:
	s_or_b32 exec_lo, exec_lo, s4
.LBB46_464:
	s_delay_alu instid0(SALU_CYCLE_1)
	s_or_b32 exec_lo, exec_lo, s1
	v_mov_b32_e32 v100, 0
	s_mov_b32 s1, exec_lo
	s_or_b32 s4, 0, 4
	ds_load_b64 v[100:101], v100
	s_wait_dscnt 0x0
	v_dual_mul_f32 v102, v99, v101 :: v_dual_mul_f32 v126, v98, v101
	s_delay_alu instid0(VALU_DEP_1) | instskip(NEXT) | instid1(VALU_DEP_2)
	v_fma_f32 v98, v98, v100, -v102
	v_fmac_f32_e32 v126, v99, v100
	scratch_store_b32 off, v98, off
.LBB46_465:
	s_wait_xcnt 0x0
	s_or_b32 exec_lo, exec_lo, s5
	s_delay_alu instid0(SALU_CYCLE_1)
	s_and_b32 vcc_lo, exec_lo, s2
	s_cbranch_vccz .LBB46_921
.LBB46_466:
	scratch_load_b64 v[98:99], off, off offset:8
	v_cmp_eq_u32_e64 s0, 0, v0
	s_wait_loadcnt 0x0
	ds_store_b64 v1, v[98:99]
	s_wait_storecnt_dscnt 0x0
	s_barrier_signal -1
	s_barrier_wait -1
	s_wait_xcnt 0x0
	s_and_saveexec_b32 s2, s0
	s_cbranch_execz .LBB46_472
; %bb.467:
	s_and_b32 vcc_lo, exec_lo, s3
	s_cbranch_vccz .LBB46_469
; %bb.468:
	scratch_load_b64 v[98:99], v39, off
	ds_load_b64 v[100:101], v1
	s_wait_loadcnt_dscnt 0x0
	v_pk_mul_f32 v[102:103], v[100:101], v[98:99] op_sel:[1,1] op_sel_hi:[0,1]
	v_pk_mul_f32 v[104:105], v[100:101], v[98:99] op_sel_hi:[1,0]
	s_delay_alu instid0(VALU_DEP_2) | instskip(NEXT) | instid1(VALU_DEP_2)
	v_pk_fma_f32 v[98:99], v[100:101], v[98:99], v[102:103] op_sel_hi:[1,0,1]
	v_sub_f32_e32 v98, v104, v102
	s_cbranch_execz .LBB46_470
	s_branch .LBB46_471
.LBB46_469:
                                        ; implicit-def: $vgpr99
.LBB46_470:
	ds_load_b64 v[98:99], v1
.LBB46_471:
	s_wait_dscnt 0x0
	v_dual_mov_b32 v100, 0 :: v_dual_mov_b32 v102, v99
	v_mov_b32_e32 v103, v98
	ds_load_b64 v[100:101], v100 offset:8
	s_wait_dscnt 0x0
	v_pk_mul_f32 v[102:103], v[102:103], v[100:101] op_sel:[0,1]
	s_delay_alu instid0(VALU_DEP_1) | instskip(SKIP_1) | instid1(VALU_DEP_2)
	v_pk_fma_f32 v[104:105], v[98:99], v[100:101], v[102:103] op_sel_hi:[1,0,1]
	v_pk_fma_f32 v[98:99], v[98:99], v[100:101], v[102:103] neg_lo:[0,0,1] neg_hi:[0,0,1]
	v_mov_b32_e32 v99, v105
	scratch_store_b64 off, v[98:99], off offset:8
.LBB46_472:
	s_wait_xcnt 0x0
	s_or_b32 exec_lo, exec_lo, s2
	scratch_load_b64 v[98:99], off, off offset:16
	v_cndmask_b32_e64 v100, 0, 1, s3
	s_mov_b32 s2, exec_lo
	s_wait_loadcnt 0x0
	ds_store_b64 v1, v[98:99]
	s_wait_storecnt_dscnt 0x0
	s_barrier_signal -1
	s_barrier_wait -1
	s_wait_xcnt 0x0
	v_cmpx_gt_u32_e32 2, v0
	s_cbranch_execz .LBB46_480
; %bb.473:
	s_and_not1_b32 vcc_lo, exec_lo, s3
	s_cbranch_vccnz .LBB46_475
; %bb.474:
	scratch_load_b64 v[98:99], v39, off
	ds_load_b64 v[102:103], v1
	s_wait_loadcnt_dscnt 0x0
	v_pk_mul_f32 v[104:105], v[102:103], v[98:99] op_sel:[1,1] op_sel_hi:[0,1]
	s_delay_alu instid0(VALU_DEP_1) | instskip(SKIP_1) | instid1(VALU_DEP_2)
	v_pk_fma_f32 v[106:107], v[102:103], v[98:99], v[104:105] op_sel_hi:[1,0,1]
	v_pk_fma_f32 v[98:99], v[102:103], v[98:99], v[104:105] neg_lo:[0,0,1] neg_hi:[0,0,1]
	v_mov_b32_e32 v99, v107
	s_cbranch_execz .LBB46_476
	s_branch .LBB46_477
.LBB46_475:
                                        ; implicit-def: $vgpr98_vgpr99
.LBB46_476:
	ds_load_b64 v[98:99], v1
.LBB46_477:
	s_and_saveexec_b32 s3, s0
	s_cbranch_execz .LBB46_479
; %bb.478:
	scratch_load_b64 v[102:103], off, off offset:8
	v_mov_b32_e32 v101, 0
	ds_load_b64 v[104:105], v101 offset:392
	s_wait_loadcnt_dscnt 0x0
	v_pk_mul_f32 v[106:107], v[104:105], v[102:103] op_sel:[1,1] op_sel_hi:[0,1]
	s_delay_alu instid0(VALU_DEP_1) | instskip(SKIP_1) | instid1(VALU_DEP_2)
	v_pk_fma_f32 v[108:109], v[104:105], v[102:103], v[106:107] op_sel_hi:[1,0,1]
	v_pk_fma_f32 v[102:103], v[104:105], v[102:103], v[106:107] neg_lo:[0,0,1] neg_hi:[0,0,1]
	v_mov_b32_e32 v103, v109
	s_delay_alu instid0(VALU_DEP_1)
	v_pk_add_f32 v[98:99], v[98:99], v[102:103]
.LBB46_479:
	s_or_b32 exec_lo, exec_lo, s3
	v_mov_b32_e32 v101, 0
	ds_load_b64 v[102:103], v101 offset:16
	s_wait_dscnt 0x0
	v_pk_mul_f32 v[104:105], v[98:99], v[102:103] op_sel:[1,1] op_sel_hi:[0,1]
	s_delay_alu instid0(VALU_DEP_1) | instskip(SKIP_1) | instid1(VALU_DEP_2)
	v_pk_fma_f32 v[106:107], v[98:99], v[102:103], v[104:105] op_sel_hi:[1,0,1]
	v_pk_fma_f32 v[98:99], v[98:99], v[102:103], v[104:105] neg_lo:[0,0,1] neg_hi:[0,0,1]
	v_mov_b32_e32 v99, v107
	scratch_store_b64 off, v[98:99], off offset:16
.LBB46_480:
	s_wait_xcnt 0x0
	s_or_b32 exec_lo, exec_lo, s2
	scratch_load_b64 v[98:99], off, off offset:24
	s_mov_b32 s2, exec_lo
	s_wait_loadcnt 0x0
	ds_store_b64 v1, v[98:99]
	s_wait_storecnt_dscnt 0x0
	s_barrier_signal -1
	s_barrier_wait -1
	s_wait_xcnt 0x0
	v_cmpx_gt_u32_e32 3, v0
	s_cbranch_execz .LBB46_490
; %bb.481:
	v_cmp_ne_u32_e32 vcc_lo, 1, v100
	s_cbranch_vccnz .LBB46_483
; %bb.482:
	scratch_load_b64 v[98:99], v39, off
	ds_load_b64 v[102:103], v1
	s_wait_loadcnt_dscnt 0x0
	v_pk_mul_f32 v[104:105], v[102:103], v[98:99] op_sel:[1,1] op_sel_hi:[0,1]
	s_delay_alu instid0(VALU_DEP_1) | instskip(SKIP_1) | instid1(VALU_DEP_2)
	v_pk_fma_f32 v[106:107], v[102:103], v[98:99], v[104:105] op_sel_hi:[1,0,1]
	v_pk_fma_f32 v[98:99], v[102:103], v[98:99], v[104:105] neg_lo:[0,0,1] neg_hi:[0,0,1]
	v_mov_b32_e32 v99, v107
	s_cbranch_execz .LBB46_484
	s_branch .LBB46_485
.LBB46_483:
                                        ; implicit-def: $vgpr98_vgpr99
.LBB46_484:
	ds_load_b64 v[98:99], v1
.LBB46_485:
	s_mov_b32 s3, exec_lo
	v_cmpx_ne_u32_e32 2, v0
	s_cbranch_execz .LBB46_489
; %bb.486:
	scratch_load_b64 v[102:103], v39, off offset:8
	ds_load_b64 v[104:105], v1 offset:8
	s_wait_loadcnt_dscnt 0x0
	v_pk_mul_f32 v[106:107], v[104:105], v[102:103] op_sel:[1,1] op_sel_hi:[0,1]
	s_delay_alu instid0(VALU_DEP_1) | instskip(SKIP_1) | instid1(VALU_DEP_2)
	v_pk_fma_f32 v[108:109], v[104:105], v[102:103], v[106:107] op_sel_hi:[1,0,1]
	v_pk_fma_f32 v[102:103], v[104:105], v[102:103], v[106:107] neg_lo:[0,0,1] neg_hi:[0,0,1]
	v_mov_b32_e32 v103, v109
	s_delay_alu instid0(VALU_DEP_1)
	v_pk_add_f32 v[98:99], v[98:99], v[102:103]
	s_and_saveexec_b32 s4, s0
	s_cbranch_execz .LBB46_488
; %bb.487:
	scratch_load_b64 v[102:103], off, off offset:16
	v_mov_b32_e32 v101, 0
	ds_load_b64 v[104:105], v101 offset:400
	s_wait_loadcnt_dscnt 0x0
	v_pk_mul_f32 v[106:107], v[104:105], v[102:103] op_sel:[1,1] op_sel_hi:[0,1]
	s_delay_alu instid0(VALU_DEP_1) | instskip(SKIP_1) | instid1(VALU_DEP_2)
	v_pk_fma_f32 v[108:109], v[104:105], v[102:103], v[106:107] op_sel_hi:[1,0,1]
	v_pk_fma_f32 v[102:103], v[104:105], v[102:103], v[106:107] neg_lo:[0,0,1] neg_hi:[0,0,1]
	v_mov_b32_e32 v103, v109
	s_delay_alu instid0(VALU_DEP_1)
	v_pk_add_f32 v[98:99], v[98:99], v[102:103]
.LBB46_488:
	s_or_b32 exec_lo, exec_lo, s4
.LBB46_489:
	s_delay_alu instid0(SALU_CYCLE_1) | instskip(SKIP_4) | instid1(VALU_DEP_1)
	s_or_b32 exec_lo, exec_lo, s3
	v_mov_b32_e32 v101, 0
	ds_load_b64 v[102:103], v101 offset:24
	s_wait_dscnt 0x0
	v_pk_mul_f32 v[104:105], v[98:99], v[102:103] op_sel:[1,1] op_sel_hi:[0,1]
	v_pk_fma_f32 v[106:107], v[98:99], v[102:103], v[104:105] op_sel_hi:[1,0,1]
	v_pk_fma_f32 v[98:99], v[98:99], v[102:103], v[104:105] neg_lo:[0,0,1] neg_hi:[0,0,1]
	s_delay_alu instid0(VALU_DEP_2)
	v_mov_b32_e32 v99, v107
	scratch_store_b64 off, v[98:99], off offset:24
.LBB46_490:
	s_wait_xcnt 0x0
	s_or_b32 exec_lo, exec_lo, s2
	scratch_load_b64 v[98:99], off, off offset:32
	s_mov_b32 s0, exec_lo
	s_wait_loadcnt 0x0
	ds_store_b64 v1, v[98:99]
	s_wait_storecnt_dscnt 0x0
	s_barrier_signal -1
	s_barrier_wait -1
	s_wait_xcnt 0x0
	v_cmpx_gt_u32_e32 4, v0
	s_cbranch_execz .LBB46_500
; %bb.491:
	v_cmp_ne_u32_e32 vcc_lo, 1, v100
	s_cbranch_vccnz .LBB46_493
; %bb.492:
	scratch_load_b64 v[98:99], v39, off
	ds_load_b64 v[102:103], v1
	s_wait_loadcnt_dscnt 0x0
	v_pk_mul_f32 v[104:105], v[102:103], v[98:99] op_sel:[1,1] op_sel_hi:[0,1]
	s_delay_alu instid0(VALU_DEP_1) | instskip(SKIP_1) | instid1(VALU_DEP_2)
	v_pk_fma_f32 v[106:107], v[102:103], v[98:99], v[104:105] op_sel_hi:[1,0,1]
	v_pk_fma_f32 v[98:99], v[102:103], v[98:99], v[104:105] neg_lo:[0,0,1] neg_hi:[0,0,1]
	v_mov_b32_e32 v99, v107
	s_cbranch_execz .LBB46_494
	s_branch .LBB46_495
.LBB46_493:
                                        ; implicit-def: $vgpr98_vgpr99
.LBB46_494:
	ds_load_b64 v[98:99], v1
.LBB46_495:
	s_mov_b32 s2, exec_lo
	v_cmpx_ne_u32_e32 3, v0
	s_cbranch_execz .LBB46_499
; %bb.496:
	v_add_nc_u32_e32 v101, 0x188, v38
	v_add3_u32 v102, 0, v38, 8
	v_mov_b32_e32 v103, v0
	s_mov_b32 s3, 0
.LBB46_497:                             ; =>This Inner Loop Header: Depth=1
	scratch_load_b64 v[104:105], v102, off
	ds_load_b64 v[106:107], v101
	s_wait_xcnt 0x0
	v_dual_add_nc_u32 v101, 8, v101 :: v_dual_add_nc_u32 v102, 8, v102
	s_wait_loadcnt_dscnt 0x0
	v_pk_mul_f32 v[108:109], v[106:107], v[104:105] op_sel:[1,1] op_sel_hi:[0,1]
	s_delay_alu instid0(VALU_DEP_1) | instskip(SKIP_2) | instid1(VALU_DEP_3)
	v_pk_fma_f32 v[110:111], v[106:107], v[104:105], v[108:109] op_sel_hi:[1,0,1]
	v_add_nc_u32_e32 v103, 1, v103
	v_pk_fma_f32 v[104:105], v[106:107], v[104:105], v[108:109] neg_lo:[0,0,1] neg_hi:[0,0,1]
	v_mov_b32_e32 v105, v111
	s_delay_alu instid0(VALU_DEP_3) | instskip(NEXT) | instid1(VALU_DEP_2)
	v_cmp_lt_u32_e32 vcc_lo, 2, v103
	v_pk_add_f32 v[98:99], v[98:99], v[104:105]
	s_or_b32 s3, vcc_lo, s3
	s_delay_alu instid0(SALU_CYCLE_1)
	s_and_not1_b32 exec_lo, exec_lo, s3
	s_cbranch_execnz .LBB46_497
; %bb.498:
	s_or_b32 exec_lo, exec_lo, s3
.LBB46_499:
	s_delay_alu instid0(SALU_CYCLE_1) | instskip(SKIP_4) | instid1(VALU_DEP_1)
	s_or_b32 exec_lo, exec_lo, s2
	v_mov_b32_e32 v101, 0
	ds_load_b64 v[102:103], v101 offset:32
	s_wait_dscnt 0x0
	v_pk_mul_f32 v[104:105], v[98:99], v[102:103] op_sel:[1,1] op_sel_hi:[0,1]
	v_pk_fma_f32 v[106:107], v[98:99], v[102:103], v[104:105] op_sel_hi:[1,0,1]
	v_pk_fma_f32 v[98:99], v[98:99], v[102:103], v[104:105] neg_lo:[0,0,1] neg_hi:[0,0,1]
	s_delay_alu instid0(VALU_DEP_2)
	v_mov_b32_e32 v99, v107
	scratch_store_b64 off, v[98:99], off offset:32
.LBB46_500:
	s_wait_xcnt 0x0
	s_or_b32 exec_lo, exec_lo, s0
	scratch_load_b64 v[98:99], off, off offset:40
	s_mov_b32 s0, exec_lo
	s_wait_loadcnt 0x0
	ds_store_b64 v1, v[98:99]
	s_wait_storecnt_dscnt 0x0
	s_barrier_signal -1
	s_barrier_wait -1
	s_wait_xcnt 0x0
	v_cmpx_gt_u32_e32 5, v0
	s_cbranch_execz .LBB46_510
; %bb.501:
	v_cmp_ne_u32_e32 vcc_lo, 1, v100
	s_cbranch_vccnz .LBB46_503
; %bb.502:
	scratch_load_b64 v[98:99], v39, off
	ds_load_b64 v[102:103], v1
	s_wait_loadcnt_dscnt 0x0
	v_pk_mul_f32 v[104:105], v[102:103], v[98:99] op_sel:[1,1] op_sel_hi:[0,1]
	s_delay_alu instid0(VALU_DEP_1) | instskip(SKIP_1) | instid1(VALU_DEP_2)
	v_pk_fma_f32 v[106:107], v[102:103], v[98:99], v[104:105] op_sel_hi:[1,0,1]
	v_pk_fma_f32 v[98:99], v[102:103], v[98:99], v[104:105] neg_lo:[0,0,1] neg_hi:[0,0,1]
	v_mov_b32_e32 v99, v107
	s_cbranch_execz .LBB46_504
	s_branch .LBB46_505
.LBB46_503:
                                        ; implicit-def: $vgpr98_vgpr99
.LBB46_504:
	ds_load_b64 v[98:99], v1
.LBB46_505:
	s_mov_b32 s2, exec_lo
	v_cmpx_ne_u32_e32 4, v0
	s_cbranch_execz .LBB46_509
; %bb.506:
	v_add_nc_u32_e32 v101, 0x188, v38
	v_add3_u32 v102, 0, v38, 8
	v_mov_b32_e32 v103, v0
	s_mov_b32 s3, 0
.LBB46_507:                             ; =>This Inner Loop Header: Depth=1
	scratch_load_b64 v[104:105], v102, off
	ds_load_b64 v[106:107], v101
	s_wait_xcnt 0x0
	v_dual_add_nc_u32 v101, 8, v101 :: v_dual_add_nc_u32 v102, 8, v102
	s_wait_loadcnt_dscnt 0x0
	v_pk_mul_f32 v[108:109], v[106:107], v[104:105] op_sel:[1,1] op_sel_hi:[0,1]
	s_delay_alu instid0(VALU_DEP_1) | instskip(SKIP_2) | instid1(VALU_DEP_3)
	v_pk_fma_f32 v[110:111], v[106:107], v[104:105], v[108:109] op_sel_hi:[1,0,1]
	v_add_nc_u32_e32 v103, 1, v103
	v_pk_fma_f32 v[104:105], v[106:107], v[104:105], v[108:109] neg_lo:[0,0,1] neg_hi:[0,0,1]
	v_mov_b32_e32 v105, v111
	s_delay_alu instid0(VALU_DEP_3) | instskip(NEXT) | instid1(VALU_DEP_2)
	v_cmp_lt_u32_e32 vcc_lo, 3, v103
	v_pk_add_f32 v[98:99], v[98:99], v[104:105]
	s_or_b32 s3, vcc_lo, s3
	s_delay_alu instid0(SALU_CYCLE_1)
	s_and_not1_b32 exec_lo, exec_lo, s3
	s_cbranch_execnz .LBB46_507
; %bb.508:
	s_or_b32 exec_lo, exec_lo, s3
.LBB46_509:
	s_delay_alu instid0(SALU_CYCLE_1) | instskip(SKIP_4) | instid1(VALU_DEP_1)
	s_or_b32 exec_lo, exec_lo, s2
	v_mov_b32_e32 v101, 0
	ds_load_b64 v[102:103], v101 offset:40
	s_wait_dscnt 0x0
	v_pk_mul_f32 v[104:105], v[98:99], v[102:103] op_sel:[1,1] op_sel_hi:[0,1]
	v_pk_fma_f32 v[106:107], v[98:99], v[102:103], v[104:105] op_sel_hi:[1,0,1]
	v_pk_fma_f32 v[98:99], v[98:99], v[102:103], v[104:105] neg_lo:[0,0,1] neg_hi:[0,0,1]
	s_delay_alu instid0(VALU_DEP_2)
	v_mov_b32_e32 v99, v107
	scratch_store_b64 off, v[98:99], off offset:40
.LBB46_510:
	s_wait_xcnt 0x0
	s_or_b32 exec_lo, exec_lo, s0
	scratch_load_b64 v[98:99], off, off offset:48
	s_mov_b32 s0, exec_lo
	s_wait_loadcnt 0x0
	ds_store_b64 v1, v[98:99]
	s_wait_storecnt_dscnt 0x0
	s_barrier_signal -1
	s_barrier_wait -1
	s_wait_xcnt 0x0
	v_cmpx_gt_u32_e32 6, v0
	s_cbranch_execz .LBB46_520
; %bb.511:
	v_cmp_ne_u32_e32 vcc_lo, 1, v100
	s_cbranch_vccnz .LBB46_513
; %bb.512:
	scratch_load_b64 v[98:99], v39, off
	ds_load_b64 v[102:103], v1
	s_wait_loadcnt_dscnt 0x0
	v_pk_mul_f32 v[104:105], v[102:103], v[98:99] op_sel:[1,1] op_sel_hi:[0,1]
	s_delay_alu instid0(VALU_DEP_1) | instskip(SKIP_1) | instid1(VALU_DEP_2)
	v_pk_fma_f32 v[106:107], v[102:103], v[98:99], v[104:105] op_sel_hi:[1,0,1]
	v_pk_fma_f32 v[98:99], v[102:103], v[98:99], v[104:105] neg_lo:[0,0,1] neg_hi:[0,0,1]
	v_mov_b32_e32 v99, v107
	s_cbranch_execz .LBB46_514
	s_branch .LBB46_515
.LBB46_513:
                                        ; implicit-def: $vgpr98_vgpr99
.LBB46_514:
	ds_load_b64 v[98:99], v1
.LBB46_515:
	s_mov_b32 s2, exec_lo
	v_cmpx_ne_u32_e32 5, v0
	s_cbranch_execz .LBB46_519
; %bb.516:
	v_add_nc_u32_e32 v101, 0x188, v38
	v_add3_u32 v102, 0, v38, 8
	v_mov_b32_e32 v103, v0
	s_mov_b32 s3, 0
.LBB46_517:                             ; =>This Inner Loop Header: Depth=1
	scratch_load_b64 v[104:105], v102, off
	ds_load_b64 v[106:107], v101
	s_wait_xcnt 0x0
	v_dual_add_nc_u32 v101, 8, v101 :: v_dual_add_nc_u32 v102, 8, v102
	s_wait_loadcnt_dscnt 0x0
	v_pk_mul_f32 v[108:109], v[106:107], v[104:105] op_sel:[1,1] op_sel_hi:[0,1]
	s_delay_alu instid0(VALU_DEP_1) | instskip(SKIP_2) | instid1(VALU_DEP_3)
	v_pk_fma_f32 v[110:111], v[106:107], v[104:105], v[108:109] op_sel_hi:[1,0,1]
	v_add_nc_u32_e32 v103, 1, v103
	v_pk_fma_f32 v[104:105], v[106:107], v[104:105], v[108:109] neg_lo:[0,0,1] neg_hi:[0,0,1]
	v_mov_b32_e32 v105, v111
	s_delay_alu instid0(VALU_DEP_3) | instskip(NEXT) | instid1(VALU_DEP_2)
	v_cmp_lt_u32_e32 vcc_lo, 4, v103
	v_pk_add_f32 v[98:99], v[98:99], v[104:105]
	s_or_b32 s3, vcc_lo, s3
	s_delay_alu instid0(SALU_CYCLE_1)
	s_and_not1_b32 exec_lo, exec_lo, s3
	s_cbranch_execnz .LBB46_517
; %bb.518:
	s_or_b32 exec_lo, exec_lo, s3
.LBB46_519:
	s_delay_alu instid0(SALU_CYCLE_1) | instskip(SKIP_4) | instid1(VALU_DEP_1)
	s_or_b32 exec_lo, exec_lo, s2
	v_mov_b32_e32 v101, 0
	ds_load_b64 v[102:103], v101 offset:48
	s_wait_dscnt 0x0
	v_pk_mul_f32 v[104:105], v[98:99], v[102:103] op_sel:[1,1] op_sel_hi:[0,1]
	v_pk_fma_f32 v[106:107], v[98:99], v[102:103], v[104:105] op_sel_hi:[1,0,1]
	v_pk_fma_f32 v[98:99], v[98:99], v[102:103], v[104:105] neg_lo:[0,0,1] neg_hi:[0,0,1]
	s_delay_alu instid0(VALU_DEP_2)
	v_mov_b32_e32 v99, v107
	scratch_store_b64 off, v[98:99], off offset:48
.LBB46_520:
	s_wait_xcnt 0x0
	s_or_b32 exec_lo, exec_lo, s0
	scratch_load_b64 v[98:99], off, off offset:56
	s_mov_b32 s0, exec_lo
	s_wait_loadcnt 0x0
	ds_store_b64 v1, v[98:99]
	s_wait_storecnt_dscnt 0x0
	s_barrier_signal -1
	s_barrier_wait -1
	s_wait_xcnt 0x0
	v_cmpx_gt_u32_e32 7, v0
	s_cbranch_execz .LBB46_530
; %bb.521:
	v_cmp_ne_u32_e32 vcc_lo, 1, v100
	s_cbranch_vccnz .LBB46_523
; %bb.522:
	scratch_load_b64 v[98:99], v39, off
	ds_load_b64 v[102:103], v1
	s_wait_loadcnt_dscnt 0x0
	v_pk_mul_f32 v[104:105], v[102:103], v[98:99] op_sel:[1,1] op_sel_hi:[0,1]
	s_delay_alu instid0(VALU_DEP_1) | instskip(SKIP_1) | instid1(VALU_DEP_2)
	v_pk_fma_f32 v[106:107], v[102:103], v[98:99], v[104:105] op_sel_hi:[1,0,1]
	v_pk_fma_f32 v[98:99], v[102:103], v[98:99], v[104:105] neg_lo:[0,0,1] neg_hi:[0,0,1]
	v_mov_b32_e32 v99, v107
	s_cbranch_execz .LBB46_524
	s_branch .LBB46_525
.LBB46_523:
                                        ; implicit-def: $vgpr98_vgpr99
.LBB46_524:
	ds_load_b64 v[98:99], v1
.LBB46_525:
	s_mov_b32 s2, exec_lo
	v_cmpx_ne_u32_e32 6, v0
	s_cbranch_execz .LBB46_529
; %bb.526:
	v_add_nc_u32_e32 v101, 0x188, v38
	v_add3_u32 v102, 0, v38, 8
	v_mov_b32_e32 v103, v0
	s_mov_b32 s3, 0
.LBB46_527:                             ; =>This Inner Loop Header: Depth=1
	scratch_load_b64 v[104:105], v102, off
	ds_load_b64 v[106:107], v101
	s_wait_xcnt 0x0
	v_dual_add_nc_u32 v101, 8, v101 :: v_dual_add_nc_u32 v102, 8, v102
	s_wait_loadcnt_dscnt 0x0
	v_pk_mul_f32 v[108:109], v[106:107], v[104:105] op_sel:[1,1] op_sel_hi:[0,1]
	s_delay_alu instid0(VALU_DEP_1) | instskip(SKIP_2) | instid1(VALU_DEP_3)
	v_pk_fma_f32 v[110:111], v[106:107], v[104:105], v[108:109] op_sel_hi:[1,0,1]
	v_add_nc_u32_e32 v103, 1, v103
	v_pk_fma_f32 v[104:105], v[106:107], v[104:105], v[108:109] neg_lo:[0,0,1] neg_hi:[0,0,1]
	v_mov_b32_e32 v105, v111
	s_delay_alu instid0(VALU_DEP_3) | instskip(NEXT) | instid1(VALU_DEP_2)
	v_cmp_lt_u32_e32 vcc_lo, 5, v103
	v_pk_add_f32 v[98:99], v[98:99], v[104:105]
	s_or_b32 s3, vcc_lo, s3
	s_delay_alu instid0(SALU_CYCLE_1)
	s_and_not1_b32 exec_lo, exec_lo, s3
	s_cbranch_execnz .LBB46_527
; %bb.528:
	s_or_b32 exec_lo, exec_lo, s3
.LBB46_529:
	s_delay_alu instid0(SALU_CYCLE_1) | instskip(SKIP_4) | instid1(VALU_DEP_1)
	s_or_b32 exec_lo, exec_lo, s2
	v_mov_b32_e32 v101, 0
	ds_load_b64 v[102:103], v101 offset:56
	s_wait_dscnt 0x0
	v_pk_mul_f32 v[104:105], v[98:99], v[102:103] op_sel:[1,1] op_sel_hi:[0,1]
	v_pk_fma_f32 v[106:107], v[98:99], v[102:103], v[104:105] op_sel_hi:[1,0,1]
	v_pk_fma_f32 v[98:99], v[98:99], v[102:103], v[104:105] neg_lo:[0,0,1] neg_hi:[0,0,1]
	s_delay_alu instid0(VALU_DEP_2)
	v_mov_b32_e32 v99, v107
	scratch_store_b64 off, v[98:99], off offset:56
.LBB46_530:
	s_wait_xcnt 0x0
	s_or_b32 exec_lo, exec_lo, s0
	scratch_load_b64 v[98:99], off, off offset:64
	s_mov_b32 s0, exec_lo
	s_wait_loadcnt 0x0
	ds_store_b64 v1, v[98:99]
	s_wait_storecnt_dscnt 0x0
	s_barrier_signal -1
	s_barrier_wait -1
	s_wait_xcnt 0x0
	v_cmpx_gt_u32_e32 8, v0
	s_cbranch_execz .LBB46_540
; %bb.531:
	v_cmp_ne_u32_e32 vcc_lo, 1, v100
	s_cbranch_vccnz .LBB46_533
; %bb.532:
	scratch_load_b64 v[98:99], v39, off
	ds_load_b64 v[102:103], v1
	s_wait_loadcnt_dscnt 0x0
	v_pk_mul_f32 v[104:105], v[102:103], v[98:99] op_sel:[1,1] op_sel_hi:[0,1]
	s_delay_alu instid0(VALU_DEP_1) | instskip(SKIP_1) | instid1(VALU_DEP_2)
	v_pk_fma_f32 v[106:107], v[102:103], v[98:99], v[104:105] op_sel_hi:[1,0,1]
	v_pk_fma_f32 v[98:99], v[102:103], v[98:99], v[104:105] neg_lo:[0,0,1] neg_hi:[0,0,1]
	v_mov_b32_e32 v99, v107
	s_cbranch_execz .LBB46_534
	s_branch .LBB46_535
.LBB46_533:
                                        ; implicit-def: $vgpr98_vgpr99
.LBB46_534:
	ds_load_b64 v[98:99], v1
.LBB46_535:
	s_mov_b32 s2, exec_lo
	v_cmpx_ne_u32_e32 7, v0
	s_cbranch_execz .LBB46_539
; %bb.536:
	v_add_nc_u32_e32 v101, 0x188, v38
	v_add3_u32 v102, 0, v38, 8
	v_mov_b32_e32 v103, v0
	s_mov_b32 s3, 0
.LBB46_537:                             ; =>This Inner Loop Header: Depth=1
	scratch_load_b64 v[104:105], v102, off
	ds_load_b64 v[106:107], v101
	s_wait_xcnt 0x0
	v_dual_add_nc_u32 v101, 8, v101 :: v_dual_add_nc_u32 v102, 8, v102
	s_wait_loadcnt_dscnt 0x0
	v_pk_mul_f32 v[108:109], v[106:107], v[104:105] op_sel:[1,1] op_sel_hi:[0,1]
	s_delay_alu instid0(VALU_DEP_1) | instskip(SKIP_2) | instid1(VALU_DEP_3)
	v_pk_fma_f32 v[110:111], v[106:107], v[104:105], v[108:109] op_sel_hi:[1,0,1]
	v_add_nc_u32_e32 v103, 1, v103
	v_pk_fma_f32 v[104:105], v[106:107], v[104:105], v[108:109] neg_lo:[0,0,1] neg_hi:[0,0,1]
	v_mov_b32_e32 v105, v111
	s_delay_alu instid0(VALU_DEP_3) | instskip(NEXT) | instid1(VALU_DEP_2)
	v_cmp_lt_u32_e32 vcc_lo, 6, v103
	v_pk_add_f32 v[98:99], v[98:99], v[104:105]
	s_or_b32 s3, vcc_lo, s3
	s_delay_alu instid0(SALU_CYCLE_1)
	s_and_not1_b32 exec_lo, exec_lo, s3
	s_cbranch_execnz .LBB46_537
; %bb.538:
	s_or_b32 exec_lo, exec_lo, s3
.LBB46_539:
	s_delay_alu instid0(SALU_CYCLE_1) | instskip(SKIP_4) | instid1(VALU_DEP_1)
	s_or_b32 exec_lo, exec_lo, s2
	v_mov_b32_e32 v101, 0
	ds_load_b64 v[102:103], v101 offset:64
	s_wait_dscnt 0x0
	v_pk_mul_f32 v[104:105], v[98:99], v[102:103] op_sel:[1,1] op_sel_hi:[0,1]
	v_pk_fma_f32 v[106:107], v[98:99], v[102:103], v[104:105] op_sel_hi:[1,0,1]
	v_pk_fma_f32 v[98:99], v[98:99], v[102:103], v[104:105] neg_lo:[0,0,1] neg_hi:[0,0,1]
	s_delay_alu instid0(VALU_DEP_2)
	v_mov_b32_e32 v99, v107
	scratch_store_b64 off, v[98:99], off offset:64
.LBB46_540:
	s_wait_xcnt 0x0
	s_or_b32 exec_lo, exec_lo, s0
	scratch_load_b64 v[98:99], off, off offset:72
	s_mov_b32 s0, exec_lo
	s_wait_loadcnt 0x0
	ds_store_b64 v1, v[98:99]
	s_wait_storecnt_dscnt 0x0
	s_barrier_signal -1
	s_barrier_wait -1
	s_wait_xcnt 0x0
	v_cmpx_gt_u32_e32 9, v0
	s_cbranch_execz .LBB46_550
; %bb.541:
	v_cmp_ne_u32_e32 vcc_lo, 1, v100
	s_cbranch_vccnz .LBB46_543
; %bb.542:
	scratch_load_b64 v[98:99], v39, off
	ds_load_b64 v[102:103], v1
	s_wait_loadcnt_dscnt 0x0
	v_pk_mul_f32 v[104:105], v[102:103], v[98:99] op_sel:[1,1] op_sel_hi:[0,1]
	s_delay_alu instid0(VALU_DEP_1) | instskip(SKIP_1) | instid1(VALU_DEP_2)
	v_pk_fma_f32 v[106:107], v[102:103], v[98:99], v[104:105] op_sel_hi:[1,0,1]
	v_pk_fma_f32 v[98:99], v[102:103], v[98:99], v[104:105] neg_lo:[0,0,1] neg_hi:[0,0,1]
	v_mov_b32_e32 v99, v107
	s_cbranch_execz .LBB46_544
	s_branch .LBB46_545
.LBB46_543:
                                        ; implicit-def: $vgpr98_vgpr99
.LBB46_544:
	ds_load_b64 v[98:99], v1
.LBB46_545:
	s_mov_b32 s2, exec_lo
	v_cmpx_ne_u32_e32 8, v0
	s_cbranch_execz .LBB46_549
; %bb.546:
	v_add_nc_u32_e32 v101, 0x188, v38
	v_add3_u32 v102, 0, v38, 8
	v_mov_b32_e32 v103, v0
	s_mov_b32 s3, 0
.LBB46_547:                             ; =>This Inner Loop Header: Depth=1
	scratch_load_b64 v[104:105], v102, off
	ds_load_b64 v[106:107], v101
	s_wait_xcnt 0x0
	v_dual_add_nc_u32 v101, 8, v101 :: v_dual_add_nc_u32 v102, 8, v102
	s_wait_loadcnt_dscnt 0x0
	v_pk_mul_f32 v[108:109], v[106:107], v[104:105] op_sel:[1,1] op_sel_hi:[0,1]
	s_delay_alu instid0(VALU_DEP_1) | instskip(SKIP_2) | instid1(VALU_DEP_3)
	v_pk_fma_f32 v[110:111], v[106:107], v[104:105], v[108:109] op_sel_hi:[1,0,1]
	v_add_nc_u32_e32 v103, 1, v103
	v_pk_fma_f32 v[104:105], v[106:107], v[104:105], v[108:109] neg_lo:[0,0,1] neg_hi:[0,0,1]
	v_mov_b32_e32 v105, v111
	s_delay_alu instid0(VALU_DEP_3) | instskip(NEXT) | instid1(VALU_DEP_2)
	v_cmp_lt_u32_e32 vcc_lo, 7, v103
	v_pk_add_f32 v[98:99], v[98:99], v[104:105]
	s_or_b32 s3, vcc_lo, s3
	s_delay_alu instid0(SALU_CYCLE_1)
	s_and_not1_b32 exec_lo, exec_lo, s3
	s_cbranch_execnz .LBB46_547
; %bb.548:
	s_or_b32 exec_lo, exec_lo, s3
.LBB46_549:
	s_delay_alu instid0(SALU_CYCLE_1) | instskip(SKIP_4) | instid1(VALU_DEP_1)
	s_or_b32 exec_lo, exec_lo, s2
	v_mov_b32_e32 v101, 0
	ds_load_b64 v[102:103], v101 offset:72
	s_wait_dscnt 0x0
	v_pk_mul_f32 v[104:105], v[98:99], v[102:103] op_sel:[1,1] op_sel_hi:[0,1]
	v_pk_fma_f32 v[106:107], v[98:99], v[102:103], v[104:105] op_sel_hi:[1,0,1]
	v_pk_fma_f32 v[98:99], v[98:99], v[102:103], v[104:105] neg_lo:[0,0,1] neg_hi:[0,0,1]
	s_delay_alu instid0(VALU_DEP_2)
	v_mov_b32_e32 v99, v107
	scratch_store_b64 off, v[98:99], off offset:72
.LBB46_550:
	s_wait_xcnt 0x0
	s_or_b32 exec_lo, exec_lo, s0
	scratch_load_b64 v[98:99], off, off offset:80
	s_mov_b32 s0, exec_lo
	s_wait_loadcnt 0x0
	ds_store_b64 v1, v[98:99]
	s_wait_storecnt_dscnt 0x0
	s_barrier_signal -1
	s_barrier_wait -1
	s_wait_xcnt 0x0
	v_cmpx_gt_u32_e32 10, v0
	s_cbranch_execz .LBB46_560
; %bb.551:
	v_cmp_ne_u32_e32 vcc_lo, 1, v100
	s_cbranch_vccnz .LBB46_553
; %bb.552:
	scratch_load_b64 v[98:99], v39, off
	ds_load_b64 v[102:103], v1
	s_wait_loadcnt_dscnt 0x0
	v_pk_mul_f32 v[104:105], v[102:103], v[98:99] op_sel:[1,1] op_sel_hi:[0,1]
	s_delay_alu instid0(VALU_DEP_1) | instskip(SKIP_1) | instid1(VALU_DEP_2)
	v_pk_fma_f32 v[106:107], v[102:103], v[98:99], v[104:105] op_sel_hi:[1,0,1]
	v_pk_fma_f32 v[98:99], v[102:103], v[98:99], v[104:105] neg_lo:[0,0,1] neg_hi:[0,0,1]
	v_mov_b32_e32 v99, v107
	s_cbranch_execz .LBB46_554
	s_branch .LBB46_555
.LBB46_553:
                                        ; implicit-def: $vgpr98_vgpr99
.LBB46_554:
	ds_load_b64 v[98:99], v1
.LBB46_555:
	s_mov_b32 s2, exec_lo
	v_cmpx_ne_u32_e32 9, v0
	s_cbranch_execz .LBB46_559
; %bb.556:
	v_add_nc_u32_e32 v101, 0x188, v38
	v_add3_u32 v102, 0, v38, 8
	v_mov_b32_e32 v103, v0
	s_mov_b32 s3, 0
.LBB46_557:                             ; =>This Inner Loop Header: Depth=1
	scratch_load_b64 v[104:105], v102, off
	ds_load_b64 v[106:107], v101
	s_wait_xcnt 0x0
	v_dual_add_nc_u32 v101, 8, v101 :: v_dual_add_nc_u32 v102, 8, v102
	s_wait_loadcnt_dscnt 0x0
	v_pk_mul_f32 v[108:109], v[106:107], v[104:105] op_sel:[1,1] op_sel_hi:[0,1]
	s_delay_alu instid0(VALU_DEP_1) | instskip(SKIP_2) | instid1(VALU_DEP_3)
	v_pk_fma_f32 v[110:111], v[106:107], v[104:105], v[108:109] op_sel_hi:[1,0,1]
	v_add_nc_u32_e32 v103, 1, v103
	v_pk_fma_f32 v[104:105], v[106:107], v[104:105], v[108:109] neg_lo:[0,0,1] neg_hi:[0,0,1]
	v_mov_b32_e32 v105, v111
	s_delay_alu instid0(VALU_DEP_3) | instskip(NEXT) | instid1(VALU_DEP_2)
	v_cmp_lt_u32_e32 vcc_lo, 8, v103
	v_pk_add_f32 v[98:99], v[98:99], v[104:105]
	s_or_b32 s3, vcc_lo, s3
	s_delay_alu instid0(SALU_CYCLE_1)
	s_and_not1_b32 exec_lo, exec_lo, s3
	s_cbranch_execnz .LBB46_557
; %bb.558:
	s_or_b32 exec_lo, exec_lo, s3
.LBB46_559:
	s_delay_alu instid0(SALU_CYCLE_1) | instskip(SKIP_4) | instid1(VALU_DEP_1)
	s_or_b32 exec_lo, exec_lo, s2
	v_mov_b32_e32 v101, 0
	ds_load_b64 v[102:103], v101 offset:80
	s_wait_dscnt 0x0
	v_pk_mul_f32 v[104:105], v[98:99], v[102:103] op_sel:[1,1] op_sel_hi:[0,1]
	v_pk_fma_f32 v[106:107], v[98:99], v[102:103], v[104:105] op_sel_hi:[1,0,1]
	v_pk_fma_f32 v[98:99], v[98:99], v[102:103], v[104:105] neg_lo:[0,0,1] neg_hi:[0,0,1]
	s_delay_alu instid0(VALU_DEP_2)
	v_mov_b32_e32 v99, v107
	scratch_store_b64 off, v[98:99], off offset:80
.LBB46_560:
	s_wait_xcnt 0x0
	s_or_b32 exec_lo, exec_lo, s0
	scratch_load_b64 v[98:99], off, off offset:88
	s_mov_b32 s0, exec_lo
	s_wait_loadcnt 0x0
	ds_store_b64 v1, v[98:99]
	s_wait_storecnt_dscnt 0x0
	s_barrier_signal -1
	s_barrier_wait -1
	s_wait_xcnt 0x0
	v_cmpx_gt_u32_e32 11, v0
	s_cbranch_execz .LBB46_570
; %bb.561:
	v_cmp_ne_u32_e32 vcc_lo, 1, v100
	s_cbranch_vccnz .LBB46_563
; %bb.562:
	scratch_load_b64 v[98:99], v39, off
	ds_load_b64 v[102:103], v1
	s_wait_loadcnt_dscnt 0x0
	v_pk_mul_f32 v[104:105], v[102:103], v[98:99] op_sel:[1,1] op_sel_hi:[0,1]
	s_delay_alu instid0(VALU_DEP_1) | instskip(SKIP_1) | instid1(VALU_DEP_2)
	v_pk_fma_f32 v[106:107], v[102:103], v[98:99], v[104:105] op_sel_hi:[1,0,1]
	v_pk_fma_f32 v[98:99], v[102:103], v[98:99], v[104:105] neg_lo:[0,0,1] neg_hi:[0,0,1]
	v_mov_b32_e32 v99, v107
	s_cbranch_execz .LBB46_564
	s_branch .LBB46_565
.LBB46_563:
                                        ; implicit-def: $vgpr98_vgpr99
.LBB46_564:
	ds_load_b64 v[98:99], v1
.LBB46_565:
	s_mov_b32 s2, exec_lo
	v_cmpx_ne_u32_e32 10, v0
	s_cbranch_execz .LBB46_569
; %bb.566:
	v_add_nc_u32_e32 v101, 0x188, v38
	v_add3_u32 v102, 0, v38, 8
	v_mov_b32_e32 v103, v0
	s_mov_b32 s3, 0
.LBB46_567:                             ; =>This Inner Loop Header: Depth=1
	scratch_load_b64 v[104:105], v102, off
	ds_load_b64 v[106:107], v101
	s_wait_xcnt 0x0
	v_dual_add_nc_u32 v101, 8, v101 :: v_dual_add_nc_u32 v102, 8, v102
	s_wait_loadcnt_dscnt 0x0
	v_pk_mul_f32 v[108:109], v[106:107], v[104:105] op_sel:[1,1] op_sel_hi:[0,1]
	s_delay_alu instid0(VALU_DEP_1) | instskip(SKIP_2) | instid1(VALU_DEP_3)
	v_pk_fma_f32 v[110:111], v[106:107], v[104:105], v[108:109] op_sel_hi:[1,0,1]
	v_add_nc_u32_e32 v103, 1, v103
	v_pk_fma_f32 v[104:105], v[106:107], v[104:105], v[108:109] neg_lo:[0,0,1] neg_hi:[0,0,1]
	v_mov_b32_e32 v105, v111
	s_delay_alu instid0(VALU_DEP_3) | instskip(NEXT) | instid1(VALU_DEP_2)
	v_cmp_lt_u32_e32 vcc_lo, 9, v103
	v_pk_add_f32 v[98:99], v[98:99], v[104:105]
	s_or_b32 s3, vcc_lo, s3
	s_delay_alu instid0(SALU_CYCLE_1)
	s_and_not1_b32 exec_lo, exec_lo, s3
	s_cbranch_execnz .LBB46_567
; %bb.568:
	s_or_b32 exec_lo, exec_lo, s3
.LBB46_569:
	s_delay_alu instid0(SALU_CYCLE_1) | instskip(SKIP_4) | instid1(VALU_DEP_1)
	s_or_b32 exec_lo, exec_lo, s2
	v_mov_b32_e32 v101, 0
	ds_load_b64 v[102:103], v101 offset:88
	s_wait_dscnt 0x0
	v_pk_mul_f32 v[104:105], v[98:99], v[102:103] op_sel:[1,1] op_sel_hi:[0,1]
	v_pk_fma_f32 v[106:107], v[98:99], v[102:103], v[104:105] op_sel_hi:[1,0,1]
	v_pk_fma_f32 v[98:99], v[98:99], v[102:103], v[104:105] neg_lo:[0,0,1] neg_hi:[0,0,1]
	s_delay_alu instid0(VALU_DEP_2)
	v_mov_b32_e32 v99, v107
	scratch_store_b64 off, v[98:99], off offset:88
.LBB46_570:
	s_wait_xcnt 0x0
	s_or_b32 exec_lo, exec_lo, s0
	scratch_load_b64 v[98:99], off, off offset:96
	s_mov_b32 s0, exec_lo
	s_wait_loadcnt 0x0
	ds_store_b64 v1, v[98:99]
	s_wait_storecnt_dscnt 0x0
	s_barrier_signal -1
	s_barrier_wait -1
	s_wait_xcnt 0x0
	v_cmpx_gt_u32_e32 12, v0
	s_cbranch_execz .LBB46_580
; %bb.571:
	v_cmp_ne_u32_e32 vcc_lo, 1, v100
	s_cbranch_vccnz .LBB46_573
; %bb.572:
	scratch_load_b64 v[98:99], v39, off
	ds_load_b64 v[102:103], v1
	s_wait_loadcnt_dscnt 0x0
	v_pk_mul_f32 v[104:105], v[102:103], v[98:99] op_sel:[1,1] op_sel_hi:[0,1]
	s_delay_alu instid0(VALU_DEP_1) | instskip(SKIP_1) | instid1(VALU_DEP_2)
	v_pk_fma_f32 v[106:107], v[102:103], v[98:99], v[104:105] op_sel_hi:[1,0,1]
	v_pk_fma_f32 v[98:99], v[102:103], v[98:99], v[104:105] neg_lo:[0,0,1] neg_hi:[0,0,1]
	v_mov_b32_e32 v99, v107
	s_cbranch_execz .LBB46_574
	s_branch .LBB46_575
.LBB46_573:
                                        ; implicit-def: $vgpr98_vgpr99
.LBB46_574:
	ds_load_b64 v[98:99], v1
.LBB46_575:
	s_mov_b32 s2, exec_lo
	v_cmpx_ne_u32_e32 11, v0
	s_cbranch_execz .LBB46_579
; %bb.576:
	v_add_nc_u32_e32 v101, 0x188, v38
	v_add3_u32 v102, 0, v38, 8
	v_mov_b32_e32 v103, v0
	s_mov_b32 s3, 0
.LBB46_577:                             ; =>This Inner Loop Header: Depth=1
	scratch_load_b64 v[104:105], v102, off
	ds_load_b64 v[106:107], v101
	s_wait_xcnt 0x0
	v_dual_add_nc_u32 v101, 8, v101 :: v_dual_add_nc_u32 v102, 8, v102
	s_wait_loadcnt_dscnt 0x0
	v_pk_mul_f32 v[108:109], v[106:107], v[104:105] op_sel:[1,1] op_sel_hi:[0,1]
	s_delay_alu instid0(VALU_DEP_1) | instskip(SKIP_2) | instid1(VALU_DEP_3)
	v_pk_fma_f32 v[110:111], v[106:107], v[104:105], v[108:109] op_sel_hi:[1,0,1]
	v_add_nc_u32_e32 v103, 1, v103
	v_pk_fma_f32 v[104:105], v[106:107], v[104:105], v[108:109] neg_lo:[0,0,1] neg_hi:[0,0,1]
	v_mov_b32_e32 v105, v111
	s_delay_alu instid0(VALU_DEP_3) | instskip(NEXT) | instid1(VALU_DEP_2)
	v_cmp_lt_u32_e32 vcc_lo, 10, v103
	v_pk_add_f32 v[98:99], v[98:99], v[104:105]
	s_or_b32 s3, vcc_lo, s3
	s_delay_alu instid0(SALU_CYCLE_1)
	s_and_not1_b32 exec_lo, exec_lo, s3
	s_cbranch_execnz .LBB46_577
; %bb.578:
	s_or_b32 exec_lo, exec_lo, s3
.LBB46_579:
	s_delay_alu instid0(SALU_CYCLE_1) | instskip(SKIP_4) | instid1(VALU_DEP_1)
	s_or_b32 exec_lo, exec_lo, s2
	v_mov_b32_e32 v101, 0
	ds_load_b64 v[102:103], v101 offset:96
	s_wait_dscnt 0x0
	v_pk_mul_f32 v[104:105], v[98:99], v[102:103] op_sel:[1,1] op_sel_hi:[0,1]
	v_pk_fma_f32 v[106:107], v[98:99], v[102:103], v[104:105] op_sel_hi:[1,0,1]
	v_pk_fma_f32 v[98:99], v[98:99], v[102:103], v[104:105] neg_lo:[0,0,1] neg_hi:[0,0,1]
	s_delay_alu instid0(VALU_DEP_2)
	v_mov_b32_e32 v99, v107
	scratch_store_b64 off, v[98:99], off offset:96
.LBB46_580:
	s_wait_xcnt 0x0
	s_or_b32 exec_lo, exec_lo, s0
	scratch_load_b64 v[98:99], off, off offset:104
	s_mov_b32 s0, exec_lo
	s_wait_loadcnt 0x0
	ds_store_b64 v1, v[98:99]
	s_wait_storecnt_dscnt 0x0
	s_barrier_signal -1
	s_barrier_wait -1
	s_wait_xcnt 0x0
	v_cmpx_gt_u32_e32 13, v0
	s_cbranch_execz .LBB46_590
; %bb.581:
	v_cmp_ne_u32_e32 vcc_lo, 1, v100
	s_cbranch_vccnz .LBB46_583
; %bb.582:
	scratch_load_b64 v[98:99], v39, off
	ds_load_b64 v[102:103], v1
	s_wait_loadcnt_dscnt 0x0
	v_pk_mul_f32 v[104:105], v[102:103], v[98:99] op_sel:[1,1] op_sel_hi:[0,1]
	s_delay_alu instid0(VALU_DEP_1) | instskip(SKIP_1) | instid1(VALU_DEP_2)
	v_pk_fma_f32 v[106:107], v[102:103], v[98:99], v[104:105] op_sel_hi:[1,0,1]
	v_pk_fma_f32 v[98:99], v[102:103], v[98:99], v[104:105] neg_lo:[0,0,1] neg_hi:[0,0,1]
	v_mov_b32_e32 v99, v107
	s_cbranch_execz .LBB46_584
	s_branch .LBB46_585
.LBB46_583:
                                        ; implicit-def: $vgpr98_vgpr99
.LBB46_584:
	ds_load_b64 v[98:99], v1
.LBB46_585:
	s_mov_b32 s2, exec_lo
	v_cmpx_ne_u32_e32 12, v0
	s_cbranch_execz .LBB46_589
; %bb.586:
	v_add_nc_u32_e32 v101, 0x188, v38
	v_add3_u32 v102, 0, v38, 8
	v_mov_b32_e32 v103, v0
	s_mov_b32 s3, 0
.LBB46_587:                             ; =>This Inner Loop Header: Depth=1
	scratch_load_b64 v[104:105], v102, off
	ds_load_b64 v[106:107], v101
	s_wait_xcnt 0x0
	v_dual_add_nc_u32 v101, 8, v101 :: v_dual_add_nc_u32 v102, 8, v102
	s_wait_loadcnt_dscnt 0x0
	v_pk_mul_f32 v[108:109], v[106:107], v[104:105] op_sel:[1,1] op_sel_hi:[0,1]
	s_delay_alu instid0(VALU_DEP_1) | instskip(SKIP_2) | instid1(VALU_DEP_3)
	v_pk_fma_f32 v[110:111], v[106:107], v[104:105], v[108:109] op_sel_hi:[1,0,1]
	v_add_nc_u32_e32 v103, 1, v103
	v_pk_fma_f32 v[104:105], v[106:107], v[104:105], v[108:109] neg_lo:[0,0,1] neg_hi:[0,0,1]
	v_mov_b32_e32 v105, v111
	s_delay_alu instid0(VALU_DEP_3) | instskip(NEXT) | instid1(VALU_DEP_2)
	v_cmp_lt_u32_e32 vcc_lo, 11, v103
	v_pk_add_f32 v[98:99], v[98:99], v[104:105]
	s_or_b32 s3, vcc_lo, s3
	s_delay_alu instid0(SALU_CYCLE_1)
	s_and_not1_b32 exec_lo, exec_lo, s3
	s_cbranch_execnz .LBB46_587
; %bb.588:
	s_or_b32 exec_lo, exec_lo, s3
.LBB46_589:
	s_delay_alu instid0(SALU_CYCLE_1) | instskip(SKIP_4) | instid1(VALU_DEP_1)
	s_or_b32 exec_lo, exec_lo, s2
	v_mov_b32_e32 v101, 0
	ds_load_b64 v[102:103], v101 offset:104
	s_wait_dscnt 0x0
	v_pk_mul_f32 v[104:105], v[98:99], v[102:103] op_sel:[1,1] op_sel_hi:[0,1]
	v_pk_fma_f32 v[106:107], v[98:99], v[102:103], v[104:105] op_sel_hi:[1,0,1]
	v_pk_fma_f32 v[98:99], v[98:99], v[102:103], v[104:105] neg_lo:[0,0,1] neg_hi:[0,0,1]
	s_delay_alu instid0(VALU_DEP_2)
	v_mov_b32_e32 v99, v107
	scratch_store_b64 off, v[98:99], off offset:104
.LBB46_590:
	s_wait_xcnt 0x0
	s_or_b32 exec_lo, exec_lo, s0
	scratch_load_b64 v[98:99], off, off offset:112
	s_mov_b32 s0, exec_lo
	s_wait_loadcnt 0x0
	ds_store_b64 v1, v[98:99]
	s_wait_storecnt_dscnt 0x0
	s_barrier_signal -1
	s_barrier_wait -1
	s_wait_xcnt 0x0
	v_cmpx_gt_u32_e32 14, v0
	s_cbranch_execz .LBB46_600
; %bb.591:
	v_cmp_ne_u32_e32 vcc_lo, 1, v100
	s_cbranch_vccnz .LBB46_593
; %bb.592:
	scratch_load_b64 v[98:99], v39, off
	ds_load_b64 v[102:103], v1
	s_wait_loadcnt_dscnt 0x0
	v_pk_mul_f32 v[104:105], v[102:103], v[98:99] op_sel:[1,1] op_sel_hi:[0,1]
	s_delay_alu instid0(VALU_DEP_1) | instskip(SKIP_1) | instid1(VALU_DEP_2)
	v_pk_fma_f32 v[106:107], v[102:103], v[98:99], v[104:105] op_sel_hi:[1,0,1]
	v_pk_fma_f32 v[98:99], v[102:103], v[98:99], v[104:105] neg_lo:[0,0,1] neg_hi:[0,0,1]
	v_mov_b32_e32 v99, v107
	s_cbranch_execz .LBB46_594
	s_branch .LBB46_595
.LBB46_593:
                                        ; implicit-def: $vgpr98_vgpr99
.LBB46_594:
	ds_load_b64 v[98:99], v1
.LBB46_595:
	s_mov_b32 s2, exec_lo
	v_cmpx_ne_u32_e32 13, v0
	s_cbranch_execz .LBB46_599
; %bb.596:
	v_add_nc_u32_e32 v101, 0x188, v38
	v_add3_u32 v102, 0, v38, 8
	v_mov_b32_e32 v103, v0
	s_mov_b32 s3, 0
.LBB46_597:                             ; =>This Inner Loop Header: Depth=1
	scratch_load_b64 v[104:105], v102, off
	ds_load_b64 v[106:107], v101
	s_wait_xcnt 0x0
	v_dual_add_nc_u32 v101, 8, v101 :: v_dual_add_nc_u32 v102, 8, v102
	s_wait_loadcnt_dscnt 0x0
	v_pk_mul_f32 v[108:109], v[106:107], v[104:105] op_sel:[1,1] op_sel_hi:[0,1]
	s_delay_alu instid0(VALU_DEP_1) | instskip(SKIP_2) | instid1(VALU_DEP_3)
	v_pk_fma_f32 v[110:111], v[106:107], v[104:105], v[108:109] op_sel_hi:[1,0,1]
	v_add_nc_u32_e32 v103, 1, v103
	v_pk_fma_f32 v[104:105], v[106:107], v[104:105], v[108:109] neg_lo:[0,0,1] neg_hi:[0,0,1]
	v_mov_b32_e32 v105, v111
	s_delay_alu instid0(VALU_DEP_3) | instskip(NEXT) | instid1(VALU_DEP_2)
	v_cmp_lt_u32_e32 vcc_lo, 12, v103
	v_pk_add_f32 v[98:99], v[98:99], v[104:105]
	s_or_b32 s3, vcc_lo, s3
	s_delay_alu instid0(SALU_CYCLE_1)
	s_and_not1_b32 exec_lo, exec_lo, s3
	s_cbranch_execnz .LBB46_597
; %bb.598:
	s_or_b32 exec_lo, exec_lo, s3
.LBB46_599:
	s_delay_alu instid0(SALU_CYCLE_1) | instskip(SKIP_4) | instid1(VALU_DEP_1)
	s_or_b32 exec_lo, exec_lo, s2
	v_mov_b32_e32 v101, 0
	ds_load_b64 v[102:103], v101 offset:112
	s_wait_dscnt 0x0
	v_pk_mul_f32 v[104:105], v[98:99], v[102:103] op_sel:[1,1] op_sel_hi:[0,1]
	v_pk_fma_f32 v[106:107], v[98:99], v[102:103], v[104:105] op_sel_hi:[1,0,1]
	v_pk_fma_f32 v[98:99], v[98:99], v[102:103], v[104:105] neg_lo:[0,0,1] neg_hi:[0,0,1]
	s_delay_alu instid0(VALU_DEP_2)
	v_mov_b32_e32 v99, v107
	scratch_store_b64 off, v[98:99], off offset:112
.LBB46_600:
	s_wait_xcnt 0x0
	s_or_b32 exec_lo, exec_lo, s0
	scratch_load_b64 v[98:99], off, off offset:120
	s_mov_b32 s0, exec_lo
	s_wait_loadcnt 0x0
	ds_store_b64 v1, v[98:99]
	s_wait_storecnt_dscnt 0x0
	s_barrier_signal -1
	s_barrier_wait -1
	s_wait_xcnt 0x0
	v_cmpx_gt_u32_e32 15, v0
	s_cbranch_execz .LBB46_610
; %bb.601:
	v_cmp_ne_u32_e32 vcc_lo, 1, v100
	s_cbranch_vccnz .LBB46_603
; %bb.602:
	scratch_load_b64 v[98:99], v39, off
	ds_load_b64 v[102:103], v1
	s_wait_loadcnt_dscnt 0x0
	v_pk_mul_f32 v[104:105], v[102:103], v[98:99] op_sel:[1,1] op_sel_hi:[0,1]
	s_delay_alu instid0(VALU_DEP_1) | instskip(SKIP_1) | instid1(VALU_DEP_2)
	v_pk_fma_f32 v[106:107], v[102:103], v[98:99], v[104:105] op_sel_hi:[1,0,1]
	v_pk_fma_f32 v[98:99], v[102:103], v[98:99], v[104:105] neg_lo:[0,0,1] neg_hi:[0,0,1]
	v_mov_b32_e32 v99, v107
	s_cbranch_execz .LBB46_604
	s_branch .LBB46_605
.LBB46_603:
                                        ; implicit-def: $vgpr98_vgpr99
.LBB46_604:
	ds_load_b64 v[98:99], v1
.LBB46_605:
	s_mov_b32 s2, exec_lo
	v_cmpx_ne_u32_e32 14, v0
	s_cbranch_execz .LBB46_609
; %bb.606:
	v_add_nc_u32_e32 v101, 0x188, v38
	v_add3_u32 v102, 0, v38, 8
	v_mov_b32_e32 v103, v0
	s_mov_b32 s3, 0
.LBB46_607:                             ; =>This Inner Loop Header: Depth=1
	scratch_load_b64 v[104:105], v102, off
	ds_load_b64 v[106:107], v101
	s_wait_xcnt 0x0
	v_dual_add_nc_u32 v101, 8, v101 :: v_dual_add_nc_u32 v102, 8, v102
	s_wait_loadcnt_dscnt 0x0
	v_pk_mul_f32 v[108:109], v[106:107], v[104:105] op_sel:[1,1] op_sel_hi:[0,1]
	s_delay_alu instid0(VALU_DEP_1) | instskip(SKIP_2) | instid1(VALU_DEP_3)
	v_pk_fma_f32 v[110:111], v[106:107], v[104:105], v[108:109] op_sel_hi:[1,0,1]
	v_add_nc_u32_e32 v103, 1, v103
	v_pk_fma_f32 v[104:105], v[106:107], v[104:105], v[108:109] neg_lo:[0,0,1] neg_hi:[0,0,1]
	v_mov_b32_e32 v105, v111
	s_delay_alu instid0(VALU_DEP_3) | instskip(NEXT) | instid1(VALU_DEP_2)
	v_cmp_lt_u32_e32 vcc_lo, 13, v103
	v_pk_add_f32 v[98:99], v[98:99], v[104:105]
	s_or_b32 s3, vcc_lo, s3
	s_delay_alu instid0(SALU_CYCLE_1)
	s_and_not1_b32 exec_lo, exec_lo, s3
	s_cbranch_execnz .LBB46_607
; %bb.608:
	s_or_b32 exec_lo, exec_lo, s3
.LBB46_609:
	s_delay_alu instid0(SALU_CYCLE_1) | instskip(SKIP_4) | instid1(VALU_DEP_1)
	s_or_b32 exec_lo, exec_lo, s2
	v_mov_b32_e32 v101, 0
	ds_load_b64 v[102:103], v101 offset:120
	s_wait_dscnt 0x0
	v_pk_mul_f32 v[104:105], v[98:99], v[102:103] op_sel:[1,1] op_sel_hi:[0,1]
	v_pk_fma_f32 v[106:107], v[98:99], v[102:103], v[104:105] op_sel_hi:[1,0,1]
	v_pk_fma_f32 v[98:99], v[98:99], v[102:103], v[104:105] neg_lo:[0,0,1] neg_hi:[0,0,1]
	s_delay_alu instid0(VALU_DEP_2)
	v_mov_b32_e32 v99, v107
	scratch_store_b64 off, v[98:99], off offset:120
.LBB46_610:
	s_wait_xcnt 0x0
	s_or_b32 exec_lo, exec_lo, s0
	scratch_load_b64 v[98:99], off, off offset:128
	s_mov_b32 s0, exec_lo
	s_wait_loadcnt 0x0
	ds_store_b64 v1, v[98:99]
	s_wait_storecnt_dscnt 0x0
	s_barrier_signal -1
	s_barrier_wait -1
	s_wait_xcnt 0x0
	v_cmpx_gt_u32_e32 16, v0
	s_cbranch_execz .LBB46_620
; %bb.611:
	v_cmp_ne_u32_e32 vcc_lo, 1, v100
	s_cbranch_vccnz .LBB46_613
; %bb.612:
	scratch_load_b64 v[98:99], v39, off
	ds_load_b64 v[102:103], v1
	s_wait_loadcnt_dscnt 0x0
	v_pk_mul_f32 v[104:105], v[102:103], v[98:99] op_sel:[1,1] op_sel_hi:[0,1]
	s_delay_alu instid0(VALU_DEP_1) | instskip(SKIP_1) | instid1(VALU_DEP_2)
	v_pk_fma_f32 v[106:107], v[102:103], v[98:99], v[104:105] op_sel_hi:[1,0,1]
	v_pk_fma_f32 v[98:99], v[102:103], v[98:99], v[104:105] neg_lo:[0,0,1] neg_hi:[0,0,1]
	v_mov_b32_e32 v99, v107
	s_cbranch_execz .LBB46_614
	s_branch .LBB46_615
.LBB46_613:
                                        ; implicit-def: $vgpr98_vgpr99
.LBB46_614:
	ds_load_b64 v[98:99], v1
.LBB46_615:
	s_mov_b32 s2, exec_lo
	v_cmpx_ne_u32_e32 15, v0
	s_cbranch_execz .LBB46_619
; %bb.616:
	v_add_nc_u32_e32 v101, 0x188, v38
	v_add3_u32 v102, 0, v38, 8
	v_mov_b32_e32 v103, v0
	s_mov_b32 s3, 0
.LBB46_617:                             ; =>This Inner Loop Header: Depth=1
	scratch_load_b64 v[104:105], v102, off
	ds_load_b64 v[106:107], v101
	s_wait_xcnt 0x0
	v_dual_add_nc_u32 v101, 8, v101 :: v_dual_add_nc_u32 v102, 8, v102
	s_wait_loadcnt_dscnt 0x0
	v_pk_mul_f32 v[108:109], v[106:107], v[104:105] op_sel:[1,1] op_sel_hi:[0,1]
	s_delay_alu instid0(VALU_DEP_1) | instskip(SKIP_2) | instid1(VALU_DEP_3)
	v_pk_fma_f32 v[110:111], v[106:107], v[104:105], v[108:109] op_sel_hi:[1,0,1]
	v_add_nc_u32_e32 v103, 1, v103
	v_pk_fma_f32 v[104:105], v[106:107], v[104:105], v[108:109] neg_lo:[0,0,1] neg_hi:[0,0,1]
	v_mov_b32_e32 v105, v111
	s_delay_alu instid0(VALU_DEP_3) | instskip(NEXT) | instid1(VALU_DEP_2)
	v_cmp_lt_u32_e32 vcc_lo, 14, v103
	v_pk_add_f32 v[98:99], v[98:99], v[104:105]
	s_or_b32 s3, vcc_lo, s3
	s_delay_alu instid0(SALU_CYCLE_1)
	s_and_not1_b32 exec_lo, exec_lo, s3
	s_cbranch_execnz .LBB46_617
; %bb.618:
	s_or_b32 exec_lo, exec_lo, s3
.LBB46_619:
	s_delay_alu instid0(SALU_CYCLE_1) | instskip(SKIP_4) | instid1(VALU_DEP_1)
	s_or_b32 exec_lo, exec_lo, s2
	v_mov_b32_e32 v101, 0
	ds_load_b64 v[102:103], v101 offset:128
	s_wait_dscnt 0x0
	v_pk_mul_f32 v[104:105], v[98:99], v[102:103] op_sel:[1,1] op_sel_hi:[0,1]
	v_pk_fma_f32 v[106:107], v[98:99], v[102:103], v[104:105] op_sel_hi:[1,0,1]
	v_pk_fma_f32 v[98:99], v[98:99], v[102:103], v[104:105] neg_lo:[0,0,1] neg_hi:[0,0,1]
	s_delay_alu instid0(VALU_DEP_2)
	v_mov_b32_e32 v99, v107
	scratch_store_b64 off, v[98:99], off offset:128
.LBB46_620:
	s_wait_xcnt 0x0
	s_or_b32 exec_lo, exec_lo, s0
	scratch_load_b64 v[98:99], off, off offset:136
	s_mov_b32 s0, exec_lo
	s_wait_loadcnt 0x0
	ds_store_b64 v1, v[98:99]
	s_wait_storecnt_dscnt 0x0
	s_barrier_signal -1
	s_barrier_wait -1
	s_wait_xcnt 0x0
	v_cmpx_gt_u32_e32 17, v0
	s_cbranch_execz .LBB46_630
; %bb.621:
	v_cmp_ne_u32_e32 vcc_lo, 1, v100
	s_cbranch_vccnz .LBB46_623
; %bb.622:
	scratch_load_b64 v[98:99], v39, off
	ds_load_b64 v[102:103], v1
	s_wait_loadcnt_dscnt 0x0
	v_pk_mul_f32 v[104:105], v[102:103], v[98:99] op_sel:[1,1] op_sel_hi:[0,1]
	s_delay_alu instid0(VALU_DEP_1) | instskip(SKIP_1) | instid1(VALU_DEP_2)
	v_pk_fma_f32 v[106:107], v[102:103], v[98:99], v[104:105] op_sel_hi:[1,0,1]
	v_pk_fma_f32 v[98:99], v[102:103], v[98:99], v[104:105] neg_lo:[0,0,1] neg_hi:[0,0,1]
	v_mov_b32_e32 v99, v107
	s_cbranch_execz .LBB46_624
	s_branch .LBB46_625
.LBB46_623:
                                        ; implicit-def: $vgpr98_vgpr99
.LBB46_624:
	ds_load_b64 v[98:99], v1
.LBB46_625:
	s_mov_b32 s2, exec_lo
	v_cmpx_ne_u32_e32 16, v0
	s_cbranch_execz .LBB46_629
; %bb.626:
	v_add_nc_u32_e32 v101, 0x188, v38
	v_add3_u32 v102, 0, v38, 8
	v_mov_b32_e32 v103, v0
	s_mov_b32 s3, 0
.LBB46_627:                             ; =>This Inner Loop Header: Depth=1
	scratch_load_b64 v[104:105], v102, off
	ds_load_b64 v[106:107], v101
	s_wait_xcnt 0x0
	v_dual_add_nc_u32 v101, 8, v101 :: v_dual_add_nc_u32 v102, 8, v102
	s_wait_loadcnt_dscnt 0x0
	v_pk_mul_f32 v[108:109], v[106:107], v[104:105] op_sel:[1,1] op_sel_hi:[0,1]
	s_delay_alu instid0(VALU_DEP_1) | instskip(SKIP_2) | instid1(VALU_DEP_3)
	v_pk_fma_f32 v[110:111], v[106:107], v[104:105], v[108:109] op_sel_hi:[1,0,1]
	v_add_nc_u32_e32 v103, 1, v103
	v_pk_fma_f32 v[104:105], v[106:107], v[104:105], v[108:109] neg_lo:[0,0,1] neg_hi:[0,0,1]
	v_mov_b32_e32 v105, v111
	s_delay_alu instid0(VALU_DEP_3) | instskip(NEXT) | instid1(VALU_DEP_2)
	v_cmp_lt_u32_e32 vcc_lo, 15, v103
	v_pk_add_f32 v[98:99], v[98:99], v[104:105]
	s_or_b32 s3, vcc_lo, s3
	s_delay_alu instid0(SALU_CYCLE_1)
	s_and_not1_b32 exec_lo, exec_lo, s3
	s_cbranch_execnz .LBB46_627
; %bb.628:
	s_or_b32 exec_lo, exec_lo, s3
.LBB46_629:
	s_delay_alu instid0(SALU_CYCLE_1) | instskip(SKIP_4) | instid1(VALU_DEP_1)
	s_or_b32 exec_lo, exec_lo, s2
	v_mov_b32_e32 v101, 0
	ds_load_b64 v[102:103], v101 offset:136
	s_wait_dscnt 0x0
	v_pk_mul_f32 v[104:105], v[98:99], v[102:103] op_sel:[1,1] op_sel_hi:[0,1]
	v_pk_fma_f32 v[106:107], v[98:99], v[102:103], v[104:105] op_sel_hi:[1,0,1]
	v_pk_fma_f32 v[98:99], v[98:99], v[102:103], v[104:105] neg_lo:[0,0,1] neg_hi:[0,0,1]
	s_delay_alu instid0(VALU_DEP_2)
	v_mov_b32_e32 v99, v107
	scratch_store_b64 off, v[98:99], off offset:136
.LBB46_630:
	s_wait_xcnt 0x0
	s_or_b32 exec_lo, exec_lo, s0
	scratch_load_b64 v[98:99], off, off offset:144
	s_mov_b32 s0, exec_lo
	s_wait_loadcnt 0x0
	ds_store_b64 v1, v[98:99]
	s_wait_storecnt_dscnt 0x0
	s_barrier_signal -1
	s_barrier_wait -1
	s_wait_xcnt 0x0
	v_cmpx_gt_u32_e32 18, v0
	s_cbranch_execz .LBB46_640
; %bb.631:
	v_cmp_ne_u32_e32 vcc_lo, 1, v100
	s_cbranch_vccnz .LBB46_633
; %bb.632:
	scratch_load_b64 v[98:99], v39, off
	ds_load_b64 v[102:103], v1
	s_wait_loadcnt_dscnt 0x0
	v_pk_mul_f32 v[104:105], v[102:103], v[98:99] op_sel:[1,1] op_sel_hi:[0,1]
	s_delay_alu instid0(VALU_DEP_1) | instskip(SKIP_1) | instid1(VALU_DEP_2)
	v_pk_fma_f32 v[106:107], v[102:103], v[98:99], v[104:105] op_sel_hi:[1,0,1]
	v_pk_fma_f32 v[98:99], v[102:103], v[98:99], v[104:105] neg_lo:[0,0,1] neg_hi:[0,0,1]
	v_mov_b32_e32 v99, v107
	s_cbranch_execz .LBB46_634
	s_branch .LBB46_635
.LBB46_633:
                                        ; implicit-def: $vgpr98_vgpr99
.LBB46_634:
	ds_load_b64 v[98:99], v1
.LBB46_635:
	s_mov_b32 s2, exec_lo
	v_cmpx_ne_u32_e32 17, v0
	s_cbranch_execz .LBB46_639
; %bb.636:
	v_add_nc_u32_e32 v101, 0x188, v38
	v_add3_u32 v102, 0, v38, 8
	v_mov_b32_e32 v103, v0
	s_mov_b32 s3, 0
.LBB46_637:                             ; =>This Inner Loop Header: Depth=1
	scratch_load_b64 v[104:105], v102, off
	ds_load_b64 v[106:107], v101
	s_wait_xcnt 0x0
	v_dual_add_nc_u32 v101, 8, v101 :: v_dual_add_nc_u32 v102, 8, v102
	s_wait_loadcnt_dscnt 0x0
	v_pk_mul_f32 v[108:109], v[106:107], v[104:105] op_sel:[1,1] op_sel_hi:[0,1]
	s_delay_alu instid0(VALU_DEP_1) | instskip(SKIP_2) | instid1(VALU_DEP_3)
	v_pk_fma_f32 v[110:111], v[106:107], v[104:105], v[108:109] op_sel_hi:[1,0,1]
	v_add_nc_u32_e32 v103, 1, v103
	v_pk_fma_f32 v[104:105], v[106:107], v[104:105], v[108:109] neg_lo:[0,0,1] neg_hi:[0,0,1]
	v_mov_b32_e32 v105, v111
	s_delay_alu instid0(VALU_DEP_3) | instskip(NEXT) | instid1(VALU_DEP_2)
	v_cmp_lt_u32_e32 vcc_lo, 16, v103
	v_pk_add_f32 v[98:99], v[98:99], v[104:105]
	s_or_b32 s3, vcc_lo, s3
	s_delay_alu instid0(SALU_CYCLE_1)
	s_and_not1_b32 exec_lo, exec_lo, s3
	s_cbranch_execnz .LBB46_637
; %bb.638:
	s_or_b32 exec_lo, exec_lo, s3
.LBB46_639:
	s_delay_alu instid0(SALU_CYCLE_1) | instskip(SKIP_4) | instid1(VALU_DEP_1)
	s_or_b32 exec_lo, exec_lo, s2
	v_mov_b32_e32 v101, 0
	ds_load_b64 v[102:103], v101 offset:144
	s_wait_dscnt 0x0
	v_pk_mul_f32 v[104:105], v[98:99], v[102:103] op_sel:[1,1] op_sel_hi:[0,1]
	v_pk_fma_f32 v[106:107], v[98:99], v[102:103], v[104:105] op_sel_hi:[1,0,1]
	v_pk_fma_f32 v[98:99], v[98:99], v[102:103], v[104:105] neg_lo:[0,0,1] neg_hi:[0,0,1]
	s_delay_alu instid0(VALU_DEP_2)
	v_mov_b32_e32 v99, v107
	scratch_store_b64 off, v[98:99], off offset:144
.LBB46_640:
	s_wait_xcnt 0x0
	s_or_b32 exec_lo, exec_lo, s0
	scratch_load_b64 v[98:99], off, off offset:152
	s_mov_b32 s0, exec_lo
	s_wait_loadcnt 0x0
	ds_store_b64 v1, v[98:99]
	s_wait_storecnt_dscnt 0x0
	s_barrier_signal -1
	s_barrier_wait -1
	s_wait_xcnt 0x0
	v_cmpx_gt_u32_e32 19, v0
	s_cbranch_execz .LBB46_650
; %bb.641:
	v_cmp_ne_u32_e32 vcc_lo, 1, v100
	s_cbranch_vccnz .LBB46_643
; %bb.642:
	scratch_load_b64 v[98:99], v39, off
	ds_load_b64 v[102:103], v1
	s_wait_loadcnt_dscnt 0x0
	v_pk_mul_f32 v[104:105], v[102:103], v[98:99] op_sel:[1,1] op_sel_hi:[0,1]
	s_delay_alu instid0(VALU_DEP_1) | instskip(SKIP_1) | instid1(VALU_DEP_2)
	v_pk_fma_f32 v[106:107], v[102:103], v[98:99], v[104:105] op_sel_hi:[1,0,1]
	v_pk_fma_f32 v[98:99], v[102:103], v[98:99], v[104:105] neg_lo:[0,0,1] neg_hi:[0,0,1]
	v_mov_b32_e32 v99, v107
	s_cbranch_execz .LBB46_644
	s_branch .LBB46_645
.LBB46_643:
                                        ; implicit-def: $vgpr98_vgpr99
.LBB46_644:
	ds_load_b64 v[98:99], v1
.LBB46_645:
	s_mov_b32 s2, exec_lo
	v_cmpx_ne_u32_e32 18, v0
	s_cbranch_execz .LBB46_649
; %bb.646:
	v_add_nc_u32_e32 v101, 0x188, v38
	v_add3_u32 v102, 0, v38, 8
	v_mov_b32_e32 v103, v0
	s_mov_b32 s3, 0
.LBB46_647:                             ; =>This Inner Loop Header: Depth=1
	scratch_load_b64 v[104:105], v102, off
	ds_load_b64 v[106:107], v101
	s_wait_xcnt 0x0
	v_dual_add_nc_u32 v101, 8, v101 :: v_dual_add_nc_u32 v102, 8, v102
	s_wait_loadcnt_dscnt 0x0
	v_pk_mul_f32 v[108:109], v[106:107], v[104:105] op_sel:[1,1] op_sel_hi:[0,1]
	s_delay_alu instid0(VALU_DEP_1) | instskip(SKIP_2) | instid1(VALU_DEP_3)
	v_pk_fma_f32 v[110:111], v[106:107], v[104:105], v[108:109] op_sel_hi:[1,0,1]
	v_add_nc_u32_e32 v103, 1, v103
	v_pk_fma_f32 v[104:105], v[106:107], v[104:105], v[108:109] neg_lo:[0,0,1] neg_hi:[0,0,1]
	v_mov_b32_e32 v105, v111
	s_delay_alu instid0(VALU_DEP_3) | instskip(NEXT) | instid1(VALU_DEP_2)
	v_cmp_lt_u32_e32 vcc_lo, 17, v103
	v_pk_add_f32 v[98:99], v[98:99], v[104:105]
	s_or_b32 s3, vcc_lo, s3
	s_delay_alu instid0(SALU_CYCLE_1)
	s_and_not1_b32 exec_lo, exec_lo, s3
	s_cbranch_execnz .LBB46_647
; %bb.648:
	s_or_b32 exec_lo, exec_lo, s3
.LBB46_649:
	s_delay_alu instid0(SALU_CYCLE_1) | instskip(SKIP_4) | instid1(VALU_DEP_1)
	s_or_b32 exec_lo, exec_lo, s2
	v_mov_b32_e32 v101, 0
	ds_load_b64 v[102:103], v101 offset:152
	s_wait_dscnt 0x0
	v_pk_mul_f32 v[104:105], v[98:99], v[102:103] op_sel:[1,1] op_sel_hi:[0,1]
	v_pk_fma_f32 v[106:107], v[98:99], v[102:103], v[104:105] op_sel_hi:[1,0,1]
	v_pk_fma_f32 v[98:99], v[98:99], v[102:103], v[104:105] neg_lo:[0,0,1] neg_hi:[0,0,1]
	s_delay_alu instid0(VALU_DEP_2)
	v_mov_b32_e32 v99, v107
	scratch_store_b64 off, v[98:99], off offset:152
.LBB46_650:
	s_wait_xcnt 0x0
	s_or_b32 exec_lo, exec_lo, s0
	scratch_load_b64 v[98:99], off, off offset:160
	s_mov_b32 s0, exec_lo
	s_wait_loadcnt 0x0
	ds_store_b64 v1, v[98:99]
	s_wait_storecnt_dscnt 0x0
	s_barrier_signal -1
	s_barrier_wait -1
	s_wait_xcnt 0x0
	v_cmpx_gt_u32_e32 20, v0
	s_cbranch_execz .LBB46_660
; %bb.651:
	v_cmp_ne_u32_e32 vcc_lo, 1, v100
	s_cbranch_vccnz .LBB46_653
; %bb.652:
	scratch_load_b64 v[98:99], v39, off
	ds_load_b64 v[102:103], v1
	s_wait_loadcnt_dscnt 0x0
	v_pk_mul_f32 v[104:105], v[102:103], v[98:99] op_sel:[1,1] op_sel_hi:[0,1]
	s_delay_alu instid0(VALU_DEP_1) | instskip(SKIP_1) | instid1(VALU_DEP_2)
	v_pk_fma_f32 v[106:107], v[102:103], v[98:99], v[104:105] op_sel_hi:[1,0,1]
	v_pk_fma_f32 v[98:99], v[102:103], v[98:99], v[104:105] neg_lo:[0,0,1] neg_hi:[0,0,1]
	v_mov_b32_e32 v99, v107
	s_cbranch_execz .LBB46_654
	s_branch .LBB46_655
.LBB46_653:
                                        ; implicit-def: $vgpr98_vgpr99
.LBB46_654:
	ds_load_b64 v[98:99], v1
.LBB46_655:
	s_mov_b32 s2, exec_lo
	v_cmpx_ne_u32_e32 19, v0
	s_cbranch_execz .LBB46_659
; %bb.656:
	v_add_nc_u32_e32 v101, 0x188, v38
	v_add3_u32 v102, 0, v38, 8
	v_mov_b32_e32 v103, v0
	s_mov_b32 s3, 0
.LBB46_657:                             ; =>This Inner Loop Header: Depth=1
	scratch_load_b64 v[104:105], v102, off
	ds_load_b64 v[106:107], v101
	s_wait_xcnt 0x0
	v_dual_add_nc_u32 v101, 8, v101 :: v_dual_add_nc_u32 v102, 8, v102
	s_wait_loadcnt_dscnt 0x0
	v_pk_mul_f32 v[108:109], v[106:107], v[104:105] op_sel:[1,1] op_sel_hi:[0,1]
	s_delay_alu instid0(VALU_DEP_1) | instskip(SKIP_2) | instid1(VALU_DEP_3)
	v_pk_fma_f32 v[110:111], v[106:107], v[104:105], v[108:109] op_sel_hi:[1,0,1]
	v_add_nc_u32_e32 v103, 1, v103
	v_pk_fma_f32 v[104:105], v[106:107], v[104:105], v[108:109] neg_lo:[0,0,1] neg_hi:[0,0,1]
	v_mov_b32_e32 v105, v111
	s_delay_alu instid0(VALU_DEP_3) | instskip(NEXT) | instid1(VALU_DEP_2)
	v_cmp_lt_u32_e32 vcc_lo, 18, v103
	v_pk_add_f32 v[98:99], v[98:99], v[104:105]
	s_or_b32 s3, vcc_lo, s3
	s_delay_alu instid0(SALU_CYCLE_1)
	s_and_not1_b32 exec_lo, exec_lo, s3
	s_cbranch_execnz .LBB46_657
; %bb.658:
	s_or_b32 exec_lo, exec_lo, s3
.LBB46_659:
	s_delay_alu instid0(SALU_CYCLE_1) | instskip(SKIP_4) | instid1(VALU_DEP_1)
	s_or_b32 exec_lo, exec_lo, s2
	v_mov_b32_e32 v101, 0
	ds_load_b64 v[102:103], v101 offset:160
	s_wait_dscnt 0x0
	v_pk_mul_f32 v[104:105], v[98:99], v[102:103] op_sel:[1,1] op_sel_hi:[0,1]
	v_pk_fma_f32 v[106:107], v[98:99], v[102:103], v[104:105] op_sel_hi:[1,0,1]
	v_pk_fma_f32 v[98:99], v[98:99], v[102:103], v[104:105] neg_lo:[0,0,1] neg_hi:[0,0,1]
	s_delay_alu instid0(VALU_DEP_2)
	v_mov_b32_e32 v99, v107
	scratch_store_b64 off, v[98:99], off offset:160
.LBB46_660:
	s_wait_xcnt 0x0
	s_or_b32 exec_lo, exec_lo, s0
	scratch_load_b64 v[98:99], off, off offset:168
	s_mov_b32 s0, exec_lo
	s_wait_loadcnt 0x0
	ds_store_b64 v1, v[98:99]
	s_wait_storecnt_dscnt 0x0
	s_barrier_signal -1
	s_barrier_wait -1
	s_wait_xcnt 0x0
	v_cmpx_gt_u32_e32 21, v0
	s_cbranch_execz .LBB46_670
; %bb.661:
	v_cmp_ne_u32_e32 vcc_lo, 1, v100
	s_cbranch_vccnz .LBB46_663
; %bb.662:
	scratch_load_b64 v[98:99], v39, off
	ds_load_b64 v[102:103], v1
	s_wait_loadcnt_dscnt 0x0
	v_pk_mul_f32 v[104:105], v[102:103], v[98:99] op_sel:[1,1] op_sel_hi:[0,1]
	s_delay_alu instid0(VALU_DEP_1) | instskip(SKIP_1) | instid1(VALU_DEP_2)
	v_pk_fma_f32 v[106:107], v[102:103], v[98:99], v[104:105] op_sel_hi:[1,0,1]
	v_pk_fma_f32 v[98:99], v[102:103], v[98:99], v[104:105] neg_lo:[0,0,1] neg_hi:[0,0,1]
	v_mov_b32_e32 v99, v107
	s_cbranch_execz .LBB46_664
	s_branch .LBB46_665
.LBB46_663:
                                        ; implicit-def: $vgpr98_vgpr99
.LBB46_664:
	ds_load_b64 v[98:99], v1
.LBB46_665:
	s_mov_b32 s2, exec_lo
	v_cmpx_ne_u32_e32 20, v0
	s_cbranch_execz .LBB46_669
; %bb.666:
	v_add_nc_u32_e32 v101, 0x188, v38
	v_add3_u32 v102, 0, v38, 8
	v_mov_b32_e32 v103, v0
	s_mov_b32 s3, 0
.LBB46_667:                             ; =>This Inner Loop Header: Depth=1
	scratch_load_b64 v[104:105], v102, off
	ds_load_b64 v[106:107], v101
	s_wait_xcnt 0x0
	v_dual_add_nc_u32 v101, 8, v101 :: v_dual_add_nc_u32 v102, 8, v102
	s_wait_loadcnt_dscnt 0x0
	v_pk_mul_f32 v[108:109], v[106:107], v[104:105] op_sel:[1,1] op_sel_hi:[0,1]
	s_delay_alu instid0(VALU_DEP_1) | instskip(SKIP_2) | instid1(VALU_DEP_3)
	v_pk_fma_f32 v[110:111], v[106:107], v[104:105], v[108:109] op_sel_hi:[1,0,1]
	v_add_nc_u32_e32 v103, 1, v103
	v_pk_fma_f32 v[104:105], v[106:107], v[104:105], v[108:109] neg_lo:[0,0,1] neg_hi:[0,0,1]
	v_mov_b32_e32 v105, v111
	s_delay_alu instid0(VALU_DEP_3) | instskip(NEXT) | instid1(VALU_DEP_2)
	v_cmp_lt_u32_e32 vcc_lo, 19, v103
	v_pk_add_f32 v[98:99], v[98:99], v[104:105]
	s_or_b32 s3, vcc_lo, s3
	s_delay_alu instid0(SALU_CYCLE_1)
	s_and_not1_b32 exec_lo, exec_lo, s3
	s_cbranch_execnz .LBB46_667
; %bb.668:
	s_or_b32 exec_lo, exec_lo, s3
.LBB46_669:
	s_delay_alu instid0(SALU_CYCLE_1) | instskip(SKIP_4) | instid1(VALU_DEP_1)
	s_or_b32 exec_lo, exec_lo, s2
	v_mov_b32_e32 v101, 0
	ds_load_b64 v[102:103], v101 offset:168
	s_wait_dscnt 0x0
	v_pk_mul_f32 v[104:105], v[98:99], v[102:103] op_sel:[1,1] op_sel_hi:[0,1]
	v_pk_fma_f32 v[106:107], v[98:99], v[102:103], v[104:105] op_sel_hi:[1,0,1]
	v_pk_fma_f32 v[98:99], v[98:99], v[102:103], v[104:105] neg_lo:[0,0,1] neg_hi:[0,0,1]
	s_delay_alu instid0(VALU_DEP_2)
	v_mov_b32_e32 v99, v107
	scratch_store_b64 off, v[98:99], off offset:168
.LBB46_670:
	s_wait_xcnt 0x0
	s_or_b32 exec_lo, exec_lo, s0
	scratch_load_b64 v[98:99], off, off offset:176
	s_mov_b32 s0, exec_lo
	s_wait_loadcnt 0x0
	ds_store_b64 v1, v[98:99]
	s_wait_storecnt_dscnt 0x0
	s_barrier_signal -1
	s_barrier_wait -1
	s_wait_xcnt 0x0
	v_cmpx_gt_u32_e32 22, v0
	s_cbranch_execz .LBB46_680
; %bb.671:
	v_cmp_ne_u32_e32 vcc_lo, 1, v100
	s_cbranch_vccnz .LBB46_673
; %bb.672:
	scratch_load_b64 v[98:99], v39, off
	ds_load_b64 v[102:103], v1
	s_wait_loadcnt_dscnt 0x0
	v_pk_mul_f32 v[104:105], v[102:103], v[98:99] op_sel:[1,1] op_sel_hi:[0,1]
	s_delay_alu instid0(VALU_DEP_1) | instskip(SKIP_1) | instid1(VALU_DEP_2)
	v_pk_fma_f32 v[106:107], v[102:103], v[98:99], v[104:105] op_sel_hi:[1,0,1]
	v_pk_fma_f32 v[98:99], v[102:103], v[98:99], v[104:105] neg_lo:[0,0,1] neg_hi:[0,0,1]
	v_mov_b32_e32 v99, v107
	s_cbranch_execz .LBB46_674
	s_branch .LBB46_675
.LBB46_673:
                                        ; implicit-def: $vgpr98_vgpr99
.LBB46_674:
	ds_load_b64 v[98:99], v1
.LBB46_675:
	s_mov_b32 s2, exec_lo
	v_cmpx_ne_u32_e32 21, v0
	s_cbranch_execz .LBB46_679
; %bb.676:
	v_add_nc_u32_e32 v101, 0x188, v38
	v_add3_u32 v102, 0, v38, 8
	v_mov_b32_e32 v103, v0
	s_mov_b32 s3, 0
.LBB46_677:                             ; =>This Inner Loop Header: Depth=1
	scratch_load_b64 v[104:105], v102, off
	ds_load_b64 v[106:107], v101
	s_wait_xcnt 0x0
	v_dual_add_nc_u32 v101, 8, v101 :: v_dual_add_nc_u32 v102, 8, v102
	s_wait_loadcnt_dscnt 0x0
	v_pk_mul_f32 v[108:109], v[106:107], v[104:105] op_sel:[1,1] op_sel_hi:[0,1]
	s_delay_alu instid0(VALU_DEP_1) | instskip(SKIP_2) | instid1(VALU_DEP_3)
	v_pk_fma_f32 v[110:111], v[106:107], v[104:105], v[108:109] op_sel_hi:[1,0,1]
	v_add_nc_u32_e32 v103, 1, v103
	v_pk_fma_f32 v[104:105], v[106:107], v[104:105], v[108:109] neg_lo:[0,0,1] neg_hi:[0,0,1]
	v_mov_b32_e32 v105, v111
	s_delay_alu instid0(VALU_DEP_3) | instskip(NEXT) | instid1(VALU_DEP_2)
	v_cmp_lt_u32_e32 vcc_lo, 20, v103
	v_pk_add_f32 v[98:99], v[98:99], v[104:105]
	s_or_b32 s3, vcc_lo, s3
	s_delay_alu instid0(SALU_CYCLE_1)
	s_and_not1_b32 exec_lo, exec_lo, s3
	s_cbranch_execnz .LBB46_677
; %bb.678:
	s_or_b32 exec_lo, exec_lo, s3
.LBB46_679:
	s_delay_alu instid0(SALU_CYCLE_1) | instskip(SKIP_4) | instid1(VALU_DEP_1)
	s_or_b32 exec_lo, exec_lo, s2
	v_mov_b32_e32 v101, 0
	ds_load_b64 v[102:103], v101 offset:176
	s_wait_dscnt 0x0
	v_pk_mul_f32 v[104:105], v[98:99], v[102:103] op_sel:[1,1] op_sel_hi:[0,1]
	v_pk_fma_f32 v[106:107], v[98:99], v[102:103], v[104:105] op_sel_hi:[1,0,1]
	v_pk_fma_f32 v[98:99], v[98:99], v[102:103], v[104:105] neg_lo:[0,0,1] neg_hi:[0,0,1]
	s_delay_alu instid0(VALU_DEP_2)
	v_mov_b32_e32 v99, v107
	scratch_store_b64 off, v[98:99], off offset:176
.LBB46_680:
	s_wait_xcnt 0x0
	s_or_b32 exec_lo, exec_lo, s0
	scratch_load_b64 v[98:99], off, off offset:184
	s_mov_b32 s0, exec_lo
	s_wait_loadcnt 0x0
	ds_store_b64 v1, v[98:99]
	s_wait_storecnt_dscnt 0x0
	s_barrier_signal -1
	s_barrier_wait -1
	s_wait_xcnt 0x0
	v_cmpx_gt_u32_e32 23, v0
	s_cbranch_execz .LBB46_690
; %bb.681:
	v_cmp_ne_u32_e32 vcc_lo, 1, v100
	s_cbranch_vccnz .LBB46_683
; %bb.682:
	scratch_load_b64 v[98:99], v39, off
	ds_load_b64 v[102:103], v1
	s_wait_loadcnt_dscnt 0x0
	v_pk_mul_f32 v[104:105], v[102:103], v[98:99] op_sel:[1,1] op_sel_hi:[0,1]
	s_delay_alu instid0(VALU_DEP_1) | instskip(SKIP_1) | instid1(VALU_DEP_2)
	v_pk_fma_f32 v[106:107], v[102:103], v[98:99], v[104:105] op_sel_hi:[1,0,1]
	v_pk_fma_f32 v[98:99], v[102:103], v[98:99], v[104:105] neg_lo:[0,0,1] neg_hi:[0,0,1]
	v_mov_b32_e32 v99, v107
	s_cbranch_execz .LBB46_684
	s_branch .LBB46_685
.LBB46_683:
                                        ; implicit-def: $vgpr98_vgpr99
.LBB46_684:
	ds_load_b64 v[98:99], v1
.LBB46_685:
	s_mov_b32 s2, exec_lo
	v_cmpx_ne_u32_e32 22, v0
	s_cbranch_execz .LBB46_689
; %bb.686:
	v_add_nc_u32_e32 v101, 0x188, v38
	v_add3_u32 v102, 0, v38, 8
	v_mov_b32_e32 v103, v0
	s_mov_b32 s3, 0
.LBB46_687:                             ; =>This Inner Loop Header: Depth=1
	scratch_load_b64 v[104:105], v102, off
	ds_load_b64 v[106:107], v101
	s_wait_xcnt 0x0
	v_dual_add_nc_u32 v101, 8, v101 :: v_dual_add_nc_u32 v102, 8, v102
	s_wait_loadcnt_dscnt 0x0
	v_pk_mul_f32 v[108:109], v[106:107], v[104:105] op_sel:[1,1] op_sel_hi:[0,1]
	s_delay_alu instid0(VALU_DEP_1) | instskip(SKIP_2) | instid1(VALU_DEP_3)
	v_pk_fma_f32 v[110:111], v[106:107], v[104:105], v[108:109] op_sel_hi:[1,0,1]
	v_add_nc_u32_e32 v103, 1, v103
	v_pk_fma_f32 v[104:105], v[106:107], v[104:105], v[108:109] neg_lo:[0,0,1] neg_hi:[0,0,1]
	v_mov_b32_e32 v105, v111
	s_delay_alu instid0(VALU_DEP_3) | instskip(NEXT) | instid1(VALU_DEP_2)
	v_cmp_lt_u32_e32 vcc_lo, 21, v103
	v_pk_add_f32 v[98:99], v[98:99], v[104:105]
	s_or_b32 s3, vcc_lo, s3
	s_delay_alu instid0(SALU_CYCLE_1)
	s_and_not1_b32 exec_lo, exec_lo, s3
	s_cbranch_execnz .LBB46_687
; %bb.688:
	s_or_b32 exec_lo, exec_lo, s3
.LBB46_689:
	s_delay_alu instid0(SALU_CYCLE_1) | instskip(SKIP_4) | instid1(VALU_DEP_1)
	s_or_b32 exec_lo, exec_lo, s2
	v_mov_b32_e32 v101, 0
	ds_load_b64 v[102:103], v101 offset:184
	s_wait_dscnt 0x0
	v_pk_mul_f32 v[104:105], v[98:99], v[102:103] op_sel:[1,1] op_sel_hi:[0,1]
	v_pk_fma_f32 v[106:107], v[98:99], v[102:103], v[104:105] op_sel_hi:[1,0,1]
	v_pk_fma_f32 v[98:99], v[98:99], v[102:103], v[104:105] neg_lo:[0,0,1] neg_hi:[0,0,1]
	s_delay_alu instid0(VALU_DEP_2)
	v_mov_b32_e32 v99, v107
	scratch_store_b64 off, v[98:99], off offset:184
.LBB46_690:
	s_wait_xcnt 0x0
	s_or_b32 exec_lo, exec_lo, s0
	scratch_load_b64 v[98:99], off, off offset:192
	s_mov_b32 s0, exec_lo
	s_wait_loadcnt 0x0
	ds_store_b64 v1, v[98:99]
	s_wait_storecnt_dscnt 0x0
	s_barrier_signal -1
	s_barrier_wait -1
	s_wait_xcnt 0x0
	v_cmpx_gt_u32_e32 24, v0
	s_cbranch_execz .LBB46_700
; %bb.691:
	v_cmp_ne_u32_e32 vcc_lo, 1, v100
	s_cbranch_vccnz .LBB46_693
; %bb.692:
	scratch_load_b64 v[98:99], v39, off
	ds_load_b64 v[102:103], v1
	s_wait_loadcnt_dscnt 0x0
	v_pk_mul_f32 v[104:105], v[102:103], v[98:99] op_sel:[1,1] op_sel_hi:[0,1]
	s_delay_alu instid0(VALU_DEP_1) | instskip(SKIP_1) | instid1(VALU_DEP_2)
	v_pk_fma_f32 v[106:107], v[102:103], v[98:99], v[104:105] op_sel_hi:[1,0,1]
	v_pk_fma_f32 v[98:99], v[102:103], v[98:99], v[104:105] neg_lo:[0,0,1] neg_hi:[0,0,1]
	v_mov_b32_e32 v99, v107
	s_cbranch_execz .LBB46_694
	s_branch .LBB46_695
.LBB46_693:
                                        ; implicit-def: $vgpr98_vgpr99
.LBB46_694:
	ds_load_b64 v[98:99], v1
.LBB46_695:
	s_mov_b32 s2, exec_lo
	v_cmpx_ne_u32_e32 23, v0
	s_cbranch_execz .LBB46_699
; %bb.696:
	v_add_nc_u32_e32 v101, 0x188, v38
	v_add3_u32 v102, 0, v38, 8
	v_mov_b32_e32 v103, v0
	s_mov_b32 s3, 0
.LBB46_697:                             ; =>This Inner Loop Header: Depth=1
	scratch_load_b64 v[104:105], v102, off
	ds_load_b64 v[106:107], v101
	s_wait_xcnt 0x0
	v_dual_add_nc_u32 v101, 8, v101 :: v_dual_add_nc_u32 v102, 8, v102
	s_wait_loadcnt_dscnt 0x0
	v_pk_mul_f32 v[108:109], v[106:107], v[104:105] op_sel:[1,1] op_sel_hi:[0,1]
	s_delay_alu instid0(VALU_DEP_1) | instskip(SKIP_2) | instid1(VALU_DEP_3)
	v_pk_fma_f32 v[110:111], v[106:107], v[104:105], v[108:109] op_sel_hi:[1,0,1]
	v_add_nc_u32_e32 v103, 1, v103
	v_pk_fma_f32 v[104:105], v[106:107], v[104:105], v[108:109] neg_lo:[0,0,1] neg_hi:[0,0,1]
	v_mov_b32_e32 v105, v111
	s_delay_alu instid0(VALU_DEP_3) | instskip(NEXT) | instid1(VALU_DEP_2)
	v_cmp_lt_u32_e32 vcc_lo, 22, v103
	v_pk_add_f32 v[98:99], v[98:99], v[104:105]
	s_or_b32 s3, vcc_lo, s3
	s_delay_alu instid0(SALU_CYCLE_1)
	s_and_not1_b32 exec_lo, exec_lo, s3
	s_cbranch_execnz .LBB46_697
; %bb.698:
	s_or_b32 exec_lo, exec_lo, s3
.LBB46_699:
	s_delay_alu instid0(SALU_CYCLE_1) | instskip(SKIP_4) | instid1(VALU_DEP_1)
	s_or_b32 exec_lo, exec_lo, s2
	v_mov_b32_e32 v101, 0
	ds_load_b64 v[102:103], v101 offset:192
	s_wait_dscnt 0x0
	v_pk_mul_f32 v[104:105], v[98:99], v[102:103] op_sel:[1,1] op_sel_hi:[0,1]
	v_pk_fma_f32 v[106:107], v[98:99], v[102:103], v[104:105] op_sel_hi:[1,0,1]
	v_pk_fma_f32 v[98:99], v[98:99], v[102:103], v[104:105] neg_lo:[0,0,1] neg_hi:[0,0,1]
	s_delay_alu instid0(VALU_DEP_2)
	v_mov_b32_e32 v99, v107
	scratch_store_b64 off, v[98:99], off offset:192
.LBB46_700:
	s_wait_xcnt 0x0
	s_or_b32 exec_lo, exec_lo, s0
	scratch_load_b64 v[98:99], off, off offset:200
	s_mov_b32 s0, exec_lo
	s_wait_loadcnt 0x0
	ds_store_b64 v1, v[98:99]
	s_wait_storecnt_dscnt 0x0
	s_barrier_signal -1
	s_barrier_wait -1
	s_wait_xcnt 0x0
	v_cmpx_gt_u32_e32 25, v0
	s_cbranch_execz .LBB46_710
; %bb.701:
	v_cmp_ne_u32_e32 vcc_lo, 1, v100
	s_cbranch_vccnz .LBB46_703
; %bb.702:
	scratch_load_b64 v[98:99], v39, off
	ds_load_b64 v[102:103], v1
	s_wait_loadcnt_dscnt 0x0
	v_pk_mul_f32 v[104:105], v[102:103], v[98:99] op_sel:[1,1] op_sel_hi:[0,1]
	s_delay_alu instid0(VALU_DEP_1) | instskip(SKIP_1) | instid1(VALU_DEP_2)
	v_pk_fma_f32 v[106:107], v[102:103], v[98:99], v[104:105] op_sel_hi:[1,0,1]
	v_pk_fma_f32 v[98:99], v[102:103], v[98:99], v[104:105] neg_lo:[0,0,1] neg_hi:[0,0,1]
	v_mov_b32_e32 v99, v107
	s_cbranch_execz .LBB46_704
	s_branch .LBB46_705
.LBB46_703:
                                        ; implicit-def: $vgpr98_vgpr99
.LBB46_704:
	ds_load_b64 v[98:99], v1
.LBB46_705:
	s_mov_b32 s2, exec_lo
	v_cmpx_ne_u32_e32 24, v0
	s_cbranch_execz .LBB46_709
; %bb.706:
	v_add_nc_u32_e32 v101, 0x188, v38
	v_add3_u32 v102, 0, v38, 8
	v_mov_b32_e32 v103, v0
	s_mov_b32 s3, 0
.LBB46_707:                             ; =>This Inner Loop Header: Depth=1
	scratch_load_b64 v[104:105], v102, off
	ds_load_b64 v[106:107], v101
	s_wait_xcnt 0x0
	v_dual_add_nc_u32 v101, 8, v101 :: v_dual_add_nc_u32 v102, 8, v102
	s_wait_loadcnt_dscnt 0x0
	v_pk_mul_f32 v[108:109], v[106:107], v[104:105] op_sel:[1,1] op_sel_hi:[0,1]
	s_delay_alu instid0(VALU_DEP_1) | instskip(SKIP_2) | instid1(VALU_DEP_3)
	v_pk_fma_f32 v[110:111], v[106:107], v[104:105], v[108:109] op_sel_hi:[1,0,1]
	v_add_nc_u32_e32 v103, 1, v103
	v_pk_fma_f32 v[104:105], v[106:107], v[104:105], v[108:109] neg_lo:[0,0,1] neg_hi:[0,0,1]
	v_mov_b32_e32 v105, v111
	s_delay_alu instid0(VALU_DEP_3) | instskip(NEXT) | instid1(VALU_DEP_2)
	v_cmp_lt_u32_e32 vcc_lo, 23, v103
	v_pk_add_f32 v[98:99], v[98:99], v[104:105]
	s_or_b32 s3, vcc_lo, s3
	s_delay_alu instid0(SALU_CYCLE_1)
	s_and_not1_b32 exec_lo, exec_lo, s3
	s_cbranch_execnz .LBB46_707
; %bb.708:
	s_or_b32 exec_lo, exec_lo, s3
.LBB46_709:
	s_delay_alu instid0(SALU_CYCLE_1) | instskip(SKIP_4) | instid1(VALU_DEP_1)
	s_or_b32 exec_lo, exec_lo, s2
	v_mov_b32_e32 v101, 0
	ds_load_b64 v[102:103], v101 offset:200
	s_wait_dscnt 0x0
	v_pk_mul_f32 v[104:105], v[98:99], v[102:103] op_sel:[1,1] op_sel_hi:[0,1]
	v_pk_fma_f32 v[106:107], v[98:99], v[102:103], v[104:105] op_sel_hi:[1,0,1]
	v_pk_fma_f32 v[98:99], v[98:99], v[102:103], v[104:105] neg_lo:[0,0,1] neg_hi:[0,0,1]
	s_delay_alu instid0(VALU_DEP_2)
	v_mov_b32_e32 v99, v107
	scratch_store_b64 off, v[98:99], off offset:200
.LBB46_710:
	s_wait_xcnt 0x0
	s_or_b32 exec_lo, exec_lo, s0
	scratch_load_b64 v[98:99], off, off offset:208
	s_mov_b32 s0, exec_lo
	s_wait_loadcnt 0x0
	ds_store_b64 v1, v[98:99]
	s_wait_storecnt_dscnt 0x0
	s_barrier_signal -1
	s_barrier_wait -1
	s_wait_xcnt 0x0
	v_cmpx_gt_u32_e32 26, v0
	s_cbranch_execz .LBB46_720
; %bb.711:
	v_cmp_ne_u32_e32 vcc_lo, 1, v100
	s_cbranch_vccnz .LBB46_713
; %bb.712:
	scratch_load_b64 v[98:99], v39, off
	ds_load_b64 v[102:103], v1
	s_wait_loadcnt_dscnt 0x0
	v_pk_mul_f32 v[104:105], v[102:103], v[98:99] op_sel:[1,1] op_sel_hi:[0,1]
	s_delay_alu instid0(VALU_DEP_1) | instskip(SKIP_1) | instid1(VALU_DEP_2)
	v_pk_fma_f32 v[106:107], v[102:103], v[98:99], v[104:105] op_sel_hi:[1,0,1]
	v_pk_fma_f32 v[98:99], v[102:103], v[98:99], v[104:105] neg_lo:[0,0,1] neg_hi:[0,0,1]
	v_mov_b32_e32 v99, v107
	s_cbranch_execz .LBB46_714
	s_branch .LBB46_715
.LBB46_713:
                                        ; implicit-def: $vgpr98_vgpr99
.LBB46_714:
	ds_load_b64 v[98:99], v1
.LBB46_715:
	s_mov_b32 s2, exec_lo
	v_cmpx_ne_u32_e32 25, v0
	s_cbranch_execz .LBB46_719
; %bb.716:
	v_add_nc_u32_e32 v101, 0x188, v38
	v_add3_u32 v102, 0, v38, 8
	v_mov_b32_e32 v103, v0
	s_mov_b32 s3, 0
.LBB46_717:                             ; =>This Inner Loop Header: Depth=1
	scratch_load_b64 v[104:105], v102, off
	ds_load_b64 v[106:107], v101
	s_wait_xcnt 0x0
	v_dual_add_nc_u32 v101, 8, v101 :: v_dual_add_nc_u32 v102, 8, v102
	s_wait_loadcnt_dscnt 0x0
	v_pk_mul_f32 v[108:109], v[106:107], v[104:105] op_sel:[1,1] op_sel_hi:[0,1]
	s_delay_alu instid0(VALU_DEP_1) | instskip(SKIP_2) | instid1(VALU_DEP_3)
	v_pk_fma_f32 v[110:111], v[106:107], v[104:105], v[108:109] op_sel_hi:[1,0,1]
	v_add_nc_u32_e32 v103, 1, v103
	v_pk_fma_f32 v[104:105], v[106:107], v[104:105], v[108:109] neg_lo:[0,0,1] neg_hi:[0,0,1]
	v_mov_b32_e32 v105, v111
	s_delay_alu instid0(VALU_DEP_3) | instskip(NEXT) | instid1(VALU_DEP_2)
	v_cmp_lt_u32_e32 vcc_lo, 24, v103
	v_pk_add_f32 v[98:99], v[98:99], v[104:105]
	s_or_b32 s3, vcc_lo, s3
	s_delay_alu instid0(SALU_CYCLE_1)
	s_and_not1_b32 exec_lo, exec_lo, s3
	s_cbranch_execnz .LBB46_717
; %bb.718:
	s_or_b32 exec_lo, exec_lo, s3
.LBB46_719:
	s_delay_alu instid0(SALU_CYCLE_1) | instskip(SKIP_4) | instid1(VALU_DEP_1)
	s_or_b32 exec_lo, exec_lo, s2
	v_mov_b32_e32 v101, 0
	ds_load_b64 v[102:103], v101 offset:208
	s_wait_dscnt 0x0
	v_pk_mul_f32 v[104:105], v[98:99], v[102:103] op_sel:[1,1] op_sel_hi:[0,1]
	v_pk_fma_f32 v[106:107], v[98:99], v[102:103], v[104:105] op_sel_hi:[1,0,1]
	v_pk_fma_f32 v[98:99], v[98:99], v[102:103], v[104:105] neg_lo:[0,0,1] neg_hi:[0,0,1]
	s_delay_alu instid0(VALU_DEP_2)
	v_mov_b32_e32 v99, v107
	scratch_store_b64 off, v[98:99], off offset:208
.LBB46_720:
	s_wait_xcnt 0x0
	s_or_b32 exec_lo, exec_lo, s0
	scratch_load_b64 v[98:99], off, off offset:216
	s_mov_b32 s0, exec_lo
	s_wait_loadcnt 0x0
	ds_store_b64 v1, v[98:99]
	s_wait_storecnt_dscnt 0x0
	s_barrier_signal -1
	s_barrier_wait -1
	s_wait_xcnt 0x0
	v_cmpx_gt_u32_e32 27, v0
	s_cbranch_execz .LBB46_730
; %bb.721:
	v_cmp_ne_u32_e32 vcc_lo, 1, v100
	s_cbranch_vccnz .LBB46_723
; %bb.722:
	scratch_load_b64 v[98:99], v39, off
	ds_load_b64 v[102:103], v1
	s_wait_loadcnt_dscnt 0x0
	v_pk_mul_f32 v[104:105], v[102:103], v[98:99] op_sel:[1,1] op_sel_hi:[0,1]
	s_delay_alu instid0(VALU_DEP_1) | instskip(SKIP_1) | instid1(VALU_DEP_2)
	v_pk_fma_f32 v[106:107], v[102:103], v[98:99], v[104:105] op_sel_hi:[1,0,1]
	v_pk_fma_f32 v[98:99], v[102:103], v[98:99], v[104:105] neg_lo:[0,0,1] neg_hi:[0,0,1]
	v_mov_b32_e32 v99, v107
	s_cbranch_execz .LBB46_724
	s_branch .LBB46_725
.LBB46_723:
                                        ; implicit-def: $vgpr98_vgpr99
.LBB46_724:
	ds_load_b64 v[98:99], v1
.LBB46_725:
	s_mov_b32 s2, exec_lo
	v_cmpx_ne_u32_e32 26, v0
	s_cbranch_execz .LBB46_729
; %bb.726:
	v_add_nc_u32_e32 v101, 0x188, v38
	v_add3_u32 v102, 0, v38, 8
	v_mov_b32_e32 v103, v0
	s_mov_b32 s3, 0
.LBB46_727:                             ; =>This Inner Loop Header: Depth=1
	scratch_load_b64 v[104:105], v102, off
	ds_load_b64 v[106:107], v101
	s_wait_xcnt 0x0
	v_dual_add_nc_u32 v101, 8, v101 :: v_dual_add_nc_u32 v102, 8, v102
	s_wait_loadcnt_dscnt 0x0
	v_pk_mul_f32 v[108:109], v[106:107], v[104:105] op_sel:[1,1] op_sel_hi:[0,1]
	s_delay_alu instid0(VALU_DEP_1) | instskip(SKIP_2) | instid1(VALU_DEP_3)
	v_pk_fma_f32 v[110:111], v[106:107], v[104:105], v[108:109] op_sel_hi:[1,0,1]
	v_add_nc_u32_e32 v103, 1, v103
	v_pk_fma_f32 v[104:105], v[106:107], v[104:105], v[108:109] neg_lo:[0,0,1] neg_hi:[0,0,1]
	v_mov_b32_e32 v105, v111
	s_delay_alu instid0(VALU_DEP_3) | instskip(NEXT) | instid1(VALU_DEP_2)
	v_cmp_lt_u32_e32 vcc_lo, 25, v103
	v_pk_add_f32 v[98:99], v[98:99], v[104:105]
	s_or_b32 s3, vcc_lo, s3
	s_delay_alu instid0(SALU_CYCLE_1)
	s_and_not1_b32 exec_lo, exec_lo, s3
	s_cbranch_execnz .LBB46_727
; %bb.728:
	s_or_b32 exec_lo, exec_lo, s3
.LBB46_729:
	s_delay_alu instid0(SALU_CYCLE_1) | instskip(SKIP_4) | instid1(VALU_DEP_1)
	s_or_b32 exec_lo, exec_lo, s2
	v_mov_b32_e32 v101, 0
	ds_load_b64 v[102:103], v101 offset:216
	s_wait_dscnt 0x0
	v_pk_mul_f32 v[104:105], v[98:99], v[102:103] op_sel:[1,1] op_sel_hi:[0,1]
	v_pk_fma_f32 v[106:107], v[98:99], v[102:103], v[104:105] op_sel_hi:[1,0,1]
	v_pk_fma_f32 v[98:99], v[98:99], v[102:103], v[104:105] neg_lo:[0,0,1] neg_hi:[0,0,1]
	s_delay_alu instid0(VALU_DEP_2)
	v_mov_b32_e32 v99, v107
	scratch_store_b64 off, v[98:99], off offset:216
.LBB46_730:
	s_wait_xcnt 0x0
	s_or_b32 exec_lo, exec_lo, s0
	scratch_load_b64 v[98:99], off, off offset:224
	s_mov_b32 s0, exec_lo
	s_wait_loadcnt 0x0
	ds_store_b64 v1, v[98:99]
	s_wait_storecnt_dscnt 0x0
	s_barrier_signal -1
	s_barrier_wait -1
	s_wait_xcnt 0x0
	v_cmpx_gt_u32_e32 28, v0
	s_cbranch_execz .LBB46_740
; %bb.731:
	v_cmp_ne_u32_e32 vcc_lo, 1, v100
	s_cbranch_vccnz .LBB46_733
; %bb.732:
	scratch_load_b64 v[98:99], v39, off
	ds_load_b64 v[102:103], v1
	s_wait_loadcnt_dscnt 0x0
	v_pk_mul_f32 v[104:105], v[102:103], v[98:99] op_sel:[1,1] op_sel_hi:[0,1]
	s_delay_alu instid0(VALU_DEP_1) | instskip(SKIP_1) | instid1(VALU_DEP_2)
	v_pk_fma_f32 v[106:107], v[102:103], v[98:99], v[104:105] op_sel_hi:[1,0,1]
	v_pk_fma_f32 v[98:99], v[102:103], v[98:99], v[104:105] neg_lo:[0,0,1] neg_hi:[0,0,1]
	v_mov_b32_e32 v99, v107
	s_cbranch_execz .LBB46_734
	s_branch .LBB46_735
.LBB46_733:
                                        ; implicit-def: $vgpr98_vgpr99
.LBB46_734:
	ds_load_b64 v[98:99], v1
.LBB46_735:
	s_mov_b32 s2, exec_lo
	v_cmpx_ne_u32_e32 27, v0
	s_cbranch_execz .LBB46_739
; %bb.736:
	v_add_nc_u32_e32 v101, 0x188, v38
	v_add3_u32 v102, 0, v38, 8
	v_mov_b32_e32 v103, v0
	s_mov_b32 s3, 0
.LBB46_737:                             ; =>This Inner Loop Header: Depth=1
	scratch_load_b64 v[104:105], v102, off
	ds_load_b64 v[106:107], v101
	s_wait_xcnt 0x0
	v_dual_add_nc_u32 v101, 8, v101 :: v_dual_add_nc_u32 v102, 8, v102
	s_wait_loadcnt_dscnt 0x0
	v_pk_mul_f32 v[108:109], v[106:107], v[104:105] op_sel:[1,1] op_sel_hi:[0,1]
	s_delay_alu instid0(VALU_DEP_1) | instskip(SKIP_2) | instid1(VALU_DEP_3)
	v_pk_fma_f32 v[110:111], v[106:107], v[104:105], v[108:109] op_sel_hi:[1,0,1]
	v_add_nc_u32_e32 v103, 1, v103
	v_pk_fma_f32 v[104:105], v[106:107], v[104:105], v[108:109] neg_lo:[0,0,1] neg_hi:[0,0,1]
	v_mov_b32_e32 v105, v111
	s_delay_alu instid0(VALU_DEP_3) | instskip(NEXT) | instid1(VALU_DEP_2)
	v_cmp_lt_u32_e32 vcc_lo, 26, v103
	v_pk_add_f32 v[98:99], v[98:99], v[104:105]
	s_or_b32 s3, vcc_lo, s3
	s_delay_alu instid0(SALU_CYCLE_1)
	s_and_not1_b32 exec_lo, exec_lo, s3
	s_cbranch_execnz .LBB46_737
; %bb.738:
	s_or_b32 exec_lo, exec_lo, s3
.LBB46_739:
	s_delay_alu instid0(SALU_CYCLE_1) | instskip(SKIP_4) | instid1(VALU_DEP_1)
	s_or_b32 exec_lo, exec_lo, s2
	v_mov_b32_e32 v101, 0
	ds_load_b64 v[102:103], v101 offset:224
	s_wait_dscnt 0x0
	v_pk_mul_f32 v[104:105], v[98:99], v[102:103] op_sel:[1,1] op_sel_hi:[0,1]
	v_pk_fma_f32 v[106:107], v[98:99], v[102:103], v[104:105] op_sel_hi:[1,0,1]
	v_pk_fma_f32 v[98:99], v[98:99], v[102:103], v[104:105] neg_lo:[0,0,1] neg_hi:[0,0,1]
	s_delay_alu instid0(VALU_DEP_2)
	v_mov_b32_e32 v99, v107
	scratch_store_b64 off, v[98:99], off offset:224
.LBB46_740:
	s_wait_xcnt 0x0
	s_or_b32 exec_lo, exec_lo, s0
	scratch_load_b64 v[98:99], off, off offset:232
	s_mov_b32 s0, exec_lo
	s_wait_loadcnt 0x0
	ds_store_b64 v1, v[98:99]
	s_wait_storecnt_dscnt 0x0
	s_barrier_signal -1
	s_barrier_wait -1
	s_wait_xcnt 0x0
	v_cmpx_gt_u32_e32 29, v0
	s_cbranch_execz .LBB46_750
; %bb.741:
	v_cmp_ne_u32_e32 vcc_lo, 1, v100
	s_cbranch_vccnz .LBB46_743
; %bb.742:
	scratch_load_b64 v[98:99], v39, off
	ds_load_b64 v[102:103], v1
	s_wait_loadcnt_dscnt 0x0
	v_pk_mul_f32 v[104:105], v[102:103], v[98:99] op_sel:[1,1] op_sel_hi:[0,1]
	s_delay_alu instid0(VALU_DEP_1) | instskip(SKIP_1) | instid1(VALU_DEP_2)
	v_pk_fma_f32 v[106:107], v[102:103], v[98:99], v[104:105] op_sel_hi:[1,0,1]
	v_pk_fma_f32 v[98:99], v[102:103], v[98:99], v[104:105] neg_lo:[0,0,1] neg_hi:[0,0,1]
	v_mov_b32_e32 v99, v107
	s_cbranch_execz .LBB46_744
	s_branch .LBB46_745
.LBB46_743:
                                        ; implicit-def: $vgpr98_vgpr99
.LBB46_744:
	ds_load_b64 v[98:99], v1
.LBB46_745:
	s_mov_b32 s2, exec_lo
	v_cmpx_ne_u32_e32 28, v0
	s_cbranch_execz .LBB46_749
; %bb.746:
	v_add_nc_u32_e32 v101, 0x188, v38
	v_add3_u32 v102, 0, v38, 8
	v_mov_b32_e32 v103, v0
	s_mov_b32 s3, 0
.LBB46_747:                             ; =>This Inner Loop Header: Depth=1
	scratch_load_b64 v[104:105], v102, off
	ds_load_b64 v[106:107], v101
	s_wait_xcnt 0x0
	v_dual_add_nc_u32 v101, 8, v101 :: v_dual_add_nc_u32 v102, 8, v102
	s_wait_loadcnt_dscnt 0x0
	v_pk_mul_f32 v[108:109], v[106:107], v[104:105] op_sel:[1,1] op_sel_hi:[0,1]
	s_delay_alu instid0(VALU_DEP_1) | instskip(SKIP_2) | instid1(VALU_DEP_3)
	v_pk_fma_f32 v[110:111], v[106:107], v[104:105], v[108:109] op_sel_hi:[1,0,1]
	v_add_nc_u32_e32 v103, 1, v103
	v_pk_fma_f32 v[104:105], v[106:107], v[104:105], v[108:109] neg_lo:[0,0,1] neg_hi:[0,0,1]
	v_mov_b32_e32 v105, v111
	s_delay_alu instid0(VALU_DEP_3) | instskip(NEXT) | instid1(VALU_DEP_2)
	v_cmp_lt_u32_e32 vcc_lo, 27, v103
	v_pk_add_f32 v[98:99], v[98:99], v[104:105]
	s_or_b32 s3, vcc_lo, s3
	s_delay_alu instid0(SALU_CYCLE_1)
	s_and_not1_b32 exec_lo, exec_lo, s3
	s_cbranch_execnz .LBB46_747
; %bb.748:
	s_or_b32 exec_lo, exec_lo, s3
.LBB46_749:
	s_delay_alu instid0(SALU_CYCLE_1) | instskip(SKIP_4) | instid1(VALU_DEP_1)
	s_or_b32 exec_lo, exec_lo, s2
	v_mov_b32_e32 v101, 0
	ds_load_b64 v[102:103], v101 offset:232
	s_wait_dscnt 0x0
	v_pk_mul_f32 v[104:105], v[98:99], v[102:103] op_sel:[1,1] op_sel_hi:[0,1]
	v_pk_fma_f32 v[106:107], v[98:99], v[102:103], v[104:105] op_sel_hi:[1,0,1]
	v_pk_fma_f32 v[98:99], v[98:99], v[102:103], v[104:105] neg_lo:[0,0,1] neg_hi:[0,0,1]
	s_delay_alu instid0(VALU_DEP_2)
	v_mov_b32_e32 v99, v107
	scratch_store_b64 off, v[98:99], off offset:232
.LBB46_750:
	s_wait_xcnt 0x0
	s_or_b32 exec_lo, exec_lo, s0
	scratch_load_b64 v[98:99], off, off offset:240
	s_mov_b32 s0, exec_lo
	s_wait_loadcnt 0x0
	ds_store_b64 v1, v[98:99]
	s_wait_storecnt_dscnt 0x0
	s_barrier_signal -1
	s_barrier_wait -1
	s_wait_xcnt 0x0
	v_cmpx_gt_u32_e32 30, v0
	s_cbranch_execz .LBB46_760
; %bb.751:
	v_cmp_ne_u32_e32 vcc_lo, 1, v100
	s_cbranch_vccnz .LBB46_753
; %bb.752:
	scratch_load_b64 v[98:99], v39, off
	ds_load_b64 v[102:103], v1
	s_wait_loadcnt_dscnt 0x0
	v_pk_mul_f32 v[104:105], v[102:103], v[98:99] op_sel:[1,1] op_sel_hi:[0,1]
	s_delay_alu instid0(VALU_DEP_1) | instskip(SKIP_1) | instid1(VALU_DEP_2)
	v_pk_fma_f32 v[106:107], v[102:103], v[98:99], v[104:105] op_sel_hi:[1,0,1]
	v_pk_fma_f32 v[98:99], v[102:103], v[98:99], v[104:105] neg_lo:[0,0,1] neg_hi:[0,0,1]
	v_mov_b32_e32 v99, v107
	s_cbranch_execz .LBB46_754
	s_branch .LBB46_755
.LBB46_753:
                                        ; implicit-def: $vgpr98_vgpr99
.LBB46_754:
	ds_load_b64 v[98:99], v1
.LBB46_755:
	s_mov_b32 s2, exec_lo
	v_cmpx_ne_u32_e32 29, v0
	s_cbranch_execz .LBB46_759
; %bb.756:
	v_add_nc_u32_e32 v101, 0x188, v38
	v_add3_u32 v102, 0, v38, 8
	v_mov_b32_e32 v103, v0
	s_mov_b32 s3, 0
.LBB46_757:                             ; =>This Inner Loop Header: Depth=1
	scratch_load_b64 v[104:105], v102, off
	ds_load_b64 v[106:107], v101
	s_wait_xcnt 0x0
	v_dual_add_nc_u32 v101, 8, v101 :: v_dual_add_nc_u32 v102, 8, v102
	s_wait_loadcnt_dscnt 0x0
	v_pk_mul_f32 v[108:109], v[106:107], v[104:105] op_sel:[1,1] op_sel_hi:[0,1]
	s_delay_alu instid0(VALU_DEP_1) | instskip(SKIP_2) | instid1(VALU_DEP_3)
	v_pk_fma_f32 v[110:111], v[106:107], v[104:105], v[108:109] op_sel_hi:[1,0,1]
	v_add_nc_u32_e32 v103, 1, v103
	v_pk_fma_f32 v[104:105], v[106:107], v[104:105], v[108:109] neg_lo:[0,0,1] neg_hi:[0,0,1]
	v_mov_b32_e32 v105, v111
	s_delay_alu instid0(VALU_DEP_3) | instskip(NEXT) | instid1(VALU_DEP_2)
	v_cmp_lt_u32_e32 vcc_lo, 28, v103
	v_pk_add_f32 v[98:99], v[98:99], v[104:105]
	s_or_b32 s3, vcc_lo, s3
	s_delay_alu instid0(SALU_CYCLE_1)
	s_and_not1_b32 exec_lo, exec_lo, s3
	s_cbranch_execnz .LBB46_757
; %bb.758:
	s_or_b32 exec_lo, exec_lo, s3
.LBB46_759:
	s_delay_alu instid0(SALU_CYCLE_1) | instskip(SKIP_4) | instid1(VALU_DEP_1)
	s_or_b32 exec_lo, exec_lo, s2
	v_mov_b32_e32 v101, 0
	ds_load_b64 v[102:103], v101 offset:240
	s_wait_dscnt 0x0
	v_pk_mul_f32 v[104:105], v[98:99], v[102:103] op_sel:[1,1] op_sel_hi:[0,1]
	v_pk_fma_f32 v[106:107], v[98:99], v[102:103], v[104:105] op_sel_hi:[1,0,1]
	v_pk_fma_f32 v[98:99], v[98:99], v[102:103], v[104:105] neg_lo:[0,0,1] neg_hi:[0,0,1]
	s_delay_alu instid0(VALU_DEP_2)
	v_mov_b32_e32 v99, v107
	scratch_store_b64 off, v[98:99], off offset:240
.LBB46_760:
	s_wait_xcnt 0x0
	s_or_b32 exec_lo, exec_lo, s0
	scratch_load_b64 v[98:99], off, off offset:248
	s_mov_b32 s0, exec_lo
	s_wait_loadcnt 0x0
	ds_store_b64 v1, v[98:99]
	s_wait_storecnt_dscnt 0x0
	s_barrier_signal -1
	s_barrier_wait -1
	s_wait_xcnt 0x0
	v_cmpx_gt_u32_e32 31, v0
	s_cbranch_execz .LBB46_770
; %bb.761:
	v_cmp_ne_u32_e32 vcc_lo, 1, v100
	s_cbranch_vccnz .LBB46_763
; %bb.762:
	scratch_load_b64 v[98:99], v39, off
	ds_load_b64 v[102:103], v1
	s_wait_loadcnt_dscnt 0x0
	v_pk_mul_f32 v[104:105], v[102:103], v[98:99] op_sel:[1,1] op_sel_hi:[0,1]
	s_delay_alu instid0(VALU_DEP_1) | instskip(SKIP_1) | instid1(VALU_DEP_2)
	v_pk_fma_f32 v[106:107], v[102:103], v[98:99], v[104:105] op_sel_hi:[1,0,1]
	v_pk_fma_f32 v[98:99], v[102:103], v[98:99], v[104:105] neg_lo:[0,0,1] neg_hi:[0,0,1]
	v_mov_b32_e32 v99, v107
	s_cbranch_execz .LBB46_764
	s_branch .LBB46_765
.LBB46_763:
                                        ; implicit-def: $vgpr98_vgpr99
.LBB46_764:
	ds_load_b64 v[98:99], v1
.LBB46_765:
	s_mov_b32 s2, exec_lo
	v_cmpx_ne_u32_e32 30, v0
	s_cbranch_execz .LBB46_769
; %bb.766:
	v_add_nc_u32_e32 v101, 0x188, v38
	v_add3_u32 v102, 0, v38, 8
	v_mov_b32_e32 v103, v0
	s_mov_b32 s3, 0
.LBB46_767:                             ; =>This Inner Loop Header: Depth=1
	scratch_load_b64 v[104:105], v102, off
	ds_load_b64 v[106:107], v101
	s_wait_xcnt 0x0
	v_dual_add_nc_u32 v101, 8, v101 :: v_dual_add_nc_u32 v102, 8, v102
	s_wait_loadcnt_dscnt 0x0
	v_pk_mul_f32 v[108:109], v[106:107], v[104:105] op_sel:[1,1] op_sel_hi:[0,1]
	s_delay_alu instid0(VALU_DEP_1) | instskip(SKIP_2) | instid1(VALU_DEP_3)
	v_pk_fma_f32 v[110:111], v[106:107], v[104:105], v[108:109] op_sel_hi:[1,0,1]
	v_add_nc_u32_e32 v103, 1, v103
	v_pk_fma_f32 v[104:105], v[106:107], v[104:105], v[108:109] neg_lo:[0,0,1] neg_hi:[0,0,1]
	v_mov_b32_e32 v105, v111
	s_delay_alu instid0(VALU_DEP_3) | instskip(NEXT) | instid1(VALU_DEP_2)
	v_cmp_lt_u32_e32 vcc_lo, 29, v103
	v_pk_add_f32 v[98:99], v[98:99], v[104:105]
	s_or_b32 s3, vcc_lo, s3
	s_delay_alu instid0(SALU_CYCLE_1)
	s_and_not1_b32 exec_lo, exec_lo, s3
	s_cbranch_execnz .LBB46_767
; %bb.768:
	s_or_b32 exec_lo, exec_lo, s3
.LBB46_769:
	s_delay_alu instid0(SALU_CYCLE_1) | instskip(SKIP_4) | instid1(VALU_DEP_1)
	s_or_b32 exec_lo, exec_lo, s2
	v_mov_b32_e32 v101, 0
	ds_load_b64 v[102:103], v101 offset:248
	s_wait_dscnt 0x0
	v_pk_mul_f32 v[104:105], v[98:99], v[102:103] op_sel:[1,1] op_sel_hi:[0,1]
	v_pk_fma_f32 v[106:107], v[98:99], v[102:103], v[104:105] op_sel_hi:[1,0,1]
	v_pk_fma_f32 v[98:99], v[98:99], v[102:103], v[104:105] neg_lo:[0,0,1] neg_hi:[0,0,1]
	s_delay_alu instid0(VALU_DEP_2)
	v_mov_b32_e32 v99, v107
	scratch_store_b64 off, v[98:99], off offset:248
.LBB46_770:
	s_wait_xcnt 0x0
	s_or_b32 exec_lo, exec_lo, s0
	scratch_load_b64 v[98:99], off, off offset:256
	s_mov_b32 s0, exec_lo
	s_wait_loadcnt 0x0
	ds_store_b64 v1, v[98:99]
	s_wait_storecnt_dscnt 0x0
	s_barrier_signal -1
	s_barrier_wait -1
	s_wait_xcnt 0x0
	v_cmpx_gt_u32_e32 32, v0
	s_cbranch_execz .LBB46_780
; %bb.771:
	v_cmp_ne_u32_e32 vcc_lo, 1, v100
	s_cbranch_vccnz .LBB46_773
; %bb.772:
	scratch_load_b64 v[98:99], v39, off
	ds_load_b64 v[102:103], v1
	s_wait_loadcnt_dscnt 0x0
	v_pk_mul_f32 v[104:105], v[102:103], v[98:99] op_sel:[1,1] op_sel_hi:[0,1]
	s_delay_alu instid0(VALU_DEP_1) | instskip(SKIP_1) | instid1(VALU_DEP_2)
	v_pk_fma_f32 v[106:107], v[102:103], v[98:99], v[104:105] op_sel_hi:[1,0,1]
	v_pk_fma_f32 v[98:99], v[102:103], v[98:99], v[104:105] neg_lo:[0,0,1] neg_hi:[0,0,1]
	v_mov_b32_e32 v99, v107
	s_cbranch_execz .LBB46_774
	s_branch .LBB46_775
.LBB46_773:
                                        ; implicit-def: $vgpr98_vgpr99
.LBB46_774:
	ds_load_b64 v[98:99], v1
.LBB46_775:
	s_mov_b32 s2, exec_lo
	v_cmpx_ne_u32_e32 31, v0
	s_cbranch_execz .LBB46_779
; %bb.776:
	v_add_nc_u32_e32 v101, 0x188, v38
	v_add3_u32 v102, 0, v38, 8
	v_mov_b32_e32 v103, v0
	s_mov_b32 s3, 0
.LBB46_777:                             ; =>This Inner Loop Header: Depth=1
	scratch_load_b64 v[104:105], v102, off
	ds_load_b64 v[106:107], v101
	s_wait_xcnt 0x0
	v_dual_add_nc_u32 v101, 8, v101 :: v_dual_add_nc_u32 v102, 8, v102
	s_wait_loadcnt_dscnt 0x0
	v_pk_mul_f32 v[108:109], v[106:107], v[104:105] op_sel:[1,1] op_sel_hi:[0,1]
	s_delay_alu instid0(VALU_DEP_1) | instskip(SKIP_2) | instid1(VALU_DEP_3)
	v_pk_fma_f32 v[110:111], v[106:107], v[104:105], v[108:109] op_sel_hi:[1,0,1]
	v_add_nc_u32_e32 v103, 1, v103
	v_pk_fma_f32 v[104:105], v[106:107], v[104:105], v[108:109] neg_lo:[0,0,1] neg_hi:[0,0,1]
	v_mov_b32_e32 v105, v111
	s_delay_alu instid0(VALU_DEP_3) | instskip(NEXT) | instid1(VALU_DEP_2)
	v_cmp_lt_u32_e32 vcc_lo, 30, v103
	v_pk_add_f32 v[98:99], v[98:99], v[104:105]
	s_or_b32 s3, vcc_lo, s3
	s_delay_alu instid0(SALU_CYCLE_1)
	s_and_not1_b32 exec_lo, exec_lo, s3
	s_cbranch_execnz .LBB46_777
; %bb.778:
	s_or_b32 exec_lo, exec_lo, s3
.LBB46_779:
	s_delay_alu instid0(SALU_CYCLE_1) | instskip(SKIP_4) | instid1(VALU_DEP_1)
	s_or_b32 exec_lo, exec_lo, s2
	v_mov_b32_e32 v101, 0
	ds_load_b64 v[102:103], v101 offset:256
	s_wait_dscnt 0x0
	v_pk_mul_f32 v[104:105], v[98:99], v[102:103] op_sel:[1,1] op_sel_hi:[0,1]
	v_pk_fma_f32 v[106:107], v[98:99], v[102:103], v[104:105] op_sel_hi:[1,0,1]
	v_pk_fma_f32 v[98:99], v[98:99], v[102:103], v[104:105] neg_lo:[0,0,1] neg_hi:[0,0,1]
	s_delay_alu instid0(VALU_DEP_2)
	v_mov_b32_e32 v99, v107
	scratch_store_b64 off, v[98:99], off offset:256
.LBB46_780:
	s_wait_xcnt 0x0
	s_or_b32 exec_lo, exec_lo, s0
	scratch_load_b64 v[98:99], off, off offset:264
	s_mov_b32 s0, exec_lo
	s_wait_loadcnt 0x0
	ds_store_b64 v1, v[98:99]
	s_wait_storecnt_dscnt 0x0
	s_barrier_signal -1
	s_barrier_wait -1
	s_wait_xcnt 0x0
	v_cmpx_gt_u32_e32 33, v0
	s_cbranch_execz .LBB46_790
; %bb.781:
	v_cmp_ne_u32_e32 vcc_lo, 1, v100
	s_cbranch_vccnz .LBB46_783
; %bb.782:
	scratch_load_b64 v[98:99], v39, off
	ds_load_b64 v[102:103], v1
	s_wait_loadcnt_dscnt 0x0
	v_pk_mul_f32 v[104:105], v[102:103], v[98:99] op_sel:[1,1] op_sel_hi:[0,1]
	s_delay_alu instid0(VALU_DEP_1) | instskip(SKIP_1) | instid1(VALU_DEP_2)
	v_pk_fma_f32 v[106:107], v[102:103], v[98:99], v[104:105] op_sel_hi:[1,0,1]
	v_pk_fma_f32 v[98:99], v[102:103], v[98:99], v[104:105] neg_lo:[0,0,1] neg_hi:[0,0,1]
	v_mov_b32_e32 v99, v107
	s_cbranch_execz .LBB46_784
	s_branch .LBB46_785
.LBB46_783:
                                        ; implicit-def: $vgpr98_vgpr99
.LBB46_784:
	ds_load_b64 v[98:99], v1
.LBB46_785:
	s_mov_b32 s2, exec_lo
	v_cmpx_ne_u32_e32 32, v0
	s_cbranch_execz .LBB46_789
; %bb.786:
	v_add_nc_u32_e32 v101, 0x188, v38
	v_add3_u32 v102, 0, v38, 8
	v_mov_b32_e32 v103, v0
	s_mov_b32 s3, 0
.LBB46_787:                             ; =>This Inner Loop Header: Depth=1
	scratch_load_b64 v[104:105], v102, off
	ds_load_b64 v[106:107], v101
	s_wait_xcnt 0x0
	v_dual_add_nc_u32 v101, 8, v101 :: v_dual_add_nc_u32 v102, 8, v102
	s_wait_loadcnt_dscnt 0x0
	v_pk_mul_f32 v[108:109], v[106:107], v[104:105] op_sel:[1,1] op_sel_hi:[0,1]
	s_delay_alu instid0(VALU_DEP_1) | instskip(SKIP_2) | instid1(VALU_DEP_3)
	v_pk_fma_f32 v[110:111], v[106:107], v[104:105], v[108:109] op_sel_hi:[1,0,1]
	v_add_nc_u32_e32 v103, 1, v103
	v_pk_fma_f32 v[104:105], v[106:107], v[104:105], v[108:109] neg_lo:[0,0,1] neg_hi:[0,0,1]
	v_mov_b32_e32 v105, v111
	s_delay_alu instid0(VALU_DEP_3) | instskip(NEXT) | instid1(VALU_DEP_2)
	v_cmp_lt_u32_e32 vcc_lo, 31, v103
	v_pk_add_f32 v[98:99], v[98:99], v[104:105]
	s_or_b32 s3, vcc_lo, s3
	s_delay_alu instid0(SALU_CYCLE_1)
	s_and_not1_b32 exec_lo, exec_lo, s3
	s_cbranch_execnz .LBB46_787
; %bb.788:
	s_or_b32 exec_lo, exec_lo, s3
.LBB46_789:
	s_delay_alu instid0(SALU_CYCLE_1) | instskip(SKIP_4) | instid1(VALU_DEP_1)
	s_or_b32 exec_lo, exec_lo, s2
	v_mov_b32_e32 v101, 0
	ds_load_b64 v[102:103], v101 offset:264
	s_wait_dscnt 0x0
	v_pk_mul_f32 v[104:105], v[98:99], v[102:103] op_sel:[1,1] op_sel_hi:[0,1]
	v_pk_fma_f32 v[106:107], v[98:99], v[102:103], v[104:105] op_sel_hi:[1,0,1]
	v_pk_fma_f32 v[98:99], v[98:99], v[102:103], v[104:105] neg_lo:[0,0,1] neg_hi:[0,0,1]
	s_delay_alu instid0(VALU_DEP_2)
	v_mov_b32_e32 v99, v107
	scratch_store_b64 off, v[98:99], off offset:264
.LBB46_790:
	s_wait_xcnt 0x0
	s_or_b32 exec_lo, exec_lo, s0
	scratch_load_b64 v[98:99], off, off offset:272
	s_mov_b32 s0, exec_lo
	s_wait_loadcnt 0x0
	ds_store_b64 v1, v[98:99]
	s_wait_storecnt_dscnt 0x0
	s_barrier_signal -1
	s_barrier_wait -1
	s_wait_xcnt 0x0
	v_cmpx_gt_u32_e32 34, v0
	s_cbranch_execz .LBB46_800
; %bb.791:
	v_cmp_ne_u32_e32 vcc_lo, 1, v100
	s_cbranch_vccnz .LBB46_793
; %bb.792:
	scratch_load_b64 v[98:99], v39, off
	ds_load_b64 v[102:103], v1
	s_wait_loadcnt_dscnt 0x0
	v_pk_mul_f32 v[104:105], v[102:103], v[98:99] op_sel:[1,1] op_sel_hi:[0,1]
	s_delay_alu instid0(VALU_DEP_1) | instskip(SKIP_1) | instid1(VALU_DEP_2)
	v_pk_fma_f32 v[106:107], v[102:103], v[98:99], v[104:105] op_sel_hi:[1,0,1]
	v_pk_fma_f32 v[98:99], v[102:103], v[98:99], v[104:105] neg_lo:[0,0,1] neg_hi:[0,0,1]
	v_mov_b32_e32 v99, v107
	s_cbranch_execz .LBB46_794
	s_branch .LBB46_795
.LBB46_793:
                                        ; implicit-def: $vgpr98_vgpr99
.LBB46_794:
	ds_load_b64 v[98:99], v1
.LBB46_795:
	s_mov_b32 s2, exec_lo
	v_cmpx_ne_u32_e32 33, v0
	s_cbranch_execz .LBB46_799
; %bb.796:
	v_add_nc_u32_e32 v101, 0x188, v38
	v_add3_u32 v102, 0, v38, 8
	v_mov_b32_e32 v103, v0
	s_mov_b32 s3, 0
.LBB46_797:                             ; =>This Inner Loop Header: Depth=1
	scratch_load_b64 v[104:105], v102, off
	ds_load_b64 v[106:107], v101
	s_wait_xcnt 0x0
	v_dual_add_nc_u32 v101, 8, v101 :: v_dual_add_nc_u32 v102, 8, v102
	s_wait_loadcnt_dscnt 0x0
	v_pk_mul_f32 v[108:109], v[106:107], v[104:105] op_sel:[1,1] op_sel_hi:[0,1]
	s_delay_alu instid0(VALU_DEP_1) | instskip(SKIP_2) | instid1(VALU_DEP_3)
	v_pk_fma_f32 v[110:111], v[106:107], v[104:105], v[108:109] op_sel_hi:[1,0,1]
	v_add_nc_u32_e32 v103, 1, v103
	v_pk_fma_f32 v[104:105], v[106:107], v[104:105], v[108:109] neg_lo:[0,0,1] neg_hi:[0,0,1]
	v_mov_b32_e32 v105, v111
	s_delay_alu instid0(VALU_DEP_3) | instskip(NEXT) | instid1(VALU_DEP_2)
	v_cmp_lt_u32_e32 vcc_lo, 32, v103
	v_pk_add_f32 v[98:99], v[98:99], v[104:105]
	s_or_b32 s3, vcc_lo, s3
	s_delay_alu instid0(SALU_CYCLE_1)
	s_and_not1_b32 exec_lo, exec_lo, s3
	s_cbranch_execnz .LBB46_797
; %bb.798:
	s_or_b32 exec_lo, exec_lo, s3
.LBB46_799:
	s_delay_alu instid0(SALU_CYCLE_1) | instskip(SKIP_4) | instid1(VALU_DEP_1)
	s_or_b32 exec_lo, exec_lo, s2
	v_mov_b32_e32 v101, 0
	ds_load_b64 v[102:103], v101 offset:272
	s_wait_dscnt 0x0
	v_pk_mul_f32 v[104:105], v[98:99], v[102:103] op_sel:[1,1] op_sel_hi:[0,1]
	v_pk_fma_f32 v[106:107], v[98:99], v[102:103], v[104:105] op_sel_hi:[1,0,1]
	v_pk_fma_f32 v[98:99], v[98:99], v[102:103], v[104:105] neg_lo:[0,0,1] neg_hi:[0,0,1]
	s_delay_alu instid0(VALU_DEP_2)
	v_mov_b32_e32 v99, v107
	scratch_store_b64 off, v[98:99], off offset:272
.LBB46_800:
	s_wait_xcnt 0x0
	s_or_b32 exec_lo, exec_lo, s0
	scratch_load_b64 v[98:99], off, off offset:280
	s_mov_b32 s0, exec_lo
	s_wait_loadcnt 0x0
	ds_store_b64 v1, v[98:99]
	s_wait_storecnt_dscnt 0x0
	s_barrier_signal -1
	s_barrier_wait -1
	s_wait_xcnt 0x0
	v_cmpx_gt_u32_e32 35, v0
	s_cbranch_execz .LBB46_810
; %bb.801:
	v_cmp_ne_u32_e32 vcc_lo, 1, v100
	s_cbranch_vccnz .LBB46_803
; %bb.802:
	scratch_load_b64 v[98:99], v39, off
	ds_load_b64 v[102:103], v1
	s_wait_loadcnt_dscnt 0x0
	v_pk_mul_f32 v[104:105], v[102:103], v[98:99] op_sel:[1,1] op_sel_hi:[0,1]
	s_delay_alu instid0(VALU_DEP_1) | instskip(SKIP_1) | instid1(VALU_DEP_2)
	v_pk_fma_f32 v[106:107], v[102:103], v[98:99], v[104:105] op_sel_hi:[1,0,1]
	v_pk_fma_f32 v[98:99], v[102:103], v[98:99], v[104:105] neg_lo:[0,0,1] neg_hi:[0,0,1]
	v_mov_b32_e32 v99, v107
	s_cbranch_execz .LBB46_804
	s_branch .LBB46_805
.LBB46_803:
                                        ; implicit-def: $vgpr98_vgpr99
.LBB46_804:
	ds_load_b64 v[98:99], v1
.LBB46_805:
	s_mov_b32 s2, exec_lo
	v_cmpx_ne_u32_e32 34, v0
	s_cbranch_execz .LBB46_809
; %bb.806:
	v_add_nc_u32_e32 v101, 0x188, v38
	v_add3_u32 v102, 0, v38, 8
	v_mov_b32_e32 v103, v0
	s_mov_b32 s3, 0
.LBB46_807:                             ; =>This Inner Loop Header: Depth=1
	scratch_load_b64 v[104:105], v102, off
	ds_load_b64 v[106:107], v101
	s_wait_xcnt 0x0
	v_dual_add_nc_u32 v101, 8, v101 :: v_dual_add_nc_u32 v102, 8, v102
	s_wait_loadcnt_dscnt 0x0
	v_pk_mul_f32 v[108:109], v[106:107], v[104:105] op_sel:[1,1] op_sel_hi:[0,1]
	s_delay_alu instid0(VALU_DEP_1) | instskip(SKIP_2) | instid1(VALU_DEP_3)
	v_pk_fma_f32 v[110:111], v[106:107], v[104:105], v[108:109] op_sel_hi:[1,0,1]
	v_add_nc_u32_e32 v103, 1, v103
	v_pk_fma_f32 v[104:105], v[106:107], v[104:105], v[108:109] neg_lo:[0,0,1] neg_hi:[0,0,1]
	v_mov_b32_e32 v105, v111
	s_delay_alu instid0(VALU_DEP_3) | instskip(NEXT) | instid1(VALU_DEP_2)
	v_cmp_lt_u32_e32 vcc_lo, 33, v103
	v_pk_add_f32 v[98:99], v[98:99], v[104:105]
	s_or_b32 s3, vcc_lo, s3
	s_delay_alu instid0(SALU_CYCLE_1)
	s_and_not1_b32 exec_lo, exec_lo, s3
	s_cbranch_execnz .LBB46_807
; %bb.808:
	s_or_b32 exec_lo, exec_lo, s3
.LBB46_809:
	s_delay_alu instid0(SALU_CYCLE_1) | instskip(SKIP_4) | instid1(VALU_DEP_1)
	s_or_b32 exec_lo, exec_lo, s2
	v_mov_b32_e32 v101, 0
	ds_load_b64 v[102:103], v101 offset:280
	s_wait_dscnt 0x0
	v_pk_mul_f32 v[104:105], v[98:99], v[102:103] op_sel:[1,1] op_sel_hi:[0,1]
	v_pk_fma_f32 v[106:107], v[98:99], v[102:103], v[104:105] op_sel_hi:[1,0,1]
	v_pk_fma_f32 v[98:99], v[98:99], v[102:103], v[104:105] neg_lo:[0,0,1] neg_hi:[0,0,1]
	s_delay_alu instid0(VALU_DEP_2)
	v_mov_b32_e32 v99, v107
	scratch_store_b64 off, v[98:99], off offset:280
.LBB46_810:
	s_wait_xcnt 0x0
	s_or_b32 exec_lo, exec_lo, s0
	scratch_load_b64 v[98:99], off, off offset:288
	s_mov_b32 s0, exec_lo
	s_wait_loadcnt 0x0
	ds_store_b64 v1, v[98:99]
	s_wait_storecnt_dscnt 0x0
	s_barrier_signal -1
	s_barrier_wait -1
	s_wait_xcnt 0x0
	v_cmpx_gt_u32_e32 36, v0
	s_cbranch_execz .LBB46_820
; %bb.811:
	v_cmp_ne_u32_e32 vcc_lo, 1, v100
	s_cbranch_vccnz .LBB46_813
; %bb.812:
	scratch_load_b64 v[98:99], v39, off
	ds_load_b64 v[102:103], v1
	s_wait_loadcnt_dscnt 0x0
	v_pk_mul_f32 v[104:105], v[102:103], v[98:99] op_sel:[1,1] op_sel_hi:[0,1]
	s_delay_alu instid0(VALU_DEP_1) | instskip(SKIP_1) | instid1(VALU_DEP_2)
	v_pk_fma_f32 v[106:107], v[102:103], v[98:99], v[104:105] op_sel_hi:[1,0,1]
	v_pk_fma_f32 v[98:99], v[102:103], v[98:99], v[104:105] neg_lo:[0,0,1] neg_hi:[0,0,1]
	v_mov_b32_e32 v99, v107
	s_cbranch_execz .LBB46_814
	s_branch .LBB46_815
.LBB46_813:
                                        ; implicit-def: $vgpr98_vgpr99
.LBB46_814:
	ds_load_b64 v[98:99], v1
.LBB46_815:
	s_mov_b32 s2, exec_lo
	v_cmpx_ne_u32_e32 35, v0
	s_cbranch_execz .LBB46_819
; %bb.816:
	v_add_nc_u32_e32 v101, 0x188, v38
	v_add3_u32 v102, 0, v38, 8
	v_mov_b32_e32 v103, v0
	s_mov_b32 s3, 0
.LBB46_817:                             ; =>This Inner Loop Header: Depth=1
	scratch_load_b64 v[104:105], v102, off
	ds_load_b64 v[106:107], v101
	s_wait_xcnt 0x0
	v_dual_add_nc_u32 v101, 8, v101 :: v_dual_add_nc_u32 v102, 8, v102
	s_wait_loadcnt_dscnt 0x0
	v_pk_mul_f32 v[108:109], v[106:107], v[104:105] op_sel:[1,1] op_sel_hi:[0,1]
	s_delay_alu instid0(VALU_DEP_1) | instskip(SKIP_2) | instid1(VALU_DEP_3)
	v_pk_fma_f32 v[110:111], v[106:107], v[104:105], v[108:109] op_sel_hi:[1,0,1]
	v_add_nc_u32_e32 v103, 1, v103
	v_pk_fma_f32 v[104:105], v[106:107], v[104:105], v[108:109] neg_lo:[0,0,1] neg_hi:[0,0,1]
	v_mov_b32_e32 v105, v111
	s_delay_alu instid0(VALU_DEP_3) | instskip(NEXT) | instid1(VALU_DEP_2)
	v_cmp_lt_u32_e32 vcc_lo, 34, v103
	v_pk_add_f32 v[98:99], v[98:99], v[104:105]
	s_or_b32 s3, vcc_lo, s3
	s_delay_alu instid0(SALU_CYCLE_1)
	s_and_not1_b32 exec_lo, exec_lo, s3
	s_cbranch_execnz .LBB46_817
; %bb.818:
	s_or_b32 exec_lo, exec_lo, s3
.LBB46_819:
	s_delay_alu instid0(SALU_CYCLE_1) | instskip(SKIP_4) | instid1(VALU_DEP_1)
	s_or_b32 exec_lo, exec_lo, s2
	v_mov_b32_e32 v101, 0
	ds_load_b64 v[102:103], v101 offset:288
	s_wait_dscnt 0x0
	v_pk_mul_f32 v[104:105], v[98:99], v[102:103] op_sel:[1,1] op_sel_hi:[0,1]
	v_pk_fma_f32 v[106:107], v[98:99], v[102:103], v[104:105] op_sel_hi:[1,0,1]
	v_pk_fma_f32 v[98:99], v[98:99], v[102:103], v[104:105] neg_lo:[0,0,1] neg_hi:[0,0,1]
	s_delay_alu instid0(VALU_DEP_2)
	v_mov_b32_e32 v99, v107
	scratch_store_b64 off, v[98:99], off offset:288
.LBB46_820:
	s_wait_xcnt 0x0
	s_or_b32 exec_lo, exec_lo, s0
	scratch_load_b64 v[98:99], off, off offset:296
	s_mov_b32 s0, exec_lo
	s_wait_loadcnt 0x0
	ds_store_b64 v1, v[98:99]
	s_wait_storecnt_dscnt 0x0
	s_barrier_signal -1
	s_barrier_wait -1
	s_wait_xcnt 0x0
	v_cmpx_gt_u32_e32 37, v0
	s_cbranch_execz .LBB46_830
; %bb.821:
	v_cmp_ne_u32_e32 vcc_lo, 1, v100
	s_cbranch_vccnz .LBB46_823
; %bb.822:
	scratch_load_b64 v[98:99], v39, off
	ds_load_b64 v[102:103], v1
	s_wait_loadcnt_dscnt 0x0
	v_pk_mul_f32 v[104:105], v[102:103], v[98:99] op_sel:[1,1] op_sel_hi:[0,1]
	s_delay_alu instid0(VALU_DEP_1) | instskip(SKIP_1) | instid1(VALU_DEP_2)
	v_pk_fma_f32 v[106:107], v[102:103], v[98:99], v[104:105] op_sel_hi:[1,0,1]
	v_pk_fma_f32 v[98:99], v[102:103], v[98:99], v[104:105] neg_lo:[0,0,1] neg_hi:[0,0,1]
	v_mov_b32_e32 v99, v107
	s_cbranch_execz .LBB46_824
	s_branch .LBB46_825
.LBB46_823:
                                        ; implicit-def: $vgpr98_vgpr99
.LBB46_824:
	ds_load_b64 v[98:99], v1
.LBB46_825:
	s_mov_b32 s2, exec_lo
	v_cmpx_ne_u32_e32 36, v0
	s_cbranch_execz .LBB46_829
; %bb.826:
	v_add_nc_u32_e32 v101, 0x188, v38
	v_add3_u32 v102, 0, v38, 8
	v_mov_b32_e32 v103, v0
	s_mov_b32 s3, 0
.LBB46_827:                             ; =>This Inner Loop Header: Depth=1
	scratch_load_b64 v[104:105], v102, off
	ds_load_b64 v[106:107], v101
	s_wait_xcnt 0x0
	v_dual_add_nc_u32 v101, 8, v101 :: v_dual_add_nc_u32 v102, 8, v102
	s_wait_loadcnt_dscnt 0x0
	v_pk_mul_f32 v[108:109], v[106:107], v[104:105] op_sel:[1,1] op_sel_hi:[0,1]
	s_delay_alu instid0(VALU_DEP_1) | instskip(SKIP_2) | instid1(VALU_DEP_3)
	v_pk_fma_f32 v[110:111], v[106:107], v[104:105], v[108:109] op_sel_hi:[1,0,1]
	v_add_nc_u32_e32 v103, 1, v103
	v_pk_fma_f32 v[104:105], v[106:107], v[104:105], v[108:109] neg_lo:[0,0,1] neg_hi:[0,0,1]
	v_mov_b32_e32 v105, v111
	s_delay_alu instid0(VALU_DEP_3) | instskip(NEXT) | instid1(VALU_DEP_2)
	v_cmp_lt_u32_e32 vcc_lo, 35, v103
	v_pk_add_f32 v[98:99], v[98:99], v[104:105]
	s_or_b32 s3, vcc_lo, s3
	s_delay_alu instid0(SALU_CYCLE_1)
	s_and_not1_b32 exec_lo, exec_lo, s3
	s_cbranch_execnz .LBB46_827
; %bb.828:
	s_or_b32 exec_lo, exec_lo, s3
.LBB46_829:
	s_delay_alu instid0(SALU_CYCLE_1) | instskip(SKIP_4) | instid1(VALU_DEP_1)
	s_or_b32 exec_lo, exec_lo, s2
	v_mov_b32_e32 v101, 0
	ds_load_b64 v[102:103], v101 offset:296
	s_wait_dscnt 0x0
	v_pk_mul_f32 v[104:105], v[98:99], v[102:103] op_sel:[1,1] op_sel_hi:[0,1]
	v_pk_fma_f32 v[106:107], v[98:99], v[102:103], v[104:105] op_sel_hi:[1,0,1]
	v_pk_fma_f32 v[98:99], v[98:99], v[102:103], v[104:105] neg_lo:[0,0,1] neg_hi:[0,0,1]
	s_delay_alu instid0(VALU_DEP_2)
	v_mov_b32_e32 v99, v107
	scratch_store_b64 off, v[98:99], off offset:296
.LBB46_830:
	s_wait_xcnt 0x0
	s_or_b32 exec_lo, exec_lo, s0
	scratch_load_b64 v[98:99], off, off offset:304
	s_mov_b32 s0, exec_lo
	s_wait_loadcnt 0x0
	ds_store_b64 v1, v[98:99]
	s_wait_storecnt_dscnt 0x0
	s_barrier_signal -1
	s_barrier_wait -1
	s_wait_xcnt 0x0
	v_cmpx_gt_u32_e32 38, v0
	s_cbranch_execz .LBB46_840
; %bb.831:
	v_cmp_ne_u32_e32 vcc_lo, 1, v100
	s_cbranch_vccnz .LBB46_833
; %bb.832:
	scratch_load_b64 v[98:99], v39, off
	ds_load_b64 v[102:103], v1
	s_wait_loadcnt_dscnt 0x0
	v_pk_mul_f32 v[104:105], v[102:103], v[98:99] op_sel:[1,1] op_sel_hi:[0,1]
	s_delay_alu instid0(VALU_DEP_1) | instskip(SKIP_1) | instid1(VALU_DEP_2)
	v_pk_fma_f32 v[106:107], v[102:103], v[98:99], v[104:105] op_sel_hi:[1,0,1]
	v_pk_fma_f32 v[98:99], v[102:103], v[98:99], v[104:105] neg_lo:[0,0,1] neg_hi:[0,0,1]
	v_mov_b32_e32 v99, v107
	s_cbranch_execz .LBB46_834
	s_branch .LBB46_835
.LBB46_833:
                                        ; implicit-def: $vgpr98_vgpr99
.LBB46_834:
	ds_load_b64 v[98:99], v1
.LBB46_835:
	s_mov_b32 s2, exec_lo
	v_cmpx_ne_u32_e32 37, v0
	s_cbranch_execz .LBB46_839
; %bb.836:
	v_add_nc_u32_e32 v101, 0x188, v38
	v_add3_u32 v102, 0, v38, 8
	v_mov_b32_e32 v103, v0
	s_mov_b32 s3, 0
.LBB46_837:                             ; =>This Inner Loop Header: Depth=1
	scratch_load_b64 v[104:105], v102, off
	ds_load_b64 v[106:107], v101
	s_wait_xcnt 0x0
	v_dual_add_nc_u32 v101, 8, v101 :: v_dual_add_nc_u32 v102, 8, v102
	s_wait_loadcnt_dscnt 0x0
	v_pk_mul_f32 v[108:109], v[106:107], v[104:105] op_sel:[1,1] op_sel_hi:[0,1]
	s_delay_alu instid0(VALU_DEP_1) | instskip(SKIP_2) | instid1(VALU_DEP_3)
	v_pk_fma_f32 v[110:111], v[106:107], v[104:105], v[108:109] op_sel_hi:[1,0,1]
	v_add_nc_u32_e32 v103, 1, v103
	v_pk_fma_f32 v[104:105], v[106:107], v[104:105], v[108:109] neg_lo:[0,0,1] neg_hi:[0,0,1]
	v_mov_b32_e32 v105, v111
	s_delay_alu instid0(VALU_DEP_3) | instskip(NEXT) | instid1(VALU_DEP_2)
	v_cmp_lt_u32_e32 vcc_lo, 36, v103
	v_pk_add_f32 v[98:99], v[98:99], v[104:105]
	s_or_b32 s3, vcc_lo, s3
	s_delay_alu instid0(SALU_CYCLE_1)
	s_and_not1_b32 exec_lo, exec_lo, s3
	s_cbranch_execnz .LBB46_837
; %bb.838:
	s_or_b32 exec_lo, exec_lo, s3
.LBB46_839:
	s_delay_alu instid0(SALU_CYCLE_1) | instskip(SKIP_4) | instid1(VALU_DEP_1)
	s_or_b32 exec_lo, exec_lo, s2
	v_mov_b32_e32 v101, 0
	ds_load_b64 v[102:103], v101 offset:304
	s_wait_dscnt 0x0
	v_pk_mul_f32 v[104:105], v[98:99], v[102:103] op_sel:[1,1] op_sel_hi:[0,1]
	v_pk_fma_f32 v[106:107], v[98:99], v[102:103], v[104:105] op_sel_hi:[1,0,1]
	v_pk_fma_f32 v[98:99], v[98:99], v[102:103], v[104:105] neg_lo:[0,0,1] neg_hi:[0,0,1]
	s_delay_alu instid0(VALU_DEP_2)
	v_mov_b32_e32 v99, v107
	scratch_store_b64 off, v[98:99], off offset:304
.LBB46_840:
	s_wait_xcnt 0x0
	s_or_b32 exec_lo, exec_lo, s0
	scratch_load_b64 v[98:99], off, off offset:312
	s_mov_b32 s0, exec_lo
	s_wait_loadcnt 0x0
	ds_store_b64 v1, v[98:99]
	s_wait_storecnt_dscnt 0x0
	s_barrier_signal -1
	s_barrier_wait -1
	s_wait_xcnt 0x0
	v_cmpx_gt_u32_e32 39, v0
	s_cbranch_execz .LBB46_850
; %bb.841:
	v_cmp_ne_u32_e32 vcc_lo, 1, v100
	s_cbranch_vccnz .LBB46_843
; %bb.842:
	scratch_load_b64 v[98:99], v39, off
	ds_load_b64 v[102:103], v1
	s_wait_loadcnt_dscnt 0x0
	v_pk_mul_f32 v[104:105], v[102:103], v[98:99] op_sel:[1,1] op_sel_hi:[0,1]
	s_delay_alu instid0(VALU_DEP_1) | instskip(SKIP_1) | instid1(VALU_DEP_2)
	v_pk_fma_f32 v[106:107], v[102:103], v[98:99], v[104:105] op_sel_hi:[1,0,1]
	v_pk_fma_f32 v[98:99], v[102:103], v[98:99], v[104:105] neg_lo:[0,0,1] neg_hi:[0,0,1]
	v_mov_b32_e32 v99, v107
	s_cbranch_execz .LBB46_844
	s_branch .LBB46_845
.LBB46_843:
                                        ; implicit-def: $vgpr98_vgpr99
.LBB46_844:
	ds_load_b64 v[98:99], v1
.LBB46_845:
	s_mov_b32 s2, exec_lo
	v_cmpx_ne_u32_e32 38, v0
	s_cbranch_execz .LBB46_849
; %bb.846:
	v_add_nc_u32_e32 v101, 0x188, v38
	v_add3_u32 v102, 0, v38, 8
	v_mov_b32_e32 v103, v0
	s_mov_b32 s3, 0
.LBB46_847:                             ; =>This Inner Loop Header: Depth=1
	scratch_load_b64 v[104:105], v102, off
	ds_load_b64 v[106:107], v101
	s_wait_xcnt 0x0
	v_dual_add_nc_u32 v101, 8, v101 :: v_dual_add_nc_u32 v102, 8, v102
	s_wait_loadcnt_dscnt 0x0
	v_pk_mul_f32 v[108:109], v[106:107], v[104:105] op_sel:[1,1] op_sel_hi:[0,1]
	s_delay_alu instid0(VALU_DEP_1) | instskip(SKIP_2) | instid1(VALU_DEP_3)
	v_pk_fma_f32 v[110:111], v[106:107], v[104:105], v[108:109] op_sel_hi:[1,0,1]
	v_add_nc_u32_e32 v103, 1, v103
	v_pk_fma_f32 v[104:105], v[106:107], v[104:105], v[108:109] neg_lo:[0,0,1] neg_hi:[0,0,1]
	v_mov_b32_e32 v105, v111
	s_delay_alu instid0(VALU_DEP_3) | instskip(NEXT) | instid1(VALU_DEP_2)
	v_cmp_lt_u32_e32 vcc_lo, 37, v103
	v_pk_add_f32 v[98:99], v[98:99], v[104:105]
	s_or_b32 s3, vcc_lo, s3
	s_delay_alu instid0(SALU_CYCLE_1)
	s_and_not1_b32 exec_lo, exec_lo, s3
	s_cbranch_execnz .LBB46_847
; %bb.848:
	s_or_b32 exec_lo, exec_lo, s3
.LBB46_849:
	s_delay_alu instid0(SALU_CYCLE_1) | instskip(SKIP_4) | instid1(VALU_DEP_1)
	s_or_b32 exec_lo, exec_lo, s2
	v_mov_b32_e32 v101, 0
	ds_load_b64 v[102:103], v101 offset:312
	s_wait_dscnt 0x0
	v_pk_mul_f32 v[104:105], v[98:99], v[102:103] op_sel:[1,1] op_sel_hi:[0,1]
	v_pk_fma_f32 v[106:107], v[98:99], v[102:103], v[104:105] op_sel_hi:[1,0,1]
	v_pk_fma_f32 v[98:99], v[98:99], v[102:103], v[104:105] neg_lo:[0,0,1] neg_hi:[0,0,1]
	s_delay_alu instid0(VALU_DEP_2)
	v_mov_b32_e32 v99, v107
	scratch_store_b64 off, v[98:99], off offset:312
.LBB46_850:
	s_wait_xcnt 0x0
	s_or_b32 exec_lo, exec_lo, s0
	scratch_load_b64 v[98:99], off, off offset:320
	s_mov_b32 s0, exec_lo
	s_wait_loadcnt 0x0
	ds_store_b64 v1, v[98:99]
	s_wait_storecnt_dscnt 0x0
	s_barrier_signal -1
	s_barrier_wait -1
	s_wait_xcnt 0x0
	v_cmpx_gt_u32_e32 40, v0
	s_cbranch_execz .LBB46_860
; %bb.851:
	v_cmp_ne_u32_e32 vcc_lo, 1, v100
	s_cbranch_vccnz .LBB46_853
; %bb.852:
	scratch_load_b64 v[98:99], v39, off
	ds_load_b64 v[102:103], v1
	s_wait_loadcnt_dscnt 0x0
	v_pk_mul_f32 v[104:105], v[102:103], v[98:99] op_sel:[1,1] op_sel_hi:[0,1]
	s_delay_alu instid0(VALU_DEP_1) | instskip(SKIP_1) | instid1(VALU_DEP_2)
	v_pk_fma_f32 v[106:107], v[102:103], v[98:99], v[104:105] op_sel_hi:[1,0,1]
	v_pk_fma_f32 v[98:99], v[102:103], v[98:99], v[104:105] neg_lo:[0,0,1] neg_hi:[0,0,1]
	v_mov_b32_e32 v99, v107
	s_cbranch_execz .LBB46_854
	s_branch .LBB46_855
.LBB46_853:
                                        ; implicit-def: $vgpr98_vgpr99
.LBB46_854:
	ds_load_b64 v[98:99], v1
.LBB46_855:
	s_mov_b32 s2, exec_lo
	v_cmpx_ne_u32_e32 39, v0
	s_cbranch_execz .LBB46_859
; %bb.856:
	v_add_nc_u32_e32 v101, 0x188, v38
	v_add3_u32 v102, 0, v38, 8
	v_mov_b32_e32 v103, v0
	s_mov_b32 s3, 0
.LBB46_857:                             ; =>This Inner Loop Header: Depth=1
	scratch_load_b64 v[104:105], v102, off
	ds_load_b64 v[106:107], v101
	s_wait_xcnt 0x0
	v_dual_add_nc_u32 v101, 8, v101 :: v_dual_add_nc_u32 v102, 8, v102
	s_wait_loadcnt_dscnt 0x0
	v_pk_mul_f32 v[108:109], v[106:107], v[104:105] op_sel:[1,1] op_sel_hi:[0,1]
	s_delay_alu instid0(VALU_DEP_1) | instskip(SKIP_2) | instid1(VALU_DEP_3)
	v_pk_fma_f32 v[110:111], v[106:107], v[104:105], v[108:109] op_sel_hi:[1,0,1]
	v_add_nc_u32_e32 v103, 1, v103
	v_pk_fma_f32 v[104:105], v[106:107], v[104:105], v[108:109] neg_lo:[0,0,1] neg_hi:[0,0,1]
	v_mov_b32_e32 v105, v111
	s_delay_alu instid0(VALU_DEP_3) | instskip(NEXT) | instid1(VALU_DEP_2)
	v_cmp_lt_u32_e32 vcc_lo, 38, v103
	v_pk_add_f32 v[98:99], v[98:99], v[104:105]
	s_or_b32 s3, vcc_lo, s3
	s_delay_alu instid0(SALU_CYCLE_1)
	s_and_not1_b32 exec_lo, exec_lo, s3
	s_cbranch_execnz .LBB46_857
; %bb.858:
	s_or_b32 exec_lo, exec_lo, s3
.LBB46_859:
	s_delay_alu instid0(SALU_CYCLE_1) | instskip(SKIP_4) | instid1(VALU_DEP_1)
	s_or_b32 exec_lo, exec_lo, s2
	v_mov_b32_e32 v101, 0
	ds_load_b64 v[102:103], v101 offset:320
	s_wait_dscnt 0x0
	v_pk_mul_f32 v[104:105], v[98:99], v[102:103] op_sel:[1,1] op_sel_hi:[0,1]
	v_pk_fma_f32 v[106:107], v[98:99], v[102:103], v[104:105] op_sel_hi:[1,0,1]
	v_pk_fma_f32 v[98:99], v[98:99], v[102:103], v[104:105] neg_lo:[0,0,1] neg_hi:[0,0,1]
	s_delay_alu instid0(VALU_DEP_2)
	v_mov_b32_e32 v99, v107
	scratch_store_b64 off, v[98:99], off offset:320
.LBB46_860:
	s_wait_xcnt 0x0
	s_or_b32 exec_lo, exec_lo, s0
	scratch_load_b64 v[98:99], off, off offset:328
	s_mov_b32 s0, exec_lo
	s_wait_loadcnt 0x0
	ds_store_b64 v1, v[98:99]
	s_wait_storecnt_dscnt 0x0
	s_barrier_signal -1
	s_barrier_wait -1
	s_wait_xcnt 0x0
	v_cmpx_gt_u32_e32 41, v0
	s_cbranch_execz .LBB46_870
; %bb.861:
	v_cmp_ne_u32_e32 vcc_lo, 1, v100
	s_cbranch_vccnz .LBB46_863
; %bb.862:
	scratch_load_b64 v[98:99], v39, off
	ds_load_b64 v[102:103], v1
	s_wait_loadcnt_dscnt 0x0
	v_pk_mul_f32 v[104:105], v[102:103], v[98:99] op_sel:[1,1] op_sel_hi:[0,1]
	s_delay_alu instid0(VALU_DEP_1) | instskip(SKIP_1) | instid1(VALU_DEP_2)
	v_pk_fma_f32 v[106:107], v[102:103], v[98:99], v[104:105] op_sel_hi:[1,0,1]
	v_pk_fma_f32 v[98:99], v[102:103], v[98:99], v[104:105] neg_lo:[0,0,1] neg_hi:[0,0,1]
	v_mov_b32_e32 v99, v107
	s_cbranch_execz .LBB46_864
	s_branch .LBB46_865
.LBB46_863:
                                        ; implicit-def: $vgpr98_vgpr99
.LBB46_864:
	ds_load_b64 v[98:99], v1
.LBB46_865:
	s_mov_b32 s2, exec_lo
	v_cmpx_ne_u32_e32 40, v0
	s_cbranch_execz .LBB46_869
; %bb.866:
	v_add_nc_u32_e32 v101, 0x188, v38
	v_add3_u32 v102, 0, v38, 8
	v_mov_b32_e32 v103, v0
	s_mov_b32 s3, 0
.LBB46_867:                             ; =>This Inner Loop Header: Depth=1
	scratch_load_b64 v[104:105], v102, off
	ds_load_b64 v[106:107], v101
	s_wait_xcnt 0x0
	v_dual_add_nc_u32 v101, 8, v101 :: v_dual_add_nc_u32 v102, 8, v102
	s_wait_loadcnt_dscnt 0x0
	v_pk_mul_f32 v[108:109], v[106:107], v[104:105] op_sel:[1,1] op_sel_hi:[0,1]
	s_delay_alu instid0(VALU_DEP_1) | instskip(SKIP_2) | instid1(VALU_DEP_3)
	v_pk_fma_f32 v[110:111], v[106:107], v[104:105], v[108:109] op_sel_hi:[1,0,1]
	v_add_nc_u32_e32 v103, 1, v103
	v_pk_fma_f32 v[104:105], v[106:107], v[104:105], v[108:109] neg_lo:[0,0,1] neg_hi:[0,0,1]
	v_mov_b32_e32 v105, v111
	s_delay_alu instid0(VALU_DEP_3) | instskip(NEXT) | instid1(VALU_DEP_2)
	v_cmp_lt_u32_e32 vcc_lo, 39, v103
	v_pk_add_f32 v[98:99], v[98:99], v[104:105]
	s_or_b32 s3, vcc_lo, s3
	s_delay_alu instid0(SALU_CYCLE_1)
	s_and_not1_b32 exec_lo, exec_lo, s3
	s_cbranch_execnz .LBB46_867
; %bb.868:
	s_or_b32 exec_lo, exec_lo, s3
.LBB46_869:
	s_delay_alu instid0(SALU_CYCLE_1) | instskip(SKIP_4) | instid1(VALU_DEP_1)
	s_or_b32 exec_lo, exec_lo, s2
	v_mov_b32_e32 v101, 0
	ds_load_b64 v[102:103], v101 offset:328
	s_wait_dscnt 0x0
	v_pk_mul_f32 v[104:105], v[98:99], v[102:103] op_sel:[1,1] op_sel_hi:[0,1]
	v_pk_fma_f32 v[106:107], v[98:99], v[102:103], v[104:105] op_sel_hi:[1,0,1]
	v_pk_fma_f32 v[98:99], v[98:99], v[102:103], v[104:105] neg_lo:[0,0,1] neg_hi:[0,0,1]
	s_delay_alu instid0(VALU_DEP_2)
	v_mov_b32_e32 v99, v107
	scratch_store_b64 off, v[98:99], off offset:328
.LBB46_870:
	s_wait_xcnt 0x0
	s_or_b32 exec_lo, exec_lo, s0
	scratch_load_b64 v[98:99], off, off offset:336
	s_mov_b32 s0, exec_lo
	s_wait_loadcnt 0x0
	ds_store_b64 v1, v[98:99]
	s_wait_storecnt_dscnt 0x0
	s_barrier_signal -1
	s_barrier_wait -1
	s_wait_xcnt 0x0
	v_cmpx_gt_u32_e32 42, v0
	s_cbranch_execz .LBB46_880
; %bb.871:
	v_cmp_ne_u32_e32 vcc_lo, 1, v100
	s_cbranch_vccnz .LBB46_873
; %bb.872:
	scratch_load_b64 v[98:99], v39, off
	ds_load_b64 v[102:103], v1
	s_wait_loadcnt_dscnt 0x0
	v_pk_mul_f32 v[104:105], v[102:103], v[98:99] op_sel:[1,1] op_sel_hi:[0,1]
	s_delay_alu instid0(VALU_DEP_1) | instskip(SKIP_1) | instid1(VALU_DEP_2)
	v_pk_fma_f32 v[106:107], v[102:103], v[98:99], v[104:105] op_sel_hi:[1,0,1]
	v_pk_fma_f32 v[98:99], v[102:103], v[98:99], v[104:105] neg_lo:[0,0,1] neg_hi:[0,0,1]
	v_mov_b32_e32 v99, v107
	s_cbranch_execz .LBB46_874
	s_branch .LBB46_875
.LBB46_873:
                                        ; implicit-def: $vgpr98_vgpr99
.LBB46_874:
	ds_load_b64 v[98:99], v1
.LBB46_875:
	s_mov_b32 s2, exec_lo
	v_cmpx_ne_u32_e32 41, v0
	s_cbranch_execz .LBB46_879
; %bb.876:
	v_add_nc_u32_e32 v101, 0x188, v38
	v_add3_u32 v102, 0, v38, 8
	v_mov_b32_e32 v103, v0
	s_mov_b32 s3, 0
.LBB46_877:                             ; =>This Inner Loop Header: Depth=1
	scratch_load_b64 v[104:105], v102, off
	ds_load_b64 v[106:107], v101
	s_wait_xcnt 0x0
	v_dual_add_nc_u32 v101, 8, v101 :: v_dual_add_nc_u32 v102, 8, v102
	s_wait_loadcnt_dscnt 0x0
	v_pk_mul_f32 v[108:109], v[106:107], v[104:105] op_sel:[1,1] op_sel_hi:[0,1]
	s_delay_alu instid0(VALU_DEP_1) | instskip(SKIP_2) | instid1(VALU_DEP_3)
	v_pk_fma_f32 v[110:111], v[106:107], v[104:105], v[108:109] op_sel_hi:[1,0,1]
	v_add_nc_u32_e32 v103, 1, v103
	v_pk_fma_f32 v[104:105], v[106:107], v[104:105], v[108:109] neg_lo:[0,0,1] neg_hi:[0,0,1]
	v_mov_b32_e32 v105, v111
	s_delay_alu instid0(VALU_DEP_3) | instskip(NEXT) | instid1(VALU_DEP_2)
	v_cmp_lt_u32_e32 vcc_lo, 40, v103
	v_pk_add_f32 v[98:99], v[98:99], v[104:105]
	s_or_b32 s3, vcc_lo, s3
	s_delay_alu instid0(SALU_CYCLE_1)
	s_and_not1_b32 exec_lo, exec_lo, s3
	s_cbranch_execnz .LBB46_877
; %bb.878:
	s_or_b32 exec_lo, exec_lo, s3
.LBB46_879:
	s_delay_alu instid0(SALU_CYCLE_1) | instskip(SKIP_4) | instid1(VALU_DEP_1)
	s_or_b32 exec_lo, exec_lo, s2
	v_mov_b32_e32 v101, 0
	ds_load_b64 v[102:103], v101 offset:336
	s_wait_dscnt 0x0
	v_pk_mul_f32 v[104:105], v[98:99], v[102:103] op_sel:[1,1] op_sel_hi:[0,1]
	v_pk_fma_f32 v[106:107], v[98:99], v[102:103], v[104:105] op_sel_hi:[1,0,1]
	v_pk_fma_f32 v[98:99], v[98:99], v[102:103], v[104:105] neg_lo:[0,0,1] neg_hi:[0,0,1]
	s_delay_alu instid0(VALU_DEP_2)
	v_mov_b32_e32 v99, v107
	scratch_store_b64 off, v[98:99], off offset:336
.LBB46_880:
	s_wait_xcnt 0x0
	s_or_b32 exec_lo, exec_lo, s0
	scratch_load_b64 v[98:99], off, off offset:344
	s_mov_b32 s0, exec_lo
	s_wait_loadcnt 0x0
	ds_store_b64 v1, v[98:99]
	s_wait_storecnt_dscnt 0x0
	s_barrier_signal -1
	s_barrier_wait -1
	s_wait_xcnt 0x0
	v_cmpx_gt_u32_e32 43, v0
	s_cbranch_execz .LBB46_890
; %bb.881:
	v_cmp_ne_u32_e32 vcc_lo, 1, v100
	s_cbranch_vccnz .LBB46_883
; %bb.882:
	scratch_load_b64 v[98:99], v39, off
	ds_load_b64 v[102:103], v1
	s_wait_loadcnt_dscnt 0x0
	v_pk_mul_f32 v[104:105], v[102:103], v[98:99] op_sel:[1,1] op_sel_hi:[0,1]
	s_delay_alu instid0(VALU_DEP_1) | instskip(SKIP_1) | instid1(VALU_DEP_2)
	v_pk_fma_f32 v[106:107], v[102:103], v[98:99], v[104:105] op_sel_hi:[1,0,1]
	v_pk_fma_f32 v[98:99], v[102:103], v[98:99], v[104:105] neg_lo:[0,0,1] neg_hi:[0,0,1]
	v_mov_b32_e32 v99, v107
	s_cbranch_execz .LBB46_884
	s_branch .LBB46_885
.LBB46_883:
                                        ; implicit-def: $vgpr98_vgpr99
.LBB46_884:
	ds_load_b64 v[98:99], v1
.LBB46_885:
	s_mov_b32 s2, exec_lo
	v_cmpx_ne_u32_e32 42, v0
	s_cbranch_execz .LBB46_889
; %bb.886:
	v_add_nc_u32_e32 v101, 0x188, v38
	v_add3_u32 v102, 0, v38, 8
	v_mov_b32_e32 v103, v0
	s_mov_b32 s3, 0
.LBB46_887:                             ; =>This Inner Loop Header: Depth=1
	scratch_load_b64 v[104:105], v102, off
	ds_load_b64 v[106:107], v101
	s_wait_xcnt 0x0
	v_dual_add_nc_u32 v101, 8, v101 :: v_dual_add_nc_u32 v102, 8, v102
	s_wait_loadcnt_dscnt 0x0
	v_pk_mul_f32 v[108:109], v[106:107], v[104:105] op_sel:[1,1] op_sel_hi:[0,1]
	s_delay_alu instid0(VALU_DEP_1) | instskip(SKIP_2) | instid1(VALU_DEP_3)
	v_pk_fma_f32 v[110:111], v[106:107], v[104:105], v[108:109] op_sel_hi:[1,0,1]
	v_add_nc_u32_e32 v103, 1, v103
	v_pk_fma_f32 v[104:105], v[106:107], v[104:105], v[108:109] neg_lo:[0,0,1] neg_hi:[0,0,1]
	v_mov_b32_e32 v105, v111
	s_delay_alu instid0(VALU_DEP_3) | instskip(NEXT) | instid1(VALU_DEP_2)
	v_cmp_lt_u32_e32 vcc_lo, 41, v103
	v_pk_add_f32 v[98:99], v[98:99], v[104:105]
	s_or_b32 s3, vcc_lo, s3
	s_delay_alu instid0(SALU_CYCLE_1)
	s_and_not1_b32 exec_lo, exec_lo, s3
	s_cbranch_execnz .LBB46_887
; %bb.888:
	s_or_b32 exec_lo, exec_lo, s3
.LBB46_889:
	s_delay_alu instid0(SALU_CYCLE_1) | instskip(SKIP_4) | instid1(VALU_DEP_1)
	s_or_b32 exec_lo, exec_lo, s2
	v_mov_b32_e32 v101, 0
	ds_load_b64 v[102:103], v101 offset:344
	s_wait_dscnt 0x0
	v_pk_mul_f32 v[104:105], v[98:99], v[102:103] op_sel:[1,1] op_sel_hi:[0,1]
	v_pk_fma_f32 v[106:107], v[98:99], v[102:103], v[104:105] op_sel_hi:[1,0,1]
	v_pk_fma_f32 v[98:99], v[98:99], v[102:103], v[104:105] neg_lo:[0,0,1] neg_hi:[0,0,1]
	s_delay_alu instid0(VALU_DEP_2)
	v_mov_b32_e32 v99, v107
	scratch_store_b64 off, v[98:99], off offset:344
.LBB46_890:
	s_wait_xcnt 0x0
	s_or_b32 exec_lo, exec_lo, s0
	scratch_load_b64 v[98:99], off, off offset:352
	s_mov_b32 s0, exec_lo
	s_wait_loadcnt 0x0
	ds_store_b64 v1, v[98:99]
	s_wait_storecnt_dscnt 0x0
	s_barrier_signal -1
	s_barrier_wait -1
	s_wait_xcnt 0x0
	v_cmpx_gt_u32_e32 44, v0
	s_cbranch_execz .LBB46_900
; %bb.891:
	v_cmp_ne_u32_e32 vcc_lo, 1, v100
	s_cbranch_vccnz .LBB46_893
; %bb.892:
	scratch_load_b64 v[98:99], v39, off
	ds_load_b64 v[102:103], v1
	s_wait_loadcnt_dscnt 0x0
	v_pk_mul_f32 v[104:105], v[102:103], v[98:99] op_sel:[1,1] op_sel_hi:[0,1]
	s_delay_alu instid0(VALU_DEP_1) | instskip(SKIP_1) | instid1(VALU_DEP_2)
	v_pk_fma_f32 v[106:107], v[102:103], v[98:99], v[104:105] op_sel_hi:[1,0,1]
	v_pk_fma_f32 v[98:99], v[102:103], v[98:99], v[104:105] neg_lo:[0,0,1] neg_hi:[0,0,1]
	v_mov_b32_e32 v99, v107
	s_cbranch_execz .LBB46_894
	s_branch .LBB46_895
.LBB46_893:
                                        ; implicit-def: $vgpr98_vgpr99
.LBB46_894:
	ds_load_b64 v[98:99], v1
.LBB46_895:
	s_mov_b32 s2, exec_lo
	v_cmpx_ne_u32_e32 43, v0
	s_cbranch_execz .LBB46_899
; %bb.896:
	v_add_nc_u32_e32 v101, 0x188, v38
	v_add3_u32 v102, 0, v38, 8
	v_mov_b32_e32 v103, v0
	s_mov_b32 s3, 0
.LBB46_897:                             ; =>This Inner Loop Header: Depth=1
	scratch_load_b64 v[104:105], v102, off
	ds_load_b64 v[106:107], v101
	s_wait_xcnt 0x0
	v_dual_add_nc_u32 v101, 8, v101 :: v_dual_add_nc_u32 v102, 8, v102
	s_wait_loadcnt_dscnt 0x0
	v_pk_mul_f32 v[108:109], v[106:107], v[104:105] op_sel:[1,1] op_sel_hi:[0,1]
	s_delay_alu instid0(VALU_DEP_1) | instskip(SKIP_2) | instid1(VALU_DEP_3)
	v_pk_fma_f32 v[110:111], v[106:107], v[104:105], v[108:109] op_sel_hi:[1,0,1]
	v_add_nc_u32_e32 v103, 1, v103
	v_pk_fma_f32 v[104:105], v[106:107], v[104:105], v[108:109] neg_lo:[0,0,1] neg_hi:[0,0,1]
	v_mov_b32_e32 v105, v111
	s_delay_alu instid0(VALU_DEP_3) | instskip(NEXT) | instid1(VALU_DEP_2)
	v_cmp_lt_u32_e32 vcc_lo, 42, v103
	v_pk_add_f32 v[98:99], v[98:99], v[104:105]
	s_or_b32 s3, vcc_lo, s3
	s_delay_alu instid0(SALU_CYCLE_1)
	s_and_not1_b32 exec_lo, exec_lo, s3
	s_cbranch_execnz .LBB46_897
; %bb.898:
	s_or_b32 exec_lo, exec_lo, s3
.LBB46_899:
	s_delay_alu instid0(SALU_CYCLE_1) | instskip(SKIP_4) | instid1(VALU_DEP_1)
	s_or_b32 exec_lo, exec_lo, s2
	v_mov_b32_e32 v101, 0
	ds_load_b64 v[102:103], v101 offset:352
	s_wait_dscnt 0x0
	v_pk_mul_f32 v[104:105], v[98:99], v[102:103] op_sel:[1,1] op_sel_hi:[0,1]
	v_pk_fma_f32 v[106:107], v[98:99], v[102:103], v[104:105] op_sel_hi:[1,0,1]
	v_pk_fma_f32 v[98:99], v[98:99], v[102:103], v[104:105] neg_lo:[0,0,1] neg_hi:[0,0,1]
	s_delay_alu instid0(VALU_DEP_2)
	v_mov_b32_e32 v99, v107
	scratch_store_b64 off, v[98:99], off offset:352
.LBB46_900:
	s_wait_xcnt 0x0
	s_or_b32 exec_lo, exec_lo, s0
	scratch_load_b64 v[98:99], off, off offset:360
	v_cmp_gt_u32_e64 s0, 45, v0
	s_wait_loadcnt 0x0
	ds_store_b64 v1, v[98:99]
	s_wait_storecnt_dscnt 0x0
	s_barrier_signal -1
	s_barrier_wait -1
	s_wait_xcnt 0x0
	s_and_saveexec_b32 s2, s0
	s_cbranch_execz .LBB46_910
; %bb.901:
	v_cmp_ne_u32_e32 vcc_lo, 1, v100
	s_cbranch_vccnz .LBB46_903
; %bb.902:
	scratch_load_b64 v[98:99], v39, off
	ds_load_b64 v[102:103], v1
	s_wait_loadcnt_dscnt 0x0
	v_pk_mul_f32 v[104:105], v[102:103], v[98:99] op_sel:[1,1] op_sel_hi:[0,1]
	s_delay_alu instid0(VALU_DEP_1) | instskip(SKIP_1) | instid1(VALU_DEP_2)
	v_pk_fma_f32 v[106:107], v[102:103], v[98:99], v[104:105] op_sel_hi:[1,0,1]
	v_pk_fma_f32 v[98:99], v[102:103], v[98:99], v[104:105] neg_lo:[0,0,1] neg_hi:[0,0,1]
	v_mov_b32_e32 v99, v107
	s_cbranch_execz .LBB46_904
	s_branch .LBB46_905
.LBB46_903:
                                        ; implicit-def: $vgpr98_vgpr99
.LBB46_904:
	ds_load_b64 v[98:99], v1
.LBB46_905:
	s_mov_b32 s3, exec_lo
	v_cmpx_ne_u32_e32 44, v0
	s_cbranch_execz .LBB46_909
; %bb.906:
	v_add_nc_u32_e32 v101, 0x188, v38
	v_add3_u32 v102, 0, v38, 8
	v_mov_b32_e32 v103, v0
	s_mov_b32 s4, 0
.LBB46_907:                             ; =>This Inner Loop Header: Depth=1
	scratch_load_b64 v[104:105], v102, off
	ds_load_b64 v[106:107], v101
	s_wait_xcnt 0x0
	v_dual_add_nc_u32 v101, 8, v101 :: v_dual_add_nc_u32 v102, 8, v102
	s_wait_loadcnt_dscnt 0x0
	v_pk_mul_f32 v[108:109], v[106:107], v[104:105] op_sel:[1,1] op_sel_hi:[0,1]
	s_delay_alu instid0(VALU_DEP_1) | instskip(SKIP_2) | instid1(VALU_DEP_3)
	v_pk_fma_f32 v[110:111], v[106:107], v[104:105], v[108:109] op_sel_hi:[1,0,1]
	v_add_nc_u32_e32 v103, 1, v103
	v_pk_fma_f32 v[104:105], v[106:107], v[104:105], v[108:109] neg_lo:[0,0,1] neg_hi:[0,0,1]
	v_mov_b32_e32 v105, v111
	s_delay_alu instid0(VALU_DEP_3) | instskip(NEXT) | instid1(VALU_DEP_2)
	v_cmp_lt_u32_e32 vcc_lo, 43, v103
	v_pk_add_f32 v[98:99], v[98:99], v[104:105]
	s_or_b32 s4, vcc_lo, s4
	s_delay_alu instid0(SALU_CYCLE_1)
	s_and_not1_b32 exec_lo, exec_lo, s4
	s_cbranch_execnz .LBB46_907
; %bb.908:
	s_or_b32 exec_lo, exec_lo, s4
.LBB46_909:
	s_delay_alu instid0(SALU_CYCLE_1) | instskip(SKIP_4) | instid1(VALU_DEP_1)
	s_or_b32 exec_lo, exec_lo, s3
	v_mov_b32_e32 v101, 0
	ds_load_b64 v[102:103], v101 offset:360
	s_wait_dscnt 0x0
	v_pk_mul_f32 v[104:105], v[98:99], v[102:103] op_sel:[1,1] op_sel_hi:[0,1]
	v_pk_fma_f32 v[106:107], v[98:99], v[102:103], v[104:105] op_sel_hi:[1,0,1]
	v_pk_fma_f32 v[98:99], v[98:99], v[102:103], v[104:105] neg_lo:[0,0,1] neg_hi:[0,0,1]
	s_delay_alu instid0(VALU_DEP_2)
	v_mov_b32_e32 v99, v107
	scratch_store_b64 off, v[98:99], off offset:360
.LBB46_910:
	s_wait_xcnt 0x0
	s_or_b32 exec_lo, exec_lo, s2
	scratch_load_b64 v[98:99], off, off offset:368
	s_mov_b32 s2, exec_lo
                                        ; implicit-def: $vgpr126
                                        ; implicit-def: $sgpr4
	s_wait_loadcnt 0x0
	ds_store_b64 v1, v[98:99]
	s_wait_storecnt_dscnt 0x0
	s_barrier_signal -1
	s_barrier_wait -1
	s_wait_xcnt 0x0
	v_cmpx_ne_u32_e32 46, v0
	s_cbranch_execz .LBB46_920
; %bb.911:
	v_cmp_ne_u32_e32 vcc_lo, 1, v100
	s_cbranch_vccnz .LBB46_913
; %bb.912:
	scratch_load_b64 v[100:101], v39, off
	ds_load_b64 v[102:103], v1
	s_wait_loadcnt_dscnt 0x0
	v_dual_mul_f32 v39, v103, v101 :: v_dual_mul_f32 v99, v102, v101
	s_delay_alu instid0(VALU_DEP_1) | instskip(NEXT) | instid1(VALU_DEP_2)
	v_fma_f32 v98, v102, v100, -v39
	v_fmac_f32_e32 v99, v103, v100
	s_cbranch_execz .LBB46_914
	s_branch .LBB46_915
.LBB46_913:
                                        ; implicit-def: $vgpr99
.LBB46_914:
	ds_load_b64 v[98:99], v1
.LBB46_915:
	s_and_saveexec_b32 s3, s0
	s_cbranch_execz .LBB46_919
; %bb.916:
	v_add_nc_u32_e32 v1, 0x188, v38
	v_add3_u32 v38, 0, v38, 8
	s_mov_b32 s0, 0
.LBB46_917:                             ; =>This Inner Loop Header: Depth=1
	scratch_load_b64 v[100:101], v38, off
	ds_load_b64 v[102:103], v1
	v_dual_add_nc_u32 v0, 1, v0 :: v_dual_add_nc_u32 v1, 8, v1
	s_delay_alu instid0(VALU_DEP_1) | instskip(SKIP_3) | instid1(VALU_DEP_1)
	v_cmp_lt_u32_e32 vcc_lo, 44, v0
	s_or_b32 s0, vcc_lo, s0
	s_wait_loadcnt_dscnt 0x0
	v_dual_mul_f32 v39, v103, v101 :: v_dual_mul_f32 v101, v102, v101
	v_dual_fma_f32 v39, v102, v100, -v39 :: v_dual_fmac_f32 v101, v103, v100
	s_delay_alu instid0(VALU_DEP_1) | instskip(NEXT) | instid1(VALU_DEP_2)
	v_dual_add_nc_u32 v38, 8, v38 :: v_dual_add_f32 v98, v98, v39
	v_add_f32_e32 v99, v99, v101
	s_and_not1_b32 exec_lo, exec_lo, s0
	s_cbranch_execnz .LBB46_917
; %bb.918:
	s_or_b32 exec_lo, exec_lo, s0
.LBB46_919:
	s_delay_alu instid0(SALU_CYCLE_1)
	s_or_b32 exec_lo, exec_lo, s3
	v_mov_b32_e32 v0, 0
	s_movk_i32 s4, 0x174
	s_or_b32 s1, s1, exec_lo
	ds_load_b64 v[0:1], v0 offset:368
	s_wait_dscnt 0x0
	v_dual_mul_f32 v38, v99, v1 :: v_dual_mul_f32 v126, v98, v1
	s_delay_alu instid0(VALU_DEP_1) | instskip(NEXT) | instid1(VALU_DEP_2)
	v_fma_f32 v1, v98, v0, -v38
	v_fmac_f32_e32 v126, v99, v0
	scratch_store_b32 off, v1, off offset:368
.LBB46_920:
	s_wait_xcnt 0x0
	s_or_b32 exec_lo, exec_lo, s2
.LBB46_921:
	v_lshl_add_u64 v[124:125], v[6:7], 3, s[6:7]
	v_lshl_add_u64 v[122:123], v[8:9], 3, s[6:7]
	;; [unrolled: 1-line block ×45, first 2 shown]
	s_and_saveexec_b32 s0, s1
	s_cbranch_execz .LBB46_923
; %bb.922:
	scratch_store_b32 off, v126, s4
.LBB46_923:
	s_wait_xcnt 0x0
	s_or_b32 exec_lo, exec_lo, s0
	s_clause 0x7
	scratch_load_b128 v[66:69], off, off
	scratch_load_b128 v[70:73], off, off offset:16
	scratch_load_b128 v[74:77], off, off offset:32
	;; [unrolled: 1-line block ×7, first 2 shown]
	s_wait_loadcnt 0x7
	s_clause 0x1
	global_store_b64 v[2:3], v[66:67], off
	global_store_b64 v[4:5], v[68:69], off
	scratch_load_b128 v[2:5], off, off offset:128
	s_wait_loadcnt 0x7
	s_clause 0x1
	global_store_b64 v[124:125], v[70:71], off
	global_store_b64 v[122:123], v[72:73], off
	s_wait_loadcnt 0x6
	s_clause 0x1
	global_store_b64 v[120:121], v[74:75], off
	global_store_b64 v[118:119], v[76:77], off
	;; [unrolled: 4-line block ×7, first 2 shown]
	s_clause 0xe
	scratch_load_b128 v[66:69], off, off offset:144
	scratch_load_b128 v[70:73], off, off offset:160
	;; [unrolled: 1-line block ×14, first 2 shown]
	scratch_load_b64 v[98:99], off, off offset:368
	s_wait_loadcnt 0xf
	s_clause 0x1
	global_store_b64 v[0:1], v[2:3], off
	global_store_b64 v[6:7], v[4:5], off
	s_wait_loadcnt 0xe
	s_clause 0x1
	global_store_b64 v[8:9], v[66:67], off
	global_store_b64 v[10:11], v[68:69], off
	;; [unrolled: 4-line block ×15, first 2 shown]
	s_wait_loadcnt 0x0
	global_store_b64 v[64:65], v[98:99], off
.LBB46_924:
	s_sendmsg sendmsg(MSG_DEALLOC_VGPRS)
	s_endpgm
	.section	.rodata,"a",@progbits
	.p2align	6, 0x0
	.amdhsa_kernel _ZN9rocsolver6v33100L18trti2_kernel_smallILi47E19rocblas_complex_numIfEPS3_EEv13rocblas_fill_17rocblas_diagonal_T1_iil
		.amdhsa_group_segment_fixed_size 760
		.amdhsa_private_segment_fixed_size 384
		.amdhsa_kernarg_size 32
		.amdhsa_user_sgpr_count 2
		.amdhsa_user_sgpr_dispatch_ptr 0
		.amdhsa_user_sgpr_queue_ptr 0
		.amdhsa_user_sgpr_kernarg_segment_ptr 1
		.amdhsa_user_sgpr_dispatch_id 0
		.amdhsa_user_sgpr_kernarg_preload_length 0
		.amdhsa_user_sgpr_kernarg_preload_offset 0
		.amdhsa_user_sgpr_private_segment_size 0
		.amdhsa_wavefront_size32 1
		.amdhsa_uses_dynamic_stack 0
		.amdhsa_enable_private_segment 1
		.amdhsa_system_sgpr_workgroup_id_x 1
		.amdhsa_system_sgpr_workgroup_id_y 0
		.amdhsa_system_sgpr_workgroup_id_z 0
		.amdhsa_system_sgpr_workgroup_info 0
		.amdhsa_system_vgpr_workitem_id 0
		.amdhsa_next_free_vgpr 136
		.amdhsa_next_free_sgpr 30
		.amdhsa_named_barrier_count 0
		.amdhsa_reserve_vcc 1
		.amdhsa_float_round_mode_32 0
		.amdhsa_float_round_mode_16_64 0
		.amdhsa_float_denorm_mode_32 3
		.amdhsa_float_denorm_mode_16_64 3
		.amdhsa_fp16_overflow 0
		.amdhsa_memory_ordered 1
		.amdhsa_forward_progress 1
		.amdhsa_inst_pref_size 255
		.amdhsa_round_robin_scheduling 0
		.amdhsa_exception_fp_ieee_invalid_op 0
		.amdhsa_exception_fp_denorm_src 0
		.amdhsa_exception_fp_ieee_div_zero 0
		.amdhsa_exception_fp_ieee_overflow 0
		.amdhsa_exception_fp_ieee_underflow 0
		.amdhsa_exception_fp_ieee_inexact 0
		.amdhsa_exception_int_div_zero 0
	.end_amdhsa_kernel
	.section	.text._ZN9rocsolver6v33100L18trti2_kernel_smallILi47E19rocblas_complex_numIfEPS3_EEv13rocblas_fill_17rocblas_diagonal_T1_iil,"axG",@progbits,_ZN9rocsolver6v33100L18trti2_kernel_smallILi47E19rocblas_complex_numIfEPS3_EEv13rocblas_fill_17rocblas_diagonal_T1_iil,comdat
.Lfunc_end46:
	.size	_ZN9rocsolver6v33100L18trti2_kernel_smallILi47E19rocblas_complex_numIfEPS3_EEv13rocblas_fill_17rocblas_diagonal_T1_iil, .Lfunc_end46-_ZN9rocsolver6v33100L18trti2_kernel_smallILi47E19rocblas_complex_numIfEPS3_EEv13rocblas_fill_17rocblas_diagonal_T1_iil
                                        ; -- End function
	.set _ZN9rocsolver6v33100L18trti2_kernel_smallILi47E19rocblas_complex_numIfEPS3_EEv13rocblas_fill_17rocblas_diagonal_T1_iil.num_vgpr, 136
	.set _ZN9rocsolver6v33100L18trti2_kernel_smallILi47E19rocblas_complex_numIfEPS3_EEv13rocblas_fill_17rocblas_diagonal_T1_iil.num_agpr, 0
	.set _ZN9rocsolver6v33100L18trti2_kernel_smallILi47E19rocblas_complex_numIfEPS3_EEv13rocblas_fill_17rocblas_diagonal_T1_iil.numbered_sgpr, 30
	.set _ZN9rocsolver6v33100L18trti2_kernel_smallILi47E19rocblas_complex_numIfEPS3_EEv13rocblas_fill_17rocblas_diagonal_T1_iil.num_named_barrier, 0
	.set _ZN9rocsolver6v33100L18trti2_kernel_smallILi47E19rocblas_complex_numIfEPS3_EEv13rocblas_fill_17rocblas_diagonal_T1_iil.private_seg_size, 384
	.set _ZN9rocsolver6v33100L18trti2_kernel_smallILi47E19rocblas_complex_numIfEPS3_EEv13rocblas_fill_17rocblas_diagonal_T1_iil.uses_vcc, 1
	.set _ZN9rocsolver6v33100L18trti2_kernel_smallILi47E19rocblas_complex_numIfEPS3_EEv13rocblas_fill_17rocblas_diagonal_T1_iil.uses_flat_scratch, 1
	.set _ZN9rocsolver6v33100L18trti2_kernel_smallILi47E19rocblas_complex_numIfEPS3_EEv13rocblas_fill_17rocblas_diagonal_T1_iil.has_dyn_sized_stack, 0
	.set _ZN9rocsolver6v33100L18trti2_kernel_smallILi47E19rocblas_complex_numIfEPS3_EEv13rocblas_fill_17rocblas_diagonal_T1_iil.has_recursion, 0
	.set _ZN9rocsolver6v33100L18trti2_kernel_smallILi47E19rocblas_complex_numIfEPS3_EEv13rocblas_fill_17rocblas_diagonal_T1_iil.has_indirect_call, 0
	.section	.AMDGPU.csdata,"",@progbits
; Kernel info:
; codeLenInByte = 35600
; TotalNumSgprs: 32
; NumVgprs: 136
; ScratchSize: 384
; MemoryBound: 0
; FloatMode: 240
; IeeeMode: 1
; LDSByteSize: 760 bytes/workgroup (compile time only)
; SGPRBlocks: 0
; VGPRBlocks: 8
; NumSGPRsForWavesPerEU: 32
; NumVGPRsForWavesPerEU: 136
; NamedBarCnt: 0
; Occupancy: 7
; WaveLimiterHint : 0
; COMPUTE_PGM_RSRC2:SCRATCH_EN: 1
; COMPUTE_PGM_RSRC2:USER_SGPR: 2
; COMPUTE_PGM_RSRC2:TRAP_HANDLER: 0
; COMPUTE_PGM_RSRC2:TGID_X_EN: 1
; COMPUTE_PGM_RSRC2:TGID_Y_EN: 0
; COMPUTE_PGM_RSRC2:TGID_Z_EN: 0
; COMPUTE_PGM_RSRC2:TIDIG_COMP_CNT: 0
	.section	.text._ZN9rocsolver6v33100L18trti2_kernel_smallILi48E19rocblas_complex_numIfEPS3_EEv13rocblas_fill_17rocblas_diagonal_T1_iil,"axG",@progbits,_ZN9rocsolver6v33100L18trti2_kernel_smallILi48E19rocblas_complex_numIfEPS3_EEv13rocblas_fill_17rocblas_diagonal_T1_iil,comdat
	.globl	_ZN9rocsolver6v33100L18trti2_kernel_smallILi48E19rocblas_complex_numIfEPS3_EEv13rocblas_fill_17rocblas_diagonal_T1_iil ; -- Begin function _ZN9rocsolver6v33100L18trti2_kernel_smallILi48E19rocblas_complex_numIfEPS3_EEv13rocblas_fill_17rocblas_diagonal_T1_iil
	.p2align	8
	.type	_ZN9rocsolver6v33100L18trti2_kernel_smallILi48E19rocblas_complex_numIfEPS3_EEv13rocblas_fill_17rocblas_diagonal_T1_iil,@function
_ZN9rocsolver6v33100L18trti2_kernel_smallILi48E19rocblas_complex_numIfEPS3_EEv13rocblas_fill_17rocblas_diagonal_T1_iil: ; @_ZN9rocsolver6v33100L18trti2_kernel_smallILi48E19rocblas_complex_numIfEPS3_EEv13rocblas_fill_17rocblas_diagonal_T1_iil
; %bb.0:
	s_mov_b32 s2, exec_lo
	v_cmpx_gt_u32_e32 48, v0
	s_cbranch_execz .LBB47_944
; %bb.1:
	s_load_b256 s[4:11], s[0:1], 0x0
	s_wait_xcnt 0x0
	s_bfe_u32 s0, ttmp6, 0x4000c
	s_and_b32 s1, ttmp6, 15
	s_add_co_i32 s0, s0, 1
	s_getreg_b32 s2, hwreg(HW_REG_IB_STS2, 6, 4)
	s_mul_i32 s0, ttmp9, s0
	v_lshlrev_b32_e32 v38, 3, v0
	s_add_co_i32 s0, s1, s0
	v_mov_b32_e32 v39, 0
	s_wait_kmcnt 0x0
	v_add3_u32 v6, s9, s9, v0
	s_ashr_i32 s1, s8, 31
	s_cmp_eq_u32 s2, 0
	s_cselect_b32 s2, ttmp9, s0
	s_delay_alu instid0(VALU_DEP_1)
	v_add_nc_u32_e32 v8, s9, v6
	s_ashr_i32 s3, s2, 31
	s_mov_b32 s0, s8
	s_mul_u64 s[2:3], s[10:11], s[2:3]
	s_lshl_b64 s[0:1], s[0:1], 3
	v_add_nc_u32_e32 v10, s9, v8
	s_lshl_b64 s[2:3], s[2:3], 3
	s_delay_alu instid0(SALU_CYCLE_1) | instskip(NEXT) | instid1(SALU_CYCLE_1)
	s_add_nc_u64 s[2:3], s[6:7], s[2:3]
	s_add_nc_u64 s[6:7], s[2:3], s[0:1]
	s_delay_alu instid0(VALU_DEP_1)
	v_add_nc_u32_e32 v12, s9, v10
	v_add_nc_u64_e32 v[2:3], s[6:7], v[38:39]
	s_mov_b32 s0, s9
	s_ashr_i32 s1, s9, 31
	s_cmp_lg_u32 s5, 0x84
	v_add_nc_u32_e32 v14, s9, v12
	s_cselect_b32 s3, -1, 0
	s_delay_alu instid0(VALU_DEP_2) | instskip(SKIP_1) | instid1(VALU_DEP_2)
	v_lshl_add_u64 v[4:5], s[0:1], 3, v[2:3]
	s_mov_b32 s0, -1
	v_add_nc_u32_e32 v16, s9, v14
	s_clause 0x3
	global_load_b64 v[72:73], v0, s[6:7] scale_offset
	global_load_b64 v[74:75], v[4:5], off
	global_load_b64 v[76:77], v6, s[6:7] scale_offset
	global_load_b64 v[78:79], v8, s[6:7] scale_offset
	s_and_b32 vcc_lo, exec_lo, s3
	v_add_nc_u32_e32 v18, s9, v16
	s_delay_alu instid0(VALU_DEP_1) | instskip(NEXT) | instid1(VALU_DEP_1)
	v_add_nc_u32_e32 v20, s9, v18
	v_add_nc_u32_e32 v22, s9, v20
	s_clause 0x3
	global_load_b64 v[80:81], v10, s[6:7] scale_offset
	global_load_b64 v[82:83], v12, s[6:7] scale_offset
	;; [unrolled: 1-line block ×4, first 2 shown]
	v_add_nc_u32_e32 v24, s9, v22
	s_delay_alu instid0(VALU_DEP_1) | instskip(NEXT) | instid1(VALU_DEP_1)
	v_add_nc_u32_e32 v26, s9, v24
	v_add_nc_u32_e32 v28, s9, v26
	s_delay_alu instid0(VALU_DEP_1)
	v_add_nc_u32_e32 v30, s9, v28
	s_clause 0x3
	global_load_b64 v[88:89], v18, s[6:7] scale_offset
	global_load_b64 v[90:91], v20, s[6:7] scale_offset
	;; [unrolled: 1-line block ×4, first 2 shown]
	v_add_nc_u32_e32 v32, s9, v30
	s_delay_alu instid0(VALU_DEP_1)
	v_add_nc_u32_e32 v34, s9, v32
	s_clause 0x3
	global_load_b64 v[96:97], v26, s[6:7] scale_offset
	global_load_b64 v[98:99], v28, s[6:7] scale_offset
	;; [unrolled: 1-line block ×4, first 2 shown]
	v_add_nc_u32_e32 v36, s9, v34
	s_delay_alu instid0(VALU_DEP_1) | instskip(NEXT) | instid1(VALU_DEP_1)
	v_add_nc_u32_e32 v40, s9, v36
	v_add_nc_u32_e32 v42, s9, v40
	s_clause 0x1
	global_load_b64 v[104:105], v34, s[6:7] scale_offset
	global_load_b64 v[106:107], v36, s[6:7] scale_offset
	v_add_nc_u32_e32 v44, s9, v42
	s_clause 0x1
	global_load_b64 v[108:109], v40, s[6:7] scale_offset
	global_load_b64 v[110:111], v42, s[6:7] scale_offset
	v_add_nc_u32_e32 v46, s9, v44
	s_delay_alu instid0(VALU_DEP_1) | instskip(NEXT) | instid1(VALU_DEP_1)
	v_add_nc_u32_e32 v48, s9, v46
	v_add_nc_u32_e32 v50, s9, v48
	s_delay_alu instid0(VALU_DEP_1) | instskip(NEXT) | instid1(VALU_DEP_1)
	v_add_nc_u32_e32 v52, s9, v50
	v_add_nc_u32_e32 v54, s9, v52
	s_delay_alu instid0(VALU_DEP_1)
	v_add_nc_u32_e32 v56, s9, v54
	s_clause 0x3
	global_load_b64 v[112:113], v44, s[6:7] scale_offset
	global_load_b64 v[114:115], v46, s[6:7] scale_offset
	;; [unrolled: 1-line block ×4, first 2 shown]
	v_add_nc_u32_e32 v58, s9, v56
	s_delay_alu instid0(VALU_DEP_1) | instskip(NEXT) | instid1(VALU_DEP_1)
	v_add_nc_u32_e32 v60, s9, v58
	v_add_nc_u32_e32 v62, s9, v60
	s_delay_alu instid0(VALU_DEP_1) | instskip(NEXT) | instid1(VALU_DEP_1)
	v_add_nc_u32_e32 v64, s9, v62
	;; [unrolled: 3-line block ×3, first 2 shown]
	v_add_nc_u32_e32 v70, s9, v68
	s_wait_loadcnt 0x16
	scratch_store_b128 off, v[72:75], off
	s_wait_xcnt 0x0
	v_add_nc_u32_e32 v72, s9, v70
	s_clause 0x3
	global_load_b64 v[120:121], v52, s[6:7] scale_offset
	global_load_b64 v[122:123], v54, s[6:7] scale_offset
	global_load_b64 v[124:125], v56, s[6:7] scale_offset
	global_load_b64 v[126:127], v58, s[6:7] scale_offset
	s_wait_loadcnt 0x18
	scratch_store_b128 off, v[76:79], off offset:16
	s_wait_loadcnt 0x16
	scratch_store_b128 off, v[80:83], off offset:32
	;; [unrolled: 2-line block ×3, first 2 shown]
	v_add_nc_u32_e32 v74, s9, v72
	s_clause 0x3
	global_load_b64 v[128:129], v60, s[6:7] scale_offset
	global_load_b64 v[130:131], v62, s[6:7] scale_offset
	;; [unrolled: 1-line block ×4, first 2 shown]
	s_wait_loadcnt 0x16
	scratch_store_b128 off, v[88:91], off offset:64
	s_wait_loadcnt 0x14
	scratch_store_b128 off, v[92:95], off offset:80
	s_wait_xcnt 0x8
	v_add_nc_u32_e32 v76, s9, v74
	s_delay_alu instid0(VALU_DEP_1) | instskip(SKIP_1) | instid1(VALU_DEP_1)
	v_add_nc_u32_e32 v78, s9, v76
	s_wait_xcnt 0x7
	v_add_nc_u32_e32 v80, s9, v78
	s_clause 0x3
	global_load_b64 v[136:137], v68, s[6:7] scale_offset
	global_load_b64 v[138:139], v70, s[6:7] scale_offset
	;; [unrolled: 1-line block ×4, first 2 shown]
	s_wait_loadcnt 0x16
	scratch_store_b128 off, v[96:99], off offset:96
	s_wait_loadcnt 0x14
	scratch_store_b128 off, v[100:103], off offset:112
	v_add_nc_u32_e32 v82, s9, v80
	s_wait_xcnt 0xc
	s_delay_alu instid0(VALU_DEP_1)
	v_add_nc_u32_e32 v84, s9, v82
	s_wait_loadcnt 0x12
	scratch_store_b128 off, v[104:107], off offset:128
	v_add_nc_u32_e32 v86, s9, v84
	s_wait_loadcnt 0x10
	scratch_store_b128 off, v[108:111], off offset:144
	s_wait_xcnt 0x9
	v_add_nc_u32_e32 v88, s9, v86
	s_delay_alu instid0(VALU_DEP_1) | instskip(SKIP_1) | instid1(VALU_DEP_1)
	v_add_nc_u32_e32 v90, s9, v88
	s_wait_xcnt 0x8
	v_add_nc_u32_e32 v92, s9, v90
	s_delay_alu instid0(VALU_DEP_1) | instskip(SKIP_1) | instid1(VALU_DEP_1)
	v_add_nc_u32_e32 v94, s9, v92
	s_wait_xcnt 0x3
	v_add_nc_u32_e32 v96, s9, v94
	s_delay_alu instid0(VALU_DEP_1)
	v_add_nc_u32_e32 v98, s9, v96
	s_wait_loadcnt 0xe
	scratch_store_b128 off, v[112:115], off offset:160
	s_wait_loadcnt 0xc
	scratch_store_b128 off, v[116:119], off offset:176
	;; [unrolled: 2-line block ×3, first 2 shown]
	s_clause 0x3
	global_load_b64 v[100:101], v76, s[6:7] scale_offset
	global_load_b64 v[102:103], v78, s[6:7] scale_offset
	;; [unrolled: 1-line block ×4, first 2 shown]
	s_wait_loadcnt 0xc
	scratch_store_b128 off, v[124:127], off offset:208
	s_wait_loadcnt 0xa
	scratch_store_b128 off, v[128:131], off offset:224
	;; [unrolled: 2-line block ×3, first 2 shown]
	s_clause 0x3
	global_load_b64 v[108:109], v84, s[6:7] scale_offset
	global_load_b64 v[110:111], v86, s[6:7] scale_offset
	;; [unrolled: 1-line block ×4, first 2 shown]
	s_wait_loadcnt 0xa
	scratch_store_b128 off, v[136:139], off offset:256
	s_wait_loadcnt 0x8
	scratch_store_b128 off, v[140:143], off offset:272
	s_clause 0x3
	global_load_b64 v[116:117], v92, s[6:7] scale_offset
	global_load_b64 v[118:119], v94, s[6:7] scale_offset
	;; [unrolled: 1-line block ×4, first 2 shown]
	s_wait_loadcnt 0xa
	scratch_store_b128 off, v[100:103], off offset:288
	s_wait_loadcnt 0x8
	scratch_store_b128 off, v[104:107], off offset:304
	;; [unrolled: 2-line block ×6, first 2 shown]
	s_cbranch_vccz .LBB47_7
; %bb.2:
	scratch_load_b64 v[100:101], v0, off scale_offset
                                        ; implicit-def: $vgpr105
                                        ; implicit-def: $vgpr102
	s_wait_loadcnt 0x0
	v_cmp_ngt_f32_e64 s0, |v100|, |v101|
	s_wait_xcnt 0x0
	s_and_saveexec_b32 s1, s0
	s_delay_alu instid0(SALU_CYCLE_1)
	s_xor_b32 s0, exec_lo, s1
	s_cbranch_execz .LBB47_4
; %bb.3:
	v_div_scale_f32 v1, null, v101, v101, v100
	v_div_scale_f32 v11, vcc_lo, v100, v101, v100
	s_delay_alu instid0(VALU_DEP_2) | instskip(SKIP_1) | instid1(TRANS32_DEP_1)
	v_rcp_f32_e32 v7, v1
	v_nop
	v_fma_f32 v9, -v1, v7, 1.0
	s_delay_alu instid0(VALU_DEP_1) | instskip(NEXT) | instid1(VALU_DEP_1)
	v_fmac_f32_e32 v7, v9, v7
	v_mul_f32_e32 v9, v11, v7
	s_delay_alu instid0(VALU_DEP_1) | instskip(NEXT) | instid1(VALU_DEP_1)
	v_fma_f32 v13, -v1, v9, v11
	v_fmac_f32_e32 v9, v13, v7
	s_delay_alu instid0(VALU_DEP_1) | instskip(NEXT) | instid1(VALU_DEP_1)
	v_fma_f32 v1, -v1, v9, v11
	v_div_fmas_f32 v1, v1, v7, v9
	s_delay_alu instid0(VALU_DEP_1) | instskip(NEXT) | instid1(VALU_DEP_1)
	v_div_fixup_f32 v1, v1, v101, v100
	v_fmac_f32_e32 v101, v100, v1
	s_delay_alu instid0(VALU_DEP_1) | instskip(NEXT) | instid1(VALU_DEP_1)
	v_div_scale_f32 v7, null, v101, v101, -1.0
	v_rcp_f32_e32 v9, v7
	v_nop
	s_delay_alu instid0(TRANS32_DEP_1) | instskip(NEXT) | instid1(VALU_DEP_1)
	v_fma_f32 v11, -v7, v9, 1.0
	v_fmac_f32_e32 v9, v11, v9
	v_div_scale_f32 v11, vcc_lo, -1.0, v101, -1.0
	s_delay_alu instid0(VALU_DEP_1) | instskip(NEXT) | instid1(VALU_DEP_1)
	v_mul_f32_e32 v13, v11, v9
	v_fma_f32 v15, -v7, v13, v11
	s_delay_alu instid0(VALU_DEP_1) | instskip(NEXT) | instid1(VALU_DEP_1)
	v_fmac_f32_e32 v13, v15, v9
	v_fma_f32 v7, -v7, v13, v11
	s_delay_alu instid0(VALU_DEP_1) | instskip(NEXT) | instid1(VALU_DEP_1)
	v_div_fmas_f32 v7, v7, v9, v13
	v_div_fixup_f32 v105, v7, v101, -1.0
                                        ; implicit-def: $vgpr100_vgpr101
	s_delay_alu instid0(VALU_DEP_1) | instskip(NEXT) | instid1(VALU_DEP_1)
	v_mul_f32_e32 v102, v1, v105
	v_xor_b32_e32 v104, 0x80000000, v102
.LBB47_4:
	s_or_saveexec_b32 s0, s0
	v_lshl_add_u32 v1, v0, 3, 0
	s_xor_b32 exec_lo, exec_lo, s0
	s_cbranch_execz .LBB47_6
; %bb.5:
	v_div_scale_f32 v7, null, v100, v100, v101
	v_div_scale_f32 v13, vcc_lo, v101, v100, v101
	s_delay_alu instid0(VALU_DEP_2) | instskip(SKIP_1) | instid1(TRANS32_DEP_1)
	v_rcp_f32_e32 v9, v7
	v_nop
	v_fma_f32 v11, -v7, v9, 1.0
	s_delay_alu instid0(VALU_DEP_1) | instskip(NEXT) | instid1(VALU_DEP_1)
	v_fmac_f32_e32 v9, v11, v9
	v_mul_f32_e32 v11, v13, v9
	s_delay_alu instid0(VALU_DEP_1) | instskip(NEXT) | instid1(VALU_DEP_1)
	v_fma_f32 v15, -v7, v11, v13
	v_fmac_f32_e32 v11, v15, v9
	s_delay_alu instid0(VALU_DEP_1) | instskip(NEXT) | instid1(VALU_DEP_1)
	v_fma_f32 v7, -v7, v11, v13
	v_div_fmas_f32 v7, v7, v9, v11
	s_delay_alu instid0(VALU_DEP_1) | instskip(NEXT) | instid1(VALU_DEP_1)
	v_div_fixup_f32 v7, v7, v100, v101
	v_fmac_f32_e32 v100, v101, v7
	s_delay_alu instid0(VALU_DEP_1) | instskip(SKIP_1) | instid1(VALU_DEP_2)
	v_div_scale_f32 v9, null, v100, v100, 1.0
	v_div_scale_f32 v15, vcc_lo, 1.0, v100, 1.0
	v_rcp_f32_e32 v11, v9
	v_nop
	s_delay_alu instid0(TRANS32_DEP_1) | instskip(NEXT) | instid1(VALU_DEP_1)
	v_fma_f32 v13, -v9, v11, 1.0
	v_fmac_f32_e32 v11, v13, v11
	s_delay_alu instid0(VALU_DEP_1) | instskip(NEXT) | instid1(VALU_DEP_1)
	v_mul_f32_e32 v13, v15, v11
	v_fma_f32 v17, -v9, v13, v15
	s_delay_alu instid0(VALU_DEP_1) | instskip(NEXT) | instid1(VALU_DEP_1)
	v_fmac_f32_e32 v13, v17, v11
	v_fma_f32 v9, -v9, v13, v15
	s_delay_alu instid0(VALU_DEP_1) | instskip(NEXT) | instid1(VALU_DEP_1)
	v_div_fmas_f32 v9, v9, v11, v13
	v_div_fixup_f32 v104, v9, v100, 1.0
	s_delay_alu instid0(VALU_DEP_1)
	v_xor_b32_e32 v102, 0x80000000, v104
	v_mul_f32_e64 v105, v7, -v104
.LBB47_6:
	s_or_b32 exec_lo, exec_lo, s0
	s_delay_alu instid0(VALU_DEP_1)
	v_xor_b32_e32 v103, 0x80000000, v105
	s_mov_b32 s0, 0
	scratch_store_b64 v1, v[104:105], off
	ds_store_b64 v38, v[102:103]
.LBB47_7:
	s_and_b32 vcc_lo, exec_lo, s0
	s_cbranch_vccz .LBB47_9
; %bb.8:
	s_mov_b64 s[0:1], 0xbf800000
	s_wait_xcnt 0x5
	v_mov_b64_e32 v[100:101], s[0:1]
	ds_store_b64 v38, v[100:101]
.LBB47_9:
	v_dual_ashrrev_i32 v7, 31, v6 :: v_dual_ashrrev_i32 v9, 31, v8
	v_dual_ashrrev_i32 v11, 31, v10 :: v_dual_ashrrev_i32 v13, 31, v12
	;; [unrolled: 1-line block ×23, first 2 shown]
	s_wait_xcnt 0x0
	v_add_nc_u32_e32 v1, 0x180, v38
	v_mov_b32_e32 v39, v38
	s_cmp_eq_u32 s4, 0x79
	s_cbranch_scc1 .LBB47_13
; %bb.10:
	scratch_load_b64 v[100:101], off, off offset:368
	v_cmp_eq_u32_e64 s0, 47, v0
	s_movk_i32 s1, 0x50
	s_movk_i32 s10, 0x60
	;; [unrolled: 1-line block ×18, first 2 shown]
	s_wait_loadcnt 0x0
	ds_store_b64 v1, v[100:101]
	s_wait_storecnt_dscnt 0x0
	s_barrier_signal -1
	s_barrier_wait -1
	s_wait_xcnt 0x0
	s_and_saveexec_b32 s2, s0
	s_cbranch_execz .LBB47_17
; %bb.11:
	s_and_b32 vcc_lo, exec_lo, s3
	s_cbranch_vccz .LBB47_14
; %bb.12:
	scratch_load_b64 v[100:101], v39, off
	ds_load_b64 v[102:103], v1
	s_wait_loadcnt_dscnt 0x0
	v_pk_mul_f32 v[104:105], v[102:103], v[100:101] op_sel:[1,1] op_sel_hi:[0,1]
	v_pk_mul_f32 v[106:107], v[102:103], v[100:101] op_sel_hi:[1,0]
	s_delay_alu instid0(VALU_DEP_2) | instskip(NEXT) | instid1(VALU_DEP_2)
	v_pk_fma_f32 v[100:101], v[102:103], v[100:101], v[104:105] op_sel_hi:[1,0,1]
	v_sub_f32_e32 v100, v106, v104
	s_cbranch_execz .LBB47_15
	s_branch .LBB47_16
.LBB47_13:
	s_mov_b32 s1, 0
                                        ; implicit-def: $vgpr132
                                        ; implicit-def: $sgpr4
	s_cbranch_execnz .LBB47_476
	s_branch .LBB47_941
.LBB47_14:
                                        ; implicit-def: $vgpr101
.LBB47_15:
	ds_load_b64 v[100:101], v1
.LBB47_16:
	s_wait_dscnt 0x0
	v_dual_mov_b32 v102, 0 :: v_dual_mov_b32 v104, v101
	v_mov_b32_e32 v105, v100
	ds_load_b64 v[102:103], v102 offset:368
	s_wait_dscnt 0x0
	v_pk_mul_f32 v[104:105], v[104:105], v[102:103] op_sel:[0,1]
	s_delay_alu instid0(VALU_DEP_1) | instskip(SKIP_1) | instid1(VALU_DEP_2)
	v_pk_fma_f32 v[106:107], v[100:101], v[102:103], v[104:105] op_sel_hi:[1,0,1]
	v_pk_fma_f32 v[100:101], v[100:101], v[102:103], v[104:105] neg_lo:[0,0,1] neg_hi:[0,0,1]
	v_mov_b32_e32 v101, v107
	scratch_store_b64 off, v[100:101], off offset:368
.LBB47_17:
	s_wait_xcnt 0x0
	s_or_b32 exec_lo, exec_lo, s2
	scratch_load_b64 v[100:101], off, off offset:360
	s_mov_b32 s9, s1
	v_cmp_lt_u32_e64 s1, 45, v0
	s_mov_b32 s4, 16
	s_mov_b32 s5, 32
	;; [unrolled: 1-line block ×4, first 2 shown]
	s_wait_loadcnt 0x0
	ds_store_b64 v1, v[100:101]
	s_wait_storecnt_dscnt 0x0
	s_barrier_signal -1
	s_barrier_wait -1
	s_wait_xcnt 0x0
	s_and_saveexec_b32 s27, s1
	s_cbranch_execz .LBB47_25
; %bb.18:
	s_and_not1_b32 vcc_lo, exec_lo, s3
	s_cbranch_vccnz .LBB47_20
; %bb.19:
	scratch_load_b64 v[100:101], v39, off
	ds_load_b64 v[102:103], v1
	s_wait_loadcnt_dscnt 0x0
	v_pk_mul_f32 v[104:105], v[102:103], v[100:101] op_sel:[1,1] op_sel_hi:[0,1]
	s_delay_alu instid0(VALU_DEP_1) | instskip(SKIP_1) | instid1(VALU_DEP_2)
	v_pk_fma_f32 v[106:107], v[102:103], v[100:101], v[104:105] op_sel_hi:[1,0,1]
	v_pk_fma_f32 v[100:101], v[102:103], v[100:101], v[104:105] neg_lo:[0,0,1] neg_hi:[0,0,1]
	v_mov_b32_e32 v101, v107
	s_cbranch_execz .LBB47_21
	s_branch .LBB47_22
.LBB47_20:
                                        ; implicit-def: $vgpr100_vgpr101
.LBB47_21:
	ds_load_b64 v[100:101], v1
.LBB47_22:
	s_and_saveexec_b32 s28, s0
	s_cbranch_execz .LBB47_24
; %bb.23:
	scratch_load_b64 v[102:103], off, off offset:368
	v_mov_b32_e32 v104, 0
	ds_load_b64 v[104:105], v104 offset:752
	s_wait_loadcnt_dscnt 0x0
	v_pk_mul_f32 v[106:107], v[104:105], v[102:103] op_sel:[1,1] op_sel_hi:[0,1]
	s_delay_alu instid0(VALU_DEP_1) | instskip(SKIP_1) | instid1(VALU_DEP_2)
	v_pk_fma_f32 v[108:109], v[104:105], v[102:103], v[106:107] op_sel_hi:[1,0,1]
	v_pk_fma_f32 v[102:103], v[104:105], v[102:103], v[106:107] neg_lo:[0,0,1] neg_hi:[0,0,1]
	v_mov_b32_e32 v103, v109
	s_delay_alu instid0(VALU_DEP_1)
	v_pk_add_f32 v[100:101], v[100:101], v[102:103]
.LBB47_24:
	s_or_b32 exec_lo, exec_lo, s28
	v_mov_b32_e32 v102, 0
	ds_load_b64 v[102:103], v102 offset:360
	s_wait_dscnt 0x0
	v_pk_mul_f32 v[104:105], v[100:101], v[102:103] op_sel:[1,1] op_sel_hi:[0,1]
	s_delay_alu instid0(VALU_DEP_1) | instskip(SKIP_1) | instid1(VALU_DEP_2)
	v_pk_fma_f32 v[106:107], v[100:101], v[102:103], v[104:105] op_sel_hi:[1,0,1]
	v_pk_fma_f32 v[100:101], v[100:101], v[102:103], v[104:105] neg_lo:[0,0,1] neg_hi:[0,0,1]
	v_mov_b32_e32 v101, v107
	scratch_store_b64 off, v[100:101], off offset:360
.LBB47_25:
	s_wait_xcnt 0x0
	s_or_b32 exec_lo, exec_lo, s27
	scratch_load_b64 v[100:101], off, off offset:352
	v_cmp_lt_u32_e64 s0, 44, v0
	s_wait_loadcnt 0x0
	ds_store_b64 v1, v[100:101]
	s_wait_storecnt_dscnt 0x0
	s_barrier_signal -1
	s_barrier_wait -1
	s_wait_xcnt 0x0
	s_and_saveexec_b32 s27, s0
	s_cbranch_execz .LBB47_35
; %bb.26:
	s_and_not1_b32 vcc_lo, exec_lo, s3
	s_cbranch_vccnz .LBB47_28
; %bb.27:
	scratch_load_b64 v[100:101], v39, off
	ds_load_b64 v[102:103], v1
	s_wait_loadcnt_dscnt 0x0
	v_pk_mul_f32 v[104:105], v[102:103], v[100:101] op_sel:[1,1] op_sel_hi:[0,1]
	s_delay_alu instid0(VALU_DEP_1) | instskip(SKIP_1) | instid1(VALU_DEP_2)
	v_pk_fma_f32 v[106:107], v[102:103], v[100:101], v[104:105] op_sel_hi:[1,0,1]
	v_pk_fma_f32 v[100:101], v[102:103], v[100:101], v[104:105] neg_lo:[0,0,1] neg_hi:[0,0,1]
	v_mov_b32_e32 v101, v107
	s_cbranch_execz .LBB47_29
	s_branch .LBB47_30
.LBB47_28:
                                        ; implicit-def: $vgpr100_vgpr101
.LBB47_29:
	ds_load_b64 v[100:101], v1
.LBB47_30:
	s_and_saveexec_b32 s28, s1
	s_cbranch_execz .LBB47_34
; %bb.31:
	v_subrev_nc_u32_e32 v102, 45, v0
	s_movk_i32 s1, 0x168
	s_movk_i32 s30, 0x2e8
	s_mov_b32 s29, 0
.LBB47_32:                              ; =>This Inner Loop Header: Depth=1
	scratch_load_b64 v[104:105], off, s1
	v_dual_mov_b32 v103, s30 :: v_dual_add_nc_u32 v102, -1, v102
	s_add_co_i32 s30, s30, 8
	s_wait_xcnt 0x0
	s_add_co_i32 s1, s1, 8
	ds_load_b64 v[106:107], v103
	v_cmp_eq_u32_e32 vcc_lo, 0, v102
	s_or_b32 s29, vcc_lo, s29
	s_wait_loadcnt_dscnt 0x0
	v_pk_mul_f32 v[108:109], v[106:107], v[104:105] op_sel:[1,1] op_sel_hi:[0,1]
	s_delay_alu instid0(VALU_DEP_1) | instskip(SKIP_1) | instid1(VALU_DEP_2)
	v_pk_fma_f32 v[110:111], v[106:107], v[104:105], v[108:109] op_sel_hi:[1,0,1]
	v_pk_fma_f32 v[104:105], v[106:107], v[104:105], v[108:109] neg_lo:[0,0,1] neg_hi:[0,0,1]
	v_mov_b32_e32 v105, v111
	s_delay_alu instid0(VALU_DEP_1)
	v_pk_add_f32 v[100:101], v[100:101], v[104:105]
	s_and_not1_b32 exec_lo, exec_lo, s29
	s_cbranch_execnz .LBB47_32
; %bb.33:
	s_or_b32 exec_lo, exec_lo, s29
.LBB47_34:
	s_delay_alu instid0(SALU_CYCLE_1) | instskip(SKIP_4) | instid1(VALU_DEP_1)
	s_or_b32 exec_lo, exec_lo, s28
	v_mov_b32_e32 v102, 0
	ds_load_b64 v[102:103], v102 offset:352
	s_wait_dscnt 0x0
	v_pk_mul_f32 v[104:105], v[100:101], v[102:103] op_sel:[1,1] op_sel_hi:[0,1]
	v_pk_fma_f32 v[106:107], v[100:101], v[102:103], v[104:105] op_sel_hi:[1,0,1]
	v_pk_fma_f32 v[100:101], v[100:101], v[102:103], v[104:105] neg_lo:[0,0,1] neg_hi:[0,0,1]
	s_delay_alu instid0(VALU_DEP_2)
	v_mov_b32_e32 v101, v107
	scratch_store_b64 off, v[100:101], off offset:352
.LBB47_35:
	s_wait_xcnt 0x0
	s_or_b32 exec_lo, exec_lo, s27
	scratch_load_b64 v[100:101], off, off offset:344
	v_cmp_lt_u32_e64 s1, 43, v0
	s_wait_loadcnt 0x0
	ds_store_b64 v1, v[100:101]
	s_wait_storecnt_dscnt 0x0
	s_barrier_signal -1
	s_barrier_wait -1
	s_wait_xcnt 0x0
	s_and_saveexec_b32 s27, s1
	s_cbranch_execz .LBB47_45
; %bb.36:
	s_and_not1_b32 vcc_lo, exec_lo, s3
	s_cbranch_vccnz .LBB47_38
; %bb.37:
	scratch_load_b64 v[100:101], v39, off
	ds_load_b64 v[102:103], v1
	s_wait_loadcnt_dscnt 0x0
	v_pk_mul_f32 v[104:105], v[102:103], v[100:101] op_sel:[1,1] op_sel_hi:[0,1]
	s_delay_alu instid0(VALU_DEP_1) | instskip(SKIP_1) | instid1(VALU_DEP_2)
	v_pk_fma_f32 v[106:107], v[102:103], v[100:101], v[104:105] op_sel_hi:[1,0,1]
	v_pk_fma_f32 v[100:101], v[102:103], v[100:101], v[104:105] neg_lo:[0,0,1] neg_hi:[0,0,1]
	v_mov_b32_e32 v101, v107
	s_cbranch_execz .LBB47_39
	s_branch .LBB47_40
.LBB47_38:
                                        ; implicit-def: $vgpr100_vgpr101
.LBB47_39:
	ds_load_b64 v[100:101], v1
.LBB47_40:
	s_and_saveexec_b32 s28, s0
	s_cbranch_execz .LBB47_44
; %bb.41:
	v_subrev_nc_u32_e32 v102, 44, v0
	s_movk_i32 s29, 0x2e0
	s_mov_b32 s0, 0
.LBB47_42:                              ; =>This Inner Loop Header: Depth=1
	scratch_load_b64 v[104:105], off, s26
	v_dual_mov_b32 v103, s29 :: v_dual_add_nc_u32 v102, -1, v102
	s_add_co_i32 s29, s29, 8
	s_wait_xcnt 0x0
	s_add_co_i32 s26, s26, 8
	ds_load_b64 v[106:107], v103
	v_cmp_eq_u32_e32 vcc_lo, 0, v102
	s_or_b32 s0, vcc_lo, s0
	s_wait_loadcnt_dscnt 0x0
	v_pk_mul_f32 v[108:109], v[106:107], v[104:105] op_sel:[1,1] op_sel_hi:[0,1]
	s_delay_alu instid0(VALU_DEP_1) | instskip(SKIP_1) | instid1(VALU_DEP_2)
	v_pk_fma_f32 v[110:111], v[106:107], v[104:105], v[108:109] op_sel_hi:[1,0,1]
	v_pk_fma_f32 v[104:105], v[106:107], v[104:105], v[108:109] neg_lo:[0,0,1] neg_hi:[0,0,1]
	v_mov_b32_e32 v105, v111
	s_delay_alu instid0(VALU_DEP_1)
	v_pk_add_f32 v[100:101], v[100:101], v[104:105]
	s_and_not1_b32 exec_lo, exec_lo, s0
	s_cbranch_execnz .LBB47_42
; %bb.43:
	s_or_b32 exec_lo, exec_lo, s0
.LBB47_44:
	s_delay_alu instid0(SALU_CYCLE_1) | instskip(SKIP_4) | instid1(VALU_DEP_1)
	s_or_b32 exec_lo, exec_lo, s28
	v_mov_b32_e32 v102, 0
	ds_load_b64 v[102:103], v102 offset:344
	s_wait_dscnt 0x0
	v_pk_mul_f32 v[104:105], v[100:101], v[102:103] op_sel:[1,1] op_sel_hi:[0,1]
	v_pk_fma_f32 v[106:107], v[100:101], v[102:103], v[104:105] op_sel_hi:[1,0,1]
	v_pk_fma_f32 v[100:101], v[100:101], v[102:103], v[104:105] neg_lo:[0,0,1] neg_hi:[0,0,1]
	s_delay_alu instid0(VALU_DEP_2)
	v_mov_b32_e32 v101, v107
	scratch_store_b64 off, v[100:101], off offset:344
.LBB47_45:
	s_wait_xcnt 0x0
	s_or_b32 exec_lo, exec_lo, s27
	scratch_load_b64 v[100:101], off, off offset:336
	v_cmp_lt_u32_e64 s0, 42, v0
	s_wait_loadcnt 0x0
	ds_store_b64 v1, v[100:101]
	s_wait_storecnt_dscnt 0x0
	s_barrier_signal -1
	s_barrier_wait -1
	s_wait_xcnt 0x0
	s_and_saveexec_b32 s26, s0
	s_cbranch_execz .LBB47_55
; %bb.46:
	s_and_not1_b32 vcc_lo, exec_lo, s3
	s_cbranch_vccnz .LBB47_48
; %bb.47:
	scratch_load_b64 v[100:101], v39, off
	ds_load_b64 v[102:103], v1
	s_wait_loadcnt_dscnt 0x0
	v_pk_mul_f32 v[104:105], v[102:103], v[100:101] op_sel:[1,1] op_sel_hi:[0,1]
	s_delay_alu instid0(VALU_DEP_1) | instskip(SKIP_1) | instid1(VALU_DEP_2)
	v_pk_fma_f32 v[106:107], v[102:103], v[100:101], v[104:105] op_sel_hi:[1,0,1]
	v_pk_fma_f32 v[100:101], v[102:103], v[100:101], v[104:105] neg_lo:[0,0,1] neg_hi:[0,0,1]
	v_mov_b32_e32 v101, v107
	s_cbranch_execz .LBB47_49
	s_branch .LBB47_50
.LBB47_48:
                                        ; implicit-def: $vgpr100_vgpr101
.LBB47_49:
	ds_load_b64 v[100:101], v1
.LBB47_50:
	s_and_saveexec_b32 s27, s1
	s_cbranch_execz .LBB47_54
; %bb.51:
	v_subrev_nc_u32_e32 v102, 43, v0
	s_movk_i32 s1, 0x158
	s_movk_i32 s29, 0x2d8
	s_mov_b32 s28, 0
.LBB47_52:                              ; =>This Inner Loop Header: Depth=1
	scratch_load_b64 v[104:105], off, s1
	v_dual_mov_b32 v103, s29 :: v_dual_add_nc_u32 v102, -1, v102
	s_add_co_i32 s29, s29, 8
	s_wait_xcnt 0x0
	s_add_co_i32 s1, s1, 8
	ds_load_b64 v[106:107], v103
	v_cmp_eq_u32_e32 vcc_lo, 0, v102
	s_or_b32 s28, vcc_lo, s28
	s_wait_loadcnt_dscnt 0x0
	v_pk_mul_f32 v[108:109], v[106:107], v[104:105] op_sel:[1,1] op_sel_hi:[0,1]
	s_delay_alu instid0(VALU_DEP_1) | instskip(SKIP_1) | instid1(VALU_DEP_2)
	v_pk_fma_f32 v[110:111], v[106:107], v[104:105], v[108:109] op_sel_hi:[1,0,1]
	v_pk_fma_f32 v[104:105], v[106:107], v[104:105], v[108:109] neg_lo:[0,0,1] neg_hi:[0,0,1]
	v_mov_b32_e32 v105, v111
	s_delay_alu instid0(VALU_DEP_1)
	v_pk_add_f32 v[100:101], v[100:101], v[104:105]
	s_and_not1_b32 exec_lo, exec_lo, s28
	s_cbranch_execnz .LBB47_52
; %bb.53:
	s_or_b32 exec_lo, exec_lo, s28
.LBB47_54:
	s_delay_alu instid0(SALU_CYCLE_1) | instskip(SKIP_4) | instid1(VALU_DEP_1)
	s_or_b32 exec_lo, exec_lo, s27
	v_mov_b32_e32 v102, 0
	ds_load_b64 v[102:103], v102 offset:336
	s_wait_dscnt 0x0
	v_pk_mul_f32 v[104:105], v[100:101], v[102:103] op_sel:[1,1] op_sel_hi:[0,1]
	v_pk_fma_f32 v[106:107], v[100:101], v[102:103], v[104:105] op_sel_hi:[1,0,1]
	v_pk_fma_f32 v[100:101], v[100:101], v[102:103], v[104:105] neg_lo:[0,0,1] neg_hi:[0,0,1]
	s_delay_alu instid0(VALU_DEP_2)
	v_mov_b32_e32 v101, v107
	scratch_store_b64 off, v[100:101], off offset:336
.LBB47_55:
	s_wait_xcnt 0x0
	s_or_b32 exec_lo, exec_lo, s26
	scratch_load_b64 v[100:101], off, off offset:328
	v_cmp_lt_u32_e64 s1, 41, v0
	s_wait_loadcnt 0x0
	ds_store_b64 v1, v[100:101]
	s_wait_storecnt_dscnt 0x0
	s_barrier_signal -1
	s_barrier_wait -1
	s_wait_xcnt 0x0
	s_and_saveexec_b32 s26, s1
	s_cbranch_execz .LBB47_65
; %bb.56:
	s_and_not1_b32 vcc_lo, exec_lo, s3
	s_cbranch_vccnz .LBB47_58
; %bb.57:
	scratch_load_b64 v[100:101], v39, off
	ds_load_b64 v[102:103], v1
	s_wait_loadcnt_dscnt 0x0
	v_pk_mul_f32 v[104:105], v[102:103], v[100:101] op_sel:[1,1] op_sel_hi:[0,1]
	s_delay_alu instid0(VALU_DEP_1) | instskip(SKIP_1) | instid1(VALU_DEP_2)
	v_pk_fma_f32 v[106:107], v[102:103], v[100:101], v[104:105] op_sel_hi:[1,0,1]
	v_pk_fma_f32 v[100:101], v[102:103], v[100:101], v[104:105] neg_lo:[0,0,1] neg_hi:[0,0,1]
	v_mov_b32_e32 v101, v107
	s_cbranch_execz .LBB47_59
	s_branch .LBB47_60
.LBB47_58:
                                        ; implicit-def: $vgpr100_vgpr101
.LBB47_59:
	ds_load_b64 v[100:101], v1
.LBB47_60:
	s_and_saveexec_b32 s27, s0
	s_cbranch_execz .LBB47_64
; %bb.61:
	v_subrev_nc_u32_e32 v102, 42, v0
	s_movk_i32 s28, 0x2d0
	s_mov_b32 s0, 0
.LBB47_62:                              ; =>This Inner Loop Header: Depth=1
	scratch_load_b64 v[104:105], off, s25
	v_dual_mov_b32 v103, s28 :: v_dual_add_nc_u32 v102, -1, v102
	s_add_co_i32 s28, s28, 8
	s_wait_xcnt 0x0
	s_add_co_i32 s25, s25, 8
	ds_load_b64 v[106:107], v103
	v_cmp_eq_u32_e32 vcc_lo, 0, v102
	s_or_b32 s0, vcc_lo, s0
	s_wait_loadcnt_dscnt 0x0
	v_pk_mul_f32 v[108:109], v[106:107], v[104:105] op_sel:[1,1] op_sel_hi:[0,1]
	s_delay_alu instid0(VALU_DEP_1) | instskip(SKIP_1) | instid1(VALU_DEP_2)
	v_pk_fma_f32 v[110:111], v[106:107], v[104:105], v[108:109] op_sel_hi:[1,0,1]
	v_pk_fma_f32 v[104:105], v[106:107], v[104:105], v[108:109] neg_lo:[0,0,1] neg_hi:[0,0,1]
	v_mov_b32_e32 v105, v111
	s_delay_alu instid0(VALU_DEP_1)
	v_pk_add_f32 v[100:101], v[100:101], v[104:105]
	s_and_not1_b32 exec_lo, exec_lo, s0
	s_cbranch_execnz .LBB47_62
; %bb.63:
	s_or_b32 exec_lo, exec_lo, s0
.LBB47_64:
	s_delay_alu instid0(SALU_CYCLE_1) | instskip(SKIP_4) | instid1(VALU_DEP_1)
	s_or_b32 exec_lo, exec_lo, s27
	v_mov_b32_e32 v102, 0
	ds_load_b64 v[102:103], v102 offset:328
	s_wait_dscnt 0x0
	v_pk_mul_f32 v[104:105], v[100:101], v[102:103] op_sel:[1,1] op_sel_hi:[0,1]
	v_pk_fma_f32 v[106:107], v[100:101], v[102:103], v[104:105] op_sel_hi:[1,0,1]
	v_pk_fma_f32 v[100:101], v[100:101], v[102:103], v[104:105] neg_lo:[0,0,1] neg_hi:[0,0,1]
	s_delay_alu instid0(VALU_DEP_2)
	v_mov_b32_e32 v101, v107
	scratch_store_b64 off, v[100:101], off offset:328
.LBB47_65:
	s_wait_xcnt 0x0
	s_or_b32 exec_lo, exec_lo, s26
	scratch_load_b64 v[100:101], off, off offset:320
	v_cmp_lt_u32_e64 s0, 40, v0
	s_wait_loadcnt 0x0
	ds_store_b64 v1, v[100:101]
	s_wait_storecnt_dscnt 0x0
	s_barrier_signal -1
	s_barrier_wait -1
	s_wait_xcnt 0x0
	s_and_saveexec_b32 s25, s0
	s_cbranch_execz .LBB47_75
; %bb.66:
	s_and_not1_b32 vcc_lo, exec_lo, s3
	s_cbranch_vccnz .LBB47_68
; %bb.67:
	scratch_load_b64 v[100:101], v39, off
	ds_load_b64 v[102:103], v1
	s_wait_loadcnt_dscnt 0x0
	v_pk_mul_f32 v[104:105], v[102:103], v[100:101] op_sel:[1,1] op_sel_hi:[0,1]
	s_delay_alu instid0(VALU_DEP_1) | instskip(SKIP_1) | instid1(VALU_DEP_2)
	v_pk_fma_f32 v[106:107], v[102:103], v[100:101], v[104:105] op_sel_hi:[1,0,1]
	v_pk_fma_f32 v[100:101], v[102:103], v[100:101], v[104:105] neg_lo:[0,0,1] neg_hi:[0,0,1]
	v_mov_b32_e32 v101, v107
	s_cbranch_execz .LBB47_69
	s_branch .LBB47_70
.LBB47_68:
                                        ; implicit-def: $vgpr100_vgpr101
.LBB47_69:
	ds_load_b64 v[100:101], v1
.LBB47_70:
	s_and_saveexec_b32 s26, s1
	s_cbranch_execz .LBB47_74
; %bb.71:
	v_subrev_nc_u32_e32 v102, 41, v0
	s_movk_i32 s1, 0x148
	s_movk_i32 s28, 0x2c8
	s_mov_b32 s27, 0
.LBB47_72:                              ; =>This Inner Loop Header: Depth=1
	scratch_load_b64 v[104:105], off, s1
	v_dual_mov_b32 v103, s28 :: v_dual_add_nc_u32 v102, -1, v102
	s_add_co_i32 s28, s28, 8
	s_wait_xcnt 0x0
	s_add_co_i32 s1, s1, 8
	ds_load_b64 v[106:107], v103
	v_cmp_eq_u32_e32 vcc_lo, 0, v102
	s_or_b32 s27, vcc_lo, s27
	s_wait_loadcnt_dscnt 0x0
	v_pk_mul_f32 v[108:109], v[106:107], v[104:105] op_sel:[1,1] op_sel_hi:[0,1]
	s_delay_alu instid0(VALU_DEP_1) | instskip(SKIP_1) | instid1(VALU_DEP_2)
	v_pk_fma_f32 v[110:111], v[106:107], v[104:105], v[108:109] op_sel_hi:[1,0,1]
	v_pk_fma_f32 v[104:105], v[106:107], v[104:105], v[108:109] neg_lo:[0,0,1] neg_hi:[0,0,1]
	v_mov_b32_e32 v105, v111
	s_delay_alu instid0(VALU_DEP_1)
	v_pk_add_f32 v[100:101], v[100:101], v[104:105]
	s_and_not1_b32 exec_lo, exec_lo, s27
	s_cbranch_execnz .LBB47_72
; %bb.73:
	s_or_b32 exec_lo, exec_lo, s27
.LBB47_74:
	s_delay_alu instid0(SALU_CYCLE_1) | instskip(SKIP_4) | instid1(VALU_DEP_1)
	s_or_b32 exec_lo, exec_lo, s26
	v_mov_b32_e32 v102, 0
	ds_load_b64 v[102:103], v102 offset:320
	s_wait_dscnt 0x0
	v_pk_mul_f32 v[104:105], v[100:101], v[102:103] op_sel:[1,1] op_sel_hi:[0,1]
	v_pk_fma_f32 v[106:107], v[100:101], v[102:103], v[104:105] op_sel_hi:[1,0,1]
	v_pk_fma_f32 v[100:101], v[100:101], v[102:103], v[104:105] neg_lo:[0,0,1] neg_hi:[0,0,1]
	s_delay_alu instid0(VALU_DEP_2)
	v_mov_b32_e32 v101, v107
	scratch_store_b64 off, v[100:101], off offset:320
.LBB47_75:
	s_wait_xcnt 0x0
	s_or_b32 exec_lo, exec_lo, s25
	scratch_load_b64 v[100:101], off, off offset:312
	v_cmp_lt_u32_e64 s1, 39, v0
	s_wait_loadcnt 0x0
	ds_store_b64 v1, v[100:101]
	s_wait_storecnt_dscnt 0x0
	s_barrier_signal -1
	s_barrier_wait -1
	s_wait_xcnt 0x0
	s_and_saveexec_b32 s25, s1
	s_cbranch_execz .LBB47_85
; %bb.76:
	s_and_not1_b32 vcc_lo, exec_lo, s3
	s_cbranch_vccnz .LBB47_78
; %bb.77:
	scratch_load_b64 v[100:101], v39, off
	ds_load_b64 v[102:103], v1
	s_wait_loadcnt_dscnt 0x0
	v_pk_mul_f32 v[104:105], v[102:103], v[100:101] op_sel:[1,1] op_sel_hi:[0,1]
	s_delay_alu instid0(VALU_DEP_1) | instskip(SKIP_1) | instid1(VALU_DEP_2)
	v_pk_fma_f32 v[106:107], v[102:103], v[100:101], v[104:105] op_sel_hi:[1,0,1]
	v_pk_fma_f32 v[100:101], v[102:103], v[100:101], v[104:105] neg_lo:[0,0,1] neg_hi:[0,0,1]
	v_mov_b32_e32 v101, v107
	s_cbranch_execz .LBB47_79
	s_branch .LBB47_80
.LBB47_78:
                                        ; implicit-def: $vgpr100_vgpr101
.LBB47_79:
	ds_load_b64 v[100:101], v1
.LBB47_80:
	s_and_saveexec_b32 s26, s0
	s_cbranch_execz .LBB47_84
; %bb.81:
	v_subrev_nc_u32_e32 v102, 40, v0
	s_movk_i32 s27, 0x2c0
	s_mov_b32 s0, 0
.LBB47_82:                              ; =>This Inner Loop Header: Depth=1
	scratch_load_b64 v[104:105], off, s24
	v_dual_mov_b32 v103, s27 :: v_dual_add_nc_u32 v102, -1, v102
	s_add_co_i32 s27, s27, 8
	s_wait_xcnt 0x0
	s_add_co_i32 s24, s24, 8
	ds_load_b64 v[106:107], v103
	v_cmp_eq_u32_e32 vcc_lo, 0, v102
	s_or_b32 s0, vcc_lo, s0
	s_wait_loadcnt_dscnt 0x0
	v_pk_mul_f32 v[108:109], v[106:107], v[104:105] op_sel:[1,1] op_sel_hi:[0,1]
	s_delay_alu instid0(VALU_DEP_1) | instskip(SKIP_1) | instid1(VALU_DEP_2)
	v_pk_fma_f32 v[110:111], v[106:107], v[104:105], v[108:109] op_sel_hi:[1,0,1]
	v_pk_fma_f32 v[104:105], v[106:107], v[104:105], v[108:109] neg_lo:[0,0,1] neg_hi:[0,0,1]
	v_mov_b32_e32 v105, v111
	s_delay_alu instid0(VALU_DEP_1)
	v_pk_add_f32 v[100:101], v[100:101], v[104:105]
	s_and_not1_b32 exec_lo, exec_lo, s0
	s_cbranch_execnz .LBB47_82
; %bb.83:
	s_or_b32 exec_lo, exec_lo, s0
.LBB47_84:
	s_delay_alu instid0(SALU_CYCLE_1) | instskip(SKIP_4) | instid1(VALU_DEP_1)
	s_or_b32 exec_lo, exec_lo, s26
	v_mov_b32_e32 v102, 0
	ds_load_b64 v[102:103], v102 offset:312
	s_wait_dscnt 0x0
	v_pk_mul_f32 v[104:105], v[100:101], v[102:103] op_sel:[1,1] op_sel_hi:[0,1]
	v_pk_fma_f32 v[106:107], v[100:101], v[102:103], v[104:105] op_sel_hi:[1,0,1]
	v_pk_fma_f32 v[100:101], v[100:101], v[102:103], v[104:105] neg_lo:[0,0,1] neg_hi:[0,0,1]
	s_delay_alu instid0(VALU_DEP_2)
	v_mov_b32_e32 v101, v107
	scratch_store_b64 off, v[100:101], off offset:312
.LBB47_85:
	s_wait_xcnt 0x0
	s_or_b32 exec_lo, exec_lo, s25
	scratch_load_b64 v[100:101], off, off offset:304
	v_cmp_lt_u32_e64 s0, 38, v0
	s_wait_loadcnt 0x0
	ds_store_b64 v1, v[100:101]
	s_wait_storecnt_dscnt 0x0
	s_barrier_signal -1
	s_barrier_wait -1
	s_wait_xcnt 0x0
	s_and_saveexec_b32 s24, s0
	s_cbranch_execz .LBB47_95
; %bb.86:
	s_and_not1_b32 vcc_lo, exec_lo, s3
	s_cbranch_vccnz .LBB47_88
; %bb.87:
	scratch_load_b64 v[100:101], v39, off
	ds_load_b64 v[102:103], v1
	s_wait_loadcnt_dscnt 0x0
	v_pk_mul_f32 v[104:105], v[102:103], v[100:101] op_sel:[1,1] op_sel_hi:[0,1]
	s_delay_alu instid0(VALU_DEP_1) | instskip(SKIP_1) | instid1(VALU_DEP_2)
	v_pk_fma_f32 v[106:107], v[102:103], v[100:101], v[104:105] op_sel_hi:[1,0,1]
	v_pk_fma_f32 v[100:101], v[102:103], v[100:101], v[104:105] neg_lo:[0,0,1] neg_hi:[0,0,1]
	v_mov_b32_e32 v101, v107
	s_cbranch_execz .LBB47_89
	s_branch .LBB47_90
.LBB47_88:
                                        ; implicit-def: $vgpr100_vgpr101
.LBB47_89:
	ds_load_b64 v[100:101], v1
.LBB47_90:
	s_and_saveexec_b32 s25, s1
	s_cbranch_execz .LBB47_94
; %bb.91:
	v_subrev_nc_u32_e32 v102, 39, v0
	s_movk_i32 s1, 0x138
	s_movk_i32 s27, 0x2b8
	s_mov_b32 s26, 0
.LBB47_92:                              ; =>This Inner Loop Header: Depth=1
	scratch_load_b64 v[104:105], off, s1
	v_dual_mov_b32 v103, s27 :: v_dual_add_nc_u32 v102, -1, v102
	s_add_co_i32 s27, s27, 8
	s_wait_xcnt 0x0
	s_add_co_i32 s1, s1, 8
	ds_load_b64 v[106:107], v103
	v_cmp_eq_u32_e32 vcc_lo, 0, v102
	s_or_b32 s26, vcc_lo, s26
	s_wait_loadcnt_dscnt 0x0
	v_pk_mul_f32 v[108:109], v[106:107], v[104:105] op_sel:[1,1] op_sel_hi:[0,1]
	s_delay_alu instid0(VALU_DEP_1) | instskip(SKIP_1) | instid1(VALU_DEP_2)
	v_pk_fma_f32 v[110:111], v[106:107], v[104:105], v[108:109] op_sel_hi:[1,0,1]
	v_pk_fma_f32 v[104:105], v[106:107], v[104:105], v[108:109] neg_lo:[0,0,1] neg_hi:[0,0,1]
	v_mov_b32_e32 v105, v111
	s_delay_alu instid0(VALU_DEP_1)
	v_pk_add_f32 v[100:101], v[100:101], v[104:105]
	s_and_not1_b32 exec_lo, exec_lo, s26
	s_cbranch_execnz .LBB47_92
; %bb.93:
	s_or_b32 exec_lo, exec_lo, s26
.LBB47_94:
	s_delay_alu instid0(SALU_CYCLE_1) | instskip(SKIP_4) | instid1(VALU_DEP_1)
	s_or_b32 exec_lo, exec_lo, s25
	v_mov_b32_e32 v102, 0
	ds_load_b64 v[102:103], v102 offset:304
	s_wait_dscnt 0x0
	v_pk_mul_f32 v[104:105], v[100:101], v[102:103] op_sel:[1,1] op_sel_hi:[0,1]
	v_pk_fma_f32 v[106:107], v[100:101], v[102:103], v[104:105] op_sel_hi:[1,0,1]
	v_pk_fma_f32 v[100:101], v[100:101], v[102:103], v[104:105] neg_lo:[0,0,1] neg_hi:[0,0,1]
	s_delay_alu instid0(VALU_DEP_2)
	v_mov_b32_e32 v101, v107
	scratch_store_b64 off, v[100:101], off offset:304
.LBB47_95:
	s_wait_xcnt 0x0
	s_or_b32 exec_lo, exec_lo, s24
	scratch_load_b64 v[100:101], off, off offset:296
	v_cmp_lt_u32_e64 s1, 37, v0
	s_wait_loadcnt 0x0
	ds_store_b64 v1, v[100:101]
	s_wait_storecnt_dscnt 0x0
	s_barrier_signal -1
	s_barrier_wait -1
	s_wait_xcnt 0x0
	s_and_saveexec_b32 s24, s1
	s_cbranch_execz .LBB47_105
; %bb.96:
	s_and_not1_b32 vcc_lo, exec_lo, s3
	s_cbranch_vccnz .LBB47_98
; %bb.97:
	scratch_load_b64 v[100:101], v39, off
	ds_load_b64 v[102:103], v1
	s_wait_loadcnt_dscnt 0x0
	v_pk_mul_f32 v[104:105], v[102:103], v[100:101] op_sel:[1,1] op_sel_hi:[0,1]
	s_delay_alu instid0(VALU_DEP_1) | instskip(SKIP_1) | instid1(VALU_DEP_2)
	v_pk_fma_f32 v[106:107], v[102:103], v[100:101], v[104:105] op_sel_hi:[1,0,1]
	v_pk_fma_f32 v[100:101], v[102:103], v[100:101], v[104:105] neg_lo:[0,0,1] neg_hi:[0,0,1]
	v_mov_b32_e32 v101, v107
	s_cbranch_execz .LBB47_99
	s_branch .LBB47_100
.LBB47_98:
                                        ; implicit-def: $vgpr100_vgpr101
.LBB47_99:
	ds_load_b64 v[100:101], v1
.LBB47_100:
	s_and_saveexec_b32 s25, s0
	s_cbranch_execz .LBB47_104
; %bb.101:
	v_subrev_nc_u32_e32 v102, 38, v0
	s_movk_i32 s26, 0x2b0
	s_mov_b32 s0, 0
.LBB47_102:                             ; =>This Inner Loop Header: Depth=1
	scratch_load_b64 v[104:105], off, s23
	v_dual_mov_b32 v103, s26 :: v_dual_add_nc_u32 v102, -1, v102
	s_add_co_i32 s26, s26, 8
	s_wait_xcnt 0x0
	s_add_co_i32 s23, s23, 8
	ds_load_b64 v[106:107], v103
	v_cmp_eq_u32_e32 vcc_lo, 0, v102
	s_or_b32 s0, vcc_lo, s0
	s_wait_loadcnt_dscnt 0x0
	v_pk_mul_f32 v[108:109], v[106:107], v[104:105] op_sel:[1,1] op_sel_hi:[0,1]
	s_delay_alu instid0(VALU_DEP_1) | instskip(SKIP_1) | instid1(VALU_DEP_2)
	v_pk_fma_f32 v[110:111], v[106:107], v[104:105], v[108:109] op_sel_hi:[1,0,1]
	v_pk_fma_f32 v[104:105], v[106:107], v[104:105], v[108:109] neg_lo:[0,0,1] neg_hi:[0,0,1]
	v_mov_b32_e32 v105, v111
	s_delay_alu instid0(VALU_DEP_1)
	v_pk_add_f32 v[100:101], v[100:101], v[104:105]
	s_and_not1_b32 exec_lo, exec_lo, s0
	s_cbranch_execnz .LBB47_102
; %bb.103:
	s_or_b32 exec_lo, exec_lo, s0
.LBB47_104:
	s_delay_alu instid0(SALU_CYCLE_1) | instskip(SKIP_4) | instid1(VALU_DEP_1)
	s_or_b32 exec_lo, exec_lo, s25
	v_mov_b32_e32 v102, 0
	ds_load_b64 v[102:103], v102 offset:296
	s_wait_dscnt 0x0
	v_pk_mul_f32 v[104:105], v[100:101], v[102:103] op_sel:[1,1] op_sel_hi:[0,1]
	v_pk_fma_f32 v[106:107], v[100:101], v[102:103], v[104:105] op_sel_hi:[1,0,1]
	v_pk_fma_f32 v[100:101], v[100:101], v[102:103], v[104:105] neg_lo:[0,0,1] neg_hi:[0,0,1]
	s_delay_alu instid0(VALU_DEP_2)
	v_mov_b32_e32 v101, v107
	scratch_store_b64 off, v[100:101], off offset:296
.LBB47_105:
	s_wait_xcnt 0x0
	s_or_b32 exec_lo, exec_lo, s24
	scratch_load_b64 v[100:101], off, off offset:288
	v_cmp_lt_u32_e64 s0, 36, v0
	s_wait_loadcnt 0x0
	ds_store_b64 v1, v[100:101]
	s_wait_storecnt_dscnt 0x0
	s_barrier_signal -1
	s_barrier_wait -1
	s_wait_xcnt 0x0
	s_and_saveexec_b32 s23, s0
	s_cbranch_execz .LBB47_115
; %bb.106:
	s_and_not1_b32 vcc_lo, exec_lo, s3
	s_cbranch_vccnz .LBB47_108
; %bb.107:
	scratch_load_b64 v[100:101], v39, off
	ds_load_b64 v[102:103], v1
	s_wait_loadcnt_dscnt 0x0
	v_pk_mul_f32 v[104:105], v[102:103], v[100:101] op_sel:[1,1] op_sel_hi:[0,1]
	s_delay_alu instid0(VALU_DEP_1) | instskip(SKIP_1) | instid1(VALU_DEP_2)
	v_pk_fma_f32 v[106:107], v[102:103], v[100:101], v[104:105] op_sel_hi:[1,0,1]
	v_pk_fma_f32 v[100:101], v[102:103], v[100:101], v[104:105] neg_lo:[0,0,1] neg_hi:[0,0,1]
	v_mov_b32_e32 v101, v107
	s_cbranch_execz .LBB47_109
	s_branch .LBB47_110
.LBB47_108:
                                        ; implicit-def: $vgpr100_vgpr101
.LBB47_109:
	ds_load_b64 v[100:101], v1
.LBB47_110:
	s_and_saveexec_b32 s24, s1
	s_cbranch_execz .LBB47_114
; %bb.111:
	v_subrev_nc_u32_e32 v102, 37, v0
	s_movk_i32 s1, 0x128
	s_movk_i32 s26, 0x2a8
	s_mov_b32 s25, 0
.LBB47_112:                             ; =>This Inner Loop Header: Depth=1
	scratch_load_b64 v[104:105], off, s1
	v_dual_mov_b32 v103, s26 :: v_dual_add_nc_u32 v102, -1, v102
	s_add_co_i32 s26, s26, 8
	s_wait_xcnt 0x0
	s_add_co_i32 s1, s1, 8
	ds_load_b64 v[106:107], v103
	v_cmp_eq_u32_e32 vcc_lo, 0, v102
	s_or_b32 s25, vcc_lo, s25
	s_wait_loadcnt_dscnt 0x0
	v_pk_mul_f32 v[108:109], v[106:107], v[104:105] op_sel:[1,1] op_sel_hi:[0,1]
	s_delay_alu instid0(VALU_DEP_1) | instskip(SKIP_1) | instid1(VALU_DEP_2)
	v_pk_fma_f32 v[110:111], v[106:107], v[104:105], v[108:109] op_sel_hi:[1,0,1]
	v_pk_fma_f32 v[104:105], v[106:107], v[104:105], v[108:109] neg_lo:[0,0,1] neg_hi:[0,0,1]
	v_mov_b32_e32 v105, v111
	s_delay_alu instid0(VALU_DEP_1)
	v_pk_add_f32 v[100:101], v[100:101], v[104:105]
	s_and_not1_b32 exec_lo, exec_lo, s25
	s_cbranch_execnz .LBB47_112
; %bb.113:
	s_or_b32 exec_lo, exec_lo, s25
.LBB47_114:
	s_delay_alu instid0(SALU_CYCLE_1) | instskip(SKIP_4) | instid1(VALU_DEP_1)
	s_or_b32 exec_lo, exec_lo, s24
	v_mov_b32_e32 v102, 0
	ds_load_b64 v[102:103], v102 offset:288
	s_wait_dscnt 0x0
	v_pk_mul_f32 v[104:105], v[100:101], v[102:103] op_sel:[1,1] op_sel_hi:[0,1]
	v_pk_fma_f32 v[106:107], v[100:101], v[102:103], v[104:105] op_sel_hi:[1,0,1]
	v_pk_fma_f32 v[100:101], v[100:101], v[102:103], v[104:105] neg_lo:[0,0,1] neg_hi:[0,0,1]
	s_delay_alu instid0(VALU_DEP_2)
	v_mov_b32_e32 v101, v107
	scratch_store_b64 off, v[100:101], off offset:288
.LBB47_115:
	s_wait_xcnt 0x0
	s_or_b32 exec_lo, exec_lo, s23
	scratch_load_b64 v[100:101], off, off offset:280
	v_cmp_lt_u32_e64 s1, 35, v0
	s_wait_loadcnt 0x0
	ds_store_b64 v1, v[100:101]
	s_wait_storecnt_dscnt 0x0
	s_barrier_signal -1
	s_barrier_wait -1
	s_wait_xcnt 0x0
	s_and_saveexec_b32 s23, s1
	s_cbranch_execz .LBB47_125
; %bb.116:
	s_and_not1_b32 vcc_lo, exec_lo, s3
	s_cbranch_vccnz .LBB47_118
; %bb.117:
	scratch_load_b64 v[100:101], v39, off
	ds_load_b64 v[102:103], v1
	s_wait_loadcnt_dscnt 0x0
	v_pk_mul_f32 v[104:105], v[102:103], v[100:101] op_sel:[1,1] op_sel_hi:[0,1]
	s_delay_alu instid0(VALU_DEP_1) | instskip(SKIP_1) | instid1(VALU_DEP_2)
	v_pk_fma_f32 v[106:107], v[102:103], v[100:101], v[104:105] op_sel_hi:[1,0,1]
	v_pk_fma_f32 v[100:101], v[102:103], v[100:101], v[104:105] neg_lo:[0,0,1] neg_hi:[0,0,1]
	v_mov_b32_e32 v101, v107
	s_cbranch_execz .LBB47_119
	s_branch .LBB47_120
.LBB47_118:
                                        ; implicit-def: $vgpr100_vgpr101
.LBB47_119:
	ds_load_b64 v[100:101], v1
.LBB47_120:
	s_and_saveexec_b32 s24, s0
	s_cbranch_execz .LBB47_124
; %bb.121:
	v_subrev_nc_u32_e32 v102, 36, v0
	s_movk_i32 s25, 0x2a0
	s_mov_b32 s0, 0
.LBB47_122:                             ; =>This Inner Loop Header: Depth=1
	scratch_load_b64 v[104:105], off, s22
	v_dual_mov_b32 v103, s25 :: v_dual_add_nc_u32 v102, -1, v102
	s_add_co_i32 s25, s25, 8
	s_wait_xcnt 0x0
	s_add_co_i32 s22, s22, 8
	ds_load_b64 v[106:107], v103
	v_cmp_eq_u32_e32 vcc_lo, 0, v102
	s_or_b32 s0, vcc_lo, s0
	s_wait_loadcnt_dscnt 0x0
	v_pk_mul_f32 v[108:109], v[106:107], v[104:105] op_sel:[1,1] op_sel_hi:[0,1]
	s_delay_alu instid0(VALU_DEP_1) | instskip(SKIP_1) | instid1(VALU_DEP_2)
	v_pk_fma_f32 v[110:111], v[106:107], v[104:105], v[108:109] op_sel_hi:[1,0,1]
	v_pk_fma_f32 v[104:105], v[106:107], v[104:105], v[108:109] neg_lo:[0,0,1] neg_hi:[0,0,1]
	v_mov_b32_e32 v105, v111
	s_delay_alu instid0(VALU_DEP_1)
	v_pk_add_f32 v[100:101], v[100:101], v[104:105]
	s_and_not1_b32 exec_lo, exec_lo, s0
	s_cbranch_execnz .LBB47_122
; %bb.123:
	s_or_b32 exec_lo, exec_lo, s0
.LBB47_124:
	s_delay_alu instid0(SALU_CYCLE_1) | instskip(SKIP_4) | instid1(VALU_DEP_1)
	s_or_b32 exec_lo, exec_lo, s24
	v_mov_b32_e32 v102, 0
	ds_load_b64 v[102:103], v102 offset:280
	s_wait_dscnt 0x0
	v_pk_mul_f32 v[104:105], v[100:101], v[102:103] op_sel:[1,1] op_sel_hi:[0,1]
	v_pk_fma_f32 v[106:107], v[100:101], v[102:103], v[104:105] op_sel_hi:[1,0,1]
	v_pk_fma_f32 v[100:101], v[100:101], v[102:103], v[104:105] neg_lo:[0,0,1] neg_hi:[0,0,1]
	s_delay_alu instid0(VALU_DEP_2)
	v_mov_b32_e32 v101, v107
	scratch_store_b64 off, v[100:101], off offset:280
.LBB47_125:
	s_wait_xcnt 0x0
	s_or_b32 exec_lo, exec_lo, s23
	scratch_load_b64 v[100:101], off, off offset:272
	v_cmp_lt_u32_e64 s0, 34, v0
	s_wait_loadcnt 0x0
	ds_store_b64 v1, v[100:101]
	s_wait_storecnt_dscnt 0x0
	s_barrier_signal -1
	s_barrier_wait -1
	s_wait_xcnt 0x0
	s_and_saveexec_b32 s22, s0
	s_cbranch_execz .LBB47_135
; %bb.126:
	s_and_not1_b32 vcc_lo, exec_lo, s3
	s_cbranch_vccnz .LBB47_128
; %bb.127:
	scratch_load_b64 v[100:101], v39, off
	ds_load_b64 v[102:103], v1
	s_wait_loadcnt_dscnt 0x0
	v_pk_mul_f32 v[104:105], v[102:103], v[100:101] op_sel:[1,1] op_sel_hi:[0,1]
	s_delay_alu instid0(VALU_DEP_1) | instskip(SKIP_1) | instid1(VALU_DEP_2)
	v_pk_fma_f32 v[106:107], v[102:103], v[100:101], v[104:105] op_sel_hi:[1,0,1]
	v_pk_fma_f32 v[100:101], v[102:103], v[100:101], v[104:105] neg_lo:[0,0,1] neg_hi:[0,0,1]
	v_mov_b32_e32 v101, v107
	s_cbranch_execz .LBB47_129
	s_branch .LBB47_130
.LBB47_128:
                                        ; implicit-def: $vgpr100_vgpr101
.LBB47_129:
	ds_load_b64 v[100:101], v1
.LBB47_130:
	s_and_saveexec_b32 s23, s1
	s_cbranch_execz .LBB47_134
; %bb.131:
	v_subrev_nc_u32_e32 v102, 35, v0
	s_movk_i32 s1, 0x118
	s_movk_i32 s25, 0x298
	s_mov_b32 s24, 0
.LBB47_132:                             ; =>This Inner Loop Header: Depth=1
	scratch_load_b64 v[104:105], off, s1
	v_dual_mov_b32 v103, s25 :: v_dual_add_nc_u32 v102, -1, v102
	s_add_co_i32 s25, s25, 8
	s_wait_xcnt 0x0
	s_add_co_i32 s1, s1, 8
	ds_load_b64 v[106:107], v103
	v_cmp_eq_u32_e32 vcc_lo, 0, v102
	s_or_b32 s24, vcc_lo, s24
	s_wait_loadcnt_dscnt 0x0
	v_pk_mul_f32 v[108:109], v[106:107], v[104:105] op_sel:[1,1] op_sel_hi:[0,1]
	s_delay_alu instid0(VALU_DEP_1) | instskip(SKIP_1) | instid1(VALU_DEP_2)
	v_pk_fma_f32 v[110:111], v[106:107], v[104:105], v[108:109] op_sel_hi:[1,0,1]
	v_pk_fma_f32 v[104:105], v[106:107], v[104:105], v[108:109] neg_lo:[0,0,1] neg_hi:[0,0,1]
	v_mov_b32_e32 v105, v111
	s_delay_alu instid0(VALU_DEP_1)
	v_pk_add_f32 v[100:101], v[100:101], v[104:105]
	s_and_not1_b32 exec_lo, exec_lo, s24
	s_cbranch_execnz .LBB47_132
; %bb.133:
	s_or_b32 exec_lo, exec_lo, s24
.LBB47_134:
	s_delay_alu instid0(SALU_CYCLE_1) | instskip(SKIP_4) | instid1(VALU_DEP_1)
	s_or_b32 exec_lo, exec_lo, s23
	v_mov_b32_e32 v102, 0
	ds_load_b64 v[102:103], v102 offset:272
	s_wait_dscnt 0x0
	v_pk_mul_f32 v[104:105], v[100:101], v[102:103] op_sel:[1,1] op_sel_hi:[0,1]
	v_pk_fma_f32 v[106:107], v[100:101], v[102:103], v[104:105] op_sel_hi:[1,0,1]
	v_pk_fma_f32 v[100:101], v[100:101], v[102:103], v[104:105] neg_lo:[0,0,1] neg_hi:[0,0,1]
	s_delay_alu instid0(VALU_DEP_2)
	v_mov_b32_e32 v101, v107
	scratch_store_b64 off, v[100:101], off offset:272
.LBB47_135:
	s_wait_xcnt 0x0
	s_or_b32 exec_lo, exec_lo, s22
	scratch_load_b64 v[100:101], off, off offset:264
	v_cmp_lt_u32_e64 s1, 33, v0
	s_wait_loadcnt 0x0
	ds_store_b64 v1, v[100:101]
	s_wait_storecnt_dscnt 0x0
	s_barrier_signal -1
	s_barrier_wait -1
	s_wait_xcnt 0x0
	s_and_saveexec_b32 s22, s1
	s_cbranch_execz .LBB47_145
; %bb.136:
	s_and_not1_b32 vcc_lo, exec_lo, s3
	s_cbranch_vccnz .LBB47_138
; %bb.137:
	scratch_load_b64 v[100:101], v39, off
	ds_load_b64 v[102:103], v1
	s_wait_loadcnt_dscnt 0x0
	v_pk_mul_f32 v[104:105], v[102:103], v[100:101] op_sel:[1,1] op_sel_hi:[0,1]
	s_delay_alu instid0(VALU_DEP_1) | instskip(SKIP_1) | instid1(VALU_DEP_2)
	v_pk_fma_f32 v[106:107], v[102:103], v[100:101], v[104:105] op_sel_hi:[1,0,1]
	v_pk_fma_f32 v[100:101], v[102:103], v[100:101], v[104:105] neg_lo:[0,0,1] neg_hi:[0,0,1]
	v_mov_b32_e32 v101, v107
	s_cbranch_execz .LBB47_139
	s_branch .LBB47_140
.LBB47_138:
                                        ; implicit-def: $vgpr100_vgpr101
.LBB47_139:
	ds_load_b64 v[100:101], v1
.LBB47_140:
	s_and_saveexec_b32 s23, s0
	s_cbranch_execz .LBB47_144
; %bb.141:
	v_subrev_nc_u32_e32 v102, 34, v0
	s_movk_i32 s24, 0x290
	s_mov_b32 s0, 0
.LBB47_142:                             ; =>This Inner Loop Header: Depth=1
	scratch_load_b64 v[104:105], off, s21
	v_dual_mov_b32 v103, s24 :: v_dual_add_nc_u32 v102, -1, v102
	s_add_co_i32 s24, s24, 8
	s_wait_xcnt 0x0
	s_add_co_i32 s21, s21, 8
	ds_load_b64 v[106:107], v103
	v_cmp_eq_u32_e32 vcc_lo, 0, v102
	s_or_b32 s0, vcc_lo, s0
	s_wait_loadcnt_dscnt 0x0
	v_pk_mul_f32 v[108:109], v[106:107], v[104:105] op_sel:[1,1] op_sel_hi:[0,1]
	s_delay_alu instid0(VALU_DEP_1) | instskip(SKIP_1) | instid1(VALU_DEP_2)
	v_pk_fma_f32 v[110:111], v[106:107], v[104:105], v[108:109] op_sel_hi:[1,0,1]
	v_pk_fma_f32 v[104:105], v[106:107], v[104:105], v[108:109] neg_lo:[0,0,1] neg_hi:[0,0,1]
	v_mov_b32_e32 v105, v111
	s_delay_alu instid0(VALU_DEP_1)
	v_pk_add_f32 v[100:101], v[100:101], v[104:105]
	s_and_not1_b32 exec_lo, exec_lo, s0
	s_cbranch_execnz .LBB47_142
; %bb.143:
	s_or_b32 exec_lo, exec_lo, s0
.LBB47_144:
	s_delay_alu instid0(SALU_CYCLE_1) | instskip(SKIP_4) | instid1(VALU_DEP_1)
	s_or_b32 exec_lo, exec_lo, s23
	v_mov_b32_e32 v102, 0
	ds_load_b64 v[102:103], v102 offset:264
	s_wait_dscnt 0x0
	v_pk_mul_f32 v[104:105], v[100:101], v[102:103] op_sel:[1,1] op_sel_hi:[0,1]
	v_pk_fma_f32 v[106:107], v[100:101], v[102:103], v[104:105] op_sel_hi:[1,0,1]
	v_pk_fma_f32 v[100:101], v[100:101], v[102:103], v[104:105] neg_lo:[0,0,1] neg_hi:[0,0,1]
	s_delay_alu instid0(VALU_DEP_2)
	v_mov_b32_e32 v101, v107
	scratch_store_b64 off, v[100:101], off offset:264
.LBB47_145:
	s_wait_xcnt 0x0
	s_or_b32 exec_lo, exec_lo, s22
	scratch_load_b64 v[100:101], off, off offset:256
	v_cmp_lt_u32_e64 s0, 32, v0
	s_wait_loadcnt 0x0
	ds_store_b64 v1, v[100:101]
	s_wait_storecnt_dscnt 0x0
	s_barrier_signal -1
	s_barrier_wait -1
	s_wait_xcnt 0x0
	s_and_saveexec_b32 s21, s0
	s_cbranch_execz .LBB47_155
; %bb.146:
	s_and_not1_b32 vcc_lo, exec_lo, s3
	s_cbranch_vccnz .LBB47_148
; %bb.147:
	scratch_load_b64 v[100:101], v39, off
	ds_load_b64 v[102:103], v1
	s_wait_loadcnt_dscnt 0x0
	v_pk_mul_f32 v[104:105], v[102:103], v[100:101] op_sel:[1,1] op_sel_hi:[0,1]
	s_delay_alu instid0(VALU_DEP_1) | instskip(SKIP_1) | instid1(VALU_DEP_2)
	v_pk_fma_f32 v[106:107], v[102:103], v[100:101], v[104:105] op_sel_hi:[1,0,1]
	v_pk_fma_f32 v[100:101], v[102:103], v[100:101], v[104:105] neg_lo:[0,0,1] neg_hi:[0,0,1]
	v_mov_b32_e32 v101, v107
	s_cbranch_execz .LBB47_149
	s_branch .LBB47_150
.LBB47_148:
                                        ; implicit-def: $vgpr100_vgpr101
.LBB47_149:
	ds_load_b64 v[100:101], v1
.LBB47_150:
	s_and_saveexec_b32 s22, s1
	s_cbranch_execz .LBB47_154
; %bb.151:
	v_subrev_nc_u32_e32 v102, 33, v0
	s_movk_i32 s1, 0x108
	s_movk_i32 s24, 0x288
	s_mov_b32 s23, 0
.LBB47_152:                             ; =>This Inner Loop Header: Depth=1
	scratch_load_b64 v[104:105], off, s1
	v_dual_mov_b32 v103, s24 :: v_dual_add_nc_u32 v102, -1, v102
	s_add_co_i32 s24, s24, 8
	s_wait_xcnt 0x0
	s_add_co_i32 s1, s1, 8
	ds_load_b64 v[106:107], v103
	v_cmp_eq_u32_e32 vcc_lo, 0, v102
	s_or_b32 s23, vcc_lo, s23
	s_wait_loadcnt_dscnt 0x0
	v_pk_mul_f32 v[108:109], v[106:107], v[104:105] op_sel:[1,1] op_sel_hi:[0,1]
	s_delay_alu instid0(VALU_DEP_1) | instskip(SKIP_1) | instid1(VALU_DEP_2)
	v_pk_fma_f32 v[110:111], v[106:107], v[104:105], v[108:109] op_sel_hi:[1,0,1]
	v_pk_fma_f32 v[104:105], v[106:107], v[104:105], v[108:109] neg_lo:[0,0,1] neg_hi:[0,0,1]
	v_mov_b32_e32 v105, v111
	s_delay_alu instid0(VALU_DEP_1)
	v_pk_add_f32 v[100:101], v[100:101], v[104:105]
	s_and_not1_b32 exec_lo, exec_lo, s23
	s_cbranch_execnz .LBB47_152
; %bb.153:
	s_or_b32 exec_lo, exec_lo, s23
.LBB47_154:
	s_delay_alu instid0(SALU_CYCLE_1) | instskip(SKIP_4) | instid1(VALU_DEP_1)
	s_or_b32 exec_lo, exec_lo, s22
	v_mov_b32_e32 v102, 0
	ds_load_b64 v[102:103], v102 offset:256
	s_wait_dscnt 0x0
	v_pk_mul_f32 v[104:105], v[100:101], v[102:103] op_sel:[1,1] op_sel_hi:[0,1]
	v_pk_fma_f32 v[106:107], v[100:101], v[102:103], v[104:105] op_sel_hi:[1,0,1]
	v_pk_fma_f32 v[100:101], v[100:101], v[102:103], v[104:105] neg_lo:[0,0,1] neg_hi:[0,0,1]
	s_delay_alu instid0(VALU_DEP_2)
	v_mov_b32_e32 v101, v107
	scratch_store_b64 off, v[100:101], off offset:256
.LBB47_155:
	s_wait_xcnt 0x0
	s_or_b32 exec_lo, exec_lo, s21
	scratch_load_b64 v[100:101], off, off offset:248
	v_cmp_lt_u32_e64 s1, 31, v0
	s_wait_loadcnt 0x0
	ds_store_b64 v1, v[100:101]
	s_wait_storecnt_dscnt 0x0
	s_barrier_signal -1
	s_barrier_wait -1
	s_wait_xcnt 0x0
	s_and_saveexec_b32 s21, s1
	s_cbranch_execz .LBB47_165
; %bb.156:
	s_and_not1_b32 vcc_lo, exec_lo, s3
	s_cbranch_vccnz .LBB47_158
; %bb.157:
	scratch_load_b64 v[100:101], v39, off
	ds_load_b64 v[102:103], v1
	s_wait_loadcnt_dscnt 0x0
	v_pk_mul_f32 v[104:105], v[102:103], v[100:101] op_sel:[1,1] op_sel_hi:[0,1]
	s_delay_alu instid0(VALU_DEP_1) | instskip(SKIP_1) | instid1(VALU_DEP_2)
	v_pk_fma_f32 v[106:107], v[102:103], v[100:101], v[104:105] op_sel_hi:[1,0,1]
	v_pk_fma_f32 v[100:101], v[102:103], v[100:101], v[104:105] neg_lo:[0,0,1] neg_hi:[0,0,1]
	v_mov_b32_e32 v101, v107
	s_cbranch_execz .LBB47_159
	s_branch .LBB47_160
.LBB47_158:
                                        ; implicit-def: $vgpr100_vgpr101
.LBB47_159:
	ds_load_b64 v[100:101], v1
.LBB47_160:
	s_and_saveexec_b32 s22, s0
	s_cbranch_execz .LBB47_164
; %bb.161:
	v_subrev_nc_u32_e32 v102, 32, v0
	s_movk_i32 s23, 0x280
	s_mov_b32 s0, 0
.LBB47_162:                             ; =>This Inner Loop Header: Depth=1
	scratch_load_b64 v[104:105], off, s20
	v_dual_mov_b32 v103, s23 :: v_dual_add_nc_u32 v102, -1, v102
	s_add_co_i32 s23, s23, 8
	s_wait_xcnt 0x0
	s_add_co_i32 s20, s20, 8
	ds_load_b64 v[106:107], v103
	v_cmp_eq_u32_e32 vcc_lo, 0, v102
	s_or_b32 s0, vcc_lo, s0
	s_wait_loadcnt_dscnt 0x0
	v_pk_mul_f32 v[108:109], v[106:107], v[104:105] op_sel:[1,1] op_sel_hi:[0,1]
	s_delay_alu instid0(VALU_DEP_1) | instskip(SKIP_1) | instid1(VALU_DEP_2)
	v_pk_fma_f32 v[110:111], v[106:107], v[104:105], v[108:109] op_sel_hi:[1,0,1]
	v_pk_fma_f32 v[104:105], v[106:107], v[104:105], v[108:109] neg_lo:[0,0,1] neg_hi:[0,0,1]
	v_mov_b32_e32 v105, v111
	s_delay_alu instid0(VALU_DEP_1)
	v_pk_add_f32 v[100:101], v[100:101], v[104:105]
	s_and_not1_b32 exec_lo, exec_lo, s0
	s_cbranch_execnz .LBB47_162
; %bb.163:
	s_or_b32 exec_lo, exec_lo, s0
.LBB47_164:
	s_delay_alu instid0(SALU_CYCLE_1) | instskip(SKIP_4) | instid1(VALU_DEP_1)
	s_or_b32 exec_lo, exec_lo, s22
	v_mov_b32_e32 v102, 0
	ds_load_b64 v[102:103], v102 offset:248
	s_wait_dscnt 0x0
	v_pk_mul_f32 v[104:105], v[100:101], v[102:103] op_sel:[1,1] op_sel_hi:[0,1]
	v_pk_fma_f32 v[106:107], v[100:101], v[102:103], v[104:105] op_sel_hi:[1,0,1]
	v_pk_fma_f32 v[100:101], v[100:101], v[102:103], v[104:105] neg_lo:[0,0,1] neg_hi:[0,0,1]
	s_delay_alu instid0(VALU_DEP_2)
	v_mov_b32_e32 v101, v107
	scratch_store_b64 off, v[100:101], off offset:248
.LBB47_165:
	s_wait_xcnt 0x0
	s_or_b32 exec_lo, exec_lo, s21
	scratch_load_b64 v[100:101], off, off offset:240
	v_cmp_lt_u32_e64 s0, 30, v0
	s_wait_loadcnt 0x0
	ds_store_b64 v1, v[100:101]
	s_wait_storecnt_dscnt 0x0
	s_barrier_signal -1
	s_barrier_wait -1
	s_wait_xcnt 0x0
	s_and_saveexec_b32 s20, s0
	s_cbranch_execz .LBB47_175
; %bb.166:
	s_and_not1_b32 vcc_lo, exec_lo, s3
	s_cbranch_vccnz .LBB47_168
; %bb.167:
	scratch_load_b64 v[100:101], v39, off
	ds_load_b64 v[102:103], v1
	s_wait_loadcnt_dscnt 0x0
	v_pk_mul_f32 v[104:105], v[102:103], v[100:101] op_sel:[1,1] op_sel_hi:[0,1]
	s_delay_alu instid0(VALU_DEP_1) | instskip(SKIP_1) | instid1(VALU_DEP_2)
	v_pk_fma_f32 v[106:107], v[102:103], v[100:101], v[104:105] op_sel_hi:[1,0,1]
	v_pk_fma_f32 v[100:101], v[102:103], v[100:101], v[104:105] neg_lo:[0,0,1] neg_hi:[0,0,1]
	v_mov_b32_e32 v101, v107
	s_cbranch_execz .LBB47_169
	s_branch .LBB47_170
.LBB47_168:
                                        ; implicit-def: $vgpr100_vgpr101
.LBB47_169:
	ds_load_b64 v[100:101], v1
.LBB47_170:
	s_and_saveexec_b32 s21, s1
	s_cbranch_execz .LBB47_174
; %bb.171:
	v_subrev_nc_u32_e32 v102, 31, v0
	s_movk_i32 s1, 0xf8
	s_movk_i32 s23, 0x278
	s_mov_b32 s22, 0
.LBB47_172:                             ; =>This Inner Loop Header: Depth=1
	scratch_load_b64 v[104:105], off, s1
	v_dual_mov_b32 v103, s23 :: v_dual_add_nc_u32 v102, -1, v102
	s_add_co_i32 s23, s23, 8
	s_wait_xcnt 0x0
	s_add_co_i32 s1, s1, 8
	ds_load_b64 v[106:107], v103
	v_cmp_eq_u32_e32 vcc_lo, 0, v102
	s_or_b32 s22, vcc_lo, s22
	s_wait_loadcnt_dscnt 0x0
	v_pk_mul_f32 v[108:109], v[106:107], v[104:105] op_sel:[1,1] op_sel_hi:[0,1]
	s_delay_alu instid0(VALU_DEP_1) | instskip(SKIP_1) | instid1(VALU_DEP_2)
	v_pk_fma_f32 v[110:111], v[106:107], v[104:105], v[108:109] op_sel_hi:[1,0,1]
	v_pk_fma_f32 v[104:105], v[106:107], v[104:105], v[108:109] neg_lo:[0,0,1] neg_hi:[0,0,1]
	v_mov_b32_e32 v105, v111
	s_delay_alu instid0(VALU_DEP_1)
	v_pk_add_f32 v[100:101], v[100:101], v[104:105]
	s_and_not1_b32 exec_lo, exec_lo, s22
	s_cbranch_execnz .LBB47_172
; %bb.173:
	s_or_b32 exec_lo, exec_lo, s22
.LBB47_174:
	s_delay_alu instid0(SALU_CYCLE_1) | instskip(SKIP_4) | instid1(VALU_DEP_1)
	s_or_b32 exec_lo, exec_lo, s21
	v_mov_b32_e32 v102, 0
	ds_load_b64 v[102:103], v102 offset:240
	s_wait_dscnt 0x0
	v_pk_mul_f32 v[104:105], v[100:101], v[102:103] op_sel:[1,1] op_sel_hi:[0,1]
	v_pk_fma_f32 v[106:107], v[100:101], v[102:103], v[104:105] op_sel_hi:[1,0,1]
	v_pk_fma_f32 v[100:101], v[100:101], v[102:103], v[104:105] neg_lo:[0,0,1] neg_hi:[0,0,1]
	s_delay_alu instid0(VALU_DEP_2)
	v_mov_b32_e32 v101, v107
	scratch_store_b64 off, v[100:101], off offset:240
.LBB47_175:
	s_wait_xcnt 0x0
	s_or_b32 exec_lo, exec_lo, s20
	scratch_load_b64 v[100:101], off, off offset:232
	v_cmp_lt_u32_e64 s1, 29, v0
	s_wait_loadcnt 0x0
	ds_store_b64 v1, v[100:101]
	s_wait_storecnt_dscnt 0x0
	s_barrier_signal -1
	s_barrier_wait -1
	s_wait_xcnt 0x0
	s_and_saveexec_b32 s20, s1
	s_cbranch_execz .LBB47_185
; %bb.176:
	s_and_not1_b32 vcc_lo, exec_lo, s3
	s_cbranch_vccnz .LBB47_178
; %bb.177:
	scratch_load_b64 v[100:101], v39, off
	ds_load_b64 v[102:103], v1
	s_wait_loadcnt_dscnt 0x0
	v_pk_mul_f32 v[104:105], v[102:103], v[100:101] op_sel:[1,1] op_sel_hi:[0,1]
	s_delay_alu instid0(VALU_DEP_1) | instskip(SKIP_1) | instid1(VALU_DEP_2)
	v_pk_fma_f32 v[106:107], v[102:103], v[100:101], v[104:105] op_sel_hi:[1,0,1]
	v_pk_fma_f32 v[100:101], v[102:103], v[100:101], v[104:105] neg_lo:[0,0,1] neg_hi:[0,0,1]
	v_mov_b32_e32 v101, v107
	s_cbranch_execz .LBB47_179
	s_branch .LBB47_180
.LBB47_178:
                                        ; implicit-def: $vgpr100_vgpr101
.LBB47_179:
	ds_load_b64 v[100:101], v1
.LBB47_180:
	s_and_saveexec_b32 s21, s0
	s_cbranch_execz .LBB47_184
; %bb.181:
	v_subrev_nc_u32_e32 v102, 30, v0
	s_movk_i32 s22, 0x270
	s_mov_b32 s0, 0
.LBB47_182:                             ; =>This Inner Loop Header: Depth=1
	scratch_load_b64 v[104:105], off, s19
	v_dual_mov_b32 v103, s22 :: v_dual_add_nc_u32 v102, -1, v102
	s_add_co_i32 s22, s22, 8
	s_wait_xcnt 0x0
	s_add_co_i32 s19, s19, 8
	ds_load_b64 v[106:107], v103
	v_cmp_eq_u32_e32 vcc_lo, 0, v102
	s_or_b32 s0, vcc_lo, s0
	s_wait_loadcnt_dscnt 0x0
	v_pk_mul_f32 v[108:109], v[106:107], v[104:105] op_sel:[1,1] op_sel_hi:[0,1]
	s_delay_alu instid0(VALU_DEP_1) | instskip(SKIP_1) | instid1(VALU_DEP_2)
	v_pk_fma_f32 v[110:111], v[106:107], v[104:105], v[108:109] op_sel_hi:[1,0,1]
	v_pk_fma_f32 v[104:105], v[106:107], v[104:105], v[108:109] neg_lo:[0,0,1] neg_hi:[0,0,1]
	v_mov_b32_e32 v105, v111
	s_delay_alu instid0(VALU_DEP_1)
	v_pk_add_f32 v[100:101], v[100:101], v[104:105]
	s_and_not1_b32 exec_lo, exec_lo, s0
	s_cbranch_execnz .LBB47_182
; %bb.183:
	s_or_b32 exec_lo, exec_lo, s0
.LBB47_184:
	s_delay_alu instid0(SALU_CYCLE_1) | instskip(SKIP_4) | instid1(VALU_DEP_1)
	s_or_b32 exec_lo, exec_lo, s21
	v_mov_b32_e32 v102, 0
	ds_load_b64 v[102:103], v102 offset:232
	s_wait_dscnt 0x0
	v_pk_mul_f32 v[104:105], v[100:101], v[102:103] op_sel:[1,1] op_sel_hi:[0,1]
	v_pk_fma_f32 v[106:107], v[100:101], v[102:103], v[104:105] op_sel_hi:[1,0,1]
	v_pk_fma_f32 v[100:101], v[100:101], v[102:103], v[104:105] neg_lo:[0,0,1] neg_hi:[0,0,1]
	s_delay_alu instid0(VALU_DEP_2)
	v_mov_b32_e32 v101, v107
	scratch_store_b64 off, v[100:101], off offset:232
.LBB47_185:
	s_wait_xcnt 0x0
	s_or_b32 exec_lo, exec_lo, s20
	scratch_load_b64 v[100:101], off, off offset:224
	v_cmp_lt_u32_e64 s0, 28, v0
	s_wait_loadcnt 0x0
	ds_store_b64 v1, v[100:101]
	s_wait_storecnt_dscnt 0x0
	s_barrier_signal -1
	s_barrier_wait -1
	s_wait_xcnt 0x0
	s_and_saveexec_b32 s19, s0
	s_cbranch_execz .LBB47_195
; %bb.186:
	s_and_not1_b32 vcc_lo, exec_lo, s3
	s_cbranch_vccnz .LBB47_188
; %bb.187:
	scratch_load_b64 v[100:101], v39, off
	ds_load_b64 v[102:103], v1
	s_wait_loadcnt_dscnt 0x0
	v_pk_mul_f32 v[104:105], v[102:103], v[100:101] op_sel:[1,1] op_sel_hi:[0,1]
	s_delay_alu instid0(VALU_DEP_1) | instskip(SKIP_1) | instid1(VALU_DEP_2)
	v_pk_fma_f32 v[106:107], v[102:103], v[100:101], v[104:105] op_sel_hi:[1,0,1]
	v_pk_fma_f32 v[100:101], v[102:103], v[100:101], v[104:105] neg_lo:[0,0,1] neg_hi:[0,0,1]
	v_mov_b32_e32 v101, v107
	s_cbranch_execz .LBB47_189
	s_branch .LBB47_190
.LBB47_188:
                                        ; implicit-def: $vgpr100_vgpr101
.LBB47_189:
	ds_load_b64 v[100:101], v1
.LBB47_190:
	s_and_saveexec_b32 s20, s1
	s_cbranch_execz .LBB47_194
; %bb.191:
	v_subrev_nc_u32_e32 v102, 29, v0
	s_movk_i32 s1, 0xe8
	s_movk_i32 s22, 0x268
	s_mov_b32 s21, 0
.LBB47_192:                             ; =>This Inner Loop Header: Depth=1
	scratch_load_b64 v[104:105], off, s1
	v_dual_mov_b32 v103, s22 :: v_dual_add_nc_u32 v102, -1, v102
	s_add_co_i32 s22, s22, 8
	s_wait_xcnt 0x0
	s_add_co_i32 s1, s1, 8
	ds_load_b64 v[106:107], v103
	v_cmp_eq_u32_e32 vcc_lo, 0, v102
	s_or_b32 s21, vcc_lo, s21
	s_wait_loadcnt_dscnt 0x0
	v_pk_mul_f32 v[108:109], v[106:107], v[104:105] op_sel:[1,1] op_sel_hi:[0,1]
	s_delay_alu instid0(VALU_DEP_1) | instskip(SKIP_1) | instid1(VALU_DEP_2)
	v_pk_fma_f32 v[110:111], v[106:107], v[104:105], v[108:109] op_sel_hi:[1,0,1]
	v_pk_fma_f32 v[104:105], v[106:107], v[104:105], v[108:109] neg_lo:[0,0,1] neg_hi:[0,0,1]
	v_mov_b32_e32 v105, v111
	s_delay_alu instid0(VALU_DEP_1)
	v_pk_add_f32 v[100:101], v[100:101], v[104:105]
	s_and_not1_b32 exec_lo, exec_lo, s21
	s_cbranch_execnz .LBB47_192
; %bb.193:
	s_or_b32 exec_lo, exec_lo, s21
.LBB47_194:
	s_delay_alu instid0(SALU_CYCLE_1) | instskip(SKIP_4) | instid1(VALU_DEP_1)
	s_or_b32 exec_lo, exec_lo, s20
	v_mov_b32_e32 v102, 0
	ds_load_b64 v[102:103], v102 offset:224
	s_wait_dscnt 0x0
	v_pk_mul_f32 v[104:105], v[100:101], v[102:103] op_sel:[1,1] op_sel_hi:[0,1]
	v_pk_fma_f32 v[106:107], v[100:101], v[102:103], v[104:105] op_sel_hi:[1,0,1]
	v_pk_fma_f32 v[100:101], v[100:101], v[102:103], v[104:105] neg_lo:[0,0,1] neg_hi:[0,0,1]
	s_delay_alu instid0(VALU_DEP_2)
	v_mov_b32_e32 v101, v107
	scratch_store_b64 off, v[100:101], off offset:224
.LBB47_195:
	s_wait_xcnt 0x0
	s_or_b32 exec_lo, exec_lo, s19
	scratch_load_b64 v[100:101], off, off offset:216
	v_cmp_lt_u32_e64 s1, 27, v0
	s_wait_loadcnt 0x0
	ds_store_b64 v1, v[100:101]
	s_wait_storecnt_dscnt 0x0
	s_barrier_signal -1
	s_barrier_wait -1
	s_wait_xcnt 0x0
	s_and_saveexec_b32 s19, s1
	s_cbranch_execz .LBB47_205
; %bb.196:
	s_and_not1_b32 vcc_lo, exec_lo, s3
	s_cbranch_vccnz .LBB47_198
; %bb.197:
	scratch_load_b64 v[100:101], v39, off
	ds_load_b64 v[102:103], v1
	s_wait_loadcnt_dscnt 0x0
	v_pk_mul_f32 v[104:105], v[102:103], v[100:101] op_sel:[1,1] op_sel_hi:[0,1]
	s_delay_alu instid0(VALU_DEP_1) | instskip(SKIP_1) | instid1(VALU_DEP_2)
	v_pk_fma_f32 v[106:107], v[102:103], v[100:101], v[104:105] op_sel_hi:[1,0,1]
	v_pk_fma_f32 v[100:101], v[102:103], v[100:101], v[104:105] neg_lo:[0,0,1] neg_hi:[0,0,1]
	v_mov_b32_e32 v101, v107
	s_cbranch_execz .LBB47_199
	s_branch .LBB47_200
.LBB47_198:
                                        ; implicit-def: $vgpr100_vgpr101
.LBB47_199:
	ds_load_b64 v[100:101], v1
.LBB47_200:
	s_and_saveexec_b32 s20, s0
	s_cbranch_execz .LBB47_204
; %bb.201:
	v_subrev_nc_u32_e32 v102, 28, v0
	s_movk_i32 s21, 0x260
	s_mov_b32 s0, 0
.LBB47_202:                             ; =>This Inner Loop Header: Depth=1
	scratch_load_b64 v[104:105], off, s18
	v_dual_mov_b32 v103, s21 :: v_dual_add_nc_u32 v102, -1, v102
	s_add_co_i32 s21, s21, 8
	s_wait_xcnt 0x0
	s_add_co_i32 s18, s18, 8
	ds_load_b64 v[106:107], v103
	v_cmp_eq_u32_e32 vcc_lo, 0, v102
	s_or_b32 s0, vcc_lo, s0
	s_wait_loadcnt_dscnt 0x0
	v_pk_mul_f32 v[108:109], v[106:107], v[104:105] op_sel:[1,1] op_sel_hi:[0,1]
	s_delay_alu instid0(VALU_DEP_1) | instskip(SKIP_1) | instid1(VALU_DEP_2)
	v_pk_fma_f32 v[110:111], v[106:107], v[104:105], v[108:109] op_sel_hi:[1,0,1]
	v_pk_fma_f32 v[104:105], v[106:107], v[104:105], v[108:109] neg_lo:[0,0,1] neg_hi:[0,0,1]
	v_mov_b32_e32 v105, v111
	s_delay_alu instid0(VALU_DEP_1)
	v_pk_add_f32 v[100:101], v[100:101], v[104:105]
	s_and_not1_b32 exec_lo, exec_lo, s0
	s_cbranch_execnz .LBB47_202
; %bb.203:
	s_or_b32 exec_lo, exec_lo, s0
.LBB47_204:
	s_delay_alu instid0(SALU_CYCLE_1) | instskip(SKIP_4) | instid1(VALU_DEP_1)
	s_or_b32 exec_lo, exec_lo, s20
	v_mov_b32_e32 v102, 0
	ds_load_b64 v[102:103], v102 offset:216
	s_wait_dscnt 0x0
	v_pk_mul_f32 v[104:105], v[100:101], v[102:103] op_sel:[1,1] op_sel_hi:[0,1]
	v_pk_fma_f32 v[106:107], v[100:101], v[102:103], v[104:105] op_sel_hi:[1,0,1]
	v_pk_fma_f32 v[100:101], v[100:101], v[102:103], v[104:105] neg_lo:[0,0,1] neg_hi:[0,0,1]
	s_delay_alu instid0(VALU_DEP_2)
	v_mov_b32_e32 v101, v107
	scratch_store_b64 off, v[100:101], off offset:216
.LBB47_205:
	s_wait_xcnt 0x0
	s_or_b32 exec_lo, exec_lo, s19
	scratch_load_b64 v[100:101], off, off offset:208
	v_cmp_lt_u32_e64 s0, 26, v0
	s_wait_loadcnt 0x0
	ds_store_b64 v1, v[100:101]
	s_wait_storecnt_dscnt 0x0
	s_barrier_signal -1
	s_barrier_wait -1
	s_wait_xcnt 0x0
	s_and_saveexec_b32 s18, s0
	s_cbranch_execz .LBB47_215
; %bb.206:
	s_and_not1_b32 vcc_lo, exec_lo, s3
	s_cbranch_vccnz .LBB47_208
; %bb.207:
	scratch_load_b64 v[100:101], v39, off
	ds_load_b64 v[102:103], v1
	s_wait_loadcnt_dscnt 0x0
	v_pk_mul_f32 v[104:105], v[102:103], v[100:101] op_sel:[1,1] op_sel_hi:[0,1]
	s_delay_alu instid0(VALU_DEP_1) | instskip(SKIP_1) | instid1(VALU_DEP_2)
	v_pk_fma_f32 v[106:107], v[102:103], v[100:101], v[104:105] op_sel_hi:[1,0,1]
	v_pk_fma_f32 v[100:101], v[102:103], v[100:101], v[104:105] neg_lo:[0,0,1] neg_hi:[0,0,1]
	v_mov_b32_e32 v101, v107
	s_cbranch_execz .LBB47_209
	s_branch .LBB47_210
.LBB47_208:
                                        ; implicit-def: $vgpr100_vgpr101
.LBB47_209:
	ds_load_b64 v[100:101], v1
.LBB47_210:
	s_and_saveexec_b32 s19, s1
	s_cbranch_execz .LBB47_214
; %bb.211:
	v_subrev_nc_u32_e32 v102, 27, v0
	s_movk_i32 s1, 0xd8
	s_movk_i32 s21, 0x258
	s_mov_b32 s20, 0
.LBB47_212:                             ; =>This Inner Loop Header: Depth=1
	scratch_load_b64 v[104:105], off, s1
	v_dual_mov_b32 v103, s21 :: v_dual_add_nc_u32 v102, -1, v102
	s_add_co_i32 s21, s21, 8
	s_wait_xcnt 0x0
	s_add_co_i32 s1, s1, 8
	ds_load_b64 v[106:107], v103
	v_cmp_eq_u32_e32 vcc_lo, 0, v102
	s_or_b32 s20, vcc_lo, s20
	s_wait_loadcnt_dscnt 0x0
	v_pk_mul_f32 v[108:109], v[106:107], v[104:105] op_sel:[1,1] op_sel_hi:[0,1]
	s_delay_alu instid0(VALU_DEP_1) | instskip(SKIP_1) | instid1(VALU_DEP_2)
	v_pk_fma_f32 v[110:111], v[106:107], v[104:105], v[108:109] op_sel_hi:[1,0,1]
	v_pk_fma_f32 v[104:105], v[106:107], v[104:105], v[108:109] neg_lo:[0,0,1] neg_hi:[0,0,1]
	v_mov_b32_e32 v105, v111
	s_delay_alu instid0(VALU_DEP_1)
	v_pk_add_f32 v[100:101], v[100:101], v[104:105]
	s_and_not1_b32 exec_lo, exec_lo, s20
	s_cbranch_execnz .LBB47_212
; %bb.213:
	s_or_b32 exec_lo, exec_lo, s20
.LBB47_214:
	s_delay_alu instid0(SALU_CYCLE_1) | instskip(SKIP_4) | instid1(VALU_DEP_1)
	s_or_b32 exec_lo, exec_lo, s19
	v_mov_b32_e32 v102, 0
	ds_load_b64 v[102:103], v102 offset:208
	s_wait_dscnt 0x0
	v_pk_mul_f32 v[104:105], v[100:101], v[102:103] op_sel:[1,1] op_sel_hi:[0,1]
	v_pk_fma_f32 v[106:107], v[100:101], v[102:103], v[104:105] op_sel_hi:[1,0,1]
	v_pk_fma_f32 v[100:101], v[100:101], v[102:103], v[104:105] neg_lo:[0,0,1] neg_hi:[0,0,1]
	s_delay_alu instid0(VALU_DEP_2)
	v_mov_b32_e32 v101, v107
	scratch_store_b64 off, v[100:101], off offset:208
.LBB47_215:
	s_wait_xcnt 0x0
	s_or_b32 exec_lo, exec_lo, s18
	scratch_load_b64 v[100:101], off, off offset:200
	v_cmp_lt_u32_e64 s1, 25, v0
	s_wait_loadcnt 0x0
	ds_store_b64 v1, v[100:101]
	s_wait_storecnt_dscnt 0x0
	s_barrier_signal -1
	s_barrier_wait -1
	s_wait_xcnt 0x0
	s_and_saveexec_b32 s18, s1
	s_cbranch_execz .LBB47_225
; %bb.216:
	s_and_not1_b32 vcc_lo, exec_lo, s3
	s_cbranch_vccnz .LBB47_218
; %bb.217:
	scratch_load_b64 v[100:101], v39, off
	ds_load_b64 v[102:103], v1
	s_wait_loadcnt_dscnt 0x0
	v_pk_mul_f32 v[104:105], v[102:103], v[100:101] op_sel:[1,1] op_sel_hi:[0,1]
	s_delay_alu instid0(VALU_DEP_1) | instskip(SKIP_1) | instid1(VALU_DEP_2)
	v_pk_fma_f32 v[106:107], v[102:103], v[100:101], v[104:105] op_sel_hi:[1,0,1]
	v_pk_fma_f32 v[100:101], v[102:103], v[100:101], v[104:105] neg_lo:[0,0,1] neg_hi:[0,0,1]
	v_mov_b32_e32 v101, v107
	s_cbranch_execz .LBB47_219
	s_branch .LBB47_220
.LBB47_218:
                                        ; implicit-def: $vgpr100_vgpr101
.LBB47_219:
	ds_load_b64 v[100:101], v1
.LBB47_220:
	s_and_saveexec_b32 s19, s0
	s_cbranch_execz .LBB47_224
; %bb.221:
	v_subrev_nc_u32_e32 v102, 26, v0
	s_movk_i32 s20, 0x250
	s_mov_b32 s0, 0
.LBB47_222:                             ; =>This Inner Loop Header: Depth=1
	scratch_load_b64 v[104:105], off, s17
	v_dual_mov_b32 v103, s20 :: v_dual_add_nc_u32 v102, -1, v102
	s_add_co_i32 s20, s20, 8
	s_wait_xcnt 0x0
	s_add_co_i32 s17, s17, 8
	ds_load_b64 v[106:107], v103
	v_cmp_eq_u32_e32 vcc_lo, 0, v102
	s_or_b32 s0, vcc_lo, s0
	s_wait_loadcnt_dscnt 0x0
	v_pk_mul_f32 v[108:109], v[106:107], v[104:105] op_sel:[1,1] op_sel_hi:[0,1]
	s_delay_alu instid0(VALU_DEP_1) | instskip(SKIP_1) | instid1(VALU_DEP_2)
	v_pk_fma_f32 v[110:111], v[106:107], v[104:105], v[108:109] op_sel_hi:[1,0,1]
	v_pk_fma_f32 v[104:105], v[106:107], v[104:105], v[108:109] neg_lo:[0,0,1] neg_hi:[0,0,1]
	v_mov_b32_e32 v105, v111
	s_delay_alu instid0(VALU_DEP_1)
	v_pk_add_f32 v[100:101], v[100:101], v[104:105]
	s_and_not1_b32 exec_lo, exec_lo, s0
	s_cbranch_execnz .LBB47_222
; %bb.223:
	s_or_b32 exec_lo, exec_lo, s0
.LBB47_224:
	s_delay_alu instid0(SALU_CYCLE_1) | instskip(SKIP_4) | instid1(VALU_DEP_1)
	s_or_b32 exec_lo, exec_lo, s19
	v_mov_b32_e32 v102, 0
	ds_load_b64 v[102:103], v102 offset:200
	s_wait_dscnt 0x0
	v_pk_mul_f32 v[104:105], v[100:101], v[102:103] op_sel:[1,1] op_sel_hi:[0,1]
	v_pk_fma_f32 v[106:107], v[100:101], v[102:103], v[104:105] op_sel_hi:[1,0,1]
	v_pk_fma_f32 v[100:101], v[100:101], v[102:103], v[104:105] neg_lo:[0,0,1] neg_hi:[0,0,1]
	s_delay_alu instid0(VALU_DEP_2)
	v_mov_b32_e32 v101, v107
	scratch_store_b64 off, v[100:101], off offset:200
.LBB47_225:
	s_wait_xcnt 0x0
	s_or_b32 exec_lo, exec_lo, s18
	scratch_load_b64 v[100:101], off, off offset:192
	v_cmp_lt_u32_e64 s0, 24, v0
	s_wait_loadcnt 0x0
	ds_store_b64 v1, v[100:101]
	s_wait_storecnt_dscnt 0x0
	s_barrier_signal -1
	s_barrier_wait -1
	s_wait_xcnt 0x0
	s_and_saveexec_b32 s17, s0
	s_cbranch_execz .LBB47_235
; %bb.226:
	s_and_not1_b32 vcc_lo, exec_lo, s3
	s_cbranch_vccnz .LBB47_228
; %bb.227:
	scratch_load_b64 v[100:101], v39, off
	ds_load_b64 v[102:103], v1
	s_wait_loadcnt_dscnt 0x0
	v_pk_mul_f32 v[104:105], v[102:103], v[100:101] op_sel:[1,1] op_sel_hi:[0,1]
	s_delay_alu instid0(VALU_DEP_1) | instskip(SKIP_1) | instid1(VALU_DEP_2)
	v_pk_fma_f32 v[106:107], v[102:103], v[100:101], v[104:105] op_sel_hi:[1,0,1]
	v_pk_fma_f32 v[100:101], v[102:103], v[100:101], v[104:105] neg_lo:[0,0,1] neg_hi:[0,0,1]
	v_mov_b32_e32 v101, v107
	s_cbranch_execz .LBB47_229
	s_branch .LBB47_230
.LBB47_228:
                                        ; implicit-def: $vgpr100_vgpr101
.LBB47_229:
	ds_load_b64 v[100:101], v1
.LBB47_230:
	s_and_saveexec_b32 s18, s1
	s_cbranch_execz .LBB47_234
; %bb.231:
	v_subrev_nc_u32_e32 v102, 25, v0
	s_movk_i32 s1, 0xc8
	s_movk_i32 s20, 0x248
	s_mov_b32 s19, 0
.LBB47_232:                             ; =>This Inner Loop Header: Depth=1
	scratch_load_b64 v[104:105], off, s1
	v_dual_mov_b32 v103, s20 :: v_dual_add_nc_u32 v102, -1, v102
	s_add_co_i32 s20, s20, 8
	s_wait_xcnt 0x0
	s_add_co_i32 s1, s1, 8
	ds_load_b64 v[106:107], v103
	v_cmp_eq_u32_e32 vcc_lo, 0, v102
	s_or_b32 s19, vcc_lo, s19
	s_wait_loadcnt_dscnt 0x0
	v_pk_mul_f32 v[108:109], v[106:107], v[104:105] op_sel:[1,1] op_sel_hi:[0,1]
	s_delay_alu instid0(VALU_DEP_1) | instskip(SKIP_1) | instid1(VALU_DEP_2)
	v_pk_fma_f32 v[110:111], v[106:107], v[104:105], v[108:109] op_sel_hi:[1,0,1]
	v_pk_fma_f32 v[104:105], v[106:107], v[104:105], v[108:109] neg_lo:[0,0,1] neg_hi:[0,0,1]
	v_mov_b32_e32 v105, v111
	s_delay_alu instid0(VALU_DEP_1)
	v_pk_add_f32 v[100:101], v[100:101], v[104:105]
	s_and_not1_b32 exec_lo, exec_lo, s19
	s_cbranch_execnz .LBB47_232
; %bb.233:
	s_or_b32 exec_lo, exec_lo, s19
.LBB47_234:
	s_delay_alu instid0(SALU_CYCLE_1) | instskip(SKIP_4) | instid1(VALU_DEP_1)
	s_or_b32 exec_lo, exec_lo, s18
	v_mov_b32_e32 v102, 0
	ds_load_b64 v[102:103], v102 offset:192
	s_wait_dscnt 0x0
	v_pk_mul_f32 v[104:105], v[100:101], v[102:103] op_sel:[1,1] op_sel_hi:[0,1]
	v_pk_fma_f32 v[106:107], v[100:101], v[102:103], v[104:105] op_sel_hi:[1,0,1]
	v_pk_fma_f32 v[100:101], v[100:101], v[102:103], v[104:105] neg_lo:[0,0,1] neg_hi:[0,0,1]
	s_delay_alu instid0(VALU_DEP_2)
	v_mov_b32_e32 v101, v107
	scratch_store_b64 off, v[100:101], off offset:192
.LBB47_235:
	s_wait_xcnt 0x0
	s_or_b32 exec_lo, exec_lo, s17
	scratch_load_b64 v[100:101], off, off offset:184
	v_cmp_lt_u32_e64 s1, 23, v0
	s_wait_loadcnt 0x0
	ds_store_b64 v1, v[100:101]
	s_wait_storecnt_dscnt 0x0
	s_barrier_signal -1
	s_barrier_wait -1
	s_wait_xcnt 0x0
	s_and_saveexec_b32 s17, s1
	s_cbranch_execz .LBB47_245
; %bb.236:
	s_and_not1_b32 vcc_lo, exec_lo, s3
	s_cbranch_vccnz .LBB47_238
; %bb.237:
	scratch_load_b64 v[100:101], v39, off
	ds_load_b64 v[102:103], v1
	s_wait_loadcnt_dscnt 0x0
	v_pk_mul_f32 v[104:105], v[102:103], v[100:101] op_sel:[1,1] op_sel_hi:[0,1]
	s_delay_alu instid0(VALU_DEP_1) | instskip(SKIP_1) | instid1(VALU_DEP_2)
	v_pk_fma_f32 v[106:107], v[102:103], v[100:101], v[104:105] op_sel_hi:[1,0,1]
	v_pk_fma_f32 v[100:101], v[102:103], v[100:101], v[104:105] neg_lo:[0,0,1] neg_hi:[0,0,1]
	v_mov_b32_e32 v101, v107
	s_cbranch_execz .LBB47_239
	s_branch .LBB47_240
.LBB47_238:
                                        ; implicit-def: $vgpr100_vgpr101
.LBB47_239:
	ds_load_b64 v[100:101], v1
.LBB47_240:
	s_and_saveexec_b32 s18, s0
	s_cbranch_execz .LBB47_244
; %bb.241:
	v_subrev_nc_u32_e32 v102, 24, v0
	s_movk_i32 s19, 0x240
	s_mov_b32 s0, 0
.LBB47_242:                             ; =>This Inner Loop Header: Depth=1
	scratch_load_b64 v[104:105], off, s16
	v_dual_mov_b32 v103, s19 :: v_dual_add_nc_u32 v102, -1, v102
	s_add_co_i32 s19, s19, 8
	s_wait_xcnt 0x0
	s_add_co_i32 s16, s16, 8
	ds_load_b64 v[106:107], v103
	v_cmp_eq_u32_e32 vcc_lo, 0, v102
	s_or_b32 s0, vcc_lo, s0
	s_wait_loadcnt_dscnt 0x0
	v_pk_mul_f32 v[108:109], v[106:107], v[104:105] op_sel:[1,1] op_sel_hi:[0,1]
	s_delay_alu instid0(VALU_DEP_1) | instskip(SKIP_1) | instid1(VALU_DEP_2)
	v_pk_fma_f32 v[110:111], v[106:107], v[104:105], v[108:109] op_sel_hi:[1,0,1]
	v_pk_fma_f32 v[104:105], v[106:107], v[104:105], v[108:109] neg_lo:[0,0,1] neg_hi:[0,0,1]
	v_mov_b32_e32 v105, v111
	s_delay_alu instid0(VALU_DEP_1)
	v_pk_add_f32 v[100:101], v[100:101], v[104:105]
	s_and_not1_b32 exec_lo, exec_lo, s0
	s_cbranch_execnz .LBB47_242
; %bb.243:
	s_or_b32 exec_lo, exec_lo, s0
.LBB47_244:
	s_delay_alu instid0(SALU_CYCLE_1) | instskip(SKIP_4) | instid1(VALU_DEP_1)
	s_or_b32 exec_lo, exec_lo, s18
	v_mov_b32_e32 v102, 0
	ds_load_b64 v[102:103], v102 offset:184
	s_wait_dscnt 0x0
	v_pk_mul_f32 v[104:105], v[100:101], v[102:103] op_sel:[1,1] op_sel_hi:[0,1]
	v_pk_fma_f32 v[106:107], v[100:101], v[102:103], v[104:105] op_sel_hi:[1,0,1]
	v_pk_fma_f32 v[100:101], v[100:101], v[102:103], v[104:105] neg_lo:[0,0,1] neg_hi:[0,0,1]
	s_delay_alu instid0(VALU_DEP_2)
	v_mov_b32_e32 v101, v107
	scratch_store_b64 off, v[100:101], off offset:184
.LBB47_245:
	s_wait_xcnt 0x0
	s_or_b32 exec_lo, exec_lo, s17
	scratch_load_b64 v[100:101], off, off offset:176
	v_cmp_lt_u32_e64 s0, 22, v0
	s_wait_loadcnt 0x0
	ds_store_b64 v1, v[100:101]
	s_wait_storecnt_dscnt 0x0
	s_barrier_signal -1
	s_barrier_wait -1
	s_wait_xcnt 0x0
	s_and_saveexec_b32 s16, s0
	s_cbranch_execz .LBB47_255
; %bb.246:
	s_and_not1_b32 vcc_lo, exec_lo, s3
	s_cbranch_vccnz .LBB47_248
; %bb.247:
	scratch_load_b64 v[100:101], v39, off
	ds_load_b64 v[102:103], v1
	s_wait_loadcnt_dscnt 0x0
	v_pk_mul_f32 v[104:105], v[102:103], v[100:101] op_sel:[1,1] op_sel_hi:[0,1]
	s_delay_alu instid0(VALU_DEP_1) | instskip(SKIP_1) | instid1(VALU_DEP_2)
	v_pk_fma_f32 v[106:107], v[102:103], v[100:101], v[104:105] op_sel_hi:[1,0,1]
	v_pk_fma_f32 v[100:101], v[102:103], v[100:101], v[104:105] neg_lo:[0,0,1] neg_hi:[0,0,1]
	v_mov_b32_e32 v101, v107
	s_cbranch_execz .LBB47_249
	s_branch .LBB47_250
.LBB47_248:
                                        ; implicit-def: $vgpr100_vgpr101
.LBB47_249:
	ds_load_b64 v[100:101], v1
.LBB47_250:
	s_and_saveexec_b32 s17, s1
	s_cbranch_execz .LBB47_254
; %bb.251:
	v_subrev_nc_u32_e32 v102, 23, v0
	s_movk_i32 s1, 0xb8
	s_movk_i32 s19, 0x238
	s_mov_b32 s18, 0
.LBB47_252:                             ; =>This Inner Loop Header: Depth=1
	scratch_load_b64 v[104:105], off, s1
	v_dual_mov_b32 v103, s19 :: v_dual_add_nc_u32 v102, -1, v102
	s_add_co_i32 s19, s19, 8
	s_wait_xcnt 0x0
	s_add_co_i32 s1, s1, 8
	ds_load_b64 v[106:107], v103
	v_cmp_eq_u32_e32 vcc_lo, 0, v102
	s_or_b32 s18, vcc_lo, s18
	s_wait_loadcnt_dscnt 0x0
	v_pk_mul_f32 v[108:109], v[106:107], v[104:105] op_sel:[1,1] op_sel_hi:[0,1]
	s_delay_alu instid0(VALU_DEP_1) | instskip(SKIP_1) | instid1(VALU_DEP_2)
	v_pk_fma_f32 v[110:111], v[106:107], v[104:105], v[108:109] op_sel_hi:[1,0,1]
	v_pk_fma_f32 v[104:105], v[106:107], v[104:105], v[108:109] neg_lo:[0,0,1] neg_hi:[0,0,1]
	v_mov_b32_e32 v105, v111
	s_delay_alu instid0(VALU_DEP_1)
	v_pk_add_f32 v[100:101], v[100:101], v[104:105]
	s_and_not1_b32 exec_lo, exec_lo, s18
	s_cbranch_execnz .LBB47_252
; %bb.253:
	s_or_b32 exec_lo, exec_lo, s18
.LBB47_254:
	s_delay_alu instid0(SALU_CYCLE_1) | instskip(SKIP_4) | instid1(VALU_DEP_1)
	s_or_b32 exec_lo, exec_lo, s17
	v_mov_b32_e32 v102, 0
	ds_load_b64 v[102:103], v102 offset:176
	s_wait_dscnt 0x0
	v_pk_mul_f32 v[104:105], v[100:101], v[102:103] op_sel:[1,1] op_sel_hi:[0,1]
	v_pk_fma_f32 v[106:107], v[100:101], v[102:103], v[104:105] op_sel_hi:[1,0,1]
	v_pk_fma_f32 v[100:101], v[100:101], v[102:103], v[104:105] neg_lo:[0,0,1] neg_hi:[0,0,1]
	s_delay_alu instid0(VALU_DEP_2)
	v_mov_b32_e32 v101, v107
	scratch_store_b64 off, v[100:101], off offset:176
.LBB47_255:
	s_wait_xcnt 0x0
	s_or_b32 exec_lo, exec_lo, s16
	scratch_load_b64 v[100:101], off, off offset:168
	v_cmp_lt_u32_e64 s1, 21, v0
	s_wait_loadcnt 0x0
	ds_store_b64 v1, v[100:101]
	s_wait_storecnt_dscnt 0x0
	s_barrier_signal -1
	s_barrier_wait -1
	s_wait_xcnt 0x0
	s_and_saveexec_b32 s16, s1
	s_cbranch_execz .LBB47_265
; %bb.256:
	s_and_not1_b32 vcc_lo, exec_lo, s3
	s_cbranch_vccnz .LBB47_258
; %bb.257:
	scratch_load_b64 v[100:101], v39, off
	ds_load_b64 v[102:103], v1
	s_wait_loadcnt_dscnt 0x0
	v_pk_mul_f32 v[104:105], v[102:103], v[100:101] op_sel:[1,1] op_sel_hi:[0,1]
	s_delay_alu instid0(VALU_DEP_1) | instskip(SKIP_1) | instid1(VALU_DEP_2)
	v_pk_fma_f32 v[106:107], v[102:103], v[100:101], v[104:105] op_sel_hi:[1,0,1]
	v_pk_fma_f32 v[100:101], v[102:103], v[100:101], v[104:105] neg_lo:[0,0,1] neg_hi:[0,0,1]
	v_mov_b32_e32 v101, v107
	s_cbranch_execz .LBB47_259
	s_branch .LBB47_260
.LBB47_258:
                                        ; implicit-def: $vgpr100_vgpr101
.LBB47_259:
	ds_load_b64 v[100:101], v1
.LBB47_260:
	s_and_saveexec_b32 s17, s0
	s_cbranch_execz .LBB47_264
; %bb.261:
	v_subrev_nc_u32_e32 v102, 22, v0
	s_movk_i32 s18, 0x230
	s_mov_b32 s0, 0
.LBB47_262:                             ; =>This Inner Loop Header: Depth=1
	scratch_load_b64 v[104:105], off, s15
	v_dual_mov_b32 v103, s18 :: v_dual_add_nc_u32 v102, -1, v102
	s_add_co_i32 s18, s18, 8
	s_wait_xcnt 0x0
	s_add_co_i32 s15, s15, 8
	ds_load_b64 v[106:107], v103
	v_cmp_eq_u32_e32 vcc_lo, 0, v102
	s_or_b32 s0, vcc_lo, s0
	s_wait_loadcnt_dscnt 0x0
	v_pk_mul_f32 v[108:109], v[106:107], v[104:105] op_sel:[1,1] op_sel_hi:[0,1]
	s_delay_alu instid0(VALU_DEP_1) | instskip(SKIP_1) | instid1(VALU_DEP_2)
	v_pk_fma_f32 v[110:111], v[106:107], v[104:105], v[108:109] op_sel_hi:[1,0,1]
	v_pk_fma_f32 v[104:105], v[106:107], v[104:105], v[108:109] neg_lo:[0,0,1] neg_hi:[0,0,1]
	v_mov_b32_e32 v105, v111
	s_delay_alu instid0(VALU_DEP_1)
	v_pk_add_f32 v[100:101], v[100:101], v[104:105]
	s_and_not1_b32 exec_lo, exec_lo, s0
	s_cbranch_execnz .LBB47_262
; %bb.263:
	s_or_b32 exec_lo, exec_lo, s0
.LBB47_264:
	s_delay_alu instid0(SALU_CYCLE_1) | instskip(SKIP_4) | instid1(VALU_DEP_1)
	s_or_b32 exec_lo, exec_lo, s17
	v_mov_b32_e32 v102, 0
	ds_load_b64 v[102:103], v102 offset:168
	s_wait_dscnt 0x0
	v_pk_mul_f32 v[104:105], v[100:101], v[102:103] op_sel:[1,1] op_sel_hi:[0,1]
	v_pk_fma_f32 v[106:107], v[100:101], v[102:103], v[104:105] op_sel_hi:[1,0,1]
	v_pk_fma_f32 v[100:101], v[100:101], v[102:103], v[104:105] neg_lo:[0,0,1] neg_hi:[0,0,1]
	s_delay_alu instid0(VALU_DEP_2)
	v_mov_b32_e32 v101, v107
	scratch_store_b64 off, v[100:101], off offset:168
.LBB47_265:
	s_wait_xcnt 0x0
	s_or_b32 exec_lo, exec_lo, s16
	scratch_load_b64 v[100:101], off, off offset:160
	v_cmp_lt_u32_e64 s0, 20, v0
	s_wait_loadcnt 0x0
	ds_store_b64 v1, v[100:101]
	s_wait_storecnt_dscnt 0x0
	s_barrier_signal -1
	s_barrier_wait -1
	s_wait_xcnt 0x0
	s_and_saveexec_b32 s15, s0
	s_cbranch_execz .LBB47_275
; %bb.266:
	s_and_not1_b32 vcc_lo, exec_lo, s3
	s_cbranch_vccnz .LBB47_268
; %bb.267:
	scratch_load_b64 v[100:101], v39, off
	ds_load_b64 v[102:103], v1
	s_wait_loadcnt_dscnt 0x0
	v_pk_mul_f32 v[104:105], v[102:103], v[100:101] op_sel:[1,1] op_sel_hi:[0,1]
	s_delay_alu instid0(VALU_DEP_1) | instskip(SKIP_1) | instid1(VALU_DEP_2)
	v_pk_fma_f32 v[106:107], v[102:103], v[100:101], v[104:105] op_sel_hi:[1,0,1]
	v_pk_fma_f32 v[100:101], v[102:103], v[100:101], v[104:105] neg_lo:[0,0,1] neg_hi:[0,0,1]
	v_mov_b32_e32 v101, v107
	s_cbranch_execz .LBB47_269
	s_branch .LBB47_270
.LBB47_268:
                                        ; implicit-def: $vgpr100_vgpr101
.LBB47_269:
	ds_load_b64 v[100:101], v1
.LBB47_270:
	s_and_saveexec_b32 s16, s1
	s_cbranch_execz .LBB47_274
; %bb.271:
	v_subrev_nc_u32_e32 v102, 21, v0
	s_movk_i32 s1, 0xa8
	s_movk_i32 s18, 0x228
	s_mov_b32 s17, 0
.LBB47_272:                             ; =>This Inner Loop Header: Depth=1
	scratch_load_b64 v[104:105], off, s1
	v_dual_mov_b32 v103, s18 :: v_dual_add_nc_u32 v102, -1, v102
	s_add_co_i32 s18, s18, 8
	s_wait_xcnt 0x0
	s_add_co_i32 s1, s1, 8
	ds_load_b64 v[106:107], v103
	v_cmp_eq_u32_e32 vcc_lo, 0, v102
	s_or_b32 s17, vcc_lo, s17
	s_wait_loadcnt_dscnt 0x0
	v_pk_mul_f32 v[108:109], v[106:107], v[104:105] op_sel:[1,1] op_sel_hi:[0,1]
	s_delay_alu instid0(VALU_DEP_1) | instskip(SKIP_1) | instid1(VALU_DEP_2)
	v_pk_fma_f32 v[110:111], v[106:107], v[104:105], v[108:109] op_sel_hi:[1,0,1]
	v_pk_fma_f32 v[104:105], v[106:107], v[104:105], v[108:109] neg_lo:[0,0,1] neg_hi:[0,0,1]
	v_mov_b32_e32 v105, v111
	s_delay_alu instid0(VALU_DEP_1)
	v_pk_add_f32 v[100:101], v[100:101], v[104:105]
	s_and_not1_b32 exec_lo, exec_lo, s17
	s_cbranch_execnz .LBB47_272
; %bb.273:
	s_or_b32 exec_lo, exec_lo, s17
.LBB47_274:
	s_delay_alu instid0(SALU_CYCLE_1) | instskip(SKIP_4) | instid1(VALU_DEP_1)
	s_or_b32 exec_lo, exec_lo, s16
	v_mov_b32_e32 v102, 0
	ds_load_b64 v[102:103], v102 offset:160
	s_wait_dscnt 0x0
	v_pk_mul_f32 v[104:105], v[100:101], v[102:103] op_sel:[1,1] op_sel_hi:[0,1]
	v_pk_fma_f32 v[106:107], v[100:101], v[102:103], v[104:105] op_sel_hi:[1,0,1]
	v_pk_fma_f32 v[100:101], v[100:101], v[102:103], v[104:105] neg_lo:[0,0,1] neg_hi:[0,0,1]
	s_delay_alu instid0(VALU_DEP_2)
	v_mov_b32_e32 v101, v107
	scratch_store_b64 off, v[100:101], off offset:160
.LBB47_275:
	s_wait_xcnt 0x0
	s_or_b32 exec_lo, exec_lo, s15
	scratch_load_b64 v[100:101], off, off offset:152
	v_cmp_lt_u32_e64 s1, 19, v0
	s_wait_loadcnt 0x0
	ds_store_b64 v1, v[100:101]
	s_wait_storecnt_dscnt 0x0
	s_barrier_signal -1
	s_barrier_wait -1
	s_wait_xcnt 0x0
	s_and_saveexec_b32 s15, s1
	s_cbranch_execz .LBB47_285
; %bb.276:
	s_and_not1_b32 vcc_lo, exec_lo, s3
	s_cbranch_vccnz .LBB47_278
; %bb.277:
	scratch_load_b64 v[100:101], v39, off
	ds_load_b64 v[102:103], v1
	s_wait_loadcnt_dscnt 0x0
	v_pk_mul_f32 v[104:105], v[102:103], v[100:101] op_sel:[1,1] op_sel_hi:[0,1]
	s_delay_alu instid0(VALU_DEP_1) | instskip(SKIP_1) | instid1(VALU_DEP_2)
	v_pk_fma_f32 v[106:107], v[102:103], v[100:101], v[104:105] op_sel_hi:[1,0,1]
	v_pk_fma_f32 v[100:101], v[102:103], v[100:101], v[104:105] neg_lo:[0,0,1] neg_hi:[0,0,1]
	v_mov_b32_e32 v101, v107
	s_cbranch_execz .LBB47_279
	s_branch .LBB47_280
.LBB47_278:
                                        ; implicit-def: $vgpr100_vgpr101
.LBB47_279:
	ds_load_b64 v[100:101], v1
.LBB47_280:
	s_and_saveexec_b32 s16, s0
	s_cbranch_execz .LBB47_284
; %bb.281:
	v_subrev_nc_u32_e32 v102, 20, v0
	s_movk_i32 s17, 0x220
	s_mov_b32 s0, 0
.LBB47_282:                             ; =>This Inner Loop Header: Depth=1
	scratch_load_b64 v[104:105], off, s14
	v_dual_mov_b32 v103, s17 :: v_dual_add_nc_u32 v102, -1, v102
	s_add_co_i32 s17, s17, 8
	s_wait_xcnt 0x0
	s_add_co_i32 s14, s14, 8
	ds_load_b64 v[106:107], v103
	v_cmp_eq_u32_e32 vcc_lo, 0, v102
	s_or_b32 s0, vcc_lo, s0
	s_wait_loadcnt_dscnt 0x0
	v_pk_mul_f32 v[108:109], v[106:107], v[104:105] op_sel:[1,1] op_sel_hi:[0,1]
	s_delay_alu instid0(VALU_DEP_1) | instskip(SKIP_1) | instid1(VALU_DEP_2)
	v_pk_fma_f32 v[110:111], v[106:107], v[104:105], v[108:109] op_sel_hi:[1,0,1]
	v_pk_fma_f32 v[104:105], v[106:107], v[104:105], v[108:109] neg_lo:[0,0,1] neg_hi:[0,0,1]
	v_mov_b32_e32 v105, v111
	s_delay_alu instid0(VALU_DEP_1)
	v_pk_add_f32 v[100:101], v[100:101], v[104:105]
	s_and_not1_b32 exec_lo, exec_lo, s0
	s_cbranch_execnz .LBB47_282
; %bb.283:
	s_or_b32 exec_lo, exec_lo, s0
.LBB47_284:
	s_delay_alu instid0(SALU_CYCLE_1) | instskip(SKIP_4) | instid1(VALU_DEP_1)
	s_or_b32 exec_lo, exec_lo, s16
	v_mov_b32_e32 v102, 0
	ds_load_b64 v[102:103], v102 offset:152
	s_wait_dscnt 0x0
	v_pk_mul_f32 v[104:105], v[100:101], v[102:103] op_sel:[1,1] op_sel_hi:[0,1]
	v_pk_fma_f32 v[106:107], v[100:101], v[102:103], v[104:105] op_sel_hi:[1,0,1]
	v_pk_fma_f32 v[100:101], v[100:101], v[102:103], v[104:105] neg_lo:[0,0,1] neg_hi:[0,0,1]
	s_delay_alu instid0(VALU_DEP_2)
	v_mov_b32_e32 v101, v107
	scratch_store_b64 off, v[100:101], off offset:152
.LBB47_285:
	s_wait_xcnt 0x0
	s_or_b32 exec_lo, exec_lo, s15
	scratch_load_b64 v[100:101], off, off offset:144
	v_cmp_lt_u32_e64 s0, 18, v0
	s_wait_loadcnt 0x0
	ds_store_b64 v1, v[100:101]
	s_wait_storecnt_dscnt 0x0
	s_barrier_signal -1
	s_barrier_wait -1
	s_wait_xcnt 0x0
	s_and_saveexec_b32 s14, s0
	s_cbranch_execz .LBB47_295
; %bb.286:
	s_and_not1_b32 vcc_lo, exec_lo, s3
	s_cbranch_vccnz .LBB47_288
; %bb.287:
	scratch_load_b64 v[100:101], v39, off
	ds_load_b64 v[102:103], v1
	s_wait_loadcnt_dscnt 0x0
	v_pk_mul_f32 v[104:105], v[102:103], v[100:101] op_sel:[1,1] op_sel_hi:[0,1]
	s_delay_alu instid0(VALU_DEP_1) | instskip(SKIP_1) | instid1(VALU_DEP_2)
	v_pk_fma_f32 v[106:107], v[102:103], v[100:101], v[104:105] op_sel_hi:[1,0,1]
	v_pk_fma_f32 v[100:101], v[102:103], v[100:101], v[104:105] neg_lo:[0,0,1] neg_hi:[0,0,1]
	v_mov_b32_e32 v101, v107
	s_cbranch_execz .LBB47_289
	s_branch .LBB47_290
.LBB47_288:
                                        ; implicit-def: $vgpr100_vgpr101
.LBB47_289:
	ds_load_b64 v[100:101], v1
.LBB47_290:
	s_and_saveexec_b32 s15, s1
	s_cbranch_execz .LBB47_294
; %bb.291:
	v_subrev_nc_u32_e32 v102, 19, v0
	s_movk_i32 s1, 0x98
	s_movk_i32 s17, 0x218
	s_mov_b32 s16, 0
.LBB47_292:                             ; =>This Inner Loop Header: Depth=1
	scratch_load_b64 v[104:105], off, s1
	v_dual_mov_b32 v103, s17 :: v_dual_add_nc_u32 v102, -1, v102
	s_add_co_i32 s17, s17, 8
	s_wait_xcnt 0x0
	s_add_co_i32 s1, s1, 8
	ds_load_b64 v[106:107], v103
	v_cmp_eq_u32_e32 vcc_lo, 0, v102
	s_or_b32 s16, vcc_lo, s16
	s_wait_loadcnt_dscnt 0x0
	v_pk_mul_f32 v[108:109], v[106:107], v[104:105] op_sel:[1,1] op_sel_hi:[0,1]
	s_delay_alu instid0(VALU_DEP_1) | instskip(SKIP_1) | instid1(VALU_DEP_2)
	v_pk_fma_f32 v[110:111], v[106:107], v[104:105], v[108:109] op_sel_hi:[1,0,1]
	v_pk_fma_f32 v[104:105], v[106:107], v[104:105], v[108:109] neg_lo:[0,0,1] neg_hi:[0,0,1]
	v_mov_b32_e32 v105, v111
	s_delay_alu instid0(VALU_DEP_1)
	v_pk_add_f32 v[100:101], v[100:101], v[104:105]
	s_and_not1_b32 exec_lo, exec_lo, s16
	s_cbranch_execnz .LBB47_292
; %bb.293:
	s_or_b32 exec_lo, exec_lo, s16
.LBB47_294:
	s_delay_alu instid0(SALU_CYCLE_1) | instskip(SKIP_4) | instid1(VALU_DEP_1)
	s_or_b32 exec_lo, exec_lo, s15
	v_mov_b32_e32 v102, 0
	ds_load_b64 v[102:103], v102 offset:144
	s_wait_dscnt 0x0
	v_pk_mul_f32 v[104:105], v[100:101], v[102:103] op_sel:[1,1] op_sel_hi:[0,1]
	v_pk_fma_f32 v[106:107], v[100:101], v[102:103], v[104:105] op_sel_hi:[1,0,1]
	v_pk_fma_f32 v[100:101], v[100:101], v[102:103], v[104:105] neg_lo:[0,0,1] neg_hi:[0,0,1]
	s_delay_alu instid0(VALU_DEP_2)
	v_mov_b32_e32 v101, v107
	scratch_store_b64 off, v[100:101], off offset:144
.LBB47_295:
	s_wait_xcnt 0x0
	s_or_b32 exec_lo, exec_lo, s14
	scratch_load_b64 v[100:101], off, off offset:136
	v_cmp_lt_u32_e64 s1, 17, v0
	s_wait_loadcnt 0x0
	ds_store_b64 v1, v[100:101]
	s_wait_storecnt_dscnt 0x0
	s_barrier_signal -1
	s_barrier_wait -1
	s_wait_xcnt 0x0
	s_and_saveexec_b32 s14, s1
	s_cbranch_execz .LBB47_305
; %bb.296:
	s_and_not1_b32 vcc_lo, exec_lo, s3
	s_cbranch_vccnz .LBB47_298
; %bb.297:
	scratch_load_b64 v[100:101], v39, off
	ds_load_b64 v[102:103], v1
	s_wait_loadcnt_dscnt 0x0
	v_pk_mul_f32 v[104:105], v[102:103], v[100:101] op_sel:[1,1] op_sel_hi:[0,1]
	s_delay_alu instid0(VALU_DEP_1) | instskip(SKIP_1) | instid1(VALU_DEP_2)
	v_pk_fma_f32 v[106:107], v[102:103], v[100:101], v[104:105] op_sel_hi:[1,0,1]
	v_pk_fma_f32 v[100:101], v[102:103], v[100:101], v[104:105] neg_lo:[0,0,1] neg_hi:[0,0,1]
	v_mov_b32_e32 v101, v107
	s_cbranch_execz .LBB47_299
	s_branch .LBB47_300
.LBB47_298:
                                        ; implicit-def: $vgpr100_vgpr101
.LBB47_299:
	ds_load_b64 v[100:101], v1
.LBB47_300:
	s_and_saveexec_b32 s15, s0
	s_cbranch_execz .LBB47_304
; %bb.301:
	v_subrev_nc_u32_e32 v102, 18, v0
	s_movk_i32 s16, 0x210
	s_mov_b32 s0, 0
.LBB47_302:                             ; =>This Inner Loop Header: Depth=1
	scratch_load_b64 v[104:105], off, s13
	v_dual_mov_b32 v103, s16 :: v_dual_add_nc_u32 v102, -1, v102
	s_add_co_i32 s16, s16, 8
	s_wait_xcnt 0x0
	s_add_co_i32 s13, s13, 8
	ds_load_b64 v[106:107], v103
	v_cmp_eq_u32_e32 vcc_lo, 0, v102
	s_or_b32 s0, vcc_lo, s0
	s_wait_loadcnt_dscnt 0x0
	v_pk_mul_f32 v[108:109], v[106:107], v[104:105] op_sel:[1,1] op_sel_hi:[0,1]
	s_delay_alu instid0(VALU_DEP_1) | instskip(SKIP_1) | instid1(VALU_DEP_2)
	v_pk_fma_f32 v[110:111], v[106:107], v[104:105], v[108:109] op_sel_hi:[1,0,1]
	v_pk_fma_f32 v[104:105], v[106:107], v[104:105], v[108:109] neg_lo:[0,0,1] neg_hi:[0,0,1]
	v_mov_b32_e32 v105, v111
	s_delay_alu instid0(VALU_DEP_1)
	v_pk_add_f32 v[100:101], v[100:101], v[104:105]
	s_and_not1_b32 exec_lo, exec_lo, s0
	s_cbranch_execnz .LBB47_302
; %bb.303:
	s_or_b32 exec_lo, exec_lo, s0
.LBB47_304:
	s_delay_alu instid0(SALU_CYCLE_1) | instskip(SKIP_4) | instid1(VALU_DEP_1)
	s_or_b32 exec_lo, exec_lo, s15
	v_mov_b32_e32 v102, 0
	ds_load_b64 v[102:103], v102 offset:136
	s_wait_dscnt 0x0
	v_pk_mul_f32 v[104:105], v[100:101], v[102:103] op_sel:[1,1] op_sel_hi:[0,1]
	v_pk_fma_f32 v[106:107], v[100:101], v[102:103], v[104:105] op_sel_hi:[1,0,1]
	v_pk_fma_f32 v[100:101], v[100:101], v[102:103], v[104:105] neg_lo:[0,0,1] neg_hi:[0,0,1]
	s_delay_alu instid0(VALU_DEP_2)
	v_mov_b32_e32 v101, v107
	scratch_store_b64 off, v[100:101], off offset:136
.LBB47_305:
	s_wait_xcnt 0x0
	s_or_b32 exec_lo, exec_lo, s14
	scratch_load_b64 v[100:101], off, off offset:128
	v_cmp_lt_u32_e64 s0, 16, v0
	s_wait_loadcnt 0x0
	ds_store_b64 v1, v[100:101]
	s_wait_storecnt_dscnt 0x0
	s_barrier_signal -1
	s_barrier_wait -1
	s_wait_xcnt 0x0
	s_and_saveexec_b32 s13, s0
	s_cbranch_execz .LBB47_315
; %bb.306:
	s_and_not1_b32 vcc_lo, exec_lo, s3
	s_cbranch_vccnz .LBB47_308
; %bb.307:
	scratch_load_b64 v[100:101], v39, off
	ds_load_b64 v[102:103], v1
	s_wait_loadcnt_dscnt 0x0
	v_pk_mul_f32 v[104:105], v[102:103], v[100:101] op_sel:[1,1] op_sel_hi:[0,1]
	s_delay_alu instid0(VALU_DEP_1) | instskip(SKIP_1) | instid1(VALU_DEP_2)
	v_pk_fma_f32 v[106:107], v[102:103], v[100:101], v[104:105] op_sel_hi:[1,0,1]
	v_pk_fma_f32 v[100:101], v[102:103], v[100:101], v[104:105] neg_lo:[0,0,1] neg_hi:[0,0,1]
	v_mov_b32_e32 v101, v107
	s_cbranch_execz .LBB47_309
	s_branch .LBB47_310
.LBB47_308:
                                        ; implicit-def: $vgpr100_vgpr101
.LBB47_309:
	ds_load_b64 v[100:101], v1
.LBB47_310:
	s_and_saveexec_b32 s14, s1
	s_cbranch_execz .LBB47_314
; %bb.311:
	v_subrev_nc_u32_e32 v102, 17, v0
	s_movk_i32 s1, 0x88
	s_movk_i32 s16, 0x208
	s_mov_b32 s15, 0
.LBB47_312:                             ; =>This Inner Loop Header: Depth=1
	scratch_load_b64 v[104:105], off, s1
	v_dual_mov_b32 v103, s16 :: v_dual_add_nc_u32 v102, -1, v102
	s_add_co_i32 s16, s16, 8
	s_wait_xcnt 0x0
	s_add_co_i32 s1, s1, 8
	ds_load_b64 v[106:107], v103
	v_cmp_eq_u32_e32 vcc_lo, 0, v102
	s_or_b32 s15, vcc_lo, s15
	s_wait_loadcnt_dscnt 0x0
	v_pk_mul_f32 v[108:109], v[106:107], v[104:105] op_sel:[1,1] op_sel_hi:[0,1]
	s_delay_alu instid0(VALU_DEP_1) | instskip(SKIP_1) | instid1(VALU_DEP_2)
	v_pk_fma_f32 v[110:111], v[106:107], v[104:105], v[108:109] op_sel_hi:[1,0,1]
	v_pk_fma_f32 v[104:105], v[106:107], v[104:105], v[108:109] neg_lo:[0,0,1] neg_hi:[0,0,1]
	v_mov_b32_e32 v105, v111
	s_delay_alu instid0(VALU_DEP_1)
	v_pk_add_f32 v[100:101], v[100:101], v[104:105]
	s_and_not1_b32 exec_lo, exec_lo, s15
	s_cbranch_execnz .LBB47_312
; %bb.313:
	s_or_b32 exec_lo, exec_lo, s15
.LBB47_314:
	s_delay_alu instid0(SALU_CYCLE_1) | instskip(SKIP_4) | instid1(VALU_DEP_1)
	s_or_b32 exec_lo, exec_lo, s14
	v_mov_b32_e32 v102, 0
	ds_load_b64 v[102:103], v102 offset:128
	s_wait_dscnt 0x0
	v_pk_mul_f32 v[104:105], v[100:101], v[102:103] op_sel:[1,1] op_sel_hi:[0,1]
	v_pk_fma_f32 v[106:107], v[100:101], v[102:103], v[104:105] op_sel_hi:[1,0,1]
	v_pk_fma_f32 v[100:101], v[100:101], v[102:103], v[104:105] neg_lo:[0,0,1] neg_hi:[0,0,1]
	s_delay_alu instid0(VALU_DEP_2)
	v_mov_b32_e32 v101, v107
	scratch_store_b64 off, v[100:101], off offset:128
.LBB47_315:
	s_wait_xcnt 0x0
	s_or_b32 exec_lo, exec_lo, s13
	scratch_load_b64 v[100:101], off, off offset:120
	v_cmp_lt_u32_e64 s1, 15, v0
	s_wait_loadcnt 0x0
	ds_store_b64 v1, v[100:101]
	s_wait_storecnt_dscnt 0x0
	s_barrier_signal -1
	s_barrier_wait -1
	s_wait_xcnt 0x0
	s_and_saveexec_b32 s13, s1
	s_cbranch_execz .LBB47_325
; %bb.316:
	s_and_not1_b32 vcc_lo, exec_lo, s3
	s_cbranch_vccnz .LBB47_318
; %bb.317:
	scratch_load_b64 v[100:101], v39, off
	ds_load_b64 v[102:103], v1
	s_wait_loadcnt_dscnt 0x0
	v_pk_mul_f32 v[104:105], v[102:103], v[100:101] op_sel:[1,1] op_sel_hi:[0,1]
	s_delay_alu instid0(VALU_DEP_1) | instskip(SKIP_1) | instid1(VALU_DEP_2)
	v_pk_fma_f32 v[106:107], v[102:103], v[100:101], v[104:105] op_sel_hi:[1,0,1]
	v_pk_fma_f32 v[100:101], v[102:103], v[100:101], v[104:105] neg_lo:[0,0,1] neg_hi:[0,0,1]
	v_mov_b32_e32 v101, v107
	s_cbranch_execz .LBB47_319
	s_branch .LBB47_320
.LBB47_318:
                                        ; implicit-def: $vgpr100_vgpr101
.LBB47_319:
	ds_load_b64 v[100:101], v1
.LBB47_320:
	s_and_saveexec_b32 s14, s0
	s_cbranch_execz .LBB47_324
; %bb.321:
	v_add_nc_u32_e32 v102, -16, v0
	s_movk_i32 s15, 0x200
	s_mov_b32 s0, 0
.LBB47_322:                             ; =>This Inner Loop Header: Depth=1
	scratch_load_b64 v[104:105], off, s12
	v_dual_mov_b32 v103, s15 :: v_dual_add_nc_u32 v102, -1, v102
	s_add_co_i32 s15, s15, 8
	s_wait_xcnt 0x0
	s_add_co_i32 s12, s12, 8
	ds_load_b64 v[106:107], v103
	v_cmp_eq_u32_e32 vcc_lo, 0, v102
	s_or_b32 s0, vcc_lo, s0
	s_wait_loadcnt_dscnt 0x0
	v_pk_mul_f32 v[108:109], v[106:107], v[104:105] op_sel:[1,1] op_sel_hi:[0,1]
	s_delay_alu instid0(VALU_DEP_1) | instskip(SKIP_1) | instid1(VALU_DEP_2)
	v_pk_fma_f32 v[110:111], v[106:107], v[104:105], v[108:109] op_sel_hi:[1,0,1]
	v_pk_fma_f32 v[104:105], v[106:107], v[104:105], v[108:109] neg_lo:[0,0,1] neg_hi:[0,0,1]
	v_mov_b32_e32 v105, v111
	s_delay_alu instid0(VALU_DEP_1)
	v_pk_add_f32 v[100:101], v[100:101], v[104:105]
	s_and_not1_b32 exec_lo, exec_lo, s0
	s_cbranch_execnz .LBB47_322
; %bb.323:
	s_or_b32 exec_lo, exec_lo, s0
.LBB47_324:
	s_delay_alu instid0(SALU_CYCLE_1) | instskip(SKIP_4) | instid1(VALU_DEP_1)
	s_or_b32 exec_lo, exec_lo, s14
	v_mov_b32_e32 v102, 0
	ds_load_b64 v[102:103], v102 offset:120
	s_wait_dscnt 0x0
	v_pk_mul_f32 v[104:105], v[100:101], v[102:103] op_sel:[1,1] op_sel_hi:[0,1]
	v_pk_fma_f32 v[106:107], v[100:101], v[102:103], v[104:105] op_sel_hi:[1,0,1]
	v_pk_fma_f32 v[100:101], v[100:101], v[102:103], v[104:105] neg_lo:[0,0,1] neg_hi:[0,0,1]
	s_delay_alu instid0(VALU_DEP_2)
	v_mov_b32_e32 v101, v107
	scratch_store_b64 off, v[100:101], off offset:120
.LBB47_325:
	s_wait_xcnt 0x0
	s_or_b32 exec_lo, exec_lo, s13
	scratch_load_b64 v[100:101], off, off offset:112
	v_cmp_lt_u32_e64 s0, 14, v0
	s_wait_loadcnt 0x0
	ds_store_b64 v1, v[100:101]
	s_wait_storecnt_dscnt 0x0
	s_barrier_signal -1
	s_barrier_wait -1
	s_wait_xcnt 0x0
	s_and_saveexec_b32 s12, s0
	s_cbranch_execz .LBB47_335
; %bb.326:
	s_and_not1_b32 vcc_lo, exec_lo, s3
	s_cbranch_vccnz .LBB47_328
; %bb.327:
	scratch_load_b64 v[100:101], v39, off
	ds_load_b64 v[102:103], v1
	s_wait_loadcnt_dscnt 0x0
	v_pk_mul_f32 v[104:105], v[102:103], v[100:101] op_sel:[1,1] op_sel_hi:[0,1]
	s_delay_alu instid0(VALU_DEP_1) | instskip(SKIP_1) | instid1(VALU_DEP_2)
	v_pk_fma_f32 v[106:107], v[102:103], v[100:101], v[104:105] op_sel_hi:[1,0,1]
	v_pk_fma_f32 v[100:101], v[102:103], v[100:101], v[104:105] neg_lo:[0,0,1] neg_hi:[0,0,1]
	v_mov_b32_e32 v101, v107
	s_cbranch_execz .LBB47_329
	s_branch .LBB47_330
.LBB47_328:
                                        ; implicit-def: $vgpr100_vgpr101
.LBB47_329:
	ds_load_b64 v[100:101], v1
.LBB47_330:
	s_and_saveexec_b32 s13, s1
	s_cbranch_execz .LBB47_334
; %bb.331:
	v_add_nc_u32_e32 v102, -15, v0
	s_movk_i32 s1, 0x78
	s_movk_i32 s15, 0x1f8
	s_mov_b32 s14, 0
.LBB47_332:                             ; =>This Inner Loop Header: Depth=1
	scratch_load_b64 v[104:105], off, s1
	v_dual_mov_b32 v103, s15 :: v_dual_add_nc_u32 v102, -1, v102
	s_add_co_i32 s15, s15, 8
	s_wait_xcnt 0x0
	s_add_co_i32 s1, s1, 8
	ds_load_b64 v[106:107], v103
	v_cmp_eq_u32_e32 vcc_lo, 0, v102
	s_or_b32 s14, vcc_lo, s14
	s_wait_loadcnt_dscnt 0x0
	v_pk_mul_f32 v[108:109], v[106:107], v[104:105] op_sel:[1,1] op_sel_hi:[0,1]
	s_delay_alu instid0(VALU_DEP_1) | instskip(SKIP_1) | instid1(VALU_DEP_2)
	v_pk_fma_f32 v[110:111], v[106:107], v[104:105], v[108:109] op_sel_hi:[1,0,1]
	v_pk_fma_f32 v[104:105], v[106:107], v[104:105], v[108:109] neg_lo:[0,0,1] neg_hi:[0,0,1]
	v_mov_b32_e32 v105, v111
	s_delay_alu instid0(VALU_DEP_1)
	v_pk_add_f32 v[100:101], v[100:101], v[104:105]
	s_and_not1_b32 exec_lo, exec_lo, s14
	s_cbranch_execnz .LBB47_332
; %bb.333:
	s_or_b32 exec_lo, exec_lo, s14
.LBB47_334:
	s_delay_alu instid0(SALU_CYCLE_1) | instskip(SKIP_4) | instid1(VALU_DEP_1)
	s_or_b32 exec_lo, exec_lo, s13
	v_mov_b32_e32 v102, 0
	ds_load_b64 v[102:103], v102 offset:112
	s_wait_dscnt 0x0
	v_pk_mul_f32 v[104:105], v[100:101], v[102:103] op_sel:[1,1] op_sel_hi:[0,1]
	v_pk_fma_f32 v[106:107], v[100:101], v[102:103], v[104:105] op_sel_hi:[1,0,1]
	v_pk_fma_f32 v[100:101], v[100:101], v[102:103], v[104:105] neg_lo:[0,0,1] neg_hi:[0,0,1]
	s_delay_alu instid0(VALU_DEP_2)
	v_mov_b32_e32 v101, v107
	scratch_store_b64 off, v[100:101], off offset:112
.LBB47_335:
	s_wait_xcnt 0x0
	s_or_b32 exec_lo, exec_lo, s12
	scratch_load_b64 v[100:101], off, off offset:104
	v_cmp_lt_u32_e64 s1, 13, v0
	s_wait_loadcnt 0x0
	ds_store_b64 v1, v[100:101]
	s_wait_storecnt_dscnt 0x0
	s_barrier_signal -1
	s_barrier_wait -1
	s_wait_xcnt 0x0
	s_and_saveexec_b32 s12, s1
	s_cbranch_execz .LBB47_345
; %bb.336:
	s_and_not1_b32 vcc_lo, exec_lo, s3
	s_cbranch_vccnz .LBB47_338
; %bb.337:
	scratch_load_b64 v[100:101], v39, off
	ds_load_b64 v[102:103], v1
	s_wait_loadcnt_dscnt 0x0
	v_pk_mul_f32 v[104:105], v[102:103], v[100:101] op_sel:[1,1] op_sel_hi:[0,1]
	s_delay_alu instid0(VALU_DEP_1) | instskip(SKIP_1) | instid1(VALU_DEP_2)
	v_pk_fma_f32 v[106:107], v[102:103], v[100:101], v[104:105] op_sel_hi:[1,0,1]
	v_pk_fma_f32 v[100:101], v[102:103], v[100:101], v[104:105] neg_lo:[0,0,1] neg_hi:[0,0,1]
	v_mov_b32_e32 v101, v107
	s_cbranch_execz .LBB47_339
	s_branch .LBB47_340
.LBB47_338:
                                        ; implicit-def: $vgpr100_vgpr101
.LBB47_339:
	ds_load_b64 v[100:101], v1
.LBB47_340:
	s_and_saveexec_b32 s13, s0
	s_cbranch_execz .LBB47_344
; %bb.341:
	v_add_nc_u32_e32 v102, -14, v0
	s_movk_i32 s14, 0x1f0
	s_mov_b32 s0, 0
.LBB47_342:                             ; =>This Inner Loop Header: Depth=1
	scratch_load_b64 v[104:105], off, s11
	v_dual_mov_b32 v103, s14 :: v_dual_add_nc_u32 v102, -1, v102
	s_add_co_i32 s14, s14, 8
	s_wait_xcnt 0x0
	s_add_co_i32 s11, s11, 8
	ds_load_b64 v[106:107], v103
	v_cmp_eq_u32_e32 vcc_lo, 0, v102
	s_or_b32 s0, vcc_lo, s0
	s_wait_loadcnt_dscnt 0x0
	v_pk_mul_f32 v[108:109], v[106:107], v[104:105] op_sel:[1,1] op_sel_hi:[0,1]
	s_delay_alu instid0(VALU_DEP_1) | instskip(SKIP_1) | instid1(VALU_DEP_2)
	v_pk_fma_f32 v[110:111], v[106:107], v[104:105], v[108:109] op_sel_hi:[1,0,1]
	v_pk_fma_f32 v[104:105], v[106:107], v[104:105], v[108:109] neg_lo:[0,0,1] neg_hi:[0,0,1]
	v_mov_b32_e32 v105, v111
	s_delay_alu instid0(VALU_DEP_1)
	v_pk_add_f32 v[100:101], v[100:101], v[104:105]
	s_and_not1_b32 exec_lo, exec_lo, s0
	s_cbranch_execnz .LBB47_342
; %bb.343:
	s_or_b32 exec_lo, exec_lo, s0
.LBB47_344:
	s_delay_alu instid0(SALU_CYCLE_1) | instskip(SKIP_4) | instid1(VALU_DEP_1)
	s_or_b32 exec_lo, exec_lo, s13
	v_mov_b32_e32 v102, 0
	ds_load_b64 v[102:103], v102 offset:104
	s_wait_dscnt 0x0
	v_pk_mul_f32 v[104:105], v[100:101], v[102:103] op_sel:[1,1] op_sel_hi:[0,1]
	v_pk_fma_f32 v[106:107], v[100:101], v[102:103], v[104:105] op_sel_hi:[1,0,1]
	v_pk_fma_f32 v[100:101], v[100:101], v[102:103], v[104:105] neg_lo:[0,0,1] neg_hi:[0,0,1]
	s_delay_alu instid0(VALU_DEP_2)
	v_mov_b32_e32 v101, v107
	scratch_store_b64 off, v[100:101], off offset:104
.LBB47_345:
	s_wait_xcnt 0x0
	s_or_b32 exec_lo, exec_lo, s12
	scratch_load_b64 v[100:101], off, off offset:96
	v_cmp_lt_u32_e64 s0, 12, v0
	s_wait_loadcnt 0x0
	ds_store_b64 v1, v[100:101]
	s_wait_storecnt_dscnt 0x0
	s_barrier_signal -1
	s_barrier_wait -1
	s_wait_xcnt 0x0
	s_and_saveexec_b32 s11, s0
	s_cbranch_execz .LBB47_355
; %bb.346:
	s_and_not1_b32 vcc_lo, exec_lo, s3
	s_cbranch_vccnz .LBB47_348
; %bb.347:
	scratch_load_b64 v[100:101], v39, off
	ds_load_b64 v[102:103], v1
	s_wait_loadcnt_dscnt 0x0
	v_pk_mul_f32 v[104:105], v[102:103], v[100:101] op_sel:[1,1] op_sel_hi:[0,1]
	s_delay_alu instid0(VALU_DEP_1) | instskip(SKIP_1) | instid1(VALU_DEP_2)
	v_pk_fma_f32 v[106:107], v[102:103], v[100:101], v[104:105] op_sel_hi:[1,0,1]
	v_pk_fma_f32 v[100:101], v[102:103], v[100:101], v[104:105] neg_lo:[0,0,1] neg_hi:[0,0,1]
	v_mov_b32_e32 v101, v107
	s_cbranch_execz .LBB47_349
	s_branch .LBB47_350
.LBB47_348:
                                        ; implicit-def: $vgpr100_vgpr101
.LBB47_349:
	ds_load_b64 v[100:101], v1
.LBB47_350:
	s_and_saveexec_b32 s12, s1
	s_cbranch_execz .LBB47_354
; %bb.351:
	v_add_nc_u32_e32 v102, -13, v0
	s_movk_i32 s1, 0x68
	s_movk_i32 s14, 0x1e8
	s_mov_b32 s13, 0
.LBB47_352:                             ; =>This Inner Loop Header: Depth=1
	scratch_load_b64 v[104:105], off, s1
	v_dual_mov_b32 v103, s14 :: v_dual_add_nc_u32 v102, -1, v102
	s_add_co_i32 s14, s14, 8
	s_wait_xcnt 0x0
	s_add_co_i32 s1, s1, 8
	ds_load_b64 v[106:107], v103
	v_cmp_eq_u32_e32 vcc_lo, 0, v102
	s_or_b32 s13, vcc_lo, s13
	s_wait_loadcnt_dscnt 0x0
	v_pk_mul_f32 v[108:109], v[106:107], v[104:105] op_sel:[1,1] op_sel_hi:[0,1]
	s_delay_alu instid0(VALU_DEP_1) | instskip(SKIP_1) | instid1(VALU_DEP_2)
	v_pk_fma_f32 v[110:111], v[106:107], v[104:105], v[108:109] op_sel_hi:[1,0,1]
	v_pk_fma_f32 v[104:105], v[106:107], v[104:105], v[108:109] neg_lo:[0,0,1] neg_hi:[0,0,1]
	v_mov_b32_e32 v105, v111
	s_delay_alu instid0(VALU_DEP_1)
	v_pk_add_f32 v[100:101], v[100:101], v[104:105]
	s_and_not1_b32 exec_lo, exec_lo, s13
	s_cbranch_execnz .LBB47_352
; %bb.353:
	s_or_b32 exec_lo, exec_lo, s13
.LBB47_354:
	s_delay_alu instid0(SALU_CYCLE_1) | instskip(SKIP_4) | instid1(VALU_DEP_1)
	s_or_b32 exec_lo, exec_lo, s12
	v_mov_b32_e32 v102, 0
	ds_load_b64 v[102:103], v102 offset:96
	s_wait_dscnt 0x0
	v_pk_mul_f32 v[104:105], v[100:101], v[102:103] op_sel:[1,1] op_sel_hi:[0,1]
	v_pk_fma_f32 v[106:107], v[100:101], v[102:103], v[104:105] op_sel_hi:[1,0,1]
	v_pk_fma_f32 v[100:101], v[100:101], v[102:103], v[104:105] neg_lo:[0,0,1] neg_hi:[0,0,1]
	s_delay_alu instid0(VALU_DEP_2)
	v_mov_b32_e32 v101, v107
	scratch_store_b64 off, v[100:101], off offset:96
.LBB47_355:
	s_wait_xcnt 0x0
	s_or_b32 exec_lo, exec_lo, s11
	scratch_load_b64 v[100:101], off, off offset:88
	v_cmp_lt_u32_e64 s1, 11, v0
	s_wait_loadcnt 0x0
	ds_store_b64 v1, v[100:101]
	s_wait_storecnt_dscnt 0x0
	s_barrier_signal -1
	s_barrier_wait -1
	s_wait_xcnt 0x0
	s_and_saveexec_b32 s11, s1
	s_cbranch_execz .LBB47_365
; %bb.356:
	s_and_not1_b32 vcc_lo, exec_lo, s3
	s_cbranch_vccnz .LBB47_358
; %bb.357:
	scratch_load_b64 v[100:101], v39, off
	ds_load_b64 v[102:103], v1
	s_wait_loadcnt_dscnt 0x0
	v_pk_mul_f32 v[104:105], v[102:103], v[100:101] op_sel:[1,1] op_sel_hi:[0,1]
	s_delay_alu instid0(VALU_DEP_1) | instskip(SKIP_1) | instid1(VALU_DEP_2)
	v_pk_fma_f32 v[106:107], v[102:103], v[100:101], v[104:105] op_sel_hi:[1,0,1]
	v_pk_fma_f32 v[100:101], v[102:103], v[100:101], v[104:105] neg_lo:[0,0,1] neg_hi:[0,0,1]
	v_mov_b32_e32 v101, v107
	s_cbranch_execz .LBB47_359
	s_branch .LBB47_360
.LBB47_358:
                                        ; implicit-def: $vgpr100_vgpr101
.LBB47_359:
	ds_load_b64 v[100:101], v1
.LBB47_360:
	s_and_saveexec_b32 s12, s0
	s_cbranch_execz .LBB47_364
; %bb.361:
	v_add_nc_u32_e32 v102, -12, v0
	s_movk_i32 s13, 0x1e0
	s_mov_b32 s0, 0
.LBB47_362:                             ; =>This Inner Loop Header: Depth=1
	scratch_load_b64 v[104:105], off, s10
	v_dual_mov_b32 v103, s13 :: v_dual_add_nc_u32 v102, -1, v102
	s_add_co_i32 s13, s13, 8
	s_wait_xcnt 0x0
	s_add_co_i32 s10, s10, 8
	ds_load_b64 v[106:107], v103
	v_cmp_eq_u32_e32 vcc_lo, 0, v102
	s_or_b32 s0, vcc_lo, s0
	s_wait_loadcnt_dscnt 0x0
	v_pk_mul_f32 v[108:109], v[106:107], v[104:105] op_sel:[1,1] op_sel_hi:[0,1]
	s_delay_alu instid0(VALU_DEP_1) | instskip(SKIP_1) | instid1(VALU_DEP_2)
	v_pk_fma_f32 v[110:111], v[106:107], v[104:105], v[108:109] op_sel_hi:[1,0,1]
	v_pk_fma_f32 v[104:105], v[106:107], v[104:105], v[108:109] neg_lo:[0,0,1] neg_hi:[0,0,1]
	v_mov_b32_e32 v105, v111
	s_delay_alu instid0(VALU_DEP_1)
	v_pk_add_f32 v[100:101], v[100:101], v[104:105]
	s_and_not1_b32 exec_lo, exec_lo, s0
	s_cbranch_execnz .LBB47_362
; %bb.363:
	s_or_b32 exec_lo, exec_lo, s0
.LBB47_364:
	s_delay_alu instid0(SALU_CYCLE_1) | instskip(SKIP_4) | instid1(VALU_DEP_1)
	s_or_b32 exec_lo, exec_lo, s12
	v_mov_b32_e32 v102, 0
	ds_load_b64 v[102:103], v102 offset:88
	s_wait_dscnt 0x0
	v_pk_mul_f32 v[104:105], v[100:101], v[102:103] op_sel:[1,1] op_sel_hi:[0,1]
	v_pk_fma_f32 v[106:107], v[100:101], v[102:103], v[104:105] op_sel_hi:[1,0,1]
	v_pk_fma_f32 v[100:101], v[100:101], v[102:103], v[104:105] neg_lo:[0,0,1] neg_hi:[0,0,1]
	s_delay_alu instid0(VALU_DEP_2)
	v_mov_b32_e32 v101, v107
	scratch_store_b64 off, v[100:101], off offset:88
.LBB47_365:
	s_wait_xcnt 0x0
	s_or_b32 exec_lo, exec_lo, s11
	scratch_load_b64 v[100:101], off, off offset:80
	v_cmp_lt_u32_e64 s0, 10, v0
	s_wait_loadcnt 0x0
	ds_store_b64 v1, v[100:101]
	s_wait_storecnt_dscnt 0x0
	s_barrier_signal -1
	s_barrier_wait -1
	s_wait_xcnt 0x0
	s_and_saveexec_b32 s10, s0
	s_cbranch_execz .LBB47_375
; %bb.366:
	s_and_not1_b32 vcc_lo, exec_lo, s3
	s_cbranch_vccnz .LBB47_368
; %bb.367:
	scratch_load_b64 v[100:101], v39, off
	ds_load_b64 v[102:103], v1
	s_wait_loadcnt_dscnt 0x0
	v_pk_mul_f32 v[104:105], v[102:103], v[100:101] op_sel:[1,1] op_sel_hi:[0,1]
	s_delay_alu instid0(VALU_DEP_1) | instskip(SKIP_1) | instid1(VALU_DEP_2)
	v_pk_fma_f32 v[106:107], v[102:103], v[100:101], v[104:105] op_sel_hi:[1,0,1]
	v_pk_fma_f32 v[100:101], v[102:103], v[100:101], v[104:105] neg_lo:[0,0,1] neg_hi:[0,0,1]
	v_mov_b32_e32 v101, v107
	s_cbranch_execz .LBB47_369
	s_branch .LBB47_370
.LBB47_368:
                                        ; implicit-def: $vgpr100_vgpr101
.LBB47_369:
	ds_load_b64 v[100:101], v1
.LBB47_370:
	s_and_saveexec_b32 s11, s1
	s_cbranch_execz .LBB47_374
; %bb.371:
	v_add_nc_u32_e32 v102, -11, v0
	s_movk_i32 s1, 0x58
	s_movk_i32 s13, 0x1d8
	s_mov_b32 s12, 0
.LBB47_372:                             ; =>This Inner Loop Header: Depth=1
	scratch_load_b64 v[104:105], off, s1
	v_dual_mov_b32 v103, s13 :: v_dual_add_nc_u32 v102, -1, v102
	s_add_co_i32 s13, s13, 8
	s_wait_xcnt 0x0
	s_add_co_i32 s1, s1, 8
	ds_load_b64 v[106:107], v103
	v_cmp_eq_u32_e32 vcc_lo, 0, v102
	s_or_b32 s12, vcc_lo, s12
	s_wait_loadcnt_dscnt 0x0
	v_pk_mul_f32 v[108:109], v[106:107], v[104:105] op_sel:[1,1] op_sel_hi:[0,1]
	s_delay_alu instid0(VALU_DEP_1) | instskip(SKIP_1) | instid1(VALU_DEP_2)
	v_pk_fma_f32 v[110:111], v[106:107], v[104:105], v[108:109] op_sel_hi:[1,0,1]
	v_pk_fma_f32 v[104:105], v[106:107], v[104:105], v[108:109] neg_lo:[0,0,1] neg_hi:[0,0,1]
	v_mov_b32_e32 v105, v111
	s_delay_alu instid0(VALU_DEP_1)
	v_pk_add_f32 v[100:101], v[100:101], v[104:105]
	s_and_not1_b32 exec_lo, exec_lo, s12
	s_cbranch_execnz .LBB47_372
; %bb.373:
	s_or_b32 exec_lo, exec_lo, s12
.LBB47_374:
	s_delay_alu instid0(SALU_CYCLE_1) | instskip(SKIP_4) | instid1(VALU_DEP_1)
	s_or_b32 exec_lo, exec_lo, s11
	v_mov_b32_e32 v102, 0
	ds_load_b64 v[102:103], v102 offset:80
	s_wait_dscnt 0x0
	v_pk_mul_f32 v[104:105], v[100:101], v[102:103] op_sel:[1,1] op_sel_hi:[0,1]
	v_pk_fma_f32 v[106:107], v[100:101], v[102:103], v[104:105] op_sel_hi:[1,0,1]
	v_pk_fma_f32 v[100:101], v[100:101], v[102:103], v[104:105] neg_lo:[0,0,1] neg_hi:[0,0,1]
	s_delay_alu instid0(VALU_DEP_2)
	v_mov_b32_e32 v101, v107
	scratch_store_b64 off, v[100:101], off offset:80
.LBB47_375:
	s_wait_xcnt 0x0
	s_or_b32 exec_lo, exec_lo, s10
	scratch_load_b64 v[100:101], off, off offset:72
	v_cmp_lt_u32_e64 s1, 9, v0
	s_wait_loadcnt 0x0
	ds_store_b64 v1, v[100:101]
	s_wait_storecnt_dscnt 0x0
	s_barrier_signal -1
	s_barrier_wait -1
	s_wait_xcnt 0x0
	s_and_saveexec_b32 s10, s1
	s_cbranch_execz .LBB47_385
; %bb.376:
	s_and_not1_b32 vcc_lo, exec_lo, s3
	s_cbranch_vccnz .LBB47_378
; %bb.377:
	scratch_load_b64 v[100:101], v39, off
	ds_load_b64 v[102:103], v1
	s_wait_loadcnt_dscnt 0x0
	v_pk_mul_f32 v[104:105], v[102:103], v[100:101] op_sel:[1,1] op_sel_hi:[0,1]
	s_delay_alu instid0(VALU_DEP_1) | instskip(SKIP_1) | instid1(VALU_DEP_2)
	v_pk_fma_f32 v[106:107], v[102:103], v[100:101], v[104:105] op_sel_hi:[1,0,1]
	v_pk_fma_f32 v[100:101], v[102:103], v[100:101], v[104:105] neg_lo:[0,0,1] neg_hi:[0,0,1]
	v_mov_b32_e32 v101, v107
	s_cbranch_execz .LBB47_379
	s_branch .LBB47_380
.LBB47_378:
                                        ; implicit-def: $vgpr100_vgpr101
.LBB47_379:
	ds_load_b64 v[100:101], v1
.LBB47_380:
	s_and_saveexec_b32 s11, s0
	s_cbranch_execz .LBB47_384
; %bb.381:
	v_add_nc_u32_e32 v102, -10, v0
	s_movk_i32 s12, 0x1d0
	s_mov_b32 s0, 0
.LBB47_382:                             ; =>This Inner Loop Header: Depth=1
	scratch_load_b64 v[104:105], off, s9
	v_dual_mov_b32 v103, s12 :: v_dual_add_nc_u32 v102, -1, v102
	s_add_co_i32 s12, s12, 8
	s_wait_xcnt 0x0
	s_add_co_i32 s9, s9, 8
	ds_load_b64 v[106:107], v103
	v_cmp_eq_u32_e32 vcc_lo, 0, v102
	s_or_b32 s0, vcc_lo, s0
	s_wait_loadcnt_dscnt 0x0
	v_pk_mul_f32 v[108:109], v[106:107], v[104:105] op_sel:[1,1] op_sel_hi:[0,1]
	s_delay_alu instid0(VALU_DEP_1) | instskip(SKIP_1) | instid1(VALU_DEP_2)
	v_pk_fma_f32 v[110:111], v[106:107], v[104:105], v[108:109] op_sel_hi:[1,0,1]
	v_pk_fma_f32 v[104:105], v[106:107], v[104:105], v[108:109] neg_lo:[0,0,1] neg_hi:[0,0,1]
	v_mov_b32_e32 v105, v111
	s_delay_alu instid0(VALU_DEP_1)
	v_pk_add_f32 v[100:101], v[100:101], v[104:105]
	s_and_not1_b32 exec_lo, exec_lo, s0
	s_cbranch_execnz .LBB47_382
; %bb.383:
	s_or_b32 exec_lo, exec_lo, s0
.LBB47_384:
	s_delay_alu instid0(SALU_CYCLE_1) | instskip(SKIP_4) | instid1(VALU_DEP_1)
	s_or_b32 exec_lo, exec_lo, s11
	v_mov_b32_e32 v102, 0
	ds_load_b64 v[102:103], v102 offset:72
	s_wait_dscnt 0x0
	v_pk_mul_f32 v[104:105], v[100:101], v[102:103] op_sel:[1,1] op_sel_hi:[0,1]
	v_pk_fma_f32 v[106:107], v[100:101], v[102:103], v[104:105] op_sel_hi:[1,0,1]
	v_pk_fma_f32 v[100:101], v[100:101], v[102:103], v[104:105] neg_lo:[0,0,1] neg_hi:[0,0,1]
	s_delay_alu instid0(VALU_DEP_2)
	v_mov_b32_e32 v101, v107
	scratch_store_b64 off, v[100:101], off offset:72
.LBB47_385:
	s_wait_xcnt 0x0
	s_or_b32 exec_lo, exec_lo, s10
	scratch_load_b64 v[100:101], off, off offset:64
	v_cmp_lt_u32_e64 s0, 8, v0
	s_wait_loadcnt 0x0
	ds_store_b64 v1, v[100:101]
	s_wait_storecnt_dscnt 0x0
	s_barrier_signal -1
	s_barrier_wait -1
	s_wait_xcnt 0x0
	s_and_saveexec_b32 s9, s0
	s_cbranch_execz .LBB47_395
; %bb.386:
	s_and_not1_b32 vcc_lo, exec_lo, s3
	s_cbranch_vccnz .LBB47_388
; %bb.387:
	scratch_load_b64 v[100:101], v39, off
	ds_load_b64 v[102:103], v1
	s_wait_loadcnt_dscnt 0x0
	v_pk_mul_f32 v[104:105], v[102:103], v[100:101] op_sel:[1,1] op_sel_hi:[0,1]
	s_delay_alu instid0(VALU_DEP_1) | instskip(SKIP_1) | instid1(VALU_DEP_2)
	v_pk_fma_f32 v[106:107], v[102:103], v[100:101], v[104:105] op_sel_hi:[1,0,1]
	v_pk_fma_f32 v[100:101], v[102:103], v[100:101], v[104:105] neg_lo:[0,0,1] neg_hi:[0,0,1]
	v_mov_b32_e32 v101, v107
	s_cbranch_execz .LBB47_389
	s_branch .LBB47_390
.LBB47_388:
                                        ; implicit-def: $vgpr100_vgpr101
.LBB47_389:
	ds_load_b64 v[100:101], v1
.LBB47_390:
	s_and_saveexec_b32 s10, s1
	s_cbranch_execz .LBB47_394
; %bb.391:
	v_add_nc_u32_e32 v102, -9, v0
	s_movk_i32 s1, 0x48
	s_movk_i32 s12, 0x1c8
	s_mov_b32 s11, 0
.LBB47_392:                             ; =>This Inner Loop Header: Depth=1
	scratch_load_b64 v[104:105], off, s1
	v_dual_mov_b32 v103, s12 :: v_dual_add_nc_u32 v102, -1, v102
	s_add_co_i32 s12, s12, 8
	s_wait_xcnt 0x0
	s_add_co_i32 s1, s1, 8
	ds_load_b64 v[106:107], v103
	v_cmp_eq_u32_e32 vcc_lo, 0, v102
	s_or_b32 s11, vcc_lo, s11
	s_wait_loadcnt_dscnt 0x0
	v_pk_mul_f32 v[108:109], v[106:107], v[104:105] op_sel:[1,1] op_sel_hi:[0,1]
	s_delay_alu instid0(VALU_DEP_1) | instskip(SKIP_1) | instid1(VALU_DEP_2)
	v_pk_fma_f32 v[110:111], v[106:107], v[104:105], v[108:109] op_sel_hi:[1,0,1]
	v_pk_fma_f32 v[104:105], v[106:107], v[104:105], v[108:109] neg_lo:[0,0,1] neg_hi:[0,0,1]
	v_mov_b32_e32 v105, v111
	s_delay_alu instid0(VALU_DEP_1)
	v_pk_add_f32 v[100:101], v[100:101], v[104:105]
	s_and_not1_b32 exec_lo, exec_lo, s11
	s_cbranch_execnz .LBB47_392
; %bb.393:
	s_or_b32 exec_lo, exec_lo, s11
.LBB47_394:
	s_delay_alu instid0(SALU_CYCLE_1) | instskip(SKIP_4) | instid1(VALU_DEP_1)
	s_or_b32 exec_lo, exec_lo, s10
	v_mov_b32_e32 v102, 0
	ds_load_b64 v[102:103], v102 offset:64
	s_wait_dscnt 0x0
	v_pk_mul_f32 v[104:105], v[100:101], v[102:103] op_sel:[1,1] op_sel_hi:[0,1]
	v_pk_fma_f32 v[106:107], v[100:101], v[102:103], v[104:105] op_sel_hi:[1,0,1]
	v_pk_fma_f32 v[100:101], v[100:101], v[102:103], v[104:105] neg_lo:[0,0,1] neg_hi:[0,0,1]
	s_delay_alu instid0(VALU_DEP_2)
	v_mov_b32_e32 v101, v107
	scratch_store_b64 off, v[100:101], off offset:64
.LBB47_395:
	s_wait_xcnt 0x0
	s_or_b32 exec_lo, exec_lo, s9
	scratch_load_b64 v[100:101], off, off offset:56
	v_cmp_lt_u32_e64 s1, 7, v0
	s_wait_loadcnt 0x0
	ds_store_b64 v1, v[100:101]
	s_wait_storecnt_dscnt 0x0
	s_barrier_signal -1
	s_barrier_wait -1
	s_wait_xcnt 0x0
	s_and_saveexec_b32 s9, s1
	s_cbranch_execz .LBB47_405
; %bb.396:
	s_and_not1_b32 vcc_lo, exec_lo, s3
	s_cbranch_vccnz .LBB47_398
; %bb.397:
	scratch_load_b64 v[100:101], v39, off
	ds_load_b64 v[102:103], v1
	s_wait_loadcnt_dscnt 0x0
	v_pk_mul_f32 v[104:105], v[102:103], v[100:101] op_sel:[1,1] op_sel_hi:[0,1]
	s_delay_alu instid0(VALU_DEP_1) | instskip(SKIP_1) | instid1(VALU_DEP_2)
	v_pk_fma_f32 v[106:107], v[102:103], v[100:101], v[104:105] op_sel_hi:[1,0,1]
	v_pk_fma_f32 v[100:101], v[102:103], v[100:101], v[104:105] neg_lo:[0,0,1] neg_hi:[0,0,1]
	v_mov_b32_e32 v101, v107
	s_cbranch_execz .LBB47_399
	s_branch .LBB47_400
.LBB47_398:
                                        ; implicit-def: $vgpr100_vgpr101
.LBB47_399:
	ds_load_b64 v[100:101], v1
.LBB47_400:
	s_and_saveexec_b32 s10, s0
	s_cbranch_execz .LBB47_404
; %bb.401:
	v_add_nc_u32_e32 v102, -8, v0
	s_movk_i32 s11, 0x1c0
	s_mov_b32 s0, 0
.LBB47_402:                             ; =>This Inner Loop Header: Depth=1
	scratch_load_b64 v[104:105], off, s8
	v_dual_mov_b32 v103, s11 :: v_dual_add_nc_u32 v102, -1, v102
	s_add_co_i32 s11, s11, 8
	s_wait_xcnt 0x0
	s_add_co_i32 s8, s8, 8
	ds_load_b64 v[106:107], v103
	v_cmp_eq_u32_e32 vcc_lo, 0, v102
	s_or_b32 s0, vcc_lo, s0
	s_wait_loadcnt_dscnt 0x0
	v_pk_mul_f32 v[108:109], v[106:107], v[104:105] op_sel:[1,1] op_sel_hi:[0,1]
	s_delay_alu instid0(VALU_DEP_1) | instskip(SKIP_1) | instid1(VALU_DEP_2)
	v_pk_fma_f32 v[110:111], v[106:107], v[104:105], v[108:109] op_sel_hi:[1,0,1]
	v_pk_fma_f32 v[104:105], v[106:107], v[104:105], v[108:109] neg_lo:[0,0,1] neg_hi:[0,0,1]
	v_mov_b32_e32 v105, v111
	s_delay_alu instid0(VALU_DEP_1)
	v_pk_add_f32 v[100:101], v[100:101], v[104:105]
	s_and_not1_b32 exec_lo, exec_lo, s0
	s_cbranch_execnz .LBB47_402
; %bb.403:
	s_or_b32 exec_lo, exec_lo, s0
.LBB47_404:
	s_delay_alu instid0(SALU_CYCLE_1) | instskip(SKIP_4) | instid1(VALU_DEP_1)
	s_or_b32 exec_lo, exec_lo, s10
	v_mov_b32_e32 v102, 0
	ds_load_b64 v[102:103], v102 offset:56
	s_wait_dscnt 0x0
	v_pk_mul_f32 v[104:105], v[100:101], v[102:103] op_sel:[1,1] op_sel_hi:[0,1]
	v_pk_fma_f32 v[106:107], v[100:101], v[102:103], v[104:105] op_sel_hi:[1,0,1]
	v_pk_fma_f32 v[100:101], v[100:101], v[102:103], v[104:105] neg_lo:[0,0,1] neg_hi:[0,0,1]
	s_delay_alu instid0(VALU_DEP_2)
	v_mov_b32_e32 v101, v107
	scratch_store_b64 off, v[100:101], off offset:56
.LBB47_405:
	s_wait_xcnt 0x0
	s_or_b32 exec_lo, exec_lo, s9
	scratch_load_b64 v[100:101], off, off offset:48
	v_cmp_lt_u32_e64 s0, 6, v0
	s_wait_loadcnt 0x0
	ds_store_b64 v1, v[100:101]
	s_wait_storecnt_dscnt 0x0
	s_barrier_signal -1
	s_barrier_wait -1
	s_wait_xcnt 0x0
	s_and_saveexec_b32 s8, s0
	s_cbranch_execz .LBB47_415
; %bb.406:
	s_and_not1_b32 vcc_lo, exec_lo, s3
	s_cbranch_vccnz .LBB47_408
; %bb.407:
	scratch_load_b64 v[100:101], v39, off
	ds_load_b64 v[102:103], v1
	s_wait_loadcnt_dscnt 0x0
	v_pk_mul_f32 v[104:105], v[102:103], v[100:101] op_sel:[1,1] op_sel_hi:[0,1]
	s_delay_alu instid0(VALU_DEP_1) | instskip(SKIP_1) | instid1(VALU_DEP_2)
	v_pk_fma_f32 v[106:107], v[102:103], v[100:101], v[104:105] op_sel_hi:[1,0,1]
	v_pk_fma_f32 v[100:101], v[102:103], v[100:101], v[104:105] neg_lo:[0,0,1] neg_hi:[0,0,1]
	v_mov_b32_e32 v101, v107
	s_cbranch_execz .LBB47_409
	s_branch .LBB47_410
.LBB47_408:
                                        ; implicit-def: $vgpr100_vgpr101
.LBB47_409:
	ds_load_b64 v[100:101], v1
.LBB47_410:
	s_and_saveexec_b32 s9, s1
	s_cbranch_execz .LBB47_414
; %bb.411:
	v_add_nc_u32_e32 v102, -7, v0
	s_mov_b32 s1, 56
	s_movk_i32 s11, 0x1b8
	s_mov_b32 s10, 0
.LBB47_412:                             ; =>This Inner Loop Header: Depth=1
	scratch_load_b64 v[104:105], off, s1
	v_dual_mov_b32 v103, s11 :: v_dual_add_nc_u32 v102, -1, v102
	s_add_co_i32 s11, s11, 8
	s_wait_xcnt 0x0
	s_add_co_i32 s1, s1, 8
	ds_load_b64 v[106:107], v103
	v_cmp_eq_u32_e32 vcc_lo, 0, v102
	s_or_b32 s10, vcc_lo, s10
	s_wait_loadcnt_dscnt 0x0
	v_pk_mul_f32 v[108:109], v[106:107], v[104:105] op_sel:[1,1] op_sel_hi:[0,1]
	s_delay_alu instid0(VALU_DEP_1) | instskip(SKIP_1) | instid1(VALU_DEP_2)
	v_pk_fma_f32 v[110:111], v[106:107], v[104:105], v[108:109] op_sel_hi:[1,0,1]
	v_pk_fma_f32 v[104:105], v[106:107], v[104:105], v[108:109] neg_lo:[0,0,1] neg_hi:[0,0,1]
	v_mov_b32_e32 v105, v111
	s_delay_alu instid0(VALU_DEP_1)
	v_pk_add_f32 v[100:101], v[100:101], v[104:105]
	s_and_not1_b32 exec_lo, exec_lo, s10
	s_cbranch_execnz .LBB47_412
; %bb.413:
	s_or_b32 exec_lo, exec_lo, s10
.LBB47_414:
	s_delay_alu instid0(SALU_CYCLE_1) | instskip(SKIP_4) | instid1(VALU_DEP_1)
	s_or_b32 exec_lo, exec_lo, s9
	v_mov_b32_e32 v102, 0
	ds_load_b64 v[102:103], v102 offset:48
	s_wait_dscnt 0x0
	v_pk_mul_f32 v[104:105], v[100:101], v[102:103] op_sel:[1,1] op_sel_hi:[0,1]
	v_pk_fma_f32 v[106:107], v[100:101], v[102:103], v[104:105] op_sel_hi:[1,0,1]
	v_pk_fma_f32 v[100:101], v[100:101], v[102:103], v[104:105] neg_lo:[0,0,1] neg_hi:[0,0,1]
	s_delay_alu instid0(VALU_DEP_2)
	v_mov_b32_e32 v101, v107
	scratch_store_b64 off, v[100:101], off offset:48
.LBB47_415:
	s_wait_xcnt 0x0
	s_or_b32 exec_lo, exec_lo, s8
	scratch_load_b64 v[100:101], off, off offset:40
	v_cmp_lt_u32_e64 s1, 5, v0
	s_wait_loadcnt 0x0
	ds_store_b64 v1, v[100:101]
	s_wait_storecnt_dscnt 0x0
	s_barrier_signal -1
	s_barrier_wait -1
	s_wait_xcnt 0x0
	s_and_saveexec_b32 s8, s1
	s_cbranch_execz .LBB47_425
; %bb.416:
	s_and_not1_b32 vcc_lo, exec_lo, s3
	s_cbranch_vccnz .LBB47_418
; %bb.417:
	scratch_load_b64 v[100:101], v39, off
	ds_load_b64 v[102:103], v1
	s_wait_loadcnt_dscnt 0x0
	v_pk_mul_f32 v[104:105], v[102:103], v[100:101] op_sel:[1,1] op_sel_hi:[0,1]
	s_delay_alu instid0(VALU_DEP_1) | instskip(SKIP_1) | instid1(VALU_DEP_2)
	v_pk_fma_f32 v[106:107], v[102:103], v[100:101], v[104:105] op_sel_hi:[1,0,1]
	v_pk_fma_f32 v[100:101], v[102:103], v[100:101], v[104:105] neg_lo:[0,0,1] neg_hi:[0,0,1]
	v_mov_b32_e32 v101, v107
	s_cbranch_execz .LBB47_419
	s_branch .LBB47_420
.LBB47_418:
                                        ; implicit-def: $vgpr100_vgpr101
.LBB47_419:
	ds_load_b64 v[100:101], v1
.LBB47_420:
	s_and_saveexec_b32 s9, s0
	s_cbranch_execz .LBB47_424
; %bb.421:
	v_add_nc_u32_e32 v102, -6, v0
	s_movk_i32 s10, 0x1b0
	s_mov_b32 s0, 0
.LBB47_422:                             ; =>This Inner Loop Header: Depth=1
	scratch_load_b64 v[104:105], off, s2
	v_dual_mov_b32 v103, s10 :: v_dual_add_nc_u32 v102, -1, v102
	s_add_co_i32 s10, s10, 8
	s_wait_xcnt 0x0
	s_add_co_i32 s2, s2, 8
	ds_load_b64 v[106:107], v103
	v_cmp_eq_u32_e32 vcc_lo, 0, v102
	s_or_b32 s0, vcc_lo, s0
	s_wait_loadcnt_dscnt 0x0
	v_pk_mul_f32 v[108:109], v[106:107], v[104:105] op_sel:[1,1] op_sel_hi:[0,1]
	s_delay_alu instid0(VALU_DEP_1) | instskip(SKIP_1) | instid1(VALU_DEP_2)
	v_pk_fma_f32 v[110:111], v[106:107], v[104:105], v[108:109] op_sel_hi:[1,0,1]
	v_pk_fma_f32 v[104:105], v[106:107], v[104:105], v[108:109] neg_lo:[0,0,1] neg_hi:[0,0,1]
	v_mov_b32_e32 v105, v111
	s_delay_alu instid0(VALU_DEP_1)
	v_pk_add_f32 v[100:101], v[100:101], v[104:105]
	s_and_not1_b32 exec_lo, exec_lo, s0
	s_cbranch_execnz .LBB47_422
; %bb.423:
	s_or_b32 exec_lo, exec_lo, s0
.LBB47_424:
	s_delay_alu instid0(SALU_CYCLE_1) | instskip(SKIP_4) | instid1(VALU_DEP_1)
	s_or_b32 exec_lo, exec_lo, s9
	v_mov_b32_e32 v102, 0
	ds_load_b64 v[102:103], v102 offset:40
	s_wait_dscnt 0x0
	v_pk_mul_f32 v[104:105], v[100:101], v[102:103] op_sel:[1,1] op_sel_hi:[0,1]
	v_pk_fma_f32 v[106:107], v[100:101], v[102:103], v[104:105] op_sel_hi:[1,0,1]
	v_pk_fma_f32 v[100:101], v[100:101], v[102:103], v[104:105] neg_lo:[0,0,1] neg_hi:[0,0,1]
	s_delay_alu instid0(VALU_DEP_2)
	v_mov_b32_e32 v101, v107
	scratch_store_b64 off, v[100:101], off offset:40
.LBB47_425:
	s_wait_xcnt 0x0
	s_or_b32 exec_lo, exec_lo, s8
	scratch_load_b64 v[100:101], off, off offset:32
	v_cmp_lt_u32_e64 s0, 4, v0
	s_wait_loadcnt 0x0
	ds_store_b64 v1, v[100:101]
	s_wait_storecnt_dscnt 0x0
	s_barrier_signal -1
	s_barrier_wait -1
	s_wait_xcnt 0x0
	s_and_saveexec_b32 s2, s0
	s_cbranch_execz .LBB47_435
; %bb.426:
	s_and_not1_b32 vcc_lo, exec_lo, s3
	s_cbranch_vccnz .LBB47_428
; %bb.427:
	scratch_load_b64 v[100:101], v39, off
	ds_load_b64 v[102:103], v1
	s_wait_loadcnt_dscnt 0x0
	v_pk_mul_f32 v[104:105], v[102:103], v[100:101] op_sel:[1,1] op_sel_hi:[0,1]
	s_delay_alu instid0(VALU_DEP_1) | instskip(SKIP_1) | instid1(VALU_DEP_2)
	v_pk_fma_f32 v[106:107], v[102:103], v[100:101], v[104:105] op_sel_hi:[1,0,1]
	v_pk_fma_f32 v[100:101], v[102:103], v[100:101], v[104:105] neg_lo:[0,0,1] neg_hi:[0,0,1]
	v_mov_b32_e32 v101, v107
	s_cbranch_execz .LBB47_429
	s_branch .LBB47_430
.LBB47_428:
                                        ; implicit-def: $vgpr100_vgpr101
.LBB47_429:
	ds_load_b64 v[100:101], v1
.LBB47_430:
	s_and_saveexec_b32 s8, s1
	s_cbranch_execz .LBB47_434
; %bb.431:
	v_add_nc_u32_e32 v102, -5, v0
	s_mov_b32 s1, 40
	s_movk_i32 s10, 0x1a8
	s_mov_b32 s9, 0
.LBB47_432:                             ; =>This Inner Loop Header: Depth=1
	scratch_load_b64 v[104:105], off, s1
	v_dual_mov_b32 v103, s10 :: v_dual_add_nc_u32 v102, -1, v102
	s_add_co_i32 s10, s10, 8
	s_wait_xcnt 0x0
	s_add_co_i32 s1, s1, 8
	ds_load_b64 v[106:107], v103
	v_cmp_eq_u32_e32 vcc_lo, 0, v102
	s_or_b32 s9, vcc_lo, s9
	s_wait_loadcnt_dscnt 0x0
	v_pk_mul_f32 v[108:109], v[106:107], v[104:105] op_sel:[1,1] op_sel_hi:[0,1]
	s_delay_alu instid0(VALU_DEP_1) | instskip(SKIP_1) | instid1(VALU_DEP_2)
	v_pk_fma_f32 v[110:111], v[106:107], v[104:105], v[108:109] op_sel_hi:[1,0,1]
	v_pk_fma_f32 v[104:105], v[106:107], v[104:105], v[108:109] neg_lo:[0,0,1] neg_hi:[0,0,1]
	v_mov_b32_e32 v105, v111
	s_delay_alu instid0(VALU_DEP_1)
	v_pk_add_f32 v[100:101], v[100:101], v[104:105]
	s_and_not1_b32 exec_lo, exec_lo, s9
	s_cbranch_execnz .LBB47_432
; %bb.433:
	s_or_b32 exec_lo, exec_lo, s9
.LBB47_434:
	s_delay_alu instid0(SALU_CYCLE_1) | instskip(SKIP_4) | instid1(VALU_DEP_1)
	s_or_b32 exec_lo, exec_lo, s8
	v_mov_b32_e32 v102, 0
	ds_load_b64 v[102:103], v102 offset:32
	s_wait_dscnt 0x0
	v_pk_mul_f32 v[104:105], v[100:101], v[102:103] op_sel:[1,1] op_sel_hi:[0,1]
	v_pk_fma_f32 v[106:107], v[100:101], v[102:103], v[104:105] op_sel_hi:[1,0,1]
	v_pk_fma_f32 v[100:101], v[100:101], v[102:103], v[104:105] neg_lo:[0,0,1] neg_hi:[0,0,1]
	s_delay_alu instid0(VALU_DEP_2)
	v_mov_b32_e32 v101, v107
	scratch_store_b64 off, v[100:101], off offset:32
.LBB47_435:
	s_wait_xcnt 0x0
	s_or_b32 exec_lo, exec_lo, s2
	scratch_load_b64 v[100:101], off, off offset:24
	v_cmp_lt_u32_e64 s2, 3, v0
	s_wait_loadcnt 0x0
	ds_store_b64 v1, v[100:101]
	s_wait_storecnt_dscnt 0x0
	s_barrier_signal -1
	s_barrier_wait -1
	s_wait_xcnt 0x0
	s_and_saveexec_b32 s1, s2
	s_cbranch_execz .LBB47_445
; %bb.436:
	s_and_not1_b32 vcc_lo, exec_lo, s3
	s_cbranch_vccnz .LBB47_438
; %bb.437:
	scratch_load_b64 v[100:101], v39, off
	ds_load_b64 v[102:103], v1
	s_wait_loadcnt_dscnt 0x0
	v_pk_mul_f32 v[104:105], v[102:103], v[100:101] op_sel:[1,1] op_sel_hi:[0,1]
	s_delay_alu instid0(VALU_DEP_1) | instskip(SKIP_1) | instid1(VALU_DEP_2)
	v_pk_fma_f32 v[106:107], v[102:103], v[100:101], v[104:105] op_sel_hi:[1,0,1]
	v_pk_fma_f32 v[100:101], v[102:103], v[100:101], v[104:105] neg_lo:[0,0,1] neg_hi:[0,0,1]
	v_mov_b32_e32 v101, v107
	s_cbranch_execz .LBB47_439
	s_branch .LBB47_440
.LBB47_438:
                                        ; implicit-def: $vgpr100_vgpr101
.LBB47_439:
	ds_load_b64 v[100:101], v1
.LBB47_440:
	s_and_saveexec_b32 s8, s0
	s_cbranch_execz .LBB47_444
; %bb.441:
	v_add_nc_u32_e32 v102, -4, v0
	s_movk_i32 s9, 0x1a0
	s_mov_b32 s0, 0
.LBB47_442:                             ; =>This Inner Loop Header: Depth=1
	scratch_load_b64 v[104:105], off, s5
	v_dual_mov_b32 v103, s9 :: v_dual_add_nc_u32 v102, -1, v102
	s_add_co_i32 s9, s9, 8
	s_wait_xcnt 0x0
	s_add_co_i32 s5, s5, 8
	ds_load_b64 v[106:107], v103
	v_cmp_eq_u32_e32 vcc_lo, 0, v102
	s_or_b32 s0, vcc_lo, s0
	s_wait_loadcnt_dscnt 0x0
	v_pk_mul_f32 v[108:109], v[106:107], v[104:105] op_sel:[1,1] op_sel_hi:[0,1]
	s_delay_alu instid0(VALU_DEP_1) | instskip(SKIP_1) | instid1(VALU_DEP_2)
	v_pk_fma_f32 v[110:111], v[106:107], v[104:105], v[108:109] op_sel_hi:[1,0,1]
	v_pk_fma_f32 v[104:105], v[106:107], v[104:105], v[108:109] neg_lo:[0,0,1] neg_hi:[0,0,1]
	v_mov_b32_e32 v105, v111
	s_delay_alu instid0(VALU_DEP_1)
	v_pk_add_f32 v[100:101], v[100:101], v[104:105]
	s_and_not1_b32 exec_lo, exec_lo, s0
	s_cbranch_execnz .LBB47_442
; %bb.443:
	s_or_b32 exec_lo, exec_lo, s0
.LBB47_444:
	s_delay_alu instid0(SALU_CYCLE_1) | instskip(SKIP_4) | instid1(VALU_DEP_1)
	s_or_b32 exec_lo, exec_lo, s8
	v_mov_b32_e32 v102, 0
	ds_load_b64 v[102:103], v102 offset:24
	s_wait_dscnt 0x0
	v_pk_mul_f32 v[104:105], v[100:101], v[102:103] op_sel:[1,1] op_sel_hi:[0,1]
	v_pk_fma_f32 v[106:107], v[100:101], v[102:103], v[104:105] op_sel_hi:[1,0,1]
	v_pk_fma_f32 v[100:101], v[100:101], v[102:103], v[104:105] neg_lo:[0,0,1] neg_hi:[0,0,1]
	s_delay_alu instid0(VALU_DEP_2)
	v_mov_b32_e32 v101, v107
	scratch_store_b64 off, v[100:101], off offset:24
.LBB47_445:
	s_wait_xcnt 0x0
	s_or_b32 exec_lo, exec_lo, s1
	scratch_load_b64 v[100:101], off, off offset:16
	v_cmp_lt_u32_e64 s1, 2, v0
	s_wait_loadcnt 0x0
	ds_store_b64 v1, v[100:101]
	s_wait_storecnt_dscnt 0x0
	s_barrier_signal -1
	s_barrier_wait -1
	s_wait_xcnt 0x0
	s_and_saveexec_b32 s0, s1
	s_cbranch_execz .LBB47_455
; %bb.446:
	s_and_not1_b32 vcc_lo, exec_lo, s3
	s_cbranch_vccnz .LBB47_448
; %bb.447:
	scratch_load_b64 v[100:101], v39, off
	ds_load_b64 v[102:103], v1
	s_wait_loadcnt_dscnt 0x0
	v_pk_mul_f32 v[104:105], v[102:103], v[100:101] op_sel:[1,1] op_sel_hi:[0,1]
	s_delay_alu instid0(VALU_DEP_1) | instskip(SKIP_1) | instid1(VALU_DEP_2)
	v_pk_fma_f32 v[106:107], v[102:103], v[100:101], v[104:105] op_sel_hi:[1,0,1]
	v_pk_fma_f32 v[100:101], v[102:103], v[100:101], v[104:105] neg_lo:[0,0,1] neg_hi:[0,0,1]
	v_mov_b32_e32 v101, v107
	s_cbranch_execz .LBB47_449
	s_branch .LBB47_450
.LBB47_448:
                                        ; implicit-def: $vgpr100_vgpr101
.LBB47_449:
	ds_load_b64 v[100:101], v1
.LBB47_450:
	s_and_saveexec_b32 s5, s2
	s_cbranch_execz .LBB47_454
; %bb.451:
	v_add_nc_u32_e32 v102, -3, v0
	s_mov_b32 s2, 24
	s_movk_i32 s9, 0x198
	s_mov_b32 s8, 0
.LBB47_452:                             ; =>This Inner Loop Header: Depth=1
	scratch_load_b64 v[104:105], off, s2
	v_dual_mov_b32 v103, s9 :: v_dual_add_nc_u32 v102, -1, v102
	s_add_co_i32 s9, s9, 8
	s_wait_xcnt 0x0
	s_add_co_i32 s2, s2, 8
	ds_load_b64 v[106:107], v103
	v_cmp_eq_u32_e32 vcc_lo, 0, v102
	s_or_b32 s8, vcc_lo, s8
	s_wait_loadcnt_dscnt 0x0
	v_pk_mul_f32 v[108:109], v[106:107], v[104:105] op_sel:[1,1] op_sel_hi:[0,1]
	s_delay_alu instid0(VALU_DEP_1) | instskip(SKIP_1) | instid1(VALU_DEP_2)
	v_pk_fma_f32 v[110:111], v[106:107], v[104:105], v[108:109] op_sel_hi:[1,0,1]
	v_pk_fma_f32 v[104:105], v[106:107], v[104:105], v[108:109] neg_lo:[0,0,1] neg_hi:[0,0,1]
	v_mov_b32_e32 v105, v111
	s_delay_alu instid0(VALU_DEP_1)
	v_pk_add_f32 v[100:101], v[100:101], v[104:105]
	s_and_not1_b32 exec_lo, exec_lo, s8
	s_cbranch_execnz .LBB47_452
; %bb.453:
	s_or_b32 exec_lo, exec_lo, s8
.LBB47_454:
	s_delay_alu instid0(SALU_CYCLE_1) | instskip(SKIP_4) | instid1(VALU_DEP_1)
	s_or_b32 exec_lo, exec_lo, s5
	v_mov_b32_e32 v102, 0
	ds_load_b64 v[102:103], v102 offset:16
	s_wait_dscnt 0x0
	v_pk_mul_f32 v[104:105], v[100:101], v[102:103] op_sel:[1,1] op_sel_hi:[0,1]
	v_pk_fma_f32 v[106:107], v[100:101], v[102:103], v[104:105] op_sel_hi:[1,0,1]
	v_pk_fma_f32 v[100:101], v[100:101], v[102:103], v[104:105] neg_lo:[0,0,1] neg_hi:[0,0,1]
	s_delay_alu instid0(VALU_DEP_2)
	v_mov_b32_e32 v101, v107
	scratch_store_b64 off, v[100:101], off offset:16
.LBB47_455:
	s_wait_xcnt 0x0
	s_or_b32 exec_lo, exec_lo, s0
	scratch_load_b64 v[100:101], off, off offset:8
	v_cmp_lt_u32_e64 s0, 1, v0
	s_wait_loadcnt 0x0
	ds_store_b64 v1, v[100:101]
	s_wait_storecnt_dscnt 0x0
	s_barrier_signal -1
	s_barrier_wait -1
	s_wait_xcnt 0x0
	s_and_saveexec_b32 s2, s0
	s_cbranch_execz .LBB47_465
; %bb.456:
	s_and_not1_b32 vcc_lo, exec_lo, s3
	s_cbranch_vccnz .LBB47_458
; %bb.457:
	scratch_load_b64 v[100:101], v39, off
	ds_load_b64 v[102:103], v1
	s_wait_loadcnt_dscnt 0x0
	v_pk_mul_f32 v[104:105], v[102:103], v[100:101] op_sel:[1,1] op_sel_hi:[0,1]
	s_delay_alu instid0(VALU_DEP_1) | instskip(SKIP_1) | instid1(VALU_DEP_2)
	v_pk_fma_f32 v[106:107], v[102:103], v[100:101], v[104:105] op_sel_hi:[1,0,1]
	v_pk_fma_f32 v[100:101], v[102:103], v[100:101], v[104:105] neg_lo:[0,0,1] neg_hi:[0,0,1]
	v_mov_b32_e32 v101, v107
	s_cbranch_execz .LBB47_459
	s_branch .LBB47_460
.LBB47_458:
                                        ; implicit-def: $vgpr100_vgpr101
.LBB47_459:
	ds_load_b64 v[100:101], v1
.LBB47_460:
	s_and_saveexec_b32 s5, s1
	s_cbranch_execz .LBB47_464
; %bb.461:
	v_add_nc_u32_e32 v102, -2, v0
	s_movk_i32 s8, 0x190
	s_mov_b32 s1, 0
.LBB47_462:                             ; =>This Inner Loop Header: Depth=1
	scratch_load_b64 v[104:105], off, s4
	v_dual_mov_b32 v103, s8 :: v_dual_add_nc_u32 v102, -1, v102
	s_add_co_i32 s8, s8, 8
	s_wait_xcnt 0x0
	s_add_co_i32 s4, s4, 8
	ds_load_b64 v[106:107], v103
	v_cmp_eq_u32_e32 vcc_lo, 0, v102
	s_or_b32 s1, vcc_lo, s1
	s_wait_loadcnt_dscnt 0x0
	v_pk_mul_f32 v[108:109], v[106:107], v[104:105] op_sel:[1,1] op_sel_hi:[0,1]
	s_delay_alu instid0(VALU_DEP_1) | instskip(SKIP_1) | instid1(VALU_DEP_2)
	v_pk_fma_f32 v[110:111], v[106:107], v[104:105], v[108:109] op_sel_hi:[1,0,1]
	v_pk_fma_f32 v[104:105], v[106:107], v[104:105], v[108:109] neg_lo:[0,0,1] neg_hi:[0,0,1]
	v_mov_b32_e32 v105, v111
	s_delay_alu instid0(VALU_DEP_1)
	v_pk_add_f32 v[100:101], v[100:101], v[104:105]
	s_and_not1_b32 exec_lo, exec_lo, s1
	s_cbranch_execnz .LBB47_462
; %bb.463:
	s_or_b32 exec_lo, exec_lo, s1
.LBB47_464:
	s_delay_alu instid0(SALU_CYCLE_1) | instskip(SKIP_4) | instid1(VALU_DEP_1)
	s_or_b32 exec_lo, exec_lo, s5
	v_mov_b32_e32 v102, 0
	ds_load_b64 v[102:103], v102 offset:8
	s_wait_dscnt 0x0
	v_pk_mul_f32 v[104:105], v[100:101], v[102:103] op_sel:[1,1] op_sel_hi:[0,1]
	v_pk_fma_f32 v[106:107], v[100:101], v[102:103], v[104:105] op_sel_hi:[1,0,1]
	v_pk_fma_f32 v[100:101], v[100:101], v[102:103], v[104:105] neg_lo:[0,0,1] neg_hi:[0,0,1]
	s_delay_alu instid0(VALU_DEP_2)
	v_mov_b32_e32 v101, v107
	scratch_store_b64 off, v[100:101], off offset:8
.LBB47_465:
	s_wait_xcnt 0x0
	s_or_b32 exec_lo, exec_lo, s2
	scratch_load_b64 v[100:101], off, off
	s_mov_b32 s2, 0
	s_mov_b32 s1, 0
	s_mov_b32 s5, exec_lo
                                        ; implicit-def: $vgpr132
                                        ; implicit-def: $sgpr4
	s_wait_loadcnt 0x0
	ds_store_b64 v1, v[100:101]
	s_wait_storecnt_dscnt 0x0
	s_barrier_signal -1
	s_barrier_wait -1
	s_wait_xcnt 0x0
	v_cmpx_ne_u32_e32 0, v0
	s_cbranch_execz .LBB47_475
; %bb.466:
	s_and_not1_b32 vcc_lo, exec_lo, s3
	s_cbranch_vccnz .LBB47_468
; %bb.467:
	scratch_load_b64 v[102:103], v39, off
	ds_load_b64 v[104:105], v1
	s_wait_loadcnt_dscnt 0x0
	v_dual_mul_f32 v100, v105, v103 :: v_dual_mul_f32 v101, v104, v103
	s_delay_alu instid0(VALU_DEP_1)
	v_dual_fma_f32 v100, v104, v102, -v100 :: v_dual_fmac_f32 v101, v105, v102
	s_and_not1_b32 vcc_lo, exec_lo, s1
	s_cbranch_vccz .LBB47_469
	s_branch .LBB47_470
.LBB47_468:
                                        ; implicit-def: $vgpr100
.LBB47_469:
	ds_load_b64 v[100:101], v1
.LBB47_470:
	s_and_saveexec_b32 s1, s0
	s_cbranch_execz .LBB47_474
; %bb.471:
	v_add_nc_u32_e32 v102, -1, v0
	s_or_b32 s0, 0, 8
	s_movk_i32 s8, 0x188
	s_mov_b32 s4, 0
.LBB47_472:                             ; =>This Inner Loop Header: Depth=1
	scratch_load_b64 v[104:105], off, s0
	v_mov_b32_e32 v103, s8
	s_add_co_i32 s8, s8, 8
	s_wait_xcnt 0x0
	s_add_co_i32 s0, s0, 8
	v_add_nc_u32_e32 v102, -1, v102
	ds_load_b64 v[106:107], v103
	v_cmp_eq_u32_e32 vcc_lo, 0, v102
	s_or_b32 s4, vcc_lo, s4
	s_wait_loadcnt_dscnt 0x0
	v_dual_mul_f32 v103, v107, v105 :: v_dual_mul_f32 v105, v106, v105
	s_delay_alu instid0(VALU_DEP_1) | instskip(NEXT) | instid1(VALU_DEP_1)
	v_dual_fma_f32 v103, v106, v104, -v103 :: v_dual_fmac_f32 v105, v107, v104
	v_dual_add_f32 v100, v100, v103 :: v_dual_add_f32 v101, v101, v105
	s_and_not1_b32 exec_lo, exec_lo, s4
	s_cbranch_execnz .LBB47_472
; %bb.473:
	s_or_b32 exec_lo, exec_lo, s4
.LBB47_474:
	s_delay_alu instid0(SALU_CYCLE_1)
	s_or_b32 exec_lo, exec_lo, s1
	v_mov_b32_e32 v102, 0
	s_mov_b32 s1, exec_lo
	s_or_b32 s4, 0, 4
	ds_load_b64 v[102:103], v102
	s_wait_dscnt 0x0
	v_dual_mul_f32 v104, v101, v103 :: v_dual_mul_f32 v132, v100, v103
	s_delay_alu instid0(VALU_DEP_1) | instskip(NEXT) | instid1(VALU_DEP_2)
	v_fma_f32 v100, v100, v102, -v104
	v_fmac_f32_e32 v132, v101, v102
	scratch_store_b32 off, v100, off
.LBB47_475:
	s_wait_xcnt 0x0
	s_or_b32 exec_lo, exec_lo, s5
	s_delay_alu instid0(SALU_CYCLE_1)
	s_and_b32 vcc_lo, exec_lo, s2
	s_cbranch_vccz .LBB47_941
.LBB47_476:
	scratch_load_b64 v[100:101], off, off offset:8
	v_cmp_eq_u32_e64 s0, 0, v0
	s_wait_loadcnt 0x0
	ds_store_b64 v1, v[100:101]
	s_wait_storecnt_dscnt 0x0
	s_barrier_signal -1
	s_barrier_wait -1
	s_wait_xcnt 0x0
	s_and_saveexec_b32 s2, s0
	s_cbranch_execz .LBB47_482
; %bb.477:
	s_and_b32 vcc_lo, exec_lo, s3
	s_cbranch_vccz .LBB47_479
; %bb.478:
	scratch_load_b64 v[100:101], v39, off
	ds_load_b64 v[102:103], v1
	s_wait_loadcnt_dscnt 0x0
	v_pk_mul_f32 v[104:105], v[102:103], v[100:101] op_sel:[1,1] op_sel_hi:[0,1]
	v_pk_mul_f32 v[106:107], v[102:103], v[100:101] op_sel_hi:[1,0]
	s_delay_alu instid0(VALU_DEP_2) | instskip(NEXT) | instid1(VALU_DEP_2)
	v_pk_fma_f32 v[100:101], v[102:103], v[100:101], v[104:105] op_sel_hi:[1,0,1]
	v_sub_f32_e32 v100, v106, v104
	s_cbranch_execz .LBB47_480
	s_branch .LBB47_481
.LBB47_479:
                                        ; implicit-def: $vgpr101
.LBB47_480:
	ds_load_b64 v[100:101], v1
.LBB47_481:
	s_wait_dscnt 0x0
	v_dual_mov_b32 v102, 0 :: v_dual_mov_b32 v104, v101
	v_mov_b32_e32 v105, v100
	ds_load_b64 v[102:103], v102 offset:8
	s_wait_dscnt 0x0
	v_pk_mul_f32 v[104:105], v[104:105], v[102:103] op_sel:[0,1]
	s_delay_alu instid0(VALU_DEP_1) | instskip(SKIP_1) | instid1(VALU_DEP_2)
	v_pk_fma_f32 v[106:107], v[100:101], v[102:103], v[104:105] op_sel_hi:[1,0,1]
	v_pk_fma_f32 v[100:101], v[100:101], v[102:103], v[104:105] neg_lo:[0,0,1] neg_hi:[0,0,1]
	v_mov_b32_e32 v101, v107
	scratch_store_b64 off, v[100:101], off offset:8
.LBB47_482:
	s_wait_xcnt 0x0
	s_or_b32 exec_lo, exec_lo, s2
	scratch_load_b64 v[100:101], off, off offset:16
	v_cndmask_b32_e64 v102, 0, 1, s3
	s_mov_b32 s2, exec_lo
	s_wait_loadcnt 0x0
	ds_store_b64 v1, v[100:101]
	s_wait_storecnt_dscnt 0x0
	s_barrier_signal -1
	s_barrier_wait -1
	s_wait_xcnt 0x0
	v_cmpx_gt_u32_e32 2, v0
	s_cbranch_execz .LBB47_490
; %bb.483:
	s_and_not1_b32 vcc_lo, exec_lo, s3
	s_cbranch_vccnz .LBB47_485
; %bb.484:
	scratch_load_b64 v[100:101], v39, off
	ds_load_b64 v[104:105], v1
	s_wait_loadcnt_dscnt 0x0
	v_pk_mul_f32 v[106:107], v[104:105], v[100:101] op_sel:[1,1] op_sel_hi:[0,1]
	s_delay_alu instid0(VALU_DEP_1) | instskip(SKIP_1) | instid1(VALU_DEP_2)
	v_pk_fma_f32 v[108:109], v[104:105], v[100:101], v[106:107] op_sel_hi:[1,0,1]
	v_pk_fma_f32 v[100:101], v[104:105], v[100:101], v[106:107] neg_lo:[0,0,1] neg_hi:[0,0,1]
	v_mov_b32_e32 v101, v109
	s_cbranch_execz .LBB47_486
	s_branch .LBB47_487
.LBB47_485:
                                        ; implicit-def: $vgpr100_vgpr101
.LBB47_486:
	ds_load_b64 v[100:101], v1
.LBB47_487:
	s_and_saveexec_b32 s3, s0
	s_cbranch_execz .LBB47_489
; %bb.488:
	scratch_load_b64 v[104:105], off, off offset:8
	v_mov_b32_e32 v103, 0
	ds_load_b64 v[106:107], v103 offset:392
	s_wait_loadcnt_dscnt 0x0
	v_pk_mul_f32 v[108:109], v[106:107], v[104:105] op_sel:[1,1] op_sel_hi:[0,1]
	s_delay_alu instid0(VALU_DEP_1) | instskip(SKIP_1) | instid1(VALU_DEP_2)
	v_pk_fma_f32 v[110:111], v[106:107], v[104:105], v[108:109] op_sel_hi:[1,0,1]
	v_pk_fma_f32 v[104:105], v[106:107], v[104:105], v[108:109] neg_lo:[0,0,1] neg_hi:[0,0,1]
	v_mov_b32_e32 v105, v111
	s_delay_alu instid0(VALU_DEP_1)
	v_pk_add_f32 v[100:101], v[100:101], v[104:105]
.LBB47_489:
	s_or_b32 exec_lo, exec_lo, s3
	v_mov_b32_e32 v103, 0
	ds_load_b64 v[104:105], v103 offset:16
	s_wait_dscnt 0x0
	v_pk_mul_f32 v[106:107], v[100:101], v[104:105] op_sel:[1,1] op_sel_hi:[0,1]
	s_delay_alu instid0(VALU_DEP_1) | instskip(SKIP_1) | instid1(VALU_DEP_2)
	v_pk_fma_f32 v[108:109], v[100:101], v[104:105], v[106:107] op_sel_hi:[1,0,1]
	v_pk_fma_f32 v[100:101], v[100:101], v[104:105], v[106:107] neg_lo:[0,0,1] neg_hi:[0,0,1]
	v_mov_b32_e32 v101, v109
	scratch_store_b64 off, v[100:101], off offset:16
.LBB47_490:
	s_wait_xcnt 0x0
	s_or_b32 exec_lo, exec_lo, s2
	scratch_load_b64 v[100:101], off, off offset:24
	s_mov_b32 s2, exec_lo
	s_wait_loadcnt 0x0
	ds_store_b64 v1, v[100:101]
	s_wait_storecnt_dscnt 0x0
	s_barrier_signal -1
	s_barrier_wait -1
	s_wait_xcnt 0x0
	v_cmpx_gt_u32_e32 3, v0
	s_cbranch_execz .LBB47_500
; %bb.491:
	v_cmp_ne_u32_e32 vcc_lo, 1, v102
	s_cbranch_vccnz .LBB47_493
; %bb.492:
	scratch_load_b64 v[100:101], v39, off
	ds_load_b64 v[104:105], v1
	s_wait_loadcnt_dscnt 0x0
	v_pk_mul_f32 v[106:107], v[104:105], v[100:101] op_sel:[1,1] op_sel_hi:[0,1]
	s_delay_alu instid0(VALU_DEP_1) | instskip(SKIP_1) | instid1(VALU_DEP_2)
	v_pk_fma_f32 v[108:109], v[104:105], v[100:101], v[106:107] op_sel_hi:[1,0,1]
	v_pk_fma_f32 v[100:101], v[104:105], v[100:101], v[106:107] neg_lo:[0,0,1] neg_hi:[0,0,1]
	v_mov_b32_e32 v101, v109
	s_cbranch_execz .LBB47_494
	s_branch .LBB47_495
.LBB47_493:
                                        ; implicit-def: $vgpr100_vgpr101
.LBB47_494:
	ds_load_b64 v[100:101], v1
.LBB47_495:
	s_mov_b32 s3, exec_lo
	v_cmpx_ne_u32_e32 2, v0
	s_cbranch_execz .LBB47_499
; %bb.496:
	scratch_load_b64 v[104:105], v39, off offset:8
	ds_load_b64 v[106:107], v1 offset:8
	s_wait_loadcnt_dscnt 0x0
	v_pk_mul_f32 v[108:109], v[106:107], v[104:105] op_sel:[1,1] op_sel_hi:[0,1]
	s_delay_alu instid0(VALU_DEP_1) | instskip(SKIP_1) | instid1(VALU_DEP_2)
	v_pk_fma_f32 v[110:111], v[106:107], v[104:105], v[108:109] op_sel_hi:[1,0,1]
	v_pk_fma_f32 v[104:105], v[106:107], v[104:105], v[108:109] neg_lo:[0,0,1] neg_hi:[0,0,1]
	v_mov_b32_e32 v105, v111
	s_delay_alu instid0(VALU_DEP_1)
	v_pk_add_f32 v[100:101], v[100:101], v[104:105]
	s_and_saveexec_b32 s4, s0
	s_cbranch_execz .LBB47_498
; %bb.497:
	scratch_load_b64 v[104:105], off, off offset:16
	v_mov_b32_e32 v103, 0
	ds_load_b64 v[106:107], v103 offset:400
	s_wait_loadcnt_dscnt 0x0
	v_pk_mul_f32 v[108:109], v[106:107], v[104:105] op_sel:[1,1] op_sel_hi:[0,1]
	s_delay_alu instid0(VALU_DEP_1) | instskip(SKIP_1) | instid1(VALU_DEP_2)
	v_pk_fma_f32 v[110:111], v[106:107], v[104:105], v[108:109] op_sel_hi:[1,0,1]
	v_pk_fma_f32 v[104:105], v[106:107], v[104:105], v[108:109] neg_lo:[0,0,1] neg_hi:[0,0,1]
	v_mov_b32_e32 v105, v111
	s_delay_alu instid0(VALU_DEP_1)
	v_pk_add_f32 v[100:101], v[100:101], v[104:105]
.LBB47_498:
	s_or_b32 exec_lo, exec_lo, s4
.LBB47_499:
	s_delay_alu instid0(SALU_CYCLE_1) | instskip(SKIP_4) | instid1(VALU_DEP_1)
	s_or_b32 exec_lo, exec_lo, s3
	v_mov_b32_e32 v103, 0
	ds_load_b64 v[104:105], v103 offset:24
	s_wait_dscnt 0x0
	v_pk_mul_f32 v[106:107], v[100:101], v[104:105] op_sel:[1,1] op_sel_hi:[0,1]
	v_pk_fma_f32 v[108:109], v[100:101], v[104:105], v[106:107] op_sel_hi:[1,0,1]
	v_pk_fma_f32 v[100:101], v[100:101], v[104:105], v[106:107] neg_lo:[0,0,1] neg_hi:[0,0,1]
	s_delay_alu instid0(VALU_DEP_2)
	v_mov_b32_e32 v101, v109
	scratch_store_b64 off, v[100:101], off offset:24
.LBB47_500:
	s_wait_xcnt 0x0
	s_or_b32 exec_lo, exec_lo, s2
	scratch_load_b64 v[100:101], off, off offset:32
	s_mov_b32 s0, exec_lo
	s_wait_loadcnt 0x0
	ds_store_b64 v1, v[100:101]
	s_wait_storecnt_dscnt 0x0
	s_barrier_signal -1
	s_barrier_wait -1
	s_wait_xcnt 0x0
	v_cmpx_gt_u32_e32 4, v0
	s_cbranch_execz .LBB47_510
; %bb.501:
	v_cmp_ne_u32_e32 vcc_lo, 1, v102
	s_cbranch_vccnz .LBB47_503
; %bb.502:
	scratch_load_b64 v[100:101], v39, off
	ds_load_b64 v[104:105], v1
	s_wait_loadcnt_dscnt 0x0
	v_pk_mul_f32 v[106:107], v[104:105], v[100:101] op_sel:[1,1] op_sel_hi:[0,1]
	s_delay_alu instid0(VALU_DEP_1) | instskip(SKIP_1) | instid1(VALU_DEP_2)
	v_pk_fma_f32 v[108:109], v[104:105], v[100:101], v[106:107] op_sel_hi:[1,0,1]
	v_pk_fma_f32 v[100:101], v[104:105], v[100:101], v[106:107] neg_lo:[0,0,1] neg_hi:[0,0,1]
	v_mov_b32_e32 v101, v109
	s_cbranch_execz .LBB47_504
	s_branch .LBB47_505
.LBB47_503:
                                        ; implicit-def: $vgpr100_vgpr101
.LBB47_504:
	ds_load_b64 v[100:101], v1
.LBB47_505:
	s_mov_b32 s2, exec_lo
	v_cmpx_ne_u32_e32 3, v0
	s_cbranch_execz .LBB47_509
; %bb.506:
	v_add_nc_u32_e32 v103, 0x188, v38
	v_add3_u32 v104, 0, v38, 8
	v_mov_b32_e32 v105, v0
	s_mov_b32 s3, 0
.LBB47_507:                             ; =>This Inner Loop Header: Depth=1
	scratch_load_b64 v[106:107], v104, off
	ds_load_b64 v[108:109], v103
	s_wait_xcnt 0x0
	v_dual_add_nc_u32 v103, 8, v103 :: v_dual_add_nc_u32 v104, 8, v104
	s_wait_loadcnt_dscnt 0x0
	v_pk_mul_f32 v[110:111], v[108:109], v[106:107] op_sel:[1,1] op_sel_hi:[0,1]
	s_delay_alu instid0(VALU_DEP_1) | instskip(SKIP_2) | instid1(VALU_DEP_3)
	v_pk_fma_f32 v[112:113], v[108:109], v[106:107], v[110:111] op_sel_hi:[1,0,1]
	v_add_nc_u32_e32 v105, 1, v105
	v_pk_fma_f32 v[106:107], v[108:109], v[106:107], v[110:111] neg_lo:[0,0,1] neg_hi:[0,0,1]
	v_mov_b32_e32 v107, v113
	s_delay_alu instid0(VALU_DEP_3) | instskip(NEXT) | instid1(VALU_DEP_2)
	v_cmp_lt_u32_e32 vcc_lo, 2, v105
	v_pk_add_f32 v[100:101], v[100:101], v[106:107]
	s_or_b32 s3, vcc_lo, s3
	s_delay_alu instid0(SALU_CYCLE_1)
	s_and_not1_b32 exec_lo, exec_lo, s3
	s_cbranch_execnz .LBB47_507
; %bb.508:
	s_or_b32 exec_lo, exec_lo, s3
.LBB47_509:
	s_delay_alu instid0(SALU_CYCLE_1) | instskip(SKIP_4) | instid1(VALU_DEP_1)
	s_or_b32 exec_lo, exec_lo, s2
	v_mov_b32_e32 v103, 0
	ds_load_b64 v[104:105], v103 offset:32
	s_wait_dscnt 0x0
	v_pk_mul_f32 v[106:107], v[100:101], v[104:105] op_sel:[1,1] op_sel_hi:[0,1]
	v_pk_fma_f32 v[108:109], v[100:101], v[104:105], v[106:107] op_sel_hi:[1,0,1]
	v_pk_fma_f32 v[100:101], v[100:101], v[104:105], v[106:107] neg_lo:[0,0,1] neg_hi:[0,0,1]
	s_delay_alu instid0(VALU_DEP_2)
	v_mov_b32_e32 v101, v109
	scratch_store_b64 off, v[100:101], off offset:32
.LBB47_510:
	s_wait_xcnt 0x0
	s_or_b32 exec_lo, exec_lo, s0
	scratch_load_b64 v[100:101], off, off offset:40
	s_mov_b32 s0, exec_lo
	s_wait_loadcnt 0x0
	ds_store_b64 v1, v[100:101]
	s_wait_storecnt_dscnt 0x0
	s_barrier_signal -1
	s_barrier_wait -1
	s_wait_xcnt 0x0
	v_cmpx_gt_u32_e32 5, v0
	s_cbranch_execz .LBB47_520
; %bb.511:
	v_cmp_ne_u32_e32 vcc_lo, 1, v102
	s_cbranch_vccnz .LBB47_513
; %bb.512:
	scratch_load_b64 v[100:101], v39, off
	ds_load_b64 v[104:105], v1
	s_wait_loadcnt_dscnt 0x0
	v_pk_mul_f32 v[106:107], v[104:105], v[100:101] op_sel:[1,1] op_sel_hi:[0,1]
	s_delay_alu instid0(VALU_DEP_1) | instskip(SKIP_1) | instid1(VALU_DEP_2)
	v_pk_fma_f32 v[108:109], v[104:105], v[100:101], v[106:107] op_sel_hi:[1,0,1]
	v_pk_fma_f32 v[100:101], v[104:105], v[100:101], v[106:107] neg_lo:[0,0,1] neg_hi:[0,0,1]
	v_mov_b32_e32 v101, v109
	s_cbranch_execz .LBB47_514
	s_branch .LBB47_515
.LBB47_513:
                                        ; implicit-def: $vgpr100_vgpr101
.LBB47_514:
	ds_load_b64 v[100:101], v1
.LBB47_515:
	s_mov_b32 s2, exec_lo
	v_cmpx_ne_u32_e32 4, v0
	s_cbranch_execz .LBB47_519
; %bb.516:
	v_add_nc_u32_e32 v103, 0x188, v38
	v_add3_u32 v104, 0, v38, 8
	v_mov_b32_e32 v105, v0
	s_mov_b32 s3, 0
.LBB47_517:                             ; =>This Inner Loop Header: Depth=1
	scratch_load_b64 v[106:107], v104, off
	ds_load_b64 v[108:109], v103
	s_wait_xcnt 0x0
	v_dual_add_nc_u32 v103, 8, v103 :: v_dual_add_nc_u32 v104, 8, v104
	s_wait_loadcnt_dscnt 0x0
	v_pk_mul_f32 v[110:111], v[108:109], v[106:107] op_sel:[1,1] op_sel_hi:[0,1]
	s_delay_alu instid0(VALU_DEP_1) | instskip(SKIP_2) | instid1(VALU_DEP_3)
	v_pk_fma_f32 v[112:113], v[108:109], v[106:107], v[110:111] op_sel_hi:[1,0,1]
	v_add_nc_u32_e32 v105, 1, v105
	v_pk_fma_f32 v[106:107], v[108:109], v[106:107], v[110:111] neg_lo:[0,0,1] neg_hi:[0,0,1]
	v_mov_b32_e32 v107, v113
	s_delay_alu instid0(VALU_DEP_3) | instskip(NEXT) | instid1(VALU_DEP_2)
	v_cmp_lt_u32_e32 vcc_lo, 3, v105
	v_pk_add_f32 v[100:101], v[100:101], v[106:107]
	s_or_b32 s3, vcc_lo, s3
	s_delay_alu instid0(SALU_CYCLE_1)
	s_and_not1_b32 exec_lo, exec_lo, s3
	s_cbranch_execnz .LBB47_517
; %bb.518:
	s_or_b32 exec_lo, exec_lo, s3
.LBB47_519:
	s_delay_alu instid0(SALU_CYCLE_1) | instskip(SKIP_4) | instid1(VALU_DEP_1)
	s_or_b32 exec_lo, exec_lo, s2
	v_mov_b32_e32 v103, 0
	ds_load_b64 v[104:105], v103 offset:40
	s_wait_dscnt 0x0
	v_pk_mul_f32 v[106:107], v[100:101], v[104:105] op_sel:[1,1] op_sel_hi:[0,1]
	v_pk_fma_f32 v[108:109], v[100:101], v[104:105], v[106:107] op_sel_hi:[1,0,1]
	v_pk_fma_f32 v[100:101], v[100:101], v[104:105], v[106:107] neg_lo:[0,0,1] neg_hi:[0,0,1]
	s_delay_alu instid0(VALU_DEP_2)
	v_mov_b32_e32 v101, v109
	scratch_store_b64 off, v[100:101], off offset:40
.LBB47_520:
	s_wait_xcnt 0x0
	s_or_b32 exec_lo, exec_lo, s0
	scratch_load_b64 v[100:101], off, off offset:48
	s_mov_b32 s0, exec_lo
	s_wait_loadcnt 0x0
	ds_store_b64 v1, v[100:101]
	s_wait_storecnt_dscnt 0x0
	s_barrier_signal -1
	s_barrier_wait -1
	s_wait_xcnt 0x0
	v_cmpx_gt_u32_e32 6, v0
	s_cbranch_execz .LBB47_530
; %bb.521:
	v_cmp_ne_u32_e32 vcc_lo, 1, v102
	s_cbranch_vccnz .LBB47_523
; %bb.522:
	scratch_load_b64 v[100:101], v39, off
	ds_load_b64 v[104:105], v1
	s_wait_loadcnt_dscnt 0x0
	v_pk_mul_f32 v[106:107], v[104:105], v[100:101] op_sel:[1,1] op_sel_hi:[0,1]
	s_delay_alu instid0(VALU_DEP_1) | instskip(SKIP_1) | instid1(VALU_DEP_2)
	v_pk_fma_f32 v[108:109], v[104:105], v[100:101], v[106:107] op_sel_hi:[1,0,1]
	v_pk_fma_f32 v[100:101], v[104:105], v[100:101], v[106:107] neg_lo:[0,0,1] neg_hi:[0,0,1]
	v_mov_b32_e32 v101, v109
	s_cbranch_execz .LBB47_524
	s_branch .LBB47_525
.LBB47_523:
                                        ; implicit-def: $vgpr100_vgpr101
.LBB47_524:
	ds_load_b64 v[100:101], v1
.LBB47_525:
	s_mov_b32 s2, exec_lo
	v_cmpx_ne_u32_e32 5, v0
	s_cbranch_execz .LBB47_529
; %bb.526:
	v_add_nc_u32_e32 v103, 0x188, v38
	v_add3_u32 v104, 0, v38, 8
	v_mov_b32_e32 v105, v0
	s_mov_b32 s3, 0
.LBB47_527:                             ; =>This Inner Loop Header: Depth=1
	scratch_load_b64 v[106:107], v104, off
	ds_load_b64 v[108:109], v103
	s_wait_xcnt 0x0
	v_dual_add_nc_u32 v103, 8, v103 :: v_dual_add_nc_u32 v104, 8, v104
	s_wait_loadcnt_dscnt 0x0
	v_pk_mul_f32 v[110:111], v[108:109], v[106:107] op_sel:[1,1] op_sel_hi:[0,1]
	s_delay_alu instid0(VALU_DEP_1) | instskip(SKIP_2) | instid1(VALU_DEP_3)
	v_pk_fma_f32 v[112:113], v[108:109], v[106:107], v[110:111] op_sel_hi:[1,0,1]
	v_add_nc_u32_e32 v105, 1, v105
	v_pk_fma_f32 v[106:107], v[108:109], v[106:107], v[110:111] neg_lo:[0,0,1] neg_hi:[0,0,1]
	v_mov_b32_e32 v107, v113
	s_delay_alu instid0(VALU_DEP_3) | instskip(NEXT) | instid1(VALU_DEP_2)
	v_cmp_lt_u32_e32 vcc_lo, 4, v105
	v_pk_add_f32 v[100:101], v[100:101], v[106:107]
	s_or_b32 s3, vcc_lo, s3
	s_delay_alu instid0(SALU_CYCLE_1)
	s_and_not1_b32 exec_lo, exec_lo, s3
	s_cbranch_execnz .LBB47_527
; %bb.528:
	s_or_b32 exec_lo, exec_lo, s3
.LBB47_529:
	s_delay_alu instid0(SALU_CYCLE_1) | instskip(SKIP_4) | instid1(VALU_DEP_1)
	s_or_b32 exec_lo, exec_lo, s2
	v_mov_b32_e32 v103, 0
	ds_load_b64 v[104:105], v103 offset:48
	s_wait_dscnt 0x0
	v_pk_mul_f32 v[106:107], v[100:101], v[104:105] op_sel:[1,1] op_sel_hi:[0,1]
	v_pk_fma_f32 v[108:109], v[100:101], v[104:105], v[106:107] op_sel_hi:[1,0,1]
	v_pk_fma_f32 v[100:101], v[100:101], v[104:105], v[106:107] neg_lo:[0,0,1] neg_hi:[0,0,1]
	s_delay_alu instid0(VALU_DEP_2)
	v_mov_b32_e32 v101, v109
	scratch_store_b64 off, v[100:101], off offset:48
.LBB47_530:
	s_wait_xcnt 0x0
	s_or_b32 exec_lo, exec_lo, s0
	scratch_load_b64 v[100:101], off, off offset:56
	s_mov_b32 s0, exec_lo
	s_wait_loadcnt 0x0
	ds_store_b64 v1, v[100:101]
	s_wait_storecnt_dscnt 0x0
	s_barrier_signal -1
	s_barrier_wait -1
	s_wait_xcnt 0x0
	v_cmpx_gt_u32_e32 7, v0
	s_cbranch_execz .LBB47_540
; %bb.531:
	v_cmp_ne_u32_e32 vcc_lo, 1, v102
	s_cbranch_vccnz .LBB47_533
; %bb.532:
	scratch_load_b64 v[100:101], v39, off
	ds_load_b64 v[104:105], v1
	s_wait_loadcnt_dscnt 0x0
	v_pk_mul_f32 v[106:107], v[104:105], v[100:101] op_sel:[1,1] op_sel_hi:[0,1]
	s_delay_alu instid0(VALU_DEP_1) | instskip(SKIP_1) | instid1(VALU_DEP_2)
	v_pk_fma_f32 v[108:109], v[104:105], v[100:101], v[106:107] op_sel_hi:[1,0,1]
	v_pk_fma_f32 v[100:101], v[104:105], v[100:101], v[106:107] neg_lo:[0,0,1] neg_hi:[0,0,1]
	v_mov_b32_e32 v101, v109
	s_cbranch_execz .LBB47_534
	s_branch .LBB47_535
.LBB47_533:
                                        ; implicit-def: $vgpr100_vgpr101
.LBB47_534:
	ds_load_b64 v[100:101], v1
.LBB47_535:
	s_mov_b32 s2, exec_lo
	v_cmpx_ne_u32_e32 6, v0
	s_cbranch_execz .LBB47_539
; %bb.536:
	v_add_nc_u32_e32 v103, 0x188, v38
	v_add3_u32 v104, 0, v38, 8
	v_mov_b32_e32 v105, v0
	s_mov_b32 s3, 0
.LBB47_537:                             ; =>This Inner Loop Header: Depth=1
	scratch_load_b64 v[106:107], v104, off
	ds_load_b64 v[108:109], v103
	s_wait_xcnt 0x0
	v_dual_add_nc_u32 v103, 8, v103 :: v_dual_add_nc_u32 v104, 8, v104
	s_wait_loadcnt_dscnt 0x0
	v_pk_mul_f32 v[110:111], v[108:109], v[106:107] op_sel:[1,1] op_sel_hi:[0,1]
	s_delay_alu instid0(VALU_DEP_1) | instskip(SKIP_2) | instid1(VALU_DEP_3)
	v_pk_fma_f32 v[112:113], v[108:109], v[106:107], v[110:111] op_sel_hi:[1,0,1]
	v_add_nc_u32_e32 v105, 1, v105
	v_pk_fma_f32 v[106:107], v[108:109], v[106:107], v[110:111] neg_lo:[0,0,1] neg_hi:[0,0,1]
	v_mov_b32_e32 v107, v113
	s_delay_alu instid0(VALU_DEP_3) | instskip(NEXT) | instid1(VALU_DEP_2)
	v_cmp_lt_u32_e32 vcc_lo, 5, v105
	v_pk_add_f32 v[100:101], v[100:101], v[106:107]
	s_or_b32 s3, vcc_lo, s3
	s_delay_alu instid0(SALU_CYCLE_1)
	s_and_not1_b32 exec_lo, exec_lo, s3
	s_cbranch_execnz .LBB47_537
; %bb.538:
	s_or_b32 exec_lo, exec_lo, s3
.LBB47_539:
	s_delay_alu instid0(SALU_CYCLE_1) | instskip(SKIP_4) | instid1(VALU_DEP_1)
	s_or_b32 exec_lo, exec_lo, s2
	v_mov_b32_e32 v103, 0
	ds_load_b64 v[104:105], v103 offset:56
	s_wait_dscnt 0x0
	v_pk_mul_f32 v[106:107], v[100:101], v[104:105] op_sel:[1,1] op_sel_hi:[0,1]
	v_pk_fma_f32 v[108:109], v[100:101], v[104:105], v[106:107] op_sel_hi:[1,0,1]
	v_pk_fma_f32 v[100:101], v[100:101], v[104:105], v[106:107] neg_lo:[0,0,1] neg_hi:[0,0,1]
	s_delay_alu instid0(VALU_DEP_2)
	v_mov_b32_e32 v101, v109
	scratch_store_b64 off, v[100:101], off offset:56
.LBB47_540:
	s_wait_xcnt 0x0
	s_or_b32 exec_lo, exec_lo, s0
	scratch_load_b64 v[100:101], off, off offset:64
	s_mov_b32 s0, exec_lo
	s_wait_loadcnt 0x0
	ds_store_b64 v1, v[100:101]
	s_wait_storecnt_dscnt 0x0
	s_barrier_signal -1
	s_barrier_wait -1
	s_wait_xcnt 0x0
	v_cmpx_gt_u32_e32 8, v0
	s_cbranch_execz .LBB47_550
; %bb.541:
	v_cmp_ne_u32_e32 vcc_lo, 1, v102
	s_cbranch_vccnz .LBB47_543
; %bb.542:
	scratch_load_b64 v[100:101], v39, off
	ds_load_b64 v[104:105], v1
	s_wait_loadcnt_dscnt 0x0
	v_pk_mul_f32 v[106:107], v[104:105], v[100:101] op_sel:[1,1] op_sel_hi:[0,1]
	s_delay_alu instid0(VALU_DEP_1) | instskip(SKIP_1) | instid1(VALU_DEP_2)
	v_pk_fma_f32 v[108:109], v[104:105], v[100:101], v[106:107] op_sel_hi:[1,0,1]
	v_pk_fma_f32 v[100:101], v[104:105], v[100:101], v[106:107] neg_lo:[0,0,1] neg_hi:[0,0,1]
	v_mov_b32_e32 v101, v109
	s_cbranch_execz .LBB47_544
	s_branch .LBB47_545
.LBB47_543:
                                        ; implicit-def: $vgpr100_vgpr101
.LBB47_544:
	ds_load_b64 v[100:101], v1
.LBB47_545:
	s_mov_b32 s2, exec_lo
	v_cmpx_ne_u32_e32 7, v0
	s_cbranch_execz .LBB47_549
; %bb.546:
	v_add_nc_u32_e32 v103, 0x188, v38
	v_add3_u32 v104, 0, v38, 8
	v_mov_b32_e32 v105, v0
	s_mov_b32 s3, 0
.LBB47_547:                             ; =>This Inner Loop Header: Depth=1
	scratch_load_b64 v[106:107], v104, off
	ds_load_b64 v[108:109], v103
	s_wait_xcnt 0x0
	v_dual_add_nc_u32 v103, 8, v103 :: v_dual_add_nc_u32 v104, 8, v104
	s_wait_loadcnt_dscnt 0x0
	v_pk_mul_f32 v[110:111], v[108:109], v[106:107] op_sel:[1,1] op_sel_hi:[0,1]
	s_delay_alu instid0(VALU_DEP_1) | instskip(SKIP_2) | instid1(VALU_DEP_3)
	v_pk_fma_f32 v[112:113], v[108:109], v[106:107], v[110:111] op_sel_hi:[1,0,1]
	v_add_nc_u32_e32 v105, 1, v105
	v_pk_fma_f32 v[106:107], v[108:109], v[106:107], v[110:111] neg_lo:[0,0,1] neg_hi:[0,0,1]
	v_mov_b32_e32 v107, v113
	s_delay_alu instid0(VALU_DEP_3) | instskip(NEXT) | instid1(VALU_DEP_2)
	v_cmp_lt_u32_e32 vcc_lo, 6, v105
	v_pk_add_f32 v[100:101], v[100:101], v[106:107]
	s_or_b32 s3, vcc_lo, s3
	s_delay_alu instid0(SALU_CYCLE_1)
	s_and_not1_b32 exec_lo, exec_lo, s3
	s_cbranch_execnz .LBB47_547
; %bb.548:
	s_or_b32 exec_lo, exec_lo, s3
.LBB47_549:
	s_delay_alu instid0(SALU_CYCLE_1) | instskip(SKIP_4) | instid1(VALU_DEP_1)
	s_or_b32 exec_lo, exec_lo, s2
	v_mov_b32_e32 v103, 0
	ds_load_b64 v[104:105], v103 offset:64
	s_wait_dscnt 0x0
	v_pk_mul_f32 v[106:107], v[100:101], v[104:105] op_sel:[1,1] op_sel_hi:[0,1]
	v_pk_fma_f32 v[108:109], v[100:101], v[104:105], v[106:107] op_sel_hi:[1,0,1]
	v_pk_fma_f32 v[100:101], v[100:101], v[104:105], v[106:107] neg_lo:[0,0,1] neg_hi:[0,0,1]
	s_delay_alu instid0(VALU_DEP_2)
	v_mov_b32_e32 v101, v109
	scratch_store_b64 off, v[100:101], off offset:64
.LBB47_550:
	s_wait_xcnt 0x0
	s_or_b32 exec_lo, exec_lo, s0
	scratch_load_b64 v[100:101], off, off offset:72
	s_mov_b32 s0, exec_lo
	s_wait_loadcnt 0x0
	ds_store_b64 v1, v[100:101]
	s_wait_storecnt_dscnt 0x0
	s_barrier_signal -1
	s_barrier_wait -1
	s_wait_xcnt 0x0
	v_cmpx_gt_u32_e32 9, v0
	s_cbranch_execz .LBB47_560
; %bb.551:
	v_cmp_ne_u32_e32 vcc_lo, 1, v102
	s_cbranch_vccnz .LBB47_553
; %bb.552:
	scratch_load_b64 v[100:101], v39, off
	ds_load_b64 v[104:105], v1
	s_wait_loadcnt_dscnt 0x0
	v_pk_mul_f32 v[106:107], v[104:105], v[100:101] op_sel:[1,1] op_sel_hi:[0,1]
	s_delay_alu instid0(VALU_DEP_1) | instskip(SKIP_1) | instid1(VALU_DEP_2)
	v_pk_fma_f32 v[108:109], v[104:105], v[100:101], v[106:107] op_sel_hi:[1,0,1]
	v_pk_fma_f32 v[100:101], v[104:105], v[100:101], v[106:107] neg_lo:[0,0,1] neg_hi:[0,0,1]
	v_mov_b32_e32 v101, v109
	s_cbranch_execz .LBB47_554
	s_branch .LBB47_555
.LBB47_553:
                                        ; implicit-def: $vgpr100_vgpr101
.LBB47_554:
	ds_load_b64 v[100:101], v1
.LBB47_555:
	s_mov_b32 s2, exec_lo
	v_cmpx_ne_u32_e32 8, v0
	s_cbranch_execz .LBB47_559
; %bb.556:
	v_add_nc_u32_e32 v103, 0x188, v38
	v_add3_u32 v104, 0, v38, 8
	v_mov_b32_e32 v105, v0
	s_mov_b32 s3, 0
.LBB47_557:                             ; =>This Inner Loop Header: Depth=1
	scratch_load_b64 v[106:107], v104, off
	ds_load_b64 v[108:109], v103
	s_wait_xcnt 0x0
	v_dual_add_nc_u32 v103, 8, v103 :: v_dual_add_nc_u32 v104, 8, v104
	s_wait_loadcnt_dscnt 0x0
	v_pk_mul_f32 v[110:111], v[108:109], v[106:107] op_sel:[1,1] op_sel_hi:[0,1]
	s_delay_alu instid0(VALU_DEP_1) | instskip(SKIP_2) | instid1(VALU_DEP_3)
	v_pk_fma_f32 v[112:113], v[108:109], v[106:107], v[110:111] op_sel_hi:[1,0,1]
	v_add_nc_u32_e32 v105, 1, v105
	v_pk_fma_f32 v[106:107], v[108:109], v[106:107], v[110:111] neg_lo:[0,0,1] neg_hi:[0,0,1]
	v_mov_b32_e32 v107, v113
	s_delay_alu instid0(VALU_DEP_3) | instskip(NEXT) | instid1(VALU_DEP_2)
	v_cmp_lt_u32_e32 vcc_lo, 7, v105
	v_pk_add_f32 v[100:101], v[100:101], v[106:107]
	s_or_b32 s3, vcc_lo, s3
	s_delay_alu instid0(SALU_CYCLE_1)
	s_and_not1_b32 exec_lo, exec_lo, s3
	s_cbranch_execnz .LBB47_557
; %bb.558:
	s_or_b32 exec_lo, exec_lo, s3
.LBB47_559:
	s_delay_alu instid0(SALU_CYCLE_1) | instskip(SKIP_4) | instid1(VALU_DEP_1)
	s_or_b32 exec_lo, exec_lo, s2
	v_mov_b32_e32 v103, 0
	ds_load_b64 v[104:105], v103 offset:72
	s_wait_dscnt 0x0
	v_pk_mul_f32 v[106:107], v[100:101], v[104:105] op_sel:[1,1] op_sel_hi:[0,1]
	v_pk_fma_f32 v[108:109], v[100:101], v[104:105], v[106:107] op_sel_hi:[1,0,1]
	v_pk_fma_f32 v[100:101], v[100:101], v[104:105], v[106:107] neg_lo:[0,0,1] neg_hi:[0,0,1]
	s_delay_alu instid0(VALU_DEP_2)
	v_mov_b32_e32 v101, v109
	scratch_store_b64 off, v[100:101], off offset:72
.LBB47_560:
	s_wait_xcnt 0x0
	s_or_b32 exec_lo, exec_lo, s0
	scratch_load_b64 v[100:101], off, off offset:80
	s_mov_b32 s0, exec_lo
	s_wait_loadcnt 0x0
	ds_store_b64 v1, v[100:101]
	s_wait_storecnt_dscnt 0x0
	s_barrier_signal -1
	s_barrier_wait -1
	s_wait_xcnt 0x0
	v_cmpx_gt_u32_e32 10, v0
	s_cbranch_execz .LBB47_570
; %bb.561:
	v_cmp_ne_u32_e32 vcc_lo, 1, v102
	s_cbranch_vccnz .LBB47_563
; %bb.562:
	scratch_load_b64 v[100:101], v39, off
	ds_load_b64 v[104:105], v1
	s_wait_loadcnt_dscnt 0x0
	v_pk_mul_f32 v[106:107], v[104:105], v[100:101] op_sel:[1,1] op_sel_hi:[0,1]
	s_delay_alu instid0(VALU_DEP_1) | instskip(SKIP_1) | instid1(VALU_DEP_2)
	v_pk_fma_f32 v[108:109], v[104:105], v[100:101], v[106:107] op_sel_hi:[1,0,1]
	v_pk_fma_f32 v[100:101], v[104:105], v[100:101], v[106:107] neg_lo:[0,0,1] neg_hi:[0,0,1]
	v_mov_b32_e32 v101, v109
	s_cbranch_execz .LBB47_564
	s_branch .LBB47_565
.LBB47_563:
                                        ; implicit-def: $vgpr100_vgpr101
.LBB47_564:
	ds_load_b64 v[100:101], v1
.LBB47_565:
	s_mov_b32 s2, exec_lo
	v_cmpx_ne_u32_e32 9, v0
	s_cbranch_execz .LBB47_569
; %bb.566:
	v_add_nc_u32_e32 v103, 0x188, v38
	v_add3_u32 v104, 0, v38, 8
	v_mov_b32_e32 v105, v0
	s_mov_b32 s3, 0
.LBB47_567:                             ; =>This Inner Loop Header: Depth=1
	scratch_load_b64 v[106:107], v104, off
	ds_load_b64 v[108:109], v103
	s_wait_xcnt 0x0
	v_dual_add_nc_u32 v103, 8, v103 :: v_dual_add_nc_u32 v104, 8, v104
	s_wait_loadcnt_dscnt 0x0
	v_pk_mul_f32 v[110:111], v[108:109], v[106:107] op_sel:[1,1] op_sel_hi:[0,1]
	s_delay_alu instid0(VALU_DEP_1) | instskip(SKIP_2) | instid1(VALU_DEP_3)
	v_pk_fma_f32 v[112:113], v[108:109], v[106:107], v[110:111] op_sel_hi:[1,0,1]
	v_add_nc_u32_e32 v105, 1, v105
	v_pk_fma_f32 v[106:107], v[108:109], v[106:107], v[110:111] neg_lo:[0,0,1] neg_hi:[0,0,1]
	v_mov_b32_e32 v107, v113
	s_delay_alu instid0(VALU_DEP_3) | instskip(NEXT) | instid1(VALU_DEP_2)
	v_cmp_lt_u32_e32 vcc_lo, 8, v105
	v_pk_add_f32 v[100:101], v[100:101], v[106:107]
	s_or_b32 s3, vcc_lo, s3
	s_delay_alu instid0(SALU_CYCLE_1)
	s_and_not1_b32 exec_lo, exec_lo, s3
	s_cbranch_execnz .LBB47_567
; %bb.568:
	s_or_b32 exec_lo, exec_lo, s3
.LBB47_569:
	s_delay_alu instid0(SALU_CYCLE_1) | instskip(SKIP_4) | instid1(VALU_DEP_1)
	s_or_b32 exec_lo, exec_lo, s2
	v_mov_b32_e32 v103, 0
	ds_load_b64 v[104:105], v103 offset:80
	s_wait_dscnt 0x0
	v_pk_mul_f32 v[106:107], v[100:101], v[104:105] op_sel:[1,1] op_sel_hi:[0,1]
	v_pk_fma_f32 v[108:109], v[100:101], v[104:105], v[106:107] op_sel_hi:[1,0,1]
	v_pk_fma_f32 v[100:101], v[100:101], v[104:105], v[106:107] neg_lo:[0,0,1] neg_hi:[0,0,1]
	s_delay_alu instid0(VALU_DEP_2)
	v_mov_b32_e32 v101, v109
	scratch_store_b64 off, v[100:101], off offset:80
.LBB47_570:
	s_wait_xcnt 0x0
	s_or_b32 exec_lo, exec_lo, s0
	scratch_load_b64 v[100:101], off, off offset:88
	s_mov_b32 s0, exec_lo
	s_wait_loadcnt 0x0
	ds_store_b64 v1, v[100:101]
	s_wait_storecnt_dscnt 0x0
	s_barrier_signal -1
	s_barrier_wait -1
	s_wait_xcnt 0x0
	v_cmpx_gt_u32_e32 11, v0
	s_cbranch_execz .LBB47_580
; %bb.571:
	v_cmp_ne_u32_e32 vcc_lo, 1, v102
	s_cbranch_vccnz .LBB47_573
; %bb.572:
	scratch_load_b64 v[100:101], v39, off
	ds_load_b64 v[104:105], v1
	s_wait_loadcnt_dscnt 0x0
	v_pk_mul_f32 v[106:107], v[104:105], v[100:101] op_sel:[1,1] op_sel_hi:[0,1]
	s_delay_alu instid0(VALU_DEP_1) | instskip(SKIP_1) | instid1(VALU_DEP_2)
	v_pk_fma_f32 v[108:109], v[104:105], v[100:101], v[106:107] op_sel_hi:[1,0,1]
	v_pk_fma_f32 v[100:101], v[104:105], v[100:101], v[106:107] neg_lo:[0,0,1] neg_hi:[0,0,1]
	v_mov_b32_e32 v101, v109
	s_cbranch_execz .LBB47_574
	s_branch .LBB47_575
.LBB47_573:
                                        ; implicit-def: $vgpr100_vgpr101
.LBB47_574:
	ds_load_b64 v[100:101], v1
.LBB47_575:
	s_mov_b32 s2, exec_lo
	v_cmpx_ne_u32_e32 10, v0
	s_cbranch_execz .LBB47_579
; %bb.576:
	v_add_nc_u32_e32 v103, 0x188, v38
	v_add3_u32 v104, 0, v38, 8
	v_mov_b32_e32 v105, v0
	s_mov_b32 s3, 0
.LBB47_577:                             ; =>This Inner Loop Header: Depth=1
	scratch_load_b64 v[106:107], v104, off
	ds_load_b64 v[108:109], v103
	s_wait_xcnt 0x0
	v_dual_add_nc_u32 v103, 8, v103 :: v_dual_add_nc_u32 v104, 8, v104
	s_wait_loadcnt_dscnt 0x0
	v_pk_mul_f32 v[110:111], v[108:109], v[106:107] op_sel:[1,1] op_sel_hi:[0,1]
	s_delay_alu instid0(VALU_DEP_1) | instskip(SKIP_2) | instid1(VALU_DEP_3)
	v_pk_fma_f32 v[112:113], v[108:109], v[106:107], v[110:111] op_sel_hi:[1,0,1]
	v_add_nc_u32_e32 v105, 1, v105
	v_pk_fma_f32 v[106:107], v[108:109], v[106:107], v[110:111] neg_lo:[0,0,1] neg_hi:[0,0,1]
	v_mov_b32_e32 v107, v113
	s_delay_alu instid0(VALU_DEP_3) | instskip(NEXT) | instid1(VALU_DEP_2)
	v_cmp_lt_u32_e32 vcc_lo, 9, v105
	v_pk_add_f32 v[100:101], v[100:101], v[106:107]
	s_or_b32 s3, vcc_lo, s3
	s_delay_alu instid0(SALU_CYCLE_1)
	s_and_not1_b32 exec_lo, exec_lo, s3
	s_cbranch_execnz .LBB47_577
; %bb.578:
	s_or_b32 exec_lo, exec_lo, s3
.LBB47_579:
	s_delay_alu instid0(SALU_CYCLE_1) | instskip(SKIP_4) | instid1(VALU_DEP_1)
	s_or_b32 exec_lo, exec_lo, s2
	v_mov_b32_e32 v103, 0
	ds_load_b64 v[104:105], v103 offset:88
	s_wait_dscnt 0x0
	v_pk_mul_f32 v[106:107], v[100:101], v[104:105] op_sel:[1,1] op_sel_hi:[0,1]
	v_pk_fma_f32 v[108:109], v[100:101], v[104:105], v[106:107] op_sel_hi:[1,0,1]
	v_pk_fma_f32 v[100:101], v[100:101], v[104:105], v[106:107] neg_lo:[0,0,1] neg_hi:[0,0,1]
	s_delay_alu instid0(VALU_DEP_2)
	v_mov_b32_e32 v101, v109
	scratch_store_b64 off, v[100:101], off offset:88
.LBB47_580:
	s_wait_xcnt 0x0
	s_or_b32 exec_lo, exec_lo, s0
	scratch_load_b64 v[100:101], off, off offset:96
	s_mov_b32 s0, exec_lo
	s_wait_loadcnt 0x0
	ds_store_b64 v1, v[100:101]
	s_wait_storecnt_dscnt 0x0
	s_barrier_signal -1
	s_barrier_wait -1
	s_wait_xcnt 0x0
	v_cmpx_gt_u32_e32 12, v0
	s_cbranch_execz .LBB47_590
; %bb.581:
	v_cmp_ne_u32_e32 vcc_lo, 1, v102
	s_cbranch_vccnz .LBB47_583
; %bb.582:
	scratch_load_b64 v[100:101], v39, off
	ds_load_b64 v[104:105], v1
	s_wait_loadcnt_dscnt 0x0
	v_pk_mul_f32 v[106:107], v[104:105], v[100:101] op_sel:[1,1] op_sel_hi:[0,1]
	s_delay_alu instid0(VALU_DEP_1) | instskip(SKIP_1) | instid1(VALU_DEP_2)
	v_pk_fma_f32 v[108:109], v[104:105], v[100:101], v[106:107] op_sel_hi:[1,0,1]
	v_pk_fma_f32 v[100:101], v[104:105], v[100:101], v[106:107] neg_lo:[0,0,1] neg_hi:[0,0,1]
	v_mov_b32_e32 v101, v109
	s_cbranch_execz .LBB47_584
	s_branch .LBB47_585
.LBB47_583:
                                        ; implicit-def: $vgpr100_vgpr101
.LBB47_584:
	ds_load_b64 v[100:101], v1
.LBB47_585:
	s_mov_b32 s2, exec_lo
	v_cmpx_ne_u32_e32 11, v0
	s_cbranch_execz .LBB47_589
; %bb.586:
	v_add_nc_u32_e32 v103, 0x188, v38
	v_add3_u32 v104, 0, v38, 8
	v_mov_b32_e32 v105, v0
	s_mov_b32 s3, 0
.LBB47_587:                             ; =>This Inner Loop Header: Depth=1
	scratch_load_b64 v[106:107], v104, off
	ds_load_b64 v[108:109], v103
	s_wait_xcnt 0x0
	v_dual_add_nc_u32 v103, 8, v103 :: v_dual_add_nc_u32 v104, 8, v104
	s_wait_loadcnt_dscnt 0x0
	v_pk_mul_f32 v[110:111], v[108:109], v[106:107] op_sel:[1,1] op_sel_hi:[0,1]
	s_delay_alu instid0(VALU_DEP_1) | instskip(SKIP_2) | instid1(VALU_DEP_3)
	v_pk_fma_f32 v[112:113], v[108:109], v[106:107], v[110:111] op_sel_hi:[1,0,1]
	v_add_nc_u32_e32 v105, 1, v105
	v_pk_fma_f32 v[106:107], v[108:109], v[106:107], v[110:111] neg_lo:[0,0,1] neg_hi:[0,0,1]
	v_mov_b32_e32 v107, v113
	s_delay_alu instid0(VALU_DEP_3) | instskip(NEXT) | instid1(VALU_DEP_2)
	v_cmp_lt_u32_e32 vcc_lo, 10, v105
	v_pk_add_f32 v[100:101], v[100:101], v[106:107]
	s_or_b32 s3, vcc_lo, s3
	s_delay_alu instid0(SALU_CYCLE_1)
	s_and_not1_b32 exec_lo, exec_lo, s3
	s_cbranch_execnz .LBB47_587
; %bb.588:
	s_or_b32 exec_lo, exec_lo, s3
.LBB47_589:
	s_delay_alu instid0(SALU_CYCLE_1) | instskip(SKIP_4) | instid1(VALU_DEP_1)
	s_or_b32 exec_lo, exec_lo, s2
	v_mov_b32_e32 v103, 0
	ds_load_b64 v[104:105], v103 offset:96
	s_wait_dscnt 0x0
	v_pk_mul_f32 v[106:107], v[100:101], v[104:105] op_sel:[1,1] op_sel_hi:[0,1]
	v_pk_fma_f32 v[108:109], v[100:101], v[104:105], v[106:107] op_sel_hi:[1,0,1]
	v_pk_fma_f32 v[100:101], v[100:101], v[104:105], v[106:107] neg_lo:[0,0,1] neg_hi:[0,0,1]
	s_delay_alu instid0(VALU_DEP_2)
	v_mov_b32_e32 v101, v109
	scratch_store_b64 off, v[100:101], off offset:96
.LBB47_590:
	s_wait_xcnt 0x0
	s_or_b32 exec_lo, exec_lo, s0
	scratch_load_b64 v[100:101], off, off offset:104
	s_mov_b32 s0, exec_lo
	s_wait_loadcnt 0x0
	ds_store_b64 v1, v[100:101]
	s_wait_storecnt_dscnt 0x0
	s_barrier_signal -1
	s_barrier_wait -1
	s_wait_xcnt 0x0
	v_cmpx_gt_u32_e32 13, v0
	s_cbranch_execz .LBB47_600
; %bb.591:
	v_cmp_ne_u32_e32 vcc_lo, 1, v102
	s_cbranch_vccnz .LBB47_593
; %bb.592:
	scratch_load_b64 v[100:101], v39, off
	ds_load_b64 v[104:105], v1
	s_wait_loadcnt_dscnt 0x0
	v_pk_mul_f32 v[106:107], v[104:105], v[100:101] op_sel:[1,1] op_sel_hi:[0,1]
	s_delay_alu instid0(VALU_DEP_1) | instskip(SKIP_1) | instid1(VALU_DEP_2)
	v_pk_fma_f32 v[108:109], v[104:105], v[100:101], v[106:107] op_sel_hi:[1,0,1]
	v_pk_fma_f32 v[100:101], v[104:105], v[100:101], v[106:107] neg_lo:[0,0,1] neg_hi:[0,0,1]
	v_mov_b32_e32 v101, v109
	s_cbranch_execz .LBB47_594
	s_branch .LBB47_595
.LBB47_593:
                                        ; implicit-def: $vgpr100_vgpr101
.LBB47_594:
	ds_load_b64 v[100:101], v1
.LBB47_595:
	s_mov_b32 s2, exec_lo
	v_cmpx_ne_u32_e32 12, v0
	s_cbranch_execz .LBB47_599
; %bb.596:
	v_add_nc_u32_e32 v103, 0x188, v38
	v_add3_u32 v104, 0, v38, 8
	v_mov_b32_e32 v105, v0
	s_mov_b32 s3, 0
.LBB47_597:                             ; =>This Inner Loop Header: Depth=1
	scratch_load_b64 v[106:107], v104, off
	ds_load_b64 v[108:109], v103
	s_wait_xcnt 0x0
	v_dual_add_nc_u32 v103, 8, v103 :: v_dual_add_nc_u32 v104, 8, v104
	s_wait_loadcnt_dscnt 0x0
	v_pk_mul_f32 v[110:111], v[108:109], v[106:107] op_sel:[1,1] op_sel_hi:[0,1]
	s_delay_alu instid0(VALU_DEP_1) | instskip(SKIP_2) | instid1(VALU_DEP_3)
	v_pk_fma_f32 v[112:113], v[108:109], v[106:107], v[110:111] op_sel_hi:[1,0,1]
	v_add_nc_u32_e32 v105, 1, v105
	v_pk_fma_f32 v[106:107], v[108:109], v[106:107], v[110:111] neg_lo:[0,0,1] neg_hi:[0,0,1]
	v_mov_b32_e32 v107, v113
	s_delay_alu instid0(VALU_DEP_3) | instskip(NEXT) | instid1(VALU_DEP_2)
	v_cmp_lt_u32_e32 vcc_lo, 11, v105
	v_pk_add_f32 v[100:101], v[100:101], v[106:107]
	s_or_b32 s3, vcc_lo, s3
	s_delay_alu instid0(SALU_CYCLE_1)
	s_and_not1_b32 exec_lo, exec_lo, s3
	s_cbranch_execnz .LBB47_597
; %bb.598:
	s_or_b32 exec_lo, exec_lo, s3
.LBB47_599:
	s_delay_alu instid0(SALU_CYCLE_1) | instskip(SKIP_4) | instid1(VALU_DEP_1)
	s_or_b32 exec_lo, exec_lo, s2
	v_mov_b32_e32 v103, 0
	ds_load_b64 v[104:105], v103 offset:104
	s_wait_dscnt 0x0
	v_pk_mul_f32 v[106:107], v[100:101], v[104:105] op_sel:[1,1] op_sel_hi:[0,1]
	v_pk_fma_f32 v[108:109], v[100:101], v[104:105], v[106:107] op_sel_hi:[1,0,1]
	v_pk_fma_f32 v[100:101], v[100:101], v[104:105], v[106:107] neg_lo:[0,0,1] neg_hi:[0,0,1]
	s_delay_alu instid0(VALU_DEP_2)
	v_mov_b32_e32 v101, v109
	scratch_store_b64 off, v[100:101], off offset:104
.LBB47_600:
	s_wait_xcnt 0x0
	s_or_b32 exec_lo, exec_lo, s0
	scratch_load_b64 v[100:101], off, off offset:112
	s_mov_b32 s0, exec_lo
	s_wait_loadcnt 0x0
	ds_store_b64 v1, v[100:101]
	s_wait_storecnt_dscnt 0x0
	s_barrier_signal -1
	s_barrier_wait -1
	s_wait_xcnt 0x0
	v_cmpx_gt_u32_e32 14, v0
	s_cbranch_execz .LBB47_610
; %bb.601:
	v_cmp_ne_u32_e32 vcc_lo, 1, v102
	s_cbranch_vccnz .LBB47_603
; %bb.602:
	scratch_load_b64 v[100:101], v39, off
	ds_load_b64 v[104:105], v1
	s_wait_loadcnt_dscnt 0x0
	v_pk_mul_f32 v[106:107], v[104:105], v[100:101] op_sel:[1,1] op_sel_hi:[0,1]
	s_delay_alu instid0(VALU_DEP_1) | instskip(SKIP_1) | instid1(VALU_DEP_2)
	v_pk_fma_f32 v[108:109], v[104:105], v[100:101], v[106:107] op_sel_hi:[1,0,1]
	v_pk_fma_f32 v[100:101], v[104:105], v[100:101], v[106:107] neg_lo:[0,0,1] neg_hi:[0,0,1]
	v_mov_b32_e32 v101, v109
	s_cbranch_execz .LBB47_604
	s_branch .LBB47_605
.LBB47_603:
                                        ; implicit-def: $vgpr100_vgpr101
.LBB47_604:
	ds_load_b64 v[100:101], v1
.LBB47_605:
	s_mov_b32 s2, exec_lo
	v_cmpx_ne_u32_e32 13, v0
	s_cbranch_execz .LBB47_609
; %bb.606:
	v_add_nc_u32_e32 v103, 0x188, v38
	v_add3_u32 v104, 0, v38, 8
	v_mov_b32_e32 v105, v0
	s_mov_b32 s3, 0
.LBB47_607:                             ; =>This Inner Loop Header: Depth=1
	scratch_load_b64 v[106:107], v104, off
	ds_load_b64 v[108:109], v103
	s_wait_xcnt 0x0
	v_dual_add_nc_u32 v103, 8, v103 :: v_dual_add_nc_u32 v104, 8, v104
	s_wait_loadcnt_dscnt 0x0
	v_pk_mul_f32 v[110:111], v[108:109], v[106:107] op_sel:[1,1] op_sel_hi:[0,1]
	s_delay_alu instid0(VALU_DEP_1) | instskip(SKIP_2) | instid1(VALU_DEP_3)
	v_pk_fma_f32 v[112:113], v[108:109], v[106:107], v[110:111] op_sel_hi:[1,0,1]
	v_add_nc_u32_e32 v105, 1, v105
	v_pk_fma_f32 v[106:107], v[108:109], v[106:107], v[110:111] neg_lo:[0,0,1] neg_hi:[0,0,1]
	v_mov_b32_e32 v107, v113
	s_delay_alu instid0(VALU_DEP_3) | instskip(NEXT) | instid1(VALU_DEP_2)
	v_cmp_lt_u32_e32 vcc_lo, 12, v105
	v_pk_add_f32 v[100:101], v[100:101], v[106:107]
	s_or_b32 s3, vcc_lo, s3
	s_delay_alu instid0(SALU_CYCLE_1)
	s_and_not1_b32 exec_lo, exec_lo, s3
	s_cbranch_execnz .LBB47_607
; %bb.608:
	s_or_b32 exec_lo, exec_lo, s3
.LBB47_609:
	s_delay_alu instid0(SALU_CYCLE_1) | instskip(SKIP_4) | instid1(VALU_DEP_1)
	s_or_b32 exec_lo, exec_lo, s2
	v_mov_b32_e32 v103, 0
	ds_load_b64 v[104:105], v103 offset:112
	s_wait_dscnt 0x0
	v_pk_mul_f32 v[106:107], v[100:101], v[104:105] op_sel:[1,1] op_sel_hi:[0,1]
	v_pk_fma_f32 v[108:109], v[100:101], v[104:105], v[106:107] op_sel_hi:[1,0,1]
	v_pk_fma_f32 v[100:101], v[100:101], v[104:105], v[106:107] neg_lo:[0,0,1] neg_hi:[0,0,1]
	s_delay_alu instid0(VALU_DEP_2)
	v_mov_b32_e32 v101, v109
	scratch_store_b64 off, v[100:101], off offset:112
.LBB47_610:
	s_wait_xcnt 0x0
	s_or_b32 exec_lo, exec_lo, s0
	scratch_load_b64 v[100:101], off, off offset:120
	s_mov_b32 s0, exec_lo
	s_wait_loadcnt 0x0
	ds_store_b64 v1, v[100:101]
	s_wait_storecnt_dscnt 0x0
	s_barrier_signal -1
	s_barrier_wait -1
	s_wait_xcnt 0x0
	v_cmpx_gt_u32_e32 15, v0
	s_cbranch_execz .LBB47_620
; %bb.611:
	v_cmp_ne_u32_e32 vcc_lo, 1, v102
	s_cbranch_vccnz .LBB47_613
; %bb.612:
	scratch_load_b64 v[100:101], v39, off
	ds_load_b64 v[104:105], v1
	s_wait_loadcnt_dscnt 0x0
	v_pk_mul_f32 v[106:107], v[104:105], v[100:101] op_sel:[1,1] op_sel_hi:[0,1]
	s_delay_alu instid0(VALU_DEP_1) | instskip(SKIP_1) | instid1(VALU_DEP_2)
	v_pk_fma_f32 v[108:109], v[104:105], v[100:101], v[106:107] op_sel_hi:[1,0,1]
	v_pk_fma_f32 v[100:101], v[104:105], v[100:101], v[106:107] neg_lo:[0,0,1] neg_hi:[0,0,1]
	v_mov_b32_e32 v101, v109
	s_cbranch_execz .LBB47_614
	s_branch .LBB47_615
.LBB47_613:
                                        ; implicit-def: $vgpr100_vgpr101
.LBB47_614:
	ds_load_b64 v[100:101], v1
.LBB47_615:
	s_mov_b32 s2, exec_lo
	v_cmpx_ne_u32_e32 14, v0
	s_cbranch_execz .LBB47_619
; %bb.616:
	v_add_nc_u32_e32 v103, 0x188, v38
	v_add3_u32 v104, 0, v38, 8
	v_mov_b32_e32 v105, v0
	s_mov_b32 s3, 0
.LBB47_617:                             ; =>This Inner Loop Header: Depth=1
	scratch_load_b64 v[106:107], v104, off
	ds_load_b64 v[108:109], v103
	s_wait_xcnt 0x0
	v_dual_add_nc_u32 v103, 8, v103 :: v_dual_add_nc_u32 v104, 8, v104
	s_wait_loadcnt_dscnt 0x0
	v_pk_mul_f32 v[110:111], v[108:109], v[106:107] op_sel:[1,1] op_sel_hi:[0,1]
	s_delay_alu instid0(VALU_DEP_1) | instskip(SKIP_2) | instid1(VALU_DEP_3)
	v_pk_fma_f32 v[112:113], v[108:109], v[106:107], v[110:111] op_sel_hi:[1,0,1]
	v_add_nc_u32_e32 v105, 1, v105
	v_pk_fma_f32 v[106:107], v[108:109], v[106:107], v[110:111] neg_lo:[0,0,1] neg_hi:[0,0,1]
	v_mov_b32_e32 v107, v113
	s_delay_alu instid0(VALU_DEP_3) | instskip(NEXT) | instid1(VALU_DEP_2)
	v_cmp_lt_u32_e32 vcc_lo, 13, v105
	v_pk_add_f32 v[100:101], v[100:101], v[106:107]
	s_or_b32 s3, vcc_lo, s3
	s_delay_alu instid0(SALU_CYCLE_1)
	s_and_not1_b32 exec_lo, exec_lo, s3
	s_cbranch_execnz .LBB47_617
; %bb.618:
	s_or_b32 exec_lo, exec_lo, s3
.LBB47_619:
	s_delay_alu instid0(SALU_CYCLE_1) | instskip(SKIP_4) | instid1(VALU_DEP_1)
	s_or_b32 exec_lo, exec_lo, s2
	v_mov_b32_e32 v103, 0
	ds_load_b64 v[104:105], v103 offset:120
	s_wait_dscnt 0x0
	v_pk_mul_f32 v[106:107], v[100:101], v[104:105] op_sel:[1,1] op_sel_hi:[0,1]
	v_pk_fma_f32 v[108:109], v[100:101], v[104:105], v[106:107] op_sel_hi:[1,0,1]
	v_pk_fma_f32 v[100:101], v[100:101], v[104:105], v[106:107] neg_lo:[0,0,1] neg_hi:[0,0,1]
	s_delay_alu instid0(VALU_DEP_2)
	v_mov_b32_e32 v101, v109
	scratch_store_b64 off, v[100:101], off offset:120
.LBB47_620:
	s_wait_xcnt 0x0
	s_or_b32 exec_lo, exec_lo, s0
	scratch_load_b64 v[100:101], off, off offset:128
	s_mov_b32 s0, exec_lo
	s_wait_loadcnt 0x0
	ds_store_b64 v1, v[100:101]
	s_wait_storecnt_dscnt 0x0
	s_barrier_signal -1
	s_barrier_wait -1
	s_wait_xcnt 0x0
	v_cmpx_gt_u32_e32 16, v0
	s_cbranch_execz .LBB47_630
; %bb.621:
	v_cmp_ne_u32_e32 vcc_lo, 1, v102
	s_cbranch_vccnz .LBB47_623
; %bb.622:
	scratch_load_b64 v[100:101], v39, off
	ds_load_b64 v[104:105], v1
	s_wait_loadcnt_dscnt 0x0
	v_pk_mul_f32 v[106:107], v[104:105], v[100:101] op_sel:[1,1] op_sel_hi:[0,1]
	s_delay_alu instid0(VALU_DEP_1) | instskip(SKIP_1) | instid1(VALU_DEP_2)
	v_pk_fma_f32 v[108:109], v[104:105], v[100:101], v[106:107] op_sel_hi:[1,0,1]
	v_pk_fma_f32 v[100:101], v[104:105], v[100:101], v[106:107] neg_lo:[0,0,1] neg_hi:[0,0,1]
	v_mov_b32_e32 v101, v109
	s_cbranch_execz .LBB47_624
	s_branch .LBB47_625
.LBB47_623:
                                        ; implicit-def: $vgpr100_vgpr101
.LBB47_624:
	ds_load_b64 v[100:101], v1
.LBB47_625:
	s_mov_b32 s2, exec_lo
	v_cmpx_ne_u32_e32 15, v0
	s_cbranch_execz .LBB47_629
; %bb.626:
	v_add_nc_u32_e32 v103, 0x188, v38
	v_add3_u32 v104, 0, v38, 8
	v_mov_b32_e32 v105, v0
	s_mov_b32 s3, 0
.LBB47_627:                             ; =>This Inner Loop Header: Depth=1
	scratch_load_b64 v[106:107], v104, off
	ds_load_b64 v[108:109], v103
	s_wait_xcnt 0x0
	v_dual_add_nc_u32 v103, 8, v103 :: v_dual_add_nc_u32 v104, 8, v104
	s_wait_loadcnt_dscnt 0x0
	v_pk_mul_f32 v[110:111], v[108:109], v[106:107] op_sel:[1,1] op_sel_hi:[0,1]
	s_delay_alu instid0(VALU_DEP_1) | instskip(SKIP_2) | instid1(VALU_DEP_3)
	v_pk_fma_f32 v[112:113], v[108:109], v[106:107], v[110:111] op_sel_hi:[1,0,1]
	v_add_nc_u32_e32 v105, 1, v105
	v_pk_fma_f32 v[106:107], v[108:109], v[106:107], v[110:111] neg_lo:[0,0,1] neg_hi:[0,0,1]
	v_mov_b32_e32 v107, v113
	s_delay_alu instid0(VALU_DEP_3) | instskip(NEXT) | instid1(VALU_DEP_2)
	v_cmp_lt_u32_e32 vcc_lo, 14, v105
	v_pk_add_f32 v[100:101], v[100:101], v[106:107]
	s_or_b32 s3, vcc_lo, s3
	s_delay_alu instid0(SALU_CYCLE_1)
	s_and_not1_b32 exec_lo, exec_lo, s3
	s_cbranch_execnz .LBB47_627
; %bb.628:
	s_or_b32 exec_lo, exec_lo, s3
.LBB47_629:
	s_delay_alu instid0(SALU_CYCLE_1) | instskip(SKIP_4) | instid1(VALU_DEP_1)
	s_or_b32 exec_lo, exec_lo, s2
	v_mov_b32_e32 v103, 0
	ds_load_b64 v[104:105], v103 offset:128
	s_wait_dscnt 0x0
	v_pk_mul_f32 v[106:107], v[100:101], v[104:105] op_sel:[1,1] op_sel_hi:[0,1]
	v_pk_fma_f32 v[108:109], v[100:101], v[104:105], v[106:107] op_sel_hi:[1,0,1]
	v_pk_fma_f32 v[100:101], v[100:101], v[104:105], v[106:107] neg_lo:[0,0,1] neg_hi:[0,0,1]
	s_delay_alu instid0(VALU_DEP_2)
	v_mov_b32_e32 v101, v109
	scratch_store_b64 off, v[100:101], off offset:128
.LBB47_630:
	s_wait_xcnt 0x0
	s_or_b32 exec_lo, exec_lo, s0
	scratch_load_b64 v[100:101], off, off offset:136
	s_mov_b32 s0, exec_lo
	s_wait_loadcnt 0x0
	ds_store_b64 v1, v[100:101]
	s_wait_storecnt_dscnt 0x0
	s_barrier_signal -1
	s_barrier_wait -1
	s_wait_xcnt 0x0
	v_cmpx_gt_u32_e32 17, v0
	s_cbranch_execz .LBB47_640
; %bb.631:
	v_cmp_ne_u32_e32 vcc_lo, 1, v102
	s_cbranch_vccnz .LBB47_633
; %bb.632:
	scratch_load_b64 v[100:101], v39, off
	ds_load_b64 v[104:105], v1
	s_wait_loadcnt_dscnt 0x0
	v_pk_mul_f32 v[106:107], v[104:105], v[100:101] op_sel:[1,1] op_sel_hi:[0,1]
	s_delay_alu instid0(VALU_DEP_1) | instskip(SKIP_1) | instid1(VALU_DEP_2)
	v_pk_fma_f32 v[108:109], v[104:105], v[100:101], v[106:107] op_sel_hi:[1,0,1]
	v_pk_fma_f32 v[100:101], v[104:105], v[100:101], v[106:107] neg_lo:[0,0,1] neg_hi:[0,0,1]
	v_mov_b32_e32 v101, v109
	s_cbranch_execz .LBB47_634
	s_branch .LBB47_635
.LBB47_633:
                                        ; implicit-def: $vgpr100_vgpr101
.LBB47_634:
	ds_load_b64 v[100:101], v1
.LBB47_635:
	s_mov_b32 s2, exec_lo
	v_cmpx_ne_u32_e32 16, v0
	s_cbranch_execz .LBB47_639
; %bb.636:
	v_add_nc_u32_e32 v103, 0x188, v38
	v_add3_u32 v104, 0, v38, 8
	v_mov_b32_e32 v105, v0
	s_mov_b32 s3, 0
.LBB47_637:                             ; =>This Inner Loop Header: Depth=1
	scratch_load_b64 v[106:107], v104, off
	ds_load_b64 v[108:109], v103
	s_wait_xcnt 0x0
	v_dual_add_nc_u32 v103, 8, v103 :: v_dual_add_nc_u32 v104, 8, v104
	s_wait_loadcnt_dscnt 0x0
	v_pk_mul_f32 v[110:111], v[108:109], v[106:107] op_sel:[1,1] op_sel_hi:[0,1]
	s_delay_alu instid0(VALU_DEP_1) | instskip(SKIP_2) | instid1(VALU_DEP_3)
	v_pk_fma_f32 v[112:113], v[108:109], v[106:107], v[110:111] op_sel_hi:[1,0,1]
	v_add_nc_u32_e32 v105, 1, v105
	v_pk_fma_f32 v[106:107], v[108:109], v[106:107], v[110:111] neg_lo:[0,0,1] neg_hi:[0,0,1]
	v_mov_b32_e32 v107, v113
	s_delay_alu instid0(VALU_DEP_3) | instskip(NEXT) | instid1(VALU_DEP_2)
	v_cmp_lt_u32_e32 vcc_lo, 15, v105
	v_pk_add_f32 v[100:101], v[100:101], v[106:107]
	s_or_b32 s3, vcc_lo, s3
	s_delay_alu instid0(SALU_CYCLE_1)
	s_and_not1_b32 exec_lo, exec_lo, s3
	s_cbranch_execnz .LBB47_637
; %bb.638:
	s_or_b32 exec_lo, exec_lo, s3
.LBB47_639:
	s_delay_alu instid0(SALU_CYCLE_1) | instskip(SKIP_4) | instid1(VALU_DEP_1)
	s_or_b32 exec_lo, exec_lo, s2
	v_mov_b32_e32 v103, 0
	ds_load_b64 v[104:105], v103 offset:136
	s_wait_dscnt 0x0
	v_pk_mul_f32 v[106:107], v[100:101], v[104:105] op_sel:[1,1] op_sel_hi:[0,1]
	v_pk_fma_f32 v[108:109], v[100:101], v[104:105], v[106:107] op_sel_hi:[1,0,1]
	v_pk_fma_f32 v[100:101], v[100:101], v[104:105], v[106:107] neg_lo:[0,0,1] neg_hi:[0,0,1]
	s_delay_alu instid0(VALU_DEP_2)
	v_mov_b32_e32 v101, v109
	scratch_store_b64 off, v[100:101], off offset:136
.LBB47_640:
	s_wait_xcnt 0x0
	s_or_b32 exec_lo, exec_lo, s0
	scratch_load_b64 v[100:101], off, off offset:144
	s_mov_b32 s0, exec_lo
	s_wait_loadcnt 0x0
	ds_store_b64 v1, v[100:101]
	s_wait_storecnt_dscnt 0x0
	s_barrier_signal -1
	s_barrier_wait -1
	s_wait_xcnt 0x0
	v_cmpx_gt_u32_e32 18, v0
	s_cbranch_execz .LBB47_650
; %bb.641:
	v_cmp_ne_u32_e32 vcc_lo, 1, v102
	s_cbranch_vccnz .LBB47_643
; %bb.642:
	scratch_load_b64 v[100:101], v39, off
	ds_load_b64 v[104:105], v1
	s_wait_loadcnt_dscnt 0x0
	v_pk_mul_f32 v[106:107], v[104:105], v[100:101] op_sel:[1,1] op_sel_hi:[0,1]
	s_delay_alu instid0(VALU_DEP_1) | instskip(SKIP_1) | instid1(VALU_DEP_2)
	v_pk_fma_f32 v[108:109], v[104:105], v[100:101], v[106:107] op_sel_hi:[1,0,1]
	v_pk_fma_f32 v[100:101], v[104:105], v[100:101], v[106:107] neg_lo:[0,0,1] neg_hi:[0,0,1]
	v_mov_b32_e32 v101, v109
	s_cbranch_execz .LBB47_644
	s_branch .LBB47_645
.LBB47_643:
                                        ; implicit-def: $vgpr100_vgpr101
.LBB47_644:
	ds_load_b64 v[100:101], v1
.LBB47_645:
	s_mov_b32 s2, exec_lo
	v_cmpx_ne_u32_e32 17, v0
	s_cbranch_execz .LBB47_649
; %bb.646:
	v_add_nc_u32_e32 v103, 0x188, v38
	v_add3_u32 v104, 0, v38, 8
	v_mov_b32_e32 v105, v0
	s_mov_b32 s3, 0
.LBB47_647:                             ; =>This Inner Loop Header: Depth=1
	scratch_load_b64 v[106:107], v104, off
	ds_load_b64 v[108:109], v103
	s_wait_xcnt 0x0
	v_dual_add_nc_u32 v103, 8, v103 :: v_dual_add_nc_u32 v104, 8, v104
	s_wait_loadcnt_dscnt 0x0
	v_pk_mul_f32 v[110:111], v[108:109], v[106:107] op_sel:[1,1] op_sel_hi:[0,1]
	s_delay_alu instid0(VALU_DEP_1) | instskip(SKIP_2) | instid1(VALU_DEP_3)
	v_pk_fma_f32 v[112:113], v[108:109], v[106:107], v[110:111] op_sel_hi:[1,0,1]
	v_add_nc_u32_e32 v105, 1, v105
	v_pk_fma_f32 v[106:107], v[108:109], v[106:107], v[110:111] neg_lo:[0,0,1] neg_hi:[0,0,1]
	v_mov_b32_e32 v107, v113
	s_delay_alu instid0(VALU_DEP_3) | instskip(NEXT) | instid1(VALU_DEP_2)
	v_cmp_lt_u32_e32 vcc_lo, 16, v105
	v_pk_add_f32 v[100:101], v[100:101], v[106:107]
	s_or_b32 s3, vcc_lo, s3
	s_delay_alu instid0(SALU_CYCLE_1)
	s_and_not1_b32 exec_lo, exec_lo, s3
	s_cbranch_execnz .LBB47_647
; %bb.648:
	s_or_b32 exec_lo, exec_lo, s3
.LBB47_649:
	s_delay_alu instid0(SALU_CYCLE_1) | instskip(SKIP_4) | instid1(VALU_DEP_1)
	s_or_b32 exec_lo, exec_lo, s2
	v_mov_b32_e32 v103, 0
	ds_load_b64 v[104:105], v103 offset:144
	s_wait_dscnt 0x0
	v_pk_mul_f32 v[106:107], v[100:101], v[104:105] op_sel:[1,1] op_sel_hi:[0,1]
	v_pk_fma_f32 v[108:109], v[100:101], v[104:105], v[106:107] op_sel_hi:[1,0,1]
	v_pk_fma_f32 v[100:101], v[100:101], v[104:105], v[106:107] neg_lo:[0,0,1] neg_hi:[0,0,1]
	s_delay_alu instid0(VALU_DEP_2)
	v_mov_b32_e32 v101, v109
	scratch_store_b64 off, v[100:101], off offset:144
.LBB47_650:
	s_wait_xcnt 0x0
	s_or_b32 exec_lo, exec_lo, s0
	scratch_load_b64 v[100:101], off, off offset:152
	s_mov_b32 s0, exec_lo
	s_wait_loadcnt 0x0
	ds_store_b64 v1, v[100:101]
	s_wait_storecnt_dscnt 0x0
	s_barrier_signal -1
	s_barrier_wait -1
	s_wait_xcnt 0x0
	v_cmpx_gt_u32_e32 19, v0
	s_cbranch_execz .LBB47_660
; %bb.651:
	v_cmp_ne_u32_e32 vcc_lo, 1, v102
	s_cbranch_vccnz .LBB47_653
; %bb.652:
	scratch_load_b64 v[100:101], v39, off
	ds_load_b64 v[104:105], v1
	s_wait_loadcnt_dscnt 0x0
	v_pk_mul_f32 v[106:107], v[104:105], v[100:101] op_sel:[1,1] op_sel_hi:[0,1]
	s_delay_alu instid0(VALU_DEP_1) | instskip(SKIP_1) | instid1(VALU_DEP_2)
	v_pk_fma_f32 v[108:109], v[104:105], v[100:101], v[106:107] op_sel_hi:[1,0,1]
	v_pk_fma_f32 v[100:101], v[104:105], v[100:101], v[106:107] neg_lo:[0,0,1] neg_hi:[0,0,1]
	v_mov_b32_e32 v101, v109
	s_cbranch_execz .LBB47_654
	s_branch .LBB47_655
.LBB47_653:
                                        ; implicit-def: $vgpr100_vgpr101
.LBB47_654:
	ds_load_b64 v[100:101], v1
.LBB47_655:
	s_mov_b32 s2, exec_lo
	v_cmpx_ne_u32_e32 18, v0
	s_cbranch_execz .LBB47_659
; %bb.656:
	v_add_nc_u32_e32 v103, 0x188, v38
	v_add3_u32 v104, 0, v38, 8
	v_mov_b32_e32 v105, v0
	s_mov_b32 s3, 0
.LBB47_657:                             ; =>This Inner Loop Header: Depth=1
	scratch_load_b64 v[106:107], v104, off
	ds_load_b64 v[108:109], v103
	s_wait_xcnt 0x0
	v_dual_add_nc_u32 v103, 8, v103 :: v_dual_add_nc_u32 v104, 8, v104
	s_wait_loadcnt_dscnt 0x0
	v_pk_mul_f32 v[110:111], v[108:109], v[106:107] op_sel:[1,1] op_sel_hi:[0,1]
	s_delay_alu instid0(VALU_DEP_1) | instskip(SKIP_2) | instid1(VALU_DEP_3)
	v_pk_fma_f32 v[112:113], v[108:109], v[106:107], v[110:111] op_sel_hi:[1,0,1]
	v_add_nc_u32_e32 v105, 1, v105
	v_pk_fma_f32 v[106:107], v[108:109], v[106:107], v[110:111] neg_lo:[0,0,1] neg_hi:[0,0,1]
	v_mov_b32_e32 v107, v113
	s_delay_alu instid0(VALU_DEP_3) | instskip(NEXT) | instid1(VALU_DEP_2)
	v_cmp_lt_u32_e32 vcc_lo, 17, v105
	v_pk_add_f32 v[100:101], v[100:101], v[106:107]
	s_or_b32 s3, vcc_lo, s3
	s_delay_alu instid0(SALU_CYCLE_1)
	s_and_not1_b32 exec_lo, exec_lo, s3
	s_cbranch_execnz .LBB47_657
; %bb.658:
	s_or_b32 exec_lo, exec_lo, s3
.LBB47_659:
	s_delay_alu instid0(SALU_CYCLE_1) | instskip(SKIP_4) | instid1(VALU_DEP_1)
	s_or_b32 exec_lo, exec_lo, s2
	v_mov_b32_e32 v103, 0
	ds_load_b64 v[104:105], v103 offset:152
	s_wait_dscnt 0x0
	v_pk_mul_f32 v[106:107], v[100:101], v[104:105] op_sel:[1,1] op_sel_hi:[0,1]
	v_pk_fma_f32 v[108:109], v[100:101], v[104:105], v[106:107] op_sel_hi:[1,0,1]
	v_pk_fma_f32 v[100:101], v[100:101], v[104:105], v[106:107] neg_lo:[0,0,1] neg_hi:[0,0,1]
	s_delay_alu instid0(VALU_DEP_2)
	v_mov_b32_e32 v101, v109
	scratch_store_b64 off, v[100:101], off offset:152
.LBB47_660:
	s_wait_xcnt 0x0
	s_or_b32 exec_lo, exec_lo, s0
	scratch_load_b64 v[100:101], off, off offset:160
	s_mov_b32 s0, exec_lo
	s_wait_loadcnt 0x0
	ds_store_b64 v1, v[100:101]
	s_wait_storecnt_dscnt 0x0
	s_barrier_signal -1
	s_barrier_wait -1
	s_wait_xcnt 0x0
	v_cmpx_gt_u32_e32 20, v0
	s_cbranch_execz .LBB47_670
; %bb.661:
	v_cmp_ne_u32_e32 vcc_lo, 1, v102
	s_cbranch_vccnz .LBB47_663
; %bb.662:
	scratch_load_b64 v[100:101], v39, off
	ds_load_b64 v[104:105], v1
	s_wait_loadcnt_dscnt 0x0
	v_pk_mul_f32 v[106:107], v[104:105], v[100:101] op_sel:[1,1] op_sel_hi:[0,1]
	s_delay_alu instid0(VALU_DEP_1) | instskip(SKIP_1) | instid1(VALU_DEP_2)
	v_pk_fma_f32 v[108:109], v[104:105], v[100:101], v[106:107] op_sel_hi:[1,0,1]
	v_pk_fma_f32 v[100:101], v[104:105], v[100:101], v[106:107] neg_lo:[0,0,1] neg_hi:[0,0,1]
	v_mov_b32_e32 v101, v109
	s_cbranch_execz .LBB47_664
	s_branch .LBB47_665
.LBB47_663:
                                        ; implicit-def: $vgpr100_vgpr101
.LBB47_664:
	ds_load_b64 v[100:101], v1
.LBB47_665:
	s_mov_b32 s2, exec_lo
	v_cmpx_ne_u32_e32 19, v0
	s_cbranch_execz .LBB47_669
; %bb.666:
	v_add_nc_u32_e32 v103, 0x188, v38
	v_add3_u32 v104, 0, v38, 8
	v_mov_b32_e32 v105, v0
	s_mov_b32 s3, 0
.LBB47_667:                             ; =>This Inner Loop Header: Depth=1
	scratch_load_b64 v[106:107], v104, off
	ds_load_b64 v[108:109], v103
	s_wait_xcnt 0x0
	v_dual_add_nc_u32 v103, 8, v103 :: v_dual_add_nc_u32 v104, 8, v104
	s_wait_loadcnt_dscnt 0x0
	v_pk_mul_f32 v[110:111], v[108:109], v[106:107] op_sel:[1,1] op_sel_hi:[0,1]
	s_delay_alu instid0(VALU_DEP_1) | instskip(SKIP_2) | instid1(VALU_DEP_3)
	v_pk_fma_f32 v[112:113], v[108:109], v[106:107], v[110:111] op_sel_hi:[1,0,1]
	v_add_nc_u32_e32 v105, 1, v105
	v_pk_fma_f32 v[106:107], v[108:109], v[106:107], v[110:111] neg_lo:[0,0,1] neg_hi:[0,0,1]
	v_mov_b32_e32 v107, v113
	s_delay_alu instid0(VALU_DEP_3) | instskip(NEXT) | instid1(VALU_DEP_2)
	v_cmp_lt_u32_e32 vcc_lo, 18, v105
	v_pk_add_f32 v[100:101], v[100:101], v[106:107]
	s_or_b32 s3, vcc_lo, s3
	s_delay_alu instid0(SALU_CYCLE_1)
	s_and_not1_b32 exec_lo, exec_lo, s3
	s_cbranch_execnz .LBB47_667
; %bb.668:
	s_or_b32 exec_lo, exec_lo, s3
.LBB47_669:
	s_delay_alu instid0(SALU_CYCLE_1) | instskip(SKIP_4) | instid1(VALU_DEP_1)
	s_or_b32 exec_lo, exec_lo, s2
	v_mov_b32_e32 v103, 0
	ds_load_b64 v[104:105], v103 offset:160
	s_wait_dscnt 0x0
	v_pk_mul_f32 v[106:107], v[100:101], v[104:105] op_sel:[1,1] op_sel_hi:[0,1]
	v_pk_fma_f32 v[108:109], v[100:101], v[104:105], v[106:107] op_sel_hi:[1,0,1]
	v_pk_fma_f32 v[100:101], v[100:101], v[104:105], v[106:107] neg_lo:[0,0,1] neg_hi:[0,0,1]
	s_delay_alu instid0(VALU_DEP_2)
	v_mov_b32_e32 v101, v109
	scratch_store_b64 off, v[100:101], off offset:160
.LBB47_670:
	s_wait_xcnt 0x0
	s_or_b32 exec_lo, exec_lo, s0
	scratch_load_b64 v[100:101], off, off offset:168
	s_mov_b32 s0, exec_lo
	s_wait_loadcnt 0x0
	ds_store_b64 v1, v[100:101]
	s_wait_storecnt_dscnt 0x0
	s_barrier_signal -1
	s_barrier_wait -1
	s_wait_xcnt 0x0
	v_cmpx_gt_u32_e32 21, v0
	s_cbranch_execz .LBB47_680
; %bb.671:
	v_cmp_ne_u32_e32 vcc_lo, 1, v102
	s_cbranch_vccnz .LBB47_673
; %bb.672:
	scratch_load_b64 v[100:101], v39, off
	ds_load_b64 v[104:105], v1
	s_wait_loadcnt_dscnt 0x0
	v_pk_mul_f32 v[106:107], v[104:105], v[100:101] op_sel:[1,1] op_sel_hi:[0,1]
	s_delay_alu instid0(VALU_DEP_1) | instskip(SKIP_1) | instid1(VALU_DEP_2)
	v_pk_fma_f32 v[108:109], v[104:105], v[100:101], v[106:107] op_sel_hi:[1,0,1]
	v_pk_fma_f32 v[100:101], v[104:105], v[100:101], v[106:107] neg_lo:[0,0,1] neg_hi:[0,0,1]
	v_mov_b32_e32 v101, v109
	s_cbranch_execz .LBB47_674
	s_branch .LBB47_675
.LBB47_673:
                                        ; implicit-def: $vgpr100_vgpr101
.LBB47_674:
	ds_load_b64 v[100:101], v1
.LBB47_675:
	s_mov_b32 s2, exec_lo
	v_cmpx_ne_u32_e32 20, v0
	s_cbranch_execz .LBB47_679
; %bb.676:
	v_add_nc_u32_e32 v103, 0x188, v38
	v_add3_u32 v104, 0, v38, 8
	v_mov_b32_e32 v105, v0
	s_mov_b32 s3, 0
.LBB47_677:                             ; =>This Inner Loop Header: Depth=1
	scratch_load_b64 v[106:107], v104, off
	ds_load_b64 v[108:109], v103
	s_wait_xcnt 0x0
	v_dual_add_nc_u32 v103, 8, v103 :: v_dual_add_nc_u32 v104, 8, v104
	s_wait_loadcnt_dscnt 0x0
	v_pk_mul_f32 v[110:111], v[108:109], v[106:107] op_sel:[1,1] op_sel_hi:[0,1]
	s_delay_alu instid0(VALU_DEP_1) | instskip(SKIP_2) | instid1(VALU_DEP_3)
	v_pk_fma_f32 v[112:113], v[108:109], v[106:107], v[110:111] op_sel_hi:[1,0,1]
	v_add_nc_u32_e32 v105, 1, v105
	v_pk_fma_f32 v[106:107], v[108:109], v[106:107], v[110:111] neg_lo:[0,0,1] neg_hi:[0,0,1]
	v_mov_b32_e32 v107, v113
	s_delay_alu instid0(VALU_DEP_3) | instskip(NEXT) | instid1(VALU_DEP_2)
	v_cmp_lt_u32_e32 vcc_lo, 19, v105
	v_pk_add_f32 v[100:101], v[100:101], v[106:107]
	s_or_b32 s3, vcc_lo, s3
	s_delay_alu instid0(SALU_CYCLE_1)
	s_and_not1_b32 exec_lo, exec_lo, s3
	s_cbranch_execnz .LBB47_677
; %bb.678:
	s_or_b32 exec_lo, exec_lo, s3
.LBB47_679:
	s_delay_alu instid0(SALU_CYCLE_1) | instskip(SKIP_4) | instid1(VALU_DEP_1)
	s_or_b32 exec_lo, exec_lo, s2
	v_mov_b32_e32 v103, 0
	ds_load_b64 v[104:105], v103 offset:168
	s_wait_dscnt 0x0
	v_pk_mul_f32 v[106:107], v[100:101], v[104:105] op_sel:[1,1] op_sel_hi:[0,1]
	v_pk_fma_f32 v[108:109], v[100:101], v[104:105], v[106:107] op_sel_hi:[1,0,1]
	v_pk_fma_f32 v[100:101], v[100:101], v[104:105], v[106:107] neg_lo:[0,0,1] neg_hi:[0,0,1]
	s_delay_alu instid0(VALU_DEP_2)
	v_mov_b32_e32 v101, v109
	scratch_store_b64 off, v[100:101], off offset:168
.LBB47_680:
	s_wait_xcnt 0x0
	s_or_b32 exec_lo, exec_lo, s0
	scratch_load_b64 v[100:101], off, off offset:176
	s_mov_b32 s0, exec_lo
	s_wait_loadcnt 0x0
	ds_store_b64 v1, v[100:101]
	s_wait_storecnt_dscnt 0x0
	s_barrier_signal -1
	s_barrier_wait -1
	s_wait_xcnt 0x0
	v_cmpx_gt_u32_e32 22, v0
	s_cbranch_execz .LBB47_690
; %bb.681:
	v_cmp_ne_u32_e32 vcc_lo, 1, v102
	s_cbranch_vccnz .LBB47_683
; %bb.682:
	scratch_load_b64 v[100:101], v39, off
	ds_load_b64 v[104:105], v1
	s_wait_loadcnt_dscnt 0x0
	v_pk_mul_f32 v[106:107], v[104:105], v[100:101] op_sel:[1,1] op_sel_hi:[0,1]
	s_delay_alu instid0(VALU_DEP_1) | instskip(SKIP_1) | instid1(VALU_DEP_2)
	v_pk_fma_f32 v[108:109], v[104:105], v[100:101], v[106:107] op_sel_hi:[1,0,1]
	v_pk_fma_f32 v[100:101], v[104:105], v[100:101], v[106:107] neg_lo:[0,0,1] neg_hi:[0,0,1]
	v_mov_b32_e32 v101, v109
	s_cbranch_execz .LBB47_684
	s_branch .LBB47_685
.LBB47_683:
                                        ; implicit-def: $vgpr100_vgpr101
.LBB47_684:
	ds_load_b64 v[100:101], v1
.LBB47_685:
	s_mov_b32 s2, exec_lo
	v_cmpx_ne_u32_e32 21, v0
	s_cbranch_execz .LBB47_689
; %bb.686:
	v_add_nc_u32_e32 v103, 0x188, v38
	v_add3_u32 v104, 0, v38, 8
	v_mov_b32_e32 v105, v0
	s_mov_b32 s3, 0
.LBB47_687:                             ; =>This Inner Loop Header: Depth=1
	scratch_load_b64 v[106:107], v104, off
	ds_load_b64 v[108:109], v103
	s_wait_xcnt 0x0
	v_dual_add_nc_u32 v103, 8, v103 :: v_dual_add_nc_u32 v104, 8, v104
	s_wait_loadcnt_dscnt 0x0
	v_pk_mul_f32 v[110:111], v[108:109], v[106:107] op_sel:[1,1] op_sel_hi:[0,1]
	s_delay_alu instid0(VALU_DEP_1) | instskip(SKIP_2) | instid1(VALU_DEP_3)
	v_pk_fma_f32 v[112:113], v[108:109], v[106:107], v[110:111] op_sel_hi:[1,0,1]
	v_add_nc_u32_e32 v105, 1, v105
	v_pk_fma_f32 v[106:107], v[108:109], v[106:107], v[110:111] neg_lo:[0,0,1] neg_hi:[0,0,1]
	v_mov_b32_e32 v107, v113
	s_delay_alu instid0(VALU_DEP_3) | instskip(NEXT) | instid1(VALU_DEP_2)
	v_cmp_lt_u32_e32 vcc_lo, 20, v105
	v_pk_add_f32 v[100:101], v[100:101], v[106:107]
	s_or_b32 s3, vcc_lo, s3
	s_delay_alu instid0(SALU_CYCLE_1)
	s_and_not1_b32 exec_lo, exec_lo, s3
	s_cbranch_execnz .LBB47_687
; %bb.688:
	s_or_b32 exec_lo, exec_lo, s3
.LBB47_689:
	s_delay_alu instid0(SALU_CYCLE_1) | instskip(SKIP_4) | instid1(VALU_DEP_1)
	s_or_b32 exec_lo, exec_lo, s2
	v_mov_b32_e32 v103, 0
	ds_load_b64 v[104:105], v103 offset:176
	s_wait_dscnt 0x0
	v_pk_mul_f32 v[106:107], v[100:101], v[104:105] op_sel:[1,1] op_sel_hi:[0,1]
	v_pk_fma_f32 v[108:109], v[100:101], v[104:105], v[106:107] op_sel_hi:[1,0,1]
	v_pk_fma_f32 v[100:101], v[100:101], v[104:105], v[106:107] neg_lo:[0,0,1] neg_hi:[0,0,1]
	s_delay_alu instid0(VALU_DEP_2)
	v_mov_b32_e32 v101, v109
	scratch_store_b64 off, v[100:101], off offset:176
.LBB47_690:
	s_wait_xcnt 0x0
	s_or_b32 exec_lo, exec_lo, s0
	scratch_load_b64 v[100:101], off, off offset:184
	s_mov_b32 s0, exec_lo
	s_wait_loadcnt 0x0
	ds_store_b64 v1, v[100:101]
	s_wait_storecnt_dscnt 0x0
	s_barrier_signal -1
	s_barrier_wait -1
	s_wait_xcnt 0x0
	v_cmpx_gt_u32_e32 23, v0
	s_cbranch_execz .LBB47_700
; %bb.691:
	v_cmp_ne_u32_e32 vcc_lo, 1, v102
	s_cbranch_vccnz .LBB47_693
; %bb.692:
	scratch_load_b64 v[100:101], v39, off
	ds_load_b64 v[104:105], v1
	s_wait_loadcnt_dscnt 0x0
	v_pk_mul_f32 v[106:107], v[104:105], v[100:101] op_sel:[1,1] op_sel_hi:[0,1]
	s_delay_alu instid0(VALU_DEP_1) | instskip(SKIP_1) | instid1(VALU_DEP_2)
	v_pk_fma_f32 v[108:109], v[104:105], v[100:101], v[106:107] op_sel_hi:[1,0,1]
	v_pk_fma_f32 v[100:101], v[104:105], v[100:101], v[106:107] neg_lo:[0,0,1] neg_hi:[0,0,1]
	v_mov_b32_e32 v101, v109
	s_cbranch_execz .LBB47_694
	s_branch .LBB47_695
.LBB47_693:
                                        ; implicit-def: $vgpr100_vgpr101
.LBB47_694:
	ds_load_b64 v[100:101], v1
.LBB47_695:
	s_mov_b32 s2, exec_lo
	v_cmpx_ne_u32_e32 22, v0
	s_cbranch_execz .LBB47_699
; %bb.696:
	v_add_nc_u32_e32 v103, 0x188, v38
	v_add3_u32 v104, 0, v38, 8
	v_mov_b32_e32 v105, v0
	s_mov_b32 s3, 0
.LBB47_697:                             ; =>This Inner Loop Header: Depth=1
	scratch_load_b64 v[106:107], v104, off
	ds_load_b64 v[108:109], v103
	s_wait_xcnt 0x0
	v_dual_add_nc_u32 v103, 8, v103 :: v_dual_add_nc_u32 v104, 8, v104
	s_wait_loadcnt_dscnt 0x0
	v_pk_mul_f32 v[110:111], v[108:109], v[106:107] op_sel:[1,1] op_sel_hi:[0,1]
	s_delay_alu instid0(VALU_DEP_1) | instskip(SKIP_2) | instid1(VALU_DEP_3)
	v_pk_fma_f32 v[112:113], v[108:109], v[106:107], v[110:111] op_sel_hi:[1,0,1]
	v_add_nc_u32_e32 v105, 1, v105
	v_pk_fma_f32 v[106:107], v[108:109], v[106:107], v[110:111] neg_lo:[0,0,1] neg_hi:[0,0,1]
	v_mov_b32_e32 v107, v113
	s_delay_alu instid0(VALU_DEP_3) | instskip(NEXT) | instid1(VALU_DEP_2)
	v_cmp_lt_u32_e32 vcc_lo, 21, v105
	v_pk_add_f32 v[100:101], v[100:101], v[106:107]
	s_or_b32 s3, vcc_lo, s3
	s_delay_alu instid0(SALU_CYCLE_1)
	s_and_not1_b32 exec_lo, exec_lo, s3
	s_cbranch_execnz .LBB47_697
; %bb.698:
	s_or_b32 exec_lo, exec_lo, s3
.LBB47_699:
	s_delay_alu instid0(SALU_CYCLE_1) | instskip(SKIP_4) | instid1(VALU_DEP_1)
	s_or_b32 exec_lo, exec_lo, s2
	v_mov_b32_e32 v103, 0
	ds_load_b64 v[104:105], v103 offset:184
	s_wait_dscnt 0x0
	v_pk_mul_f32 v[106:107], v[100:101], v[104:105] op_sel:[1,1] op_sel_hi:[0,1]
	v_pk_fma_f32 v[108:109], v[100:101], v[104:105], v[106:107] op_sel_hi:[1,0,1]
	v_pk_fma_f32 v[100:101], v[100:101], v[104:105], v[106:107] neg_lo:[0,0,1] neg_hi:[0,0,1]
	s_delay_alu instid0(VALU_DEP_2)
	v_mov_b32_e32 v101, v109
	scratch_store_b64 off, v[100:101], off offset:184
.LBB47_700:
	s_wait_xcnt 0x0
	s_or_b32 exec_lo, exec_lo, s0
	scratch_load_b64 v[100:101], off, off offset:192
	s_mov_b32 s0, exec_lo
	s_wait_loadcnt 0x0
	ds_store_b64 v1, v[100:101]
	s_wait_storecnt_dscnt 0x0
	s_barrier_signal -1
	s_barrier_wait -1
	s_wait_xcnt 0x0
	v_cmpx_gt_u32_e32 24, v0
	s_cbranch_execz .LBB47_710
; %bb.701:
	v_cmp_ne_u32_e32 vcc_lo, 1, v102
	s_cbranch_vccnz .LBB47_703
; %bb.702:
	scratch_load_b64 v[100:101], v39, off
	ds_load_b64 v[104:105], v1
	s_wait_loadcnt_dscnt 0x0
	v_pk_mul_f32 v[106:107], v[104:105], v[100:101] op_sel:[1,1] op_sel_hi:[0,1]
	s_delay_alu instid0(VALU_DEP_1) | instskip(SKIP_1) | instid1(VALU_DEP_2)
	v_pk_fma_f32 v[108:109], v[104:105], v[100:101], v[106:107] op_sel_hi:[1,0,1]
	v_pk_fma_f32 v[100:101], v[104:105], v[100:101], v[106:107] neg_lo:[0,0,1] neg_hi:[0,0,1]
	v_mov_b32_e32 v101, v109
	s_cbranch_execz .LBB47_704
	s_branch .LBB47_705
.LBB47_703:
                                        ; implicit-def: $vgpr100_vgpr101
.LBB47_704:
	ds_load_b64 v[100:101], v1
.LBB47_705:
	s_mov_b32 s2, exec_lo
	v_cmpx_ne_u32_e32 23, v0
	s_cbranch_execz .LBB47_709
; %bb.706:
	v_add_nc_u32_e32 v103, 0x188, v38
	v_add3_u32 v104, 0, v38, 8
	v_mov_b32_e32 v105, v0
	s_mov_b32 s3, 0
.LBB47_707:                             ; =>This Inner Loop Header: Depth=1
	scratch_load_b64 v[106:107], v104, off
	ds_load_b64 v[108:109], v103
	s_wait_xcnt 0x0
	v_dual_add_nc_u32 v103, 8, v103 :: v_dual_add_nc_u32 v104, 8, v104
	s_wait_loadcnt_dscnt 0x0
	v_pk_mul_f32 v[110:111], v[108:109], v[106:107] op_sel:[1,1] op_sel_hi:[0,1]
	s_delay_alu instid0(VALU_DEP_1) | instskip(SKIP_2) | instid1(VALU_DEP_3)
	v_pk_fma_f32 v[112:113], v[108:109], v[106:107], v[110:111] op_sel_hi:[1,0,1]
	v_add_nc_u32_e32 v105, 1, v105
	v_pk_fma_f32 v[106:107], v[108:109], v[106:107], v[110:111] neg_lo:[0,0,1] neg_hi:[0,0,1]
	v_mov_b32_e32 v107, v113
	s_delay_alu instid0(VALU_DEP_3) | instskip(NEXT) | instid1(VALU_DEP_2)
	v_cmp_lt_u32_e32 vcc_lo, 22, v105
	v_pk_add_f32 v[100:101], v[100:101], v[106:107]
	s_or_b32 s3, vcc_lo, s3
	s_delay_alu instid0(SALU_CYCLE_1)
	s_and_not1_b32 exec_lo, exec_lo, s3
	s_cbranch_execnz .LBB47_707
; %bb.708:
	s_or_b32 exec_lo, exec_lo, s3
.LBB47_709:
	s_delay_alu instid0(SALU_CYCLE_1) | instskip(SKIP_4) | instid1(VALU_DEP_1)
	s_or_b32 exec_lo, exec_lo, s2
	v_mov_b32_e32 v103, 0
	ds_load_b64 v[104:105], v103 offset:192
	s_wait_dscnt 0x0
	v_pk_mul_f32 v[106:107], v[100:101], v[104:105] op_sel:[1,1] op_sel_hi:[0,1]
	v_pk_fma_f32 v[108:109], v[100:101], v[104:105], v[106:107] op_sel_hi:[1,0,1]
	v_pk_fma_f32 v[100:101], v[100:101], v[104:105], v[106:107] neg_lo:[0,0,1] neg_hi:[0,0,1]
	s_delay_alu instid0(VALU_DEP_2)
	v_mov_b32_e32 v101, v109
	scratch_store_b64 off, v[100:101], off offset:192
.LBB47_710:
	s_wait_xcnt 0x0
	s_or_b32 exec_lo, exec_lo, s0
	scratch_load_b64 v[100:101], off, off offset:200
	s_mov_b32 s0, exec_lo
	s_wait_loadcnt 0x0
	ds_store_b64 v1, v[100:101]
	s_wait_storecnt_dscnt 0x0
	s_barrier_signal -1
	s_barrier_wait -1
	s_wait_xcnt 0x0
	v_cmpx_gt_u32_e32 25, v0
	s_cbranch_execz .LBB47_720
; %bb.711:
	v_cmp_ne_u32_e32 vcc_lo, 1, v102
	s_cbranch_vccnz .LBB47_713
; %bb.712:
	scratch_load_b64 v[100:101], v39, off
	ds_load_b64 v[104:105], v1
	s_wait_loadcnt_dscnt 0x0
	v_pk_mul_f32 v[106:107], v[104:105], v[100:101] op_sel:[1,1] op_sel_hi:[0,1]
	s_delay_alu instid0(VALU_DEP_1) | instskip(SKIP_1) | instid1(VALU_DEP_2)
	v_pk_fma_f32 v[108:109], v[104:105], v[100:101], v[106:107] op_sel_hi:[1,0,1]
	v_pk_fma_f32 v[100:101], v[104:105], v[100:101], v[106:107] neg_lo:[0,0,1] neg_hi:[0,0,1]
	v_mov_b32_e32 v101, v109
	s_cbranch_execz .LBB47_714
	s_branch .LBB47_715
.LBB47_713:
                                        ; implicit-def: $vgpr100_vgpr101
.LBB47_714:
	ds_load_b64 v[100:101], v1
.LBB47_715:
	s_mov_b32 s2, exec_lo
	v_cmpx_ne_u32_e32 24, v0
	s_cbranch_execz .LBB47_719
; %bb.716:
	v_add_nc_u32_e32 v103, 0x188, v38
	v_add3_u32 v104, 0, v38, 8
	v_mov_b32_e32 v105, v0
	s_mov_b32 s3, 0
.LBB47_717:                             ; =>This Inner Loop Header: Depth=1
	scratch_load_b64 v[106:107], v104, off
	ds_load_b64 v[108:109], v103
	s_wait_xcnt 0x0
	v_dual_add_nc_u32 v103, 8, v103 :: v_dual_add_nc_u32 v104, 8, v104
	s_wait_loadcnt_dscnt 0x0
	v_pk_mul_f32 v[110:111], v[108:109], v[106:107] op_sel:[1,1] op_sel_hi:[0,1]
	s_delay_alu instid0(VALU_DEP_1) | instskip(SKIP_2) | instid1(VALU_DEP_3)
	v_pk_fma_f32 v[112:113], v[108:109], v[106:107], v[110:111] op_sel_hi:[1,0,1]
	v_add_nc_u32_e32 v105, 1, v105
	v_pk_fma_f32 v[106:107], v[108:109], v[106:107], v[110:111] neg_lo:[0,0,1] neg_hi:[0,0,1]
	v_mov_b32_e32 v107, v113
	s_delay_alu instid0(VALU_DEP_3) | instskip(NEXT) | instid1(VALU_DEP_2)
	v_cmp_lt_u32_e32 vcc_lo, 23, v105
	v_pk_add_f32 v[100:101], v[100:101], v[106:107]
	s_or_b32 s3, vcc_lo, s3
	s_delay_alu instid0(SALU_CYCLE_1)
	s_and_not1_b32 exec_lo, exec_lo, s3
	s_cbranch_execnz .LBB47_717
; %bb.718:
	s_or_b32 exec_lo, exec_lo, s3
.LBB47_719:
	s_delay_alu instid0(SALU_CYCLE_1) | instskip(SKIP_4) | instid1(VALU_DEP_1)
	s_or_b32 exec_lo, exec_lo, s2
	v_mov_b32_e32 v103, 0
	ds_load_b64 v[104:105], v103 offset:200
	s_wait_dscnt 0x0
	v_pk_mul_f32 v[106:107], v[100:101], v[104:105] op_sel:[1,1] op_sel_hi:[0,1]
	v_pk_fma_f32 v[108:109], v[100:101], v[104:105], v[106:107] op_sel_hi:[1,0,1]
	v_pk_fma_f32 v[100:101], v[100:101], v[104:105], v[106:107] neg_lo:[0,0,1] neg_hi:[0,0,1]
	s_delay_alu instid0(VALU_DEP_2)
	v_mov_b32_e32 v101, v109
	scratch_store_b64 off, v[100:101], off offset:200
.LBB47_720:
	s_wait_xcnt 0x0
	s_or_b32 exec_lo, exec_lo, s0
	scratch_load_b64 v[100:101], off, off offset:208
	s_mov_b32 s0, exec_lo
	s_wait_loadcnt 0x0
	ds_store_b64 v1, v[100:101]
	s_wait_storecnt_dscnt 0x0
	s_barrier_signal -1
	s_barrier_wait -1
	s_wait_xcnt 0x0
	v_cmpx_gt_u32_e32 26, v0
	s_cbranch_execz .LBB47_730
; %bb.721:
	v_cmp_ne_u32_e32 vcc_lo, 1, v102
	s_cbranch_vccnz .LBB47_723
; %bb.722:
	scratch_load_b64 v[100:101], v39, off
	ds_load_b64 v[104:105], v1
	s_wait_loadcnt_dscnt 0x0
	v_pk_mul_f32 v[106:107], v[104:105], v[100:101] op_sel:[1,1] op_sel_hi:[0,1]
	s_delay_alu instid0(VALU_DEP_1) | instskip(SKIP_1) | instid1(VALU_DEP_2)
	v_pk_fma_f32 v[108:109], v[104:105], v[100:101], v[106:107] op_sel_hi:[1,0,1]
	v_pk_fma_f32 v[100:101], v[104:105], v[100:101], v[106:107] neg_lo:[0,0,1] neg_hi:[0,0,1]
	v_mov_b32_e32 v101, v109
	s_cbranch_execz .LBB47_724
	s_branch .LBB47_725
.LBB47_723:
                                        ; implicit-def: $vgpr100_vgpr101
.LBB47_724:
	ds_load_b64 v[100:101], v1
.LBB47_725:
	s_mov_b32 s2, exec_lo
	v_cmpx_ne_u32_e32 25, v0
	s_cbranch_execz .LBB47_729
; %bb.726:
	v_add_nc_u32_e32 v103, 0x188, v38
	v_add3_u32 v104, 0, v38, 8
	v_mov_b32_e32 v105, v0
	s_mov_b32 s3, 0
.LBB47_727:                             ; =>This Inner Loop Header: Depth=1
	scratch_load_b64 v[106:107], v104, off
	ds_load_b64 v[108:109], v103
	s_wait_xcnt 0x0
	v_dual_add_nc_u32 v103, 8, v103 :: v_dual_add_nc_u32 v104, 8, v104
	s_wait_loadcnt_dscnt 0x0
	v_pk_mul_f32 v[110:111], v[108:109], v[106:107] op_sel:[1,1] op_sel_hi:[0,1]
	s_delay_alu instid0(VALU_DEP_1) | instskip(SKIP_2) | instid1(VALU_DEP_3)
	v_pk_fma_f32 v[112:113], v[108:109], v[106:107], v[110:111] op_sel_hi:[1,0,1]
	v_add_nc_u32_e32 v105, 1, v105
	v_pk_fma_f32 v[106:107], v[108:109], v[106:107], v[110:111] neg_lo:[0,0,1] neg_hi:[0,0,1]
	v_mov_b32_e32 v107, v113
	s_delay_alu instid0(VALU_DEP_3) | instskip(NEXT) | instid1(VALU_DEP_2)
	v_cmp_lt_u32_e32 vcc_lo, 24, v105
	v_pk_add_f32 v[100:101], v[100:101], v[106:107]
	s_or_b32 s3, vcc_lo, s3
	s_delay_alu instid0(SALU_CYCLE_1)
	s_and_not1_b32 exec_lo, exec_lo, s3
	s_cbranch_execnz .LBB47_727
; %bb.728:
	s_or_b32 exec_lo, exec_lo, s3
.LBB47_729:
	s_delay_alu instid0(SALU_CYCLE_1) | instskip(SKIP_4) | instid1(VALU_DEP_1)
	s_or_b32 exec_lo, exec_lo, s2
	v_mov_b32_e32 v103, 0
	ds_load_b64 v[104:105], v103 offset:208
	s_wait_dscnt 0x0
	v_pk_mul_f32 v[106:107], v[100:101], v[104:105] op_sel:[1,1] op_sel_hi:[0,1]
	v_pk_fma_f32 v[108:109], v[100:101], v[104:105], v[106:107] op_sel_hi:[1,0,1]
	v_pk_fma_f32 v[100:101], v[100:101], v[104:105], v[106:107] neg_lo:[0,0,1] neg_hi:[0,0,1]
	s_delay_alu instid0(VALU_DEP_2)
	v_mov_b32_e32 v101, v109
	scratch_store_b64 off, v[100:101], off offset:208
.LBB47_730:
	s_wait_xcnt 0x0
	s_or_b32 exec_lo, exec_lo, s0
	scratch_load_b64 v[100:101], off, off offset:216
	s_mov_b32 s0, exec_lo
	s_wait_loadcnt 0x0
	ds_store_b64 v1, v[100:101]
	s_wait_storecnt_dscnt 0x0
	s_barrier_signal -1
	s_barrier_wait -1
	s_wait_xcnt 0x0
	v_cmpx_gt_u32_e32 27, v0
	s_cbranch_execz .LBB47_740
; %bb.731:
	v_cmp_ne_u32_e32 vcc_lo, 1, v102
	s_cbranch_vccnz .LBB47_733
; %bb.732:
	scratch_load_b64 v[100:101], v39, off
	ds_load_b64 v[104:105], v1
	s_wait_loadcnt_dscnt 0x0
	v_pk_mul_f32 v[106:107], v[104:105], v[100:101] op_sel:[1,1] op_sel_hi:[0,1]
	s_delay_alu instid0(VALU_DEP_1) | instskip(SKIP_1) | instid1(VALU_DEP_2)
	v_pk_fma_f32 v[108:109], v[104:105], v[100:101], v[106:107] op_sel_hi:[1,0,1]
	v_pk_fma_f32 v[100:101], v[104:105], v[100:101], v[106:107] neg_lo:[0,0,1] neg_hi:[0,0,1]
	v_mov_b32_e32 v101, v109
	s_cbranch_execz .LBB47_734
	s_branch .LBB47_735
.LBB47_733:
                                        ; implicit-def: $vgpr100_vgpr101
.LBB47_734:
	ds_load_b64 v[100:101], v1
.LBB47_735:
	s_mov_b32 s2, exec_lo
	v_cmpx_ne_u32_e32 26, v0
	s_cbranch_execz .LBB47_739
; %bb.736:
	v_add_nc_u32_e32 v103, 0x188, v38
	v_add3_u32 v104, 0, v38, 8
	v_mov_b32_e32 v105, v0
	s_mov_b32 s3, 0
.LBB47_737:                             ; =>This Inner Loop Header: Depth=1
	scratch_load_b64 v[106:107], v104, off
	ds_load_b64 v[108:109], v103
	s_wait_xcnt 0x0
	v_dual_add_nc_u32 v103, 8, v103 :: v_dual_add_nc_u32 v104, 8, v104
	s_wait_loadcnt_dscnt 0x0
	v_pk_mul_f32 v[110:111], v[108:109], v[106:107] op_sel:[1,1] op_sel_hi:[0,1]
	s_delay_alu instid0(VALU_DEP_1) | instskip(SKIP_2) | instid1(VALU_DEP_3)
	v_pk_fma_f32 v[112:113], v[108:109], v[106:107], v[110:111] op_sel_hi:[1,0,1]
	v_add_nc_u32_e32 v105, 1, v105
	v_pk_fma_f32 v[106:107], v[108:109], v[106:107], v[110:111] neg_lo:[0,0,1] neg_hi:[0,0,1]
	v_mov_b32_e32 v107, v113
	s_delay_alu instid0(VALU_DEP_3) | instskip(NEXT) | instid1(VALU_DEP_2)
	v_cmp_lt_u32_e32 vcc_lo, 25, v105
	v_pk_add_f32 v[100:101], v[100:101], v[106:107]
	s_or_b32 s3, vcc_lo, s3
	s_delay_alu instid0(SALU_CYCLE_1)
	s_and_not1_b32 exec_lo, exec_lo, s3
	s_cbranch_execnz .LBB47_737
; %bb.738:
	s_or_b32 exec_lo, exec_lo, s3
.LBB47_739:
	s_delay_alu instid0(SALU_CYCLE_1) | instskip(SKIP_4) | instid1(VALU_DEP_1)
	s_or_b32 exec_lo, exec_lo, s2
	v_mov_b32_e32 v103, 0
	ds_load_b64 v[104:105], v103 offset:216
	s_wait_dscnt 0x0
	v_pk_mul_f32 v[106:107], v[100:101], v[104:105] op_sel:[1,1] op_sel_hi:[0,1]
	v_pk_fma_f32 v[108:109], v[100:101], v[104:105], v[106:107] op_sel_hi:[1,0,1]
	v_pk_fma_f32 v[100:101], v[100:101], v[104:105], v[106:107] neg_lo:[0,0,1] neg_hi:[0,0,1]
	s_delay_alu instid0(VALU_DEP_2)
	v_mov_b32_e32 v101, v109
	scratch_store_b64 off, v[100:101], off offset:216
.LBB47_740:
	s_wait_xcnt 0x0
	s_or_b32 exec_lo, exec_lo, s0
	scratch_load_b64 v[100:101], off, off offset:224
	s_mov_b32 s0, exec_lo
	s_wait_loadcnt 0x0
	ds_store_b64 v1, v[100:101]
	s_wait_storecnt_dscnt 0x0
	s_barrier_signal -1
	s_barrier_wait -1
	s_wait_xcnt 0x0
	v_cmpx_gt_u32_e32 28, v0
	s_cbranch_execz .LBB47_750
; %bb.741:
	v_cmp_ne_u32_e32 vcc_lo, 1, v102
	s_cbranch_vccnz .LBB47_743
; %bb.742:
	scratch_load_b64 v[100:101], v39, off
	ds_load_b64 v[104:105], v1
	s_wait_loadcnt_dscnt 0x0
	v_pk_mul_f32 v[106:107], v[104:105], v[100:101] op_sel:[1,1] op_sel_hi:[0,1]
	s_delay_alu instid0(VALU_DEP_1) | instskip(SKIP_1) | instid1(VALU_DEP_2)
	v_pk_fma_f32 v[108:109], v[104:105], v[100:101], v[106:107] op_sel_hi:[1,0,1]
	v_pk_fma_f32 v[100:101], v[104:105], v[100:101], v[106:107] neg_lo:[0,0,1] neg_hi:[0,0,1]
	v_mov_b32_e32 v101, v109
	s_cbranch_execz .LBB47_744
	s_branch .LBB47_745
.LBB47_743:
                                        ; implicit-def: $vgpr100_vgpr101
.LBB47_744:
	ds_load_b64 v[100:101], v1
.LBB47_745:
	s_mov_b32 s2, exec_lo
	v_cmpx_ne_u32_e32 27, v0
	s_cbranch_execz .LBB47_749
; %bb.746:
	v_add_nc_u32_e32 v103, 0x188, v38
	v_add3_u32 v104, 0, v38, 8
	v_mov_b32_e32 v105, v0
	s_mov_b32 s3, 0
.LBB47_747:                             ; =>This Inner Loop Header: Depth=1
	scratch_load_b64 v[106:107], v104, off
	ds_load_b64 v[108:109], v103
	s_wait_xcnt 0x0
	v_dual_add_nc_u32 v103, 8, v103 :: v_dual_add_nc_u32 v104, 8, v104
	s_wait_loadcnt_dscnt 0x0
	v_pk_mul_f32 v[110:111], v[108:109], v[106:107] op_sel:[1,1] op_sel_hi:[0,1]
	s_delay_alu instid0(VALU_DEP_1) | instskip(SKIP_2) | instid1(VALU_DEP_3)
	v_pk_fma_f32 v[112:113], v[108:109], v[106:107], v[110:111] op_sel_hi:[1,0,1]
	v_add_nc_u32_e32 v105, 1, v105
	v_pk_fma_f32 v[106:107], v[108:109], v[106:107], v[110:111] neg_lo:[0,0,1] neg_hi:[0,0,1]
	v_mov_b32_e32 v107, v113
	s_delay_alu instid0(VALU_DEP_3) | instskip(NEXT) | instid1(VALU_DEP_2)
	v_cmp_lt_u32_e32 vcc_lo, 26, v105
	v_pk_add_f32 v[100:101], v[100:101], v[106:107]
	s_or_b32 s3, vcc_lo, s3
	s_delay_alu instid0(SALU_CYCLE_1)
	s_and_not1_b32 exec_lo, exec_lo, s3
	s_cbranch_execnz .LBB47_747
; %bb.748:
	s_or_b32 exec_lo, exec_lo, s3
.LBB47_749:
	s_delay_alu instid0(SALU_CYCLE_1) | instskip(SKIP_4) | instid1(VALU_DEP_1)
	s_or_b32 exec_lo, exec_lo, s2
	v_mov_b32_e32 v103, 0
	ds_load_b64 v[104:105], v103 offset:224
	s_wait_dscnt 0x0
	v_pk_mul_f32 v[106:107], v[100:101], v[104:105] op_sel:[1,1] op_sel_hi:[0,1]
	v_pk_fma_f32 v[108:109], v[100:101], v[104:105], v[106:107] op_sel_hi:[1,0,1]
	v_pk_fma_f32 v[100:101], v[100:101], v[104:105], v[106:107] neg_lo:[0,0,1] neg_hi:[0,0,1]
	s_delay_alu instid0(VALU_DEP_2)
	v_mov_b32_e32 v101, v109
	scratch_store_b64 off, v[100:101], off offset:224
.LBB47_750:
	s_wait_xcnt 0x0
	s_or_b32 exec_lo, exec_lo, s0
	scratch_load_b64 v[100:101], off, off offset:232
	s_mov_b32 s0, exec_lo
	s_wait_loadcnt 0x0
	ds_store_b64 v1, v[100:101]
	s_wait_storecnt_dscnt 0x0
	s_barrier_signal -1
	s_barrier_wait -1
	s_wait_xcnt 0x0
	v_cmpx_gt_u32_e32 29, v0
	s_cbranch_execz .LBB47_760
; %bb.751:
	v_cmp_ne_u32_e32 vcc_lo, 1, v102
	s_cbranch_vccnz .LBB47_753
; %bb.752:
	scratch_load_b64 v[100:101], v39, off
	ds_load_b64 v[104:105], v1
	s_wait_loadcnt_dscnt 0x0
	v_pk_mul_f32 v[106:107], v[104:105], v[100:101] op_sel:[1,1] op_sel_hi:[0,1]
	s_delay_alu instid0(VALU_DEP_1) | instskip(SKIP_1) | instid1(VALU_DEP_2)
	v_pk_fma_f32 v[108:109], v[104:105], v[100:101], v[106:107] op_sel_hi:[1,0,1]
	v_pk_fma_f32 v[100:101], v[104:105], v[100:101], v[106:107] neg_lo:[0,0,1] neg_hi:[0,0,1]
	v_mov_b32_e32 v101, v109
	s_cbranch_execz .LBB47_754
	s_branch .LBB47_755
.LBB47_753:
                                        ; implicit-def: $vgpr100_vgpr101
.LBB47_754:
	ds_load_b64 v[100:101], v1
.LBB47_755:
	s_mov_b32 s2, exec_lo
	v_cmpx_ne_u32_e32 28, v0
	s_cbranch_execz .LBB47_759
; %bb.756:
	v_add_nc_u32_e32 v103, 0x188, v38
	v_add3_u32 v104, 0, v38, 8
	v_mov_b32_e32 v105, v0
	s_mov_b32 s3, 0
.LBB47_757:                             ; =>This Inner Loop Header: Depth=1
	scratch_load_b64 v[106:107], v104, off
	ds_load_b64 v[108:109], v103
	s_wait_xcnt 0x0
	v_dual_add_nc_u32 v103, 8, v103 :: v_dual_add_nc_u32 v104, 8, v104
	s_wait_loadcnt_dscnt 0x0
	v_pk_mul_f32 v[110:111], v[108:109], v[106:107] op_sel:[1,1] op_sel_hi:[0,1]
	s_delay_alu instid0(VALU_DEP_1) | instskip(SKIP_2) | instid1(VALU_DEP_3)
	v_pk_fma_f32 v[112:113], v[108:109], v[106:107], v[110:111] op_sel_hi:[1,0,1]
	v_add_nc_u32_e32 v105, 1, v105
	v_pk_fma_f32 v[106:107], v[108:109], v[106:107], v[110:111] neg_lo:[0,0,1] neg_hi:[0,0,1]
	v_mov_b32_e32 v107, v113
	s_delay_alu instid0(VALU_DEP_3) | instskip(NEXT) | instid1(VALU_DEP_2)
	v_cmp_lt_u32_e32 vcc_lo, 27, v105
	v_pk_add_f32 v[100:101], v[100:101], v[106:107]
	s_or_b32 s3, vcc_lo, s3
	s_delay_alu instid0(SALU_CYCLE_1)
	s_and_not1_b32 exec_lo, exec_lo, s3
	s_cbranch_execnz .LBB47_757
; %bb.758:
	s_or_b32 exec_lo, exec_lo, s3
.LBB47_759:
	s_delay_alu instid0(SALU_CYCLE_1) | instskip(SKIP_4) | instid1(VALU_DEP_1)
	s_or_b32 exec_lo, exec_lo, s2
	v_mov_b32_e32 v103, 0
	ds_load_b64 v[104:105], v103 offset:232
	s_wait_dscnt 0x0
	v_pk_mul_f32 v[106:107], v[100:101], v[104:105] op_sel:[1,1] op_sel_hi:[0,1]
	v_pk_fma_f32 v[108:109], v[100:101], v[104:105], v[106:107] op_sel_hi:[1,0,1]
	v_pk_fma_f32 v[100:101], v[100:101], v[104:105], v[106:107] neg_lo:[0,0,1] neg_hi:[0,0,1]
	s_delay_alu instid0(VALU_DEP_2)
	v_mov_b32_e32 v101, v109
	scratch_store_b64 off, v[100:101], off offset:232
.LBB47_760:
	s_wait_xcnt 0x0
	s_or_b32 exec_lo, exec_lo, s0
	scratch_load_b64 v[100:101], off, off offset:240
	s_mov_b32 s0, exec_lo
	s_wait_loadcnt 0x0
	ds_store_b64 v1, v[100:101]
	s_wait_storecnt_dscnt 0x0
	s_barrier_signal -1
	s_barrier_wait -1
	s_wait_xcnt 0x0
	v_cmpx_gt_u32_e32 30, v0
	s_cbranch_execz .LBB47_770
; %bb.761:
	v_cmp_ne_u32_e32 vcc_lo, 1, v102
	s_cbranch_vccnz .LBB47_763
; %bb.762:
	scratch_load_b64 v[100:101], v39, off
	ds_load_b64 v[104:105], v1
	s_wait_loadcnt_dscnt 0x0
	v_pk_mul_f32 v[106:107], v[104:105], v[100:101] op_sel:[1,1] op_sel_hi:[0,1]
	s_delay_alu instid0(VALU_DEP_1) | instskip(SKIP_1) | instid1(VALU_DEP_2)
	v_pk_fma_f32 v[108:109], v[104:105], v[100:101], v[106:107] op_sel_hi:[1,0,1]
	v_pk_fma_f32 v[100:101], v[104:105], v[100:101], v[106:107] neg_lo:[0,0,1] neg_hi:[0,0,1]
	v_mov_b32_e32 v101, v109
	s_cbranch_execz .LBB47_764
	s_branch .LBB47_765
.LBB47_763:
                                        ; implicit-def: $vgpr100_vgpr101
.LBB47_764:
	ds_load_b64 v[100:101], v1
.LBB47_765:
	s_mov_b32 s2, exec_lo
	v_cmpx_ne_u32_e32 29, v0
	s_cbranch_execz .LBB47_769
; %bb.766:
	v_add_nc_u32_e32 v103, 0x188, v38
	v_add3_u32 v104, 0, v38, 8
	v_mov_b32_e32 v105, v0
	s_mov_b32 s3, 0
.LBB47_767:                             ; =>This Inner Loop Header: Depth=1
	scratch_load_b64 v[106:107], v104, off
	ds_load_b64 v[108:109], v103
	s_wait_xcnt 0x0
	v_dual_add_nc_u32 v103, 8, v103 :: v_dual_add_nc_u32 v104, 8, v104
	s_wait_loadcnt_dscnt 0x0
	v_pk_mul_f32 v[110:111], v[108:109], v[106:107] op_sel:[1,1] op_sel_hi:[0,1]
	s_delay_alu instid0(VALU_DEP_1) | instskip(SKIP_2) | instid1(VALU_DEP_3)
	v_pk_fma_f32 v[112:113], v[108:109], v[106:107], v[110:111] op_sel_hi:[1,0,1]
	v_add_nc_u32_e32 v105, 1, v105
	v_pk_fma_f32 v[106:107], v[108:109], v[106:107], v[110:111] neg_lo:[0,0,1] neg_hi:[0,0,1]
	v_mov_b32_e32 v107, v113
	s_delay_alu instid0(VALU_DEP_3) | instskip(NEXT) | instid1(VALU_DEP_2)
	v_cmp_lt_u32_e32 vcc_lo, 28, v105
	v_pk_add_f32 v[100:101], v[100:101], v[106:107]
	s_or_b32 s3, vcc_lo, s3
	s_delay_alu instid0(SALU_CYCLE_1)
	s_and_not1_b32 exec_lo, exec_lo, s3
	s_cbranch_execnz .LBB47_767
; %bb.768:
	s_or_b32 exec_lo, exec_lo, s3
.LBB47_769:
	s_delay_alu instid0(SALU_CYCLE_1) | instskip(SKIP_4) | instid1(VALU_DEP_1)
	s_or_b32 exec_lo, exec_lo, s2
	v_mov_b32_e32 v103, 0
	ds_load_b64 v[104:105], v103 offset:240
	s_wait_dscnt 0x0
	v_pk_mul_f32 v[106:107], v[100:101], v[104:105] op_sel:[1,1] op_sel_hi:[0,1]
	v_pk_fma_f32 v[108:109], v[100:101], v[104:105], v[106:107] op_sel_hi:[1,0,1]
	v_pk_fma_f32 v[100:101], v[100:101], v[104:105], v[106:107] neg_lo:[0,0,1] neg_hi:[0,0,1]
	s_delay_alu instid0(VALU_DEP_2)
	v_mov_b32_e32 v101, v109
	scratch_store_b64 off, v[100:101], off offset:240
.LBB47_770:
	s_wait_xcnt 0x0
	s_or_b32 exec_lo, exec_lo, s0
	scratch_load_b64 v[100:101], off, off offset:248
	s_mov_b32 s0, exec_lo
	s_wait_loadcnt 0x0
	ds_store_b64 v1, v[100:101]
	s_wait_storecnt_dscnt 0x0
	s_barrier_signal -1
	s_barrier_wait -1
	s_wait_xcnt 0x0
	v_cmpx_gt_u32_e32 31, v0
	s_cbranch_execz .LBB47_780
; %bb.771:
	v_cmp_ne_u32_e32 vcc_lo, 1, v102
	s_cbranch_vccnz .LBB47_773
; %bb.772:
	scratch_load_b64 v[100:101], v39, off
	ds_load_b64 v[104:105], v1
	s_wait_loadcnt_dscnt 0x0
	v_pk_mul_f32 v[106:107], v[104:105], v[100:101] op_sel:[1,1] op_sel_hi:[0,1]
	s_delay_alu instid0(VALU_DEP_1) | instskip(SKIP_1) | instid1(VALU_DEP_2)
	v_pk_fma_f32 v[108:109], v[104:105], v[100:101], v[106:107] op_sel_hi:[1,0,1]
	v_pk_fma_f32 v[100:101], v[104:105], v[100:101], v[106:107] neg_lo:[0,0,1] neg_hi:[0,0,1]
	v_mov_b32_e32 v101, v109
	s_cbranch_execz .LBB47_774
	s_branch .LBB47_775
.LBB47_773:
                                        ; implicit-def: $vgpr100_vgpr101
.LBB47_774:
	ds_load_b64 v[100:101], v1
.LBB47_775:
	s_mov_b32 s2, exec_lo
	v_cmpx_ne_u32_e32 30, v0
	s_cbranch_execz .LBB47_779
; %bb.776:
	v_add_nc_u32_e32 v103, 0x188, v38
	v_add3_u32 v104, 0, v38, 8
	v_mov_b32_e32 v105, v0
	s_mov_b32 s3, 0
.LBB47_777:                             ; =>This Inner Loop Header: Depth=1
	scratch_load_b64 v[106:107], v104, off
	ds_load_b64 v[108:109], v103
	s_wait_xcnt 0x0
	v_dual_add_nc_u32 v103, 8, v103 :: v_dual_add_nc_u32 v104, 8, v104
	s_wait_loadcnt_dscnt 0x0
	v_pk_mul_f32 v[110:111], v[108:109], v[106:107] op_sel:[1,1] op_sel_hi:[0,1]
	s_delay_alu instid0(VALU_DEP_1) | instskip(SKIP_2) | instid1(VALU_DEP_3)
	v_pk_fma_f32 v[112:113], v[108:109], v[106:107], v[110:111] op_sel_hi:[1,0,1]
	v_add_nc_u32_e32 v105, 1, v105
	v_pk_fma_f32 v[106:107], v[108:109], v[106:107], v[110:111] neg_lo:[0,0,1] neg_hi:[0,0,1]
	v_mov_b32_e32 v107, v113
	s_delay_alu instid0(VALU_DEP_3) | instskip(NEXT) | instid1(VALU_DEP_2)
	v_cmp_lt_u32_e32 vcc_lo, 29, v105
	v_pk_add_f32 v[100:101], v[100:101], v[106:107]
	s_or_b32 s3, vcc_lo, s3
	s_delay_alu instid0(SALU_CYCLE_1)
	s_and_not1_b32 exec_lo, exec_lo, s3
	s_cbranch_execnz .LBB47_777
; %bb.778:
	s_or_b32 exec_lo, exec_lo, s3
.LBB47_779:
	s_delay_alu instid0(SALU_CYCLE_1) | instskip(SKIP_4) | instid1(VALU_DEP_1)
	s_or_b32 exec_lo, exec_lo, s2
	v_mov_b32_e32 v103, 0
	ds_load_b64 v[104:105], v103 offset:248
	s_wait_dscnt 0x0
	v_pk_mul_f32 v[106:107], v[100:101], v[104:105] op_sel:[1,1] op_sel_hi:[0,1]
	v_pk_fma_f32 v[108:109], v[100:101], v[104:105], v[106:107] op_sel_hi:[1,0,1]
	v_pk_fma_f32 v[100:101], v[100:101], v[104:105], v[106:107] neg_lo:[0,0,1] neg_hi:[0,0,1]
	s_delay_alu instid0(VALU_DEP_2)
	v_mov_b32_e32 v101, v109
	scratch_store_b64 off, v[100:101], off offset:248
.LBB47_780:
	s_wait_xcnt 0x0
	s_or_b32 exec_lo, exec_lo, s0
	scratch_load_b64 v[100:101], off, off offset:256
	s_mov_b32 s0, exec_lo
	s_wait_loadcnt 0x0
	ds_store_b64 v1, v[100:101]
	s_wait_storecnt_dscnt 0x0
	s_barrier_signal -1
	s_barrier_wait -1
	s_wait_xcnt 0x0
	v_cmpx_gt_u32_e32 32, v0
	s_cbranch_execz .LBB47_790
; %bb.781:
	v_cmp_ne_u32_e32 vcc_lo, 1, v102
	s_cbranch_vccnz .LBB47_783
; %bb.782:
	scratch_load_b64 v[100:101], v39, off
	ds_load_b64 v[104:105], v1
	s_wait_loadcnt_dscnt 0x0
	v_pk_mul_f32 v[106:107], v[104:105], v[100:101] op_sel:[1,1] op_sel_hi:[0,1]
	s_delay_alu instid0(VALU_DEP_1) | instskip(SKIP_1) | instid1(VALU_DEP_2)
	v_pk_fma_f32 v[108:109], v[104:105], v[100:101], v[106:107] op_sel_hi:[1,0,1]
	v_pk_fma_f32 v[100:101], v[104:105], v[100:101], v[106:107] neg_lo:[0,0,1] neg_hi:[0,0,1]
	v_mov_b32_e32 v101, v109
	s_cbranch_execz .LBB47_784
	s_branch .LBB47_785
.LBB47_783:
                                        ; implicit-def: $vgpr100_vgpr101
.LBB47_784:
	ds_load_b64 v[100:101], v1
.LBB47_785:
	s_mov_b32 s2, exec_lo
	v_cmpx_ne_u32_e32 31, v0
	s_cbranch_execz .LBB47_789
; %bb.786:
	v_add_nc_u32_e32 v103, 0x188, v38
	v_add3_u32 v104, 0, v38, 8
	v_mov_b32_e32 v105, v0
	s_mov_b32 s3, 0
.LBB47_787:                             ; =>This Inner Loop Header: Depth=1
	scratch_load_b64 v[106:107], v104, off
	ds_load_b64 v[108:109], v103
	s_wait_xcnt 0x0
	v_dual_add_nc_u32 v103, 8, v103 :: v_dual_add_nc_u32 v104, 8, v104
	s_wait_loadcnt_dscnt 0x0
	v_pk_mul_f32 v[110:111], v[108:109], v[106:107] op_sel:[1,1] op_sel_hi:[0,1]
	s_delay_alu instid0(VALU_DEP_1) | instskip(SKIP_2) | instid1(VALU_DEP_3)
	v_pk_fma_f32 v[112:113], v[108:109], v[106:107], v[110:111] op_sel_hi:[1,0,1]
	v_add_nc_u32_e32 v105, 1, v105
	v_pk_fma_f32 v[106:107], v[108:109], v[106:107], v[110:111] neg_lo:[0,0,1] neg_hi:[0,0,1]
	v_mov_b32_e32 v107, v113
	s_delay_alu instid0(VALU_DEP_3) | instskip(NEXT) | instid1(VALU_DEP_2)
	v_cmp_lt_u32_e32 vcc_lo, 30, v105
	v_pk_add_f32 v[100:101], v[100:101], v[106:107]
	s_or_b32 s3, vcc_lo, s3
	s_delay_alu instid0(SALU_CYCLE_1)
	s_and_not1_b32 exec_lo, exec_lo, s3
	s_cbranch_execnz .LBB47_787
; %bb.788:
	s_or_b32 exec_lo, exec_lo, s3
.LBB47_789:
	s_delay_alu instid0(SALU_CYCLE_1) | instskip(SKIP_4) | instid1(VALU_DEP_1)
	s_or_b32 exec_lo, exec_lo, s2
	v_mov_b32_e32 v103, 0
	ds_load_b64 v[104:105], v103 offset:256
	s_wait_dscnt 0x0
	v_pk_mul_f32 v[106:107], v[100:101], v[104:105] op_sel:[1,1] op_sel_hi:[0,1]
	v_pk_fma_f32 v[108:109], v[100:101], v[104:105], v[106:107] op_sel_hi:[1,0,1]
	v_pk_fma_f32 v[100:101], v[100:101], v[104:105], v[106:107] neg_lo:[0,0,1] neg_hi:[0,0,1]
	s_delay_alu instid0(VALU_DEP_2)
	v_mov_b32_e32 v101, v109
	scratch_store_b64 off, v[100:101], off offset:256
.LBB47_790:
	s_wait_xcnt 0x0
	s_or_b32 exec_lo, exec_lo, s0
	scratch_load_b64 v[100:101], off, off offset:264
	s_mov_b32 s0, exec_lo
	s_wait_loadcnt 0x0
	ds_store_b64 v1, v[100:101]
	s_wait_storecnt_dscnt 0x0
	s_barrier_signal -1
	s_barrier_wait -1
	s_wait_xcnt 0x0
	v_cmpx_gt_u32_e32 33, v0
	s_cbranch_execz .LBB47_800
; %bb.791:
	v_cmp_ne_u32_e32 vcc_lo, 1, v102
	s_cbranch_vccnz .LBB47_793
; %bb.792:
	scratch_load_b64 v[100:101], v39, off
	ds_load_b64 v[104:105], v1
	s_wait_loadcnt_dscnt 0x0
	v_pk_mul_f32 v[106:107], v[104:105], v[100:101] op_sel:[1,1] op_sel_hi:[0,1]
	s_delay_alu instid0(VALU_DEP_1) | instskip(SKIP_1) | instid1(VALU_DEP_2)
	v_pk_fma_f32 v[108:109], v[104:105], v[100:101], v[106:107] op_sel_hi:[1,0,1]
	v_pk_fma_f32 v[100:101], v[104:105], v[100:101], v[106:107] neg_lo:[0,0,1] neg_hi:[0,0,1]
	v_mov_b32_e32 v101, v109
	s_cbranch_execz .LBB47_794
	s_branch .LBB47_795
.LBB47_793:
                                        ; implicit-def: $vgpr100_vgpr101
.LBB47_794:
	ds_load_b64 v[100:101], v1
.LBB47_795:
	s_mov_b32 s2, exec_lo
	v_cmpx_ne_u32_e32 32, v0
	s_cbranch_execz .LBB47_799
; %bb.796:
	v_add_nc_u32_e32 v103, 0x188, v38
	v_add3_u32 v104, 0, v38, 8
	v_mov_b32_e32 v105, v0
	s_mov_b32 s3, 0
.LBB47_797:                             ; =>This Inner Loop Header: Depth=1
	scratch_load_b64 v[106:107], v104, off
	ds_load_b64 v[108:109], v103
	s_wait_xcnt 0x0
	v_dual_add_nc_u32 v103, 8, v103 :: v_dual_add_nc_u32 v104, 8, v104
	s_wait_loadcnt_dscnt 0x0
	v_pk_mul_f32 v[110:111], v[108:109], v[106:107] op_sel:[1,1] op_sel_hi:[0,1]
	s_delay_alu instid0(VALU_DEP_1) | instskip(SKIP_2) | instid1(VALU_DEP_3)
	v_pk_fma_f32 v[112:113], v[108:109], v[106:107], v[110:111] op_sel_hi:[1,0,1]
	v_add_nc_u32_e32 v105, 1, v105
	v_pk_fma_f32 v[106:107], v[108:109], v[106:107], v[110:111] neg_lo:[0,0,1] neg_hi:[0,0,1]
	v_mov_b32_e32 v107, v113
	s_delay_alu instid0(VALU_DEP_3) | instskip(NEXT) | instid1(VALU_DEP_2)
	v_cmp_lt_u32_e32 vcc_lo, 31, v105
	v_pk_add_f32 v[100:101], v[100:101], v[106:107]
	s_or_b32 s3, vcc_lo, s3
	s_delay_alu instid0(SALU_CYCLE_1)
	s_and_not1_b32 exec_lo, exec_lo, s3
	s_cbranch_execnz .LBB47_797
; %bb.798:
	s_or_b32 exec_lo, exec_lo, s3
.LBB47_799:
	s_delay_alu instid0(SALU_CYCLE_1) | instskip(SKIP_4) | instid1(VALU_DEP_1)
	s_or_b32 exec_lo, exec_lo, s2
	v_mov_b32_e32 v103, 0
	ds_load_b64 v[104:105], v103 offset:264
	s_wait_dscnt 0x0
	v_pk_mul_f32 v[106:107], v[100:101], v[104:105] op_sel:[1,1] op_sel_hi:[0,1]
	v_pk_fma_f32 v[108:109], v[100:101], v[104:105], v[106:107] op_sel_hi:[1,0,1]
	v_pk_fma_f32 v[100:101], v[100:101], v[104:105], v[106:107] neg_lo:[0,0,1] neg_hi:[0,0,1]
	s_delay_alu instid0(VALU_DEP_2)
	v_mov_b32_e32 v101, v109
	scratch_store_b64 off, v[100:101], off offset:264
.LBB47_800:
	s_wait_xcnt 0x0
	s_or_b32 exec_lo, exec_lo, s0
	scratch_load_b64 v[100:101], off, off offset:272
	s_mov_b32 s0, exec_lo
	s_wait_loadcnt 0x0
	ds_store_b64 v1, v[100:101]
	s_wait_storecnt_dscnt 0x0
	s_barrier_signal -1
	s_barrier_wait -1
	s_wait_xcnt 0x0
	v_cmpx_gt_u32_e32 34, v0
	s_cbranch_execz .LBB47_810
; %bb.801:
	v_cmp_ne_u32_e32 vcc_lo, 1, v102
	s_cbranch_vccnz .LBB47_803
; %bb.802:
	scratch_load_b64 v[100:101], v39, off
	ds_load_b64 v[104:105], v1
	s_wait_loadcnt_dscnt 0x0
	v_pk_mul_f32 v[106:107], v[104:105], v[100:101] op_sel:[1,1] op_sel_hi:[0,1]
	s_delay_alu instid0(VALU_DEP_1) | instskip(SKIP_1) | instid1(VALU_DEP_2)
	v_pk_fma_f32 v[108:109], v[104:105], v[100:101], v[106:107] op_sel_hi:[1,0,1]
	v_pk_fma_f32 v[100:101], v[104:105], v[100:101], v[106:107] neg_lo:[0,0,1] neg_hi:[0,0,1]
	v_mov_b32_e32 v101, v109
	s_cbranch_execz .LBB47_804
	s_branch .LBB47_805
.LBB47_803:
                                        ; implicit-def: $vgpr100_vgpr101
.LBB47_804:
	ds_load_b64 v[100:101], v1
.LBB47_805:
	s_mov_b32 s2, exec_lo
	v_cmpx_ne_u32_e32 33, v0
	s_cbranch_execz .LBB47_809
; %bb.806:
	v_add_nc_u32_e32 v103, 0x188, v38
	v_add3_u32 v104, 0, v38, 8
	v_mov_b32_e32 v105, v0
	s_mov_b32 s3, 0
.LBB47_807:                             ; =>This Inner Loop Header: Depth=1
	scratch_load_b64 v[106:107], v104, off
	ds_load_b64 v[108:109], v103
	s_wait_xcnt 0x0
	v_dual_add_nc_u32 v103, 8, v103 :: v_dual_add_nc_u32 v104, 8, v104
	s_wait_loadcnt_dscnt 0x0
	v_pk_mul_f32 v[110:111], v[108:109], v[106:107] op_sel:[1,1] op_sel_hi:[0,1]
	s_delay_alu instid0(VALU_DEP_1) | instskip(SKIP_2) | instid1(VALU_DEP_3)
	v_pk_fma_f32 v[112:113], v[108:109], v[106:107], v[110:111] op_sel_hi:[1,0,1]
	v_add_nc_u32_e32 v105, 1, v105
	v_pk_fma_f32 v[106:107], v[108:109], v[106:107], v[110:111] neg_lo:[0,0,1] neg_hi:[0,0,1]
	v_mov_b32_e32 v107, v113
	s_delay_alu instid0(VALU_DEP_3) | instskip(NEXT) | instid1(VALU_DEP_2)
	v_cmp_lt_u32_e32 vcc_lo, 32, v105
	v_pk_add_f32 v[100:101], v[100:101], v[106:107]
	s_or_b32 s3, vcc_lo, s3
	s_delay_alu instid0(SALU_CYCLE_1)
	s_and_not1_b32 exec_lo, exec_lo, s3
	s_cbranch_execnz .LBB47_807
; %bb.808:
	s_or_b32 exec_lo, exec_lo, s3
.LBB47_809:
	s_delay_alu instid0(SALU_CYCLE_1) | instskip(SKIP_4) | instid1(VALU_DEP_1)
	s_or_b32 exec_lo, exec_lo, s2
	v_mov_b32_e32 v103, 0
	ds_load_b64 v[104:105], v103 offset:272
	s_wait_dscnt 0x0
	v_pk_mul_f32 v[106:107], v[100:101], v[104:105] op_sel:[1,1] op_sel_hi:[0,1]
	v_pk_fma_f32 v[108:109], v[100:101], v[104:105], v[106:107] op_sel_hi:[1,0,1]
	v_pk_fma_f32 v[100:101], v[100:101], v[104:105], v[106:107] neg_lo:[0,0,1] neg_hi:[0,0,1]
	s_delay_alu instid0(VALU_DEP_2)
	v_mov_b32_e32 v101, v109
	scratch_store_b64 off, v[100:101], off offset:272
.LBB47_810:
	s_wait_xcnt 0x0
	s_or_b32 exec_lo, exec_lo, s0
	scratch_load_b64 v[100:101], off, off offset:280
	s_mov_b32 s0, exec_lo
	s_wait_loadcnt 0x0
	ds_store_b64 v1, v[100:101]
	s_wait_storecnt_dscnt 0x0
	s_barrier_signal -1
	s_barrier_wait -1
	s_wait_xcnt 0x0
	v_cmpx_gt_u32_e32 35, v0
	s_cbranch_execz .LBB47_820
; %bb.811:
	v_cmp_ne_u32_e32 vcc_lo, 1, v102
	s_cbranch_vccnz .LBB47_813
; %bb.812:
	scratch_load_b64 v[100:101], v39, off
	ds_load_b64 v[104:105], v1
	s_wait_loadcnt_dscnt 0x0
	v_pk_mul_f32 v[106:107], v[104:105], v[100:101] op_sel:[1,1] op_sel_hi:[0,1]
	s_delay_alu instid0(VALU_DEP_1) | instskip(SKIP_1) | instid1(VALU_DEP_2)
	v_pk_fma_f32 v[108:109], v[104:105], v[100:101], v[106:107] op_sel_hi:[1,0,1]
	v_pk_fma_f32 v[100:101], v[104:105], v[100:101], v[106:107] neg_lo:[0,0,1] neg_hi:[0,0,1]
	v_mov_b32_e32 v101, v109
	s_cbranch_execz .LBB47_814
	s_branch .LBB47_815
.LBB47_813:
                                        ; implicit-def: $vgpr100_vgpr101
.LBB47_814:
	ds_load_b64 v[100:101], v1
.LBB47_815:
	s_mov_b32 s2, exec_lo
	v_cmpx_ne_u32_e32 34, v0
	s_cbranch_execz .LBB47_819
; %bb.816:
	v_add_nc_u32_e32 v103, 0x188, v38
	v_add3_u32 v104, 0, v38, 8
	v_mov_b32_e32 v105, v0
	s_mov_b32 s3, 0
.LBB47_817:                             ; =>This Inner Loop Header: Depth=1
	scratch_load_b64 v[106:107], v104, off
	ds_load_b64 v[108:109], v103
	s_wait_xcnt 0x0
	v_dual_add_nc_u32 v103, 8, v103 :: v_dual_add_nc_u32 v104, 8, v104
	s_wait_loadcnt_dscnt 0x0
	v_pk_mul_f32 v[110:111], v[108:109], v[106:107] op_sel:[1,1] op_sel_hi:[0,1]
	s_delay_alu instid0(VALU_DEP_1) | instskip(SKIP_2) | instid1(VALU_DEP_3)
	v_pk_fma_f32 v[112:113], v[108:109], v[106:107], v[110:111] op_sel_hi:[1,0,1]
	v_add_nc_u32_e32 v105, 1, v105
	v_pk_fma_f32 v[106:107], v[108:109], v[106:107], v[110:111] neg_lo:[0,0,1] neg_hi:[0,0,1]
	v_mov_b32_e32 v107, v113
	s_delay_alu instid0(VALU_DEP_3) | instskip(NEXT) | instid1(VALU_DEP_2)
	v_cmp_lt_u32_e32 vcc_lo, 33, v105
	v_pk_add_f32 v[100:101], v[100:101], v[106:107]
	s_or_b32 s3, vcc_lo, s3
	s_delay_alu instid0(SALU_CYCLE_1)
	s_and_not1_b32 exec_lo, exec_lo, s3
	s_cbranch_execnz .LBB47_817
; %bb.818:
	s_or_b32 exec_lo, exec_lo, s3
.LBB47_819:
	s_delay_alu instid0(SALU_CYCLE_1) | instskip(SKIP_4) | instid1(VALU_DEP_1)
	s_or_b32 exec_lo, exec_lo, s2
	v_mov_b32_e32 v103, 0
	ds_load_b64 v[104:105], v103 offset:280
	s_wait_dscnt 0x0
	v_pk_mul_f32 v[106:107], v[100:101], v[104:105] op_sel:[1,1] op_sel_hi:[0,1]
	v_pk_fma_f32 v[108:109], v[100:101], v[104:105], v[106:107] op_sel_hi:[1,0,1]
	v_pk_fma_f32 v[100:101], v[100:101], v[104:105], v[106:107] neg_lo:[0,0,1] neg_hi:[0,0,1]
	s_delay_alu instid0(VALU_DEP_2)
	v_mov_b32_e32 v101, v109
	scratch_store_b64 off, v[100:101], off offset:280
.LBB47_820:
	s_wait_xcnt 0x0
	s_or_b32 exec_lo, exec_lo, s0
	scratch_load_b64 v[100:101], off, off offset:288
	s_mov_b32 s0, exec_lo
	s_wait_loadcnt 0x0
	ds_store_b64 v1, v[100:101]
	s_wait_storecnt_dscnt 0x0
	s_barrier_signal -1
	s_barrier_wait -1
	s_wait_xcnt 0x0
	v_cmpx_gt_u32_e32 36, v0
	s_cbranch_execz .LBB47_830
; %bb.821:
	v_cmp_ne_u32_e32 vcc_lo, 1, v102
	s_cbranch_vccnz .LBB47_823
; %bb.822:
	scratch_load_b64 v[100:101], v39, off
	ds_load_b64 v[104:105], v1
	s_wait_loadcnt_dscnt 0x0
	v_pk_mul_f32 v[106:107], v[104:105], v[100:101] op_sel:[1,1] op_sel_hi:[0,1]
	s_delay_alu instid0(VALU_DEP_1) | instskip(SKIP_1) | instid1(VALU_DEP_2)
	v_pk_fma_f32 v[108:109], v[104:105], v[100:101], v[106:107] op_sel_hi:[1,0,1]
	v_pk_fma_f32 v[100:101], v[104:105], v[100:101], v[106:107] neg_lo:[0,0,1] neg_hi:[0,0,1]
	v_mov_b32_e32 v101, v109
	s_cbranch_execz .LBB47_824
	s_branch .LBB47_825
.LBB47_823:
                                        ; implicit-def: $vgpr100_vgpr101
.LBB47_824:
	ds_load_b64 v[100:101], v1
.LBB47_825:
	s_mov_b32 s2, exec_lo
	v_cmpx_ne_u32_e32 35, v0
	s_cbranch_execz .LBB47_829
; %bb.826:
	v_add_nc_u32_e32 v103, 0x188, v38
	v_add3_u32 v104, 0, v38, 8
	v_mov_b32_e32 v105, v0
	s_mov_b32 s3, 0
.LBB47_827:                             ; =>This Inner Loop Header: Depth=1
	scratch_load_b64 v[106:107], v104, off
	ds_load_b64 v[108:109], v103
	s_wait_xcnt 0x0
	v_dual_add_nc_u32 v103, 8, v103 :: v_dual_add_nc_u32 v104, 8, v104
	s_wait_loadcnt_dscnt 0x0
	v_pk_mul_f32 v[110:111], v[108:109], v[106:107] op_sel:[1,1] op_sel_hi:[0,1]
	s_delay_alu instid0(VALU_DEP_1) | instskip(SKIP_2) | instid1(VALU_DEP_3)
	v_pk_fma_f32 v[112:113], v[108:109], v[106:107], v[110:111] op_sel_hi:[1,0,1]
	v_add_nc_u32_e32 v105, 1, v105
	v_pk_fma_f32 v[106:107], v[108:109], v[106:107], v[110:111] neg_lo:[0,0,1] neg_hi:[0,0,1]
	v_mov_b32_e32 v107, v113
	s_delay_alu instid0(VALU_DEP_3) | instskip(NEXT) | instid1(VALU_DEP_2)
	v_cmp_lt_u32_e32 vcc_lo, 34, v105
	v_pk_add_f32 v[100:101], v[100:101], v[106:107]
	s_or_b32 s3, vcc_lo, s3
	s_delay_alu instid0(SALU_CYCLE_1)
	s_and_not1_b32 exec_lo, exec_lo, s3
	s_cbranch_execnz .LBB47_827
; %bb.828:
	s_or_b32 exec_lo, exec_lo, s3
.LBB47_829:
	s_delay_alu instid0(SALU_CYCLE_1) | instskip(SKIP_4) | instid1(VALU_DEP_1)
	s_or_b32 exec_lo, exec_lo, s2
	v_mov_b32_e32 v103, 0
	ds_load_b64 v[104:105], v103 offset:288
	s_wait_dscnt 0x0
	v_pk_mul_f32 v[106:107], v[100:101], v[104:105] op_sel:[1,1] op_sel_hi:[0,1]
	v_pk_fma_f32 v[108:109], v[100:101], v[104:105], v[106:107] op_sel_hi:[1,0,1]
	v_pk_fma_f32 v[100:101], v[100:101], v[104:105], v[106:107] neg_lo:[0,0,1] neg_hi:[0,0,1]
	s_delay_alu instid0(VALU_DEP_2)
	v_mov_b32_e32 v101, v109
	scratch_store_b64 off, v[100:101], off offset:288
.LBB47_830:
	s_wait_xcnt 0x0
	s_or_b32 exec_lo, exec_lo, s0
	scratch_load_b64 v[100:101], off, off offset:296
	s_mov_b32 s0, exec_lo
	s_wait_loadcnt 0x0
	ds_store_b64 v1, v[100:101]
	s_wait_storecnt_dscnt 0x0
	s_barrier_signal -1
	s_barrier_wait -1
	s_wait_xcnt 0x0
	v_cmpx_gt_u32_e32 37, v0
	s_cbranch_execz .LBB47_840
; %bb.831:
	v_cmp_ne_u32_e32 vcc_lo, 1, v102
	s_cbranch_vccnz .LBB47_833
; %bb.832:
	scratch_load_b64 v[100:101], v39, off
	ds_load_b64 v[104:105], v1
	s_wait_loadcnt_dscnt 0x0
	v_pk_mul_f32 v[106:107], v[104:105], v[100:101] op_sel:[1,1] op_sel_hi:[0,1]
	s_delay_alu instid0(VALU_DEP_1) | instskip(SKIP_1) | instid1(VALU_DEP_2)
	v_pk_fma_f32 v[108:109], v[104:105], v[100:101], v[106:107] op_sel_hi:[1,0,1]
	v_pk_fma_f32 v[100:101], v[104:105], v[100:101], v[106:107] neg_lo:[0,0,1] neg_hi:[0,0,1]
	v_mov_b32_e32 v101, v109
	s_cbranch_execz .LBB47_834
	s_branch .LBB47_835
.LBB47_833:
                                        ; implicit-def: $vgpr100_vgpr101
.LBB47_834:
	ds_load_b64 v[100:101], v1
.LBB47_835:
	s_mov_b32 s2, exec_lo
	v_cmpx_ne_u32_e32 36, v0
	s_cbranch_execz .LBB47_839
; %bb.836:
	v_add_nc_u32_e32 v103, 0x188, v38
	v_add3_u32 v104, 0, v38, 8
	v_mov_b32_e32 v105, v0
	s_mov_b32 s3, 0
.LBB47_837:                             ; =>This Inner Loop Header: Depth=1
	scratch_load_b64 v[106:107], v104, off
	ds_load_b64 v[108:109], v103
	s_wait_xcnt 0x0
	v_dual_add_nc_u32 v103, 8, v103 :: v_dual_add_nc_u32 v104, 8, v104
	s_wait_loadcnt_dscnt 0x0
	v_pk_mul_f32 v[110:111], v[108:109], v[106:107] op_sel:[1,1] op_sel_hi:[0,1]
	s_delay_alu instid0(VALU_DEP_1) | instskip(SKIP_2) | instid1(VALU_DEP_3)
	v_pk_fma_f32 v[112:113], v[108:109], v[106:107], v[110:111] op_sel_hi:[1,0,1]
	v_add_nc_u32_e32 v105, 1, v105
	v_pk_fma_f32 v[106:107], v[108:109], v[106:107], v[110:111] neg_lo:[0,0,1] neg_hi:[0,0,1]
	v_mov_b32_e32 v107, v113
	s_delay_alu instid0(VALU_DEP_3) | instskip(NEXT) | instid1(VALU_DEP_2)
	v_cmp_lt_u32_e32 vcc_lo, 35, v105
	v_pk_add_f32 v[100:101], v[100:101], v[106:107]
	s_or_b32 s3, vcc_lo, s3
	s_delay_alu instid0(SALU_CYCLE_1)
	s_and_not1_b32 exec_lo, exec_lo, s3
	s_cbranch_execnz .LBB47_837
; %bb.838:
	s_or_b32 exec_lo, exec_lo, s3
.LBB47_839:
	s_delay_alu instid0(SALU_CYCLE_1) | instskip(SKIP_4) | instid1(VALU_DEP_1)
	s_or_b32 exec_lo, exec_lo, s2
	v_mov_b32_e32 v103, 0
	ds_load_b64 v[104:105], v103 offset:296
	s_wait_dscnt 0x0
	v_pk_mul_f32 v[106:107], v[100:101], v[104:105] op_sel:[1,1] op_sel_hi:[0,1]
	v_pk_fma_f32 v[108:109], v[100:101], v[104:105], v[106:107] op_sel_hi:[1,0,1]
	v_pk_fma_f32 v[100:101], v[100:101], v[104:105], v[106:107] neg_lo:[0,0,1] neg_hi:[0,0,1]
	s_delay_alu instid0(VALU_DEP_2)
	v_mov_b32_e32 v101, v109
	scratch_store_b64 off, v[100:101], off offset:296
.LBB47_840:
	s_wait_xcnt 0x0
	s_or_b32 exec_lo, exec_lo, s0
	scratch_load_b64 v[100:101], off, off offset:304
	s_mov_b32 s0, exec_lo
	s_wait_loadcnt 0x0
	ds_store_b64 v1, v[100:101]
	s_wait_storecnt_dscnt 0x0
	s_barrier_signal -1
	s_barrier_wait -1
	s_wait_xcnt 0x0
	v_cmpx_gt_u32_e32 38, v0
	s_cbranch_execz .LBB47_850
; %bb.841:
	v_cmp_ne_u32_e32 vcc_lo, 1, v102
	s_cbranch_vccnz .LBB47_843
; %bb.842:
	scratch_load_b64 v[100:101], v39, off
	ds_load_b64 v[104:105], v1
	s_wait_loadcnt_dscnt 0x0
	v_pk_mul_f32 v[106:107], v[104:105], v[100:101] op_sel:[1,1] op_sel_hi:[0,1]
	s_delay_alu instid0(VALU_DEP_1) | instskip(SKIP_1) | instid1(VALU_DEP_2)
	v_pk_fma_f32 v[108:109], v[104:105], v[100:101], v[106:107] op_sel_hi:[1,0,1]
	v_pk_fma_f32 v[100:101], v[104:105], v[100:101], v[106:107] neg_lo:[0,0,1] neg_hi:[0,0,1]
	v_mov_b32_e32 v101, v109
	s_cbranch_execz .LBB47_844
	s_branch .LBB47_845
.LBB47_843:
                                        ; implicit-def: $vgpr100_vgpr101
.LBB47_844:
	ds_load_b64 v[100:101], v1
.LBB47_845:
	s_mov_b32 s2, exec_lo
	v_cmpx_ne_u32_e32 37, v0
	s_cbranch_execz .LBB47_849
; %bb.846:
	v_add_nc_u32_e32 v103, 0x188, v38
	v_add3_u32 v104, 0, v38, 8
	v_mov_b32_e32 v105, v0
	s_mov_b32 s3, 0
.LBB47_847:                             ; =>This Inner Loop Header: Depth=1
	scratch_load_b64 v[106:107], v104, off
	ds_load_b64 v[108:109], v103
	s_wait_xcnt 0x0
	v_dual_add_nc_u32 v103, 8, v103 :: v_dual_add_nc_u32 v104, 8, v104
	s_wait_loadcnt_dscnt 0x0
	v_pk_mul_f32 v[110:111], v[108:109], v[106:107] op_sel:[1,1] op_sel_hi:[0,1]
	s_delay_alu instid0(VALU_DEP_1) | instskip(SKIP_2) | instid1(VALU_DEP_3)
	v_pk_fma_f32 v[112:113], v[108:109], v[106:107], v[110:111] op_sel_hi:[1,0,1]
	v_add_nc_u32_e32 v105, 1, v105
	v_pk_fma_f32 v[106:107], v[108:109], v[106:107], v[110:111] neg_lo:[0,0,1] neg_hi:[0,0,1]
	v_mov_b32_e32 v107, v113
	s_delay_alu instid0(VALU_DEP_3) | instskip(NEXT) | instid1(VALU_DEP_2)
	v_cmp_lt_u32_e32 vcc_lo, 36, v105
	v_pk_add_f32 v[100:101], v[100:101], v[106:107]
	s_or_b32 s3, vcc_lo, s3
	s_delay_alu instid0(SALU_CYCLE_1)
	s_and_not1_b32 exec_lo, exec_lo, s3
	s_cbranch_execnz .LBB47_847
; %bb.848:
	s_or_b32 exec_lo, exec_lo, s3
.LBB47_849:
	s_delay_alu instid0(SALU_CYCLE_1) | instskip(SKIP_4) | instid1(VALU_DEP_1)
	s_or_b32 exec_lo, exec_lo, s2
	v_mov_b32_e32 v103, 0
	ds_load_b64 v[104:105], v103 offset:304
	s_wait_dscnt 0x0
	v_pk_mul_f32 v[106:107], v[100:101], v[104:105] op_sel:[1,1] op_sel_hi:[0,1]
	v_pk_fma_f32 v[108:109], v[100:101], v[104:105], v[106:107] op_sel_hi:[1,0,1]
	v_pk_fma_f32 v[100:101], v[100:101], v[104:105], v[106:107] neg_lo:[0,0,1] neg_hi:[0,0,1]
	s_delay_alu instid0(VALU_DEP_2)
	v_mov_b32_e32 v101, v109
	scratch_store_b64 off, v[100:101], off offset:304
.LBB47_850:
	s_wait_xcnt 0x0
	s_or_b32 exec_lo, exec_lo, s0
	scratch_load_b64 v[100:101], off, off offset:312
	s_mov_b32 s0, exec_lo
	s_wait_loadcnt 0x0
	ds_store_b64 v1, v[100:101]
	s_wait_storecnt_dscnt 0x0
	s_barrier_signal -1
	s_barrier_wait -1
	s_wait_xcnt 0x0
	v_cmpx_gt_u32_e32 39, v0
	s_cbranch_execz .LBB47_860
; %bb.851:
	v_cmp_ne_u32_e32 vcc_lo, 1, v102
	s_cbranch_vccnz .LBB47_853
; %bb.852:
	scratch_load_b64 v[100:101], v39, off
	ds_load_b64 v[104:105], v1
	s_wait_loadcnt_dscnt 0x0
	v_pk_mul_f32 v[106:107], v[104:105], v[100:101] op_sel:[1,1] op_sel_hi:[0,1]
	s_delay_alu instid0(VALU_DEP_1) | instskip(SKIP_1) | instid1(VALU_DEP_2)
	v_pk_fma_f32 v[108:109], v[104:105], v[100:101], v[106:107] op_sel_hi:[1,0,1]
	v_pk_fma_f32 v[100:101], v[104:105], v[100:101], v[106:107] neg_lo:[0,0,1] neg_hi:[0,0,1]
	v_mov_b32_e32 v101, v109
	s_cbranch_execz .LBB47_854
	s_branch .LBB47_855
.LBB47_853:
                                        ; implicit-def: $vgpr100_vgpr101
.LBB47_854:
	ds_load_b64 v[100:101], v1
.LBB47_855:
	s_mov_b32 s2, exec_lo
	v_cmpx_ne_u32_e32 38, v0
	s_cbranch_execz .LBB47_859
; %bb.856:
	v_add_nc_u32_e32 v103, 0x188, v38
	v_add3_u32 v104, 0, v38, 8
	v_mov_b32_e32 v105, v0
	s_mov_b32 s3, 0
.LBB47_857:                             ; =>This Inner Loop Header: Depth=1
	scratch_load_b64 v[106:107], v104, off
	ds_load_b64 v[108:109], v103
	s_wait_xcnt 0x0
	v_dual_add_nc_u32 v103, 8, v103 :: v_dual_add_nc_u32 v104, 8, v104
	s_wait_loadcnt_dscnt 0x0
	v_pk_mul_f32 v[110:111], v[108:109], v[106:107] op_sel:[1,1] op_sel_hi:[0,1]
	s_delay_alu instid0(VALU_DEP_1) | instskip(SKIP_2) | instid1(VALU_DEP_3)
	v_pk_fma_f32 v[112:113], v[108:109], v[106:107], v[110:111] op_sel_hi:[1,0,1]
	v_add_nc_u32_e32 v105, 1, v105
	v_pk_fma_f32 v[106:107], v[108:109], v[106:107], v[110:111] neg_lo:[0,0,1] neg_hi:[0,0,1]
	v_mov_b32_e32 v107, v113
	s_delay_alu instid0(VALU_DEP_3) | instskip(NEXT) | instid1(VALU_DEP_2)
	v_cmp_lt_u32_e32 vcc_lo, 37, v105
	v_pk_add_f32 v[100:101], v[100:101], v[106:107]
	s_or_b32 s3, vcc_lo, s3
	s_delay_alu instid0(SALU_CYCLE_1)
	s_and_not1_b32 exec_lo, exec_lo, s3
	s_cbranch_execnz .LBB47_857
; %bb.858:
	s_or_b32 exec_lo, exec_lo, s3
.LBB47_859:
	s_delay_alu instid0(SALU_CYCLE_1) | instskip(SKIP_4) | instid1(VALU_DEP_1)
	s_or_b32 exec_lo, exec_lo, s2
	v_mov_b32_e32 v103, 0
	ds_load_b64 v[104:105], v103 offset:312
	s_wait_dscnt 0x0
	v_pk_mul_f32 v[106:107], v[100:101], v[104:105] op_sel:[1,1] op_sel_hi:[0,1]
	v_pk_fma_f32 v[108:109], v[100:101], v[104:105], v[106:107] op_sel_hi:[1,0,1]
	v_pk_fma_f32 v[100:101], v[100:101], v[104:105], v[106:107] neg_lo:[0,0,1] neg_hi:[0,0,1]
	s_delay_alu instid0(VALU_DEP_2)
	v_mov_b32_e32 v101, v109
	scratch_store_b64 off, v[100:101], off offset:312
.LBB47_860:
	s_wait_xcnt 0x0
	s_or_b32 exec_lo, exec_lo, s0
	scratch_load_b64 v[100:101], off, off offset:320
	s_mov_b32 s0, exec_lo
	s_wait_loadcnt 0x0
	ds_store_b64 v1, v[100:101]
	s_wait_storecnt_dscnt 0x0
	s_barrier_signal -1
	s_barrier_wait -1
	s_wait_xcnt 0x0
	v_cmpx_gt_u32_e32 40, v0
	s_cbranch_execz .LBB47_870
; %bb.861:
	v_cmp_ne_u32_e32 vcc_lo, 1, v102
	s_cbranch_vccnz .LBB47_863
; %bb.862:
	scratch_load_b64 v[100:101], v39, off
	ds_load_b64 v[104:105], v1
	s_wait_loadcnt_dscnt 0x0
	v_pk_mul_f32 v[106:107], v[104:105], v[100:101] op_sel:[1,1] op_sel_hi:[0,1]
	s_delay_alu instid0(VALU_DEP_1) | instskip(SKIP_1) | instid1(VALU_DEP_2)
	v_pk_fma_f32 v[108:109], v[104:105], v[100:101], v[106:107] op_sel_hi:[1,0,1]
	v_pk_fma_f32 v[100:101], v[104:105], v[100:101], v[106:107] neg_lo:[0,0,1] neg_hi:[0,0,1]
	v_mov_b32_e32 v101, v109
	s_cbranch_execz .LBB47_864
	s_branch .LBB47_865
.LBB47_863:
                                        ; implicit-def: $vgpr100_vgpr101
.LBB47_864:
	ds_load_b64 v[100:101], v1
.LBB47_865:
	s_mov_b32 s2, exec_lo
	v_cmpx_ne_u32_e32 39, v0
	s_cbranch_execz .LBB47_869
; %bb.866:
	v_add_nc_u32_e32 v103, 0x188, v38
	v_add3_u32 v104, 0, v38, 8
	v_mov_b32_e32 v105, v0
	s_mov_b32 s3, 0
.LBB47_867:                             ; =>This Inner Loop Header: Depth=1
	scratch_load_b64 v[106:107], v104, off
	ds_load_b64 v[108:109], v103
	s_wait_xcnt 0x0
	v_dual_add_nc_u32 v103, 8, v103 :: v_dual_add_nc_u32 v104, 8, v104
	s_wait_loadcnt_dscnt 0x0
	v_pk_mul_f32 v[110:111], v[108:109], v[106:107] op_sel:[1,1] op_sel_hi:[0,1]
	s_delay_alu instid0(VALU_DEP_1) | instskip(SKIP_2) | instid1(VALU_DEP_3)
	v_pk_fma_f32 v[112:113], v[108:109], v[106:107], v[110:111] op_sel_hi:[1,0,1]
	v_add_nc_u32_e32 v105, 1, v105
	v_pk_fma_f32 v[106:107], v[108:109], v[106:107], v[110:111] neg_lo:[0,0,1] neg_hi:[0,0,1]
	v_mov_b32_e32 v107, v113
	s_delay_alu instid0(VALU_DEP_3) | instskip(NEXT) | instid1(VALU_DEP_2)
	v_cmp_lt_u32_e32 vcc_lo, 38, v105
	v_pk_add_f32 v[100:101], v[100:101], v[106:107]
	s_or_b32 s3, vcc_lo, s3
	s_delay_alu instid0(SALU_CYCLE_1)
	s_and_not1_b32 exec_lo, exec_lo, s3
	s_cbranch_execnz .LBB47_867
; %bb.868:
	s_or_b32 exec_lo, exec_lo, s3
.LBB47_869:
	s_delay_alu instid0(SALU_CYCLE_1) | instskip(SKIP_4) | instid1(VALU_DEP_1)
	s_or_b32 exec_lo, exec_lo, s2
	v_mov_b32_e32 v103, 0
	ds_load_b64 v[104:105], v103 offset:320
	s_wait_dscnt 0x0
	v_pk_mul_f32 v[106:107], v[100:101], v[104:105] op_sel:[1,1] op_sel_hi:[0,1]
	v_pk_fma_f32 v[108:109], v[100:101], v[104:105], v[106:107] op_sel_hi:[1,0,1]
	v_pk_fma_f32 v[100:101], v[100:101], v[104:105], v[106:107] neg_lo:[0,0,1] neg_hi:[0,0,1]
	s_delay_alu instid0(VALU_DEP_2)
	v_mov_b32_e32 v101, v109
	scratch_store_b64 off, v[100:101], off offset:320
.LBB47_870:
	s_wait_xcnt 0x0
	s_or_b32 exec_lo, exec_lo, s0
	scratch_load_b64 v[100:101], off, off offset:328
	s_mov_b32 s0, exec_lo
	s_wait_loadcnt 0x0
	ds_store_b64 v1, v[100:101]
	s_wait_storecnt_dscnt 0x0
	s_barrier_signal -1
	s_barrier_wait -1
	s_wait_xcnt 0x0
	v_cmpx_gt_u32_e32 41, v0
	s_cbranch_execz .LBB47_880
; %bb.871:
	v_cmp_ne_u32_e32 vcc_lo, 1, v102
	s_cbranch_vccnz .LBB47_873
; %bb.872:
	scratch_load_b64 v[100:101], v39, off
	ds_load_b64 v[104:105], v1
	s_wait_loadcnt_dscnt 0x0
	v_pk_mul_f32 v[106:107], v[104:105], v[100:101] op_sel:[1,1] op_sel_hi:[0,1]
	s_delay_alu instid0(VALU_DEP_1) | instskip(SKIP_1) | instid1(VALU_DEP_2)
	v_pk_fma_f32 v[108:109], v[104:105], v[100:101], v[106:107] op_sel_hi:[1,0,1]
	v_pk_fma_f32 v[100:101], v[104:105], v[100:101], v[106:107] neg_lo:[0,0,1] neg_hi:[0,0,1]
	v_mov_b32_e32 v101, v109
	s_cbranch_execz .LBB47_874
	s_branch .LBB47_875
.LBB47_873:
                                        ; implicit-def: $vgpr100_vgpr101
.LBB47_874:
	ds_load_b64 v[100:101], v1
.LBB47_875:
	s_mov_b32 s2, exec_lo
	v_cmpx_ne_u32_e32 40, v0
	s_cbranch_execz .LBB47_879
; %bb.876:
	v_add_nc_u32_e32 v103, 0x188, v38
	v_add3_u32 v104, 0, v38, 8
	v_mov_b32_e32 v105, v0
	s_mov_b32 s3, 0
.LBB47_877:                             ; =>This Inner Loop Header: Depth=1
	scratch_load_b64 v[106:107], v104, off
	ds_load_b64 v[108:109], v103
	s_wait_xcnt 0x0
	v_dual_add_nc_u32 v103, 8, v103 :: v_dual_add_nc_u32 v104, 8, v104
	s_wait_loadcnt_dscnt 0x0
	v_pk_mul_f32 v[110:111], v[108:109], v[106:107] op_sel:[1,1] op_sel_hi:[0,1]
	s_delay_alu instid0(VALU_DEP_1) | instskip(SKIP_2) | instid1(VALU_DEP_3)
	v_pk_fma_f32 v[112:113], v[108:109], v[106:107], v[110:111] op_sel_hi:[1,0,1]
	v_add_nc_u32_e32 v105, 1, v105
	v_pk_fma_f32 v[106:107], v[108:109], v[106:107], v[110:111] neg_lo:[0,0,1] neg_hi:[0,0,1]
	v_mov_b32_e32 v107, v113
	s_delay_alu instid0(VALU_DEP_3) | instskip(NEXT) | instid1(VALU_DEP_2)
	v_cmp_lt_u32_e32 vcc_lo, 39, v105
	v_pk_add_f32 v[100:101], v[100:101], v[106:107]
	s_or_b32 s3, vcc_lo, s3
	s_delay_alu instid0(SALU_CYCLE_1)
	s_and_not1_b32 exec_lo, exec_lo, s3
	s_cbranch_execnz .LBB47_877
; %bb.878:
	s_or_b32 exec_lo, exec_lo, s3
.LBB47_879:
	s_delay_alu instid0(SALU_CYCLE_1) | instskip(SKIP_4) | instid1(VALU_DEP_1)
	s_or_b32 exec_lo, exec_lo, s2
	v_mov_b32_e32 v103, 0
	ds_load_b64 v[104:105], v103 offset:328
	s_wait_dscnt 0x0
	v_pk_mul_f32 v[106:107], v[100:101], v[104:105] op_sel:[1,1] op_sel_hi:[0,1]
	v_pk_fma_f32 v[108:109], v[100:101], v[104:105], v[106:107] op_sel_hi:[1,0,1]
	v_pk_fma_f32 v[100:101], v[100:101], v[104:105], v[106:107] neg_lo:[0,0,1] neg_hi:[0,0,1]
	s_delay_alu instid0(VALU_DEP_2)
	v_mov_b32_e32 v101, v109
	scratch_store_b64 off, v[100:101], off offset:328
.LBB47_880:
	s_wait_xcnt 0x0
	s_or_b32 exec_lo, exec_lo, s0
	scratch_load_b64 v[100:101], off, off offset:336
	s_mov_b32 s0, exec_lo
	s_wait_loadcnt 0x0
	ds_store_b64 v1, v[100:101]
	s_wait_storecnt_dscnt 0x0
	s_barrier_signal -1
	s_barrier_wait -1
	s_wait_xcnt 0x0
	v_cmpx_gt_u32_e32 42, v0
	s_cbranch_execz .LBB47_890
; %bb.881:
	v_cmp_ne_u32_e32 vcc_lo, 1, v102
	s_cbranch_vccnz .LBB47_883
; %bb.882:
	scratch_load_b64 v[100:101], v39, off
	ds_load_b64 v[104:105], v1
	s_wait_loadcnt_dscnt 0x0
	v_pk_mul_f32 v[106:107], v[104:105], v[100:101] op_sel:[1,1] op_sel_hi:[0,1]
	s_delay_alu instid0(VALU_DEP_1) | instskip(SKIP_1) | instid1(VALU_DEP_2)
	v_pk_fma_f32 v[108:109], v[104:105], v[100:101], v[106:107] op_sel_hi:[1,0,1]
	v_pk_fma_f32 v[100:101], v[104:105], v[100:101], v[106:107] neg_lo:[0,0,1] neg_hi:[0,0,1]
	v_mov_b32_e32 v101, v109
	s_cbranch_execz .LBB47_884
	s_branch .LBB47_885
.LBB47_883:
                                        ; implicit-def: $vgpr100_vgpr101
.LBB47_884:
	ds_load_b64 v[100:101], v1
.LBB47_885:
	s_mov_b32 s2, exec_lo
	v_cmpx_ne_u32_e32 41, v0
	s_cbranch_execz .LBB47_889
; %bb.886:
	v_add_nc_u32_e32 v103, 0x188, v38
	v_add3_u32 v104, 0, v38, 8
	v_mov_b32_e32 v105, v0
	s_mov_b32 s3, 0
.LBB47_887:                             ; =>This Inner Loop Header: Depth=1
	scratch_load_b64 v[106:107], v104, off
	ds_load_b64 v[108:109], v103
	s_wait_xcnt 0x0
	v_dual_add_nc_u32 v103, 8, v103 :: v_dual_add_nc_u32 v104, 8, v104
	s_wait_loadcnt_dscnt 0x0
	v_pk_mul_f32 v[110:111], v[108:109], v[106:107] op_sel:[1,1] op_sel_hi:[0,1]
	s_delay_alu instid0(VALU_DEP_1) | instskip(SKIP_2) | instid1(VALU_DEP_3)
	v_pk_fma_f32 v[112:113], v[108:109], v[106:107], v[110:111] op_sel_hi:[1,0,1]
	v_add_nc_u32_e32 v105, 1, v105
	v_pk_fma_f32 v[106:107], v[108:109], v[106:107], v[110:111] neg_lo:[0,0,1] neg_hi:[0,0,1]
	v_mov_b32_e32 v107, v113
	s_delay_alu instid0(VALU_DEP_3) | instskip(NEXT) | instid1(VALU_DEP_2)
	v_cmp_lt_u32_e32 vcc_lo, 40, v105
	v_pk_add_f32 v[100:101], v[100:101], v[106:107]
	s_or_b32 s3, vcc_lo, s3
	s_delay_alu instid0(SALU_CYCLE_1)
	s_and_not1_b32 exec_lo, exec_lo, s3
	s_cbranch_execnz .LBB47_887
; %bb.888:
	s_or_b32 exec_lo, exec_lo, s3
.LBB47_889:
	s_delay_alu instid0(SALU_CYCLE_1) | instskip(SKIP_4) | instid1(VALU_DEP_1)
	s_or_b32 exec_lo, exec_lo, s2
	v_mov_b32_e32 v103, 0
	ds_load_b64 v[104:105], v103 offset:336
	s_wait_dscnt 0x0
	v_pk_mul_f32 v[106:107], v[100:101], v[104:105] op_sel:[1,1] op_sel_hi:[0,1]
	v_pk_fma_f32 v[108:109], v[100:101], v[104:105], v[106:107] op_sel_hi:[1,0,1]
	v_pk_fma_f32 v[100:101], v[100:101], v[104:105], v[106:107] neg_lo:[0,0,1] neg_hi:[0,0,1]
	s_delay_alu instid0(VALU_DEP_2)
	v_mov_b32_e32 v101, v109
	scratch_store_b64 off, v[100:101], off offset:336
.LBB47_890:
	s_wait_xcnt 0x0
	s_or_b32 exec_lo, exec_lo, s0
	scratch_load_b64 v[100:101], off, off offset:344
	s_mov_b32 s0, exec_lo
	s_wait_loadcnt 0x0
	ds_store_b64 v1, v[100:101]
	s_wait_storecnt_dscnt 0x0
	s_barrier_signal -1
	s_barrier_wait -1
	s_wait_xcnt 0x0
	v_cmpx_gt_u32_e32 43, v0
	s_cbranch_execz .LBB47_900
; %bb.891:
	v_cmp_ne_u32_e32 vcc_lo, 1, v102
	s_cbranch_vccnz .LBB47_893
; %bb.892:
	scratch_load_b64 v[100:101], v39, off
	ds_load_b64 v[104:105], v1
	s_wait_loadcnt_dscnt 0x0
	v_pk_mul_f32 v[106:107], v[104:105], v[100:101] op_sel:[1,1] op_sel_hi:[0,1]
	s_delay_alu instid0(VALU_DEP_1) | instskip(SKIP_1) | instid1(VALU_DEP_2)
	v_pk_fma_f32 v[108:109], v[104:105], v[100:101], v[106:107] op_sel_hi:[1,0,1]
	v_pk_fma_f32 v[100:101], v[104:105], v[100:101], v[106:107] neg_lo:[0,0,1] neg_hi:[0,0,1]
	v_mov_b32_e32 v101, v109
	s_cbranch_execz .LBB47_894
	s_branch .LBB47_895
.LBB47_893:
                                        ; implicit-def: $vgpr100_vgpr101
.LBB47_894:
	ds_load_b64 v[100:101], v1
.LBB47_895:
	s_mov_b32 s2, exec_lo
	v_cmpx_ne_u32_e32 42, v0
	s_cbranch_execz .LBB47_899
; %bb.896:
	v_add_nc_u32_e32 v103, 0x188, v38
	v_add3_u32 v104, 0, v38, 8
	v_mov_b32_e32 v105, v0
	s_mov_b32 s3, 0
.LBB47_897:                             ; =>This Inner Loop Header: Depth=1
	scratch_load_b64 v[106:107], v104, off
	ds_load_b64 v[108:109], v103
	s_wait_xcnt 0x0
	v_dual_add_nc_u32 v103, 8, v103 :: v_dual_add_nc_u32 v104, 8, v104
	s_wait_loadcnt_dscnt 0x0
	v_pk_mul_f32 v[110:111], v[108:109], v[106:107] op_sel:[1,1] op_sel_hi:[0,1]
	s_delay_alu instid0(VALU_DEP_1) | instskip(SKIP_2) | instid1(VALU_DEP_3)
	v_pk_fma_f32 v[112:113], v[108:109], v[106:107], v[110:111] op_sel_hi:[1,0,1]
	v_add_nc_u32_e32 v105, 1, v105
	v_pk_fma_f32 v[106:107], v[108:109], v[106:107], v[110:111] neg_lo:[0,0,1] neg_hi:[0,0,1]
	v_mov_b32_e32 v107, v113
	s_delay_alu instid0(VALU_DEP_3) | instskip(NEXT) | instid1(VALU_DEP_2)
	v_cmp_lt_u32_e32 vcc_lo, 41, v105
	v_pk_add_f32 v[100:101], v[100:101], v[106:107]
	s_or_b32 s3, vcc_lo, s3
	s_delay_alu instid0(SALU_CYCLE_1)
	s_and_not1_b32 exec_lo, exec_lo, s3
	s_cbranch_execnz .LBB47_897
; %bb.898:
	s_or_b32 exec_lo, exec_lo, s3
.LBB47_899:
	s_delay_alu instid0(SALU_CYCLE_1) | instskip(SKIP_4) | instid1(VALU_DEP_1)
	s_or_b32 exec_lo, exec_lo, s2
	v_mov_b32_e32 v103, 0
	ds_load_b64 v[104:105], v103 offset:344
	s_wait_dscnt 0x0
	v_pk_mul_f32 v[106:107], v[100:101], v[104:105] op_sel:[1,1] op_sel_hi:[0,1]
	v_pk_fma_f32 v[108:109], v[100:101], v[104:105], v[106:107] op_sel_hi:[1,0,1]
	v_pk_fma_f32 v[100:101], v[100:101], v[104:105], v[106:107] neg_lo:[0,0,1] neg_hi:[0,0,1]
	s_delay_alu instid0(VALU_DEP_2)
	v_mov_b32_e32 v101, v109
	scratch_store_b64 off, v[100:101], off offset:344
.LBB47_900:
	s_wait_xcnt 0x0
	s_or_b32 exec_lo, exec_lo, s0
	scratch_load_b64 v[100:101], off, off offset:352
	s_mov_b32 s0, exec_lo
	s_wait_loadcnt 0x0
	ds_store_b64 v1, v[100:101]
	s_wait_storecnt_dscnt 0x0
	s_barrier_signal -1
	s_barrier_wait -1
	s_wait_xcnt 0x0
	v_cmpx_gt_u32_e32 44, v0
	s_cbranch_execz .LBB47_910
; %bb.901:
	v_cmp_ne_u32_e32 vcc_lo, 1, v102
	s_cbranch_vccnz .LBB47_903
; %bb.902:
	scratch_load_b64 v[100:101], v39, off
	ds_load_b64 v[104:105], v1
	s_wait_loadcnt_dscnt 0x0
	v_pk_mul_f32 v[106:107], v[104:105], v[100:101] op_sel:[1,1] op_sel_hi:[0,1]
	s_delay_alu instid0(VALU_DEP_1) | instskip(SKIP_1) | instid1(VALU_DEP_2)
	v_pk_fma_f32 v[108:109], v[104:105], v[100:101], v[106:107] op_sel_hi:[1,0,1]
	v_pk_fma_f32 v[100:101], v[104:105], v[100:101], v[106:107] neg_lo:[0,0,1] neg_hi:[0,0,1]
	v_mov_b32_e32 v101, v109
	s_cbranch_execz .LBB47_904
	s_branch .LBB47_905
.LBB47_903:
                                        ; implicit-def: $vgpr100_vgpr101
.LBB47_904:
	ds_load_b64 v[100:101], v1
.LBB47_905:
	s_mov_b32 s2, exec_lo
	v_cmpx_ne_u32_e32 43, v0
	s_cbranch_execz .LBB47_909
; %bb.906:
	v_add_nc_u32_e32 v103, 0x188, v38
	v_add3_u32 v104, 0, v38, 8
	v_mov_b32_e32 v105, v0
	s_mov_b32 s3, 0
.LBB47_907:                             ; =>This Inner Loop Header: Depth=1
	scratch_load_b64 v[106:107], v104, off
	ds_load_b64 v[108:109], v103
	s_wait_xcnt 0x0
	v_dual_add_nc_u32 v103, 8, v103 :: v_dual_add_nc_u32 v104, 8, v104
	s_wait_loadcnt_dscnt 0x0
	v_pk_mul_f32 v[110:111], v[108:109], v[106:107] op_sel:[1,1] op_sel_hi:[0,1]
	s_delay_alu instid0(VALU_DEP_1) | instskip(SKIP_2) | instid1(VALU_DEP_3)
	v_pk_fma_f32 v[112:113], v[108:109], v[106:107], v[110:111] op_sel_hi:[1,0,1]
	v_add_nc_u32_e32 v105, 1, v105
	v_pk_fma_f32 v[106:107], v[108:109], v[106:107], v[110:111] neg_lo:[0,0,1] neg_hi:[0,0,1]
	v_mov_b32_e32 v107, v113
	s_delay_alu instid0(VALU_DEP_3) | instskip(NEXT) | instid1(VALU_DEP_2)
	v_cmp_lt_u32_e32 vcc_lo, 42, v105
	v_pk_add_f32 v[100:101], v[100:101], v[106:107]
	s_or_b32 s3, vcc_lo, s3
	s_delay_alu instid0(SALU_CYCLE_1)
	s_and_not1_b32 exec_lo, exec_lo, s3
	s_cbranch_execnz .LBB47_907
; %bb.908:
	s_or_b32 exec_lo, exec_lo, s3
.LBB47_909:
	s_delay_alu instid0(SALU_CYCLE_1) | instskip(SKIP_4) | instid1(VALU_DEP_1)
	s_or_b32 exec_lo, exec_lo, s2
	v_mov_b32_e32 v103, 0
	ds_load_b64 v[104:105], v103 offset:352
	s_wait_dscnt 0x0
	v_pk_mul_f32 v[106:107], v[100:101], v[104:105] op_sel:[1,1] op_sel_hi:[0,1]
	v_pk_fma_f32 v[108:109], v[100:101], v[104:105], v[106:107] op_sel_hi:[1,0,1]
	v_pk_fma_f32 v[100:101], v[100:101], v[104:105], v[106:107] neg_lo:[0,0,1] neg_hi:[0,0,1]
	s_delay_alu instid0(VALU_DEP_2)
	v_mov_b32_e32 v101, v109
	scratch_store_b64 off, v[100:101], off offset:352
.LBB47_910:
	s_wait_xcnt 0x0
	s_or_b32 exec_lo, exec_lo, s0
	scratch_load_b64 v[100:101], off, off offset:360
	s_mov_b32 s0, exec_lo
	s_wait_loadcnt 0x0
	ds_store_b64 v1, v[100:101]
	s_wait_storecnt_dscnt 0x0
	s_barrier_signal -1
	s_barrier_wait -1
	s_wait_xcnt 0x0
	v_cmpx_gt_u32_e32 45, v0
	s_cbranch_execz .LBB47_920
; %bb.911:
	v_cmp_ne_u32_e32 vcc_lo, 1, v102
	s_cbranch_vccnz .LBB47_913
; %bb.912:
	scratch_load_b64 v[100:101], v39, off
	ds_load_b64 v[104:105], v1
	s_wait_loadcnt_dscnt 0x0
	v_pk_mul_f32 v[106:107], v[104:105], v[100:101] op_sel:[1,1] op_sel_hi:[0,1]
	s_delay_alu instid0(VALU_DEP_1) | instskip(SKIP_1) | instid1(VALU_DEP_2)
	v_pk_fma_f32 v[108:109], v[104:105], v[100:101], v[106:107] op_sel_hi:[1,0,1]
	v_pk_fma_f32 v[100:101], v[104:105], v[100:101], v[106:107] neg_lo:[0,0,1] neg_hi:[0,0,1]
	v_mov_b32_e32 v101, v109
	s_cbranch_execz .LBB47_914
	s_branch .LBB47_915
.LBB47_913:
                                        ; implicit-def: $vgpr100_vgpr101
.LBB47_914:
	ds_load_b64 v[100:101], v1
.LBB47_915:
	s_mov_b32 s2, exec_lo
	v_cmpx_ne_u32_e32 44, v0
	s_cbranch_execz .LBB47_919
; %bb.916:
	v_add_nc_u32_e32 v103, 0x188, v38
	v_add3_u32 v104, 0, v38, 8
	v_mov_b32_e32 v105, v0
	s_mov_b32 s3, 0
.LBB47_917:                             ; =>This Inner Loop Header: Depth=1
	scratch_load_b64 v[106:107], v104, off
	ds_load_b64 v[108:109], v103
	s_wait_xcnt 0x0
	v_dual_add_nc_u32 v103, 8, v103 :: v_dual_add_nc_u32 v104, 8, v104
	s_wait_loadcnt_dscnt 0x0
	v_pk_mul_f32 v[110:111], v[108:109], v[106:107] op_sel:[1,1] op_sel_hi:[0,1]
	s_delay_alu instid0(VALU_DEP_1) | instskip(SKIP_2) | instid1(VALU_DEP_3)
	v_pk_fma_f32 v[112:113], v[108:109], v[106:107], v[110:111] op_sel_hi:[1,0,1]
	v_add_nc_u32_e32 v105, 1, v105
	v_pk_fma_f32 v[106:107], v[108:109], v[106:107], v[110:111] neg_lo:[0,0,1] neg_hi:[0,0,1]
	v_mov_b32_e32 v107, v113
	s_delay_alu instid0(VALU_DEP_3) | instskip(NEXT) | instid1(VALU_DEP_2)
	v_cmp_lt_u32_e32 vcc_lo, 43, v105
	v_pk_add_f32 v[100:101], v[100:101], v[106:107]
	s_or_b32 s3, vcc_lo, s3
	s_delay_alu instid0(SALU_CYCLE_1)
	s_and_not1_b32 exec_lo, exec_lo, s3
	s_cbranch_execnz .LBB47_917
; %bb.918:
	s_or_b32 exec_lo, exec_lo, s3
.LBB47_919:
	s_delay_alu instid0(SALU_CYCLE_1) | instskip(SKIP_4) | instid1(VALU_DEP_1)
	s_or_b32 exec_lo, exec_lo, s2
	v_mov_b32_e32 v103, 0
	ds_load_b64 v[104:105], v103 offset:360
	s_wait_dscnt 0x0
	v_pk_mul_f32 v[106:107], v[100:101], v[104:105] op_sel:[1,1] op_sel_hi:[0,1]
	v_pk_fma_f32 v[108:109], v[100:101], v[104:105], v[106:107] op_sel_hi:[1,0,1]
	v_pk_fma_f32 v[100:101], v[100:101], v[104:105], v[106:107] neg_lo:[0,0,1] neg_hi:[0,0,1]
	s_delay_alu instid0(VALU_DEP_2)
	v_mov_b32_e32 v101, v109
	scratch_store_b64 off, v[100:101], off offset:360
.LBB47_920:
	s_wait_xcnt 0x0
	s_or_b32 exec_lo, exec_lo, s0
	scratch_load_b64 v[100:101], off, off offset:368
	v_cmp_gt_u32_e64 s0, 46, v0
	s_wait_loadcnt 0x0
	ds_store_b64 v1, v[100:101]
	s_wait_storecnt_dscnt 0x0
	s_barrier_signal -1
	s_barrier_wait -1
	s_wait_xcnt 0x0
	s_and_saveexec_b32 s2, s0
	s_cbranch_execz .LBB47_930
; %bb.921:
	v_cmp_ne_u32_e32 vcc_lo, 1, v102
	s_cbranch_vccnz .LBB47_923
; %bb.922:
	scratch_load_b64 v[100:101], v39, off
	ds_load_b64 v[104:105], v1
	s_wait_loadcnt_dscnt 0x0
	v_pk_mul_f32 v[106:107], v[104:105], v[100:101] op_sel:[1,1] op_sel_hi:[0,1]
	s_delay_alu instid0(VALU_DEP_1) | instskip(SKIP_1) | instid1(VALU_DEP_2)
	v_pk_fma_f32 v[108:109], v[104:105], v[100:101], v[106:107] op_sel_hi:[1,0,1]
	v_pk_fma_f32 v[100:101], v[104:105], v[100:101], v[106:107] neg_lo:[0,0,1] neg_hi:[0,0,1]
	v_mov_b32_e32 v101, v109
	s_cbranch_execz .LBB47_924
	s_branch .LBB47_925
.LBB47_923:
                                        ; implicit-def: $vgpr100_vgpr101
.LBB47_924:
	ds_load_b64 v[100:101], v1
.LBB47_925:
	s_mov_b32 s3, exec_lo
	v_cmpx_ne_u32_e32 45, v0
	s_cbranch_execz .LBB47_929
; %bb.926:
	v_add_nc_u32_e32 v103, 0x188, v38
	v_add3_u32 v104, 0, v38, 8
	v_mov_b32_e32 v105, v0
	s_mov_b32 s4, 0
.LBB47_927:                             ; =>This Inner Loop Header: Depth=1
	scratch_load_b64 v[106:107], v104, off
	ds_load_b64 v[108:109], v103
	s_wait_xcnt 0x0
	v_dual_add_nc_u32 v103, 8, v103 :: v_dual_add_nc_u32 v104, 8, v104
	s_wait_loadcnt_dscnt 0x0
	v_pk_mul_f32 v[110:111], v[108:109], v[106:107] op_sel:[1,1] op_sel_hi:[0,1]
	s_delay_alu instid0(VALU_DEP_1) | instskip(SKIP_2) | instid1(VALU_DEP_3)
	v_pk_fma_f32 v[112:113], v[108:109], v[106:107], v[110:111] op_sel_hi:[1,0,1]
	v_add_nc_u32_e32 v105, 1, v105
	v_pk_fma_f32 v[106:107], v[108:109], v[106:107], v[110:111] neg_lo:[0,0,1] neg_hi:[0,0,1]
	v_mov_b32_e32 v107, v113
	s_delay_alu instid0(VALU_DEP_3) | instskip(NEXT) | instid1(VALU_DEP_2)
	v_cmp_lt_u32_e32 vcc_lo, 44, v105
	v_pk_add_f32 v[100:101], v[100:101], v[106:107]
	s_or_b32 s4, vcc_lo, s4
	s_delay_alu instid0(SALU_CYCLE_1)
	s_and_not1_b32 exec_lo, exec_lo, s4
	s_cbranch_execnz .LBB47_927
; %bb.928:
	s_or_b32 exec_lo, exec_lo, s4
.LBB47_929:
	s_delay_alu instid0(SALU_CYCLE_1) | instskip(SKIP_4) | instid1(VALU_DEP_1)
	s_or_b32 exec_lo, exec_lo, s3
	v_mov_b32_e32 v103, 0
	ds_load_b64 v[104:105], v103 offset:368
	s_wait_dscnt 0x0
	v_pk_mul_f32 v[106:107], v[100:101], v[104:105] op_sel:[1,1] op_sel_hi:[0,1]
	v_pk_fma_f32 v[108:109], v[100:101], v[104:105], v[106:107] op_sel_hi:[1,0,1]
	v_pk_fma_f32 v[100:101], v[100:101], v[104:105], v[106:107] neg_lo:[0,0,1] neg_hi:[0,0,1]
	s_delay_alu instid0(VALU_DEP_2)
	v_mov_b32_e32 v101, v109
	scratch_store_b64 off, v[100:101], off offset:368
.LBB47_930:
	s_wait_xcnt 0x0
	s_or_b32 exec_lo, exec_lo, s2
	scratch_load_b64 v[100:101], off, off offset:376
	s_mov_b32 s2, exec_lo
                                        ; implicit-def: $vgpr132
                                        ; implicit-def: $sgpr4
	s_wait_loadcnt 0x0
	ds_store_b64 v1, v[100:101]
	s_wait_storecnt_dscnt 0x0
	s_barrier_signal -1
	s_barrier_wait -1
	s_wait_xcnt 0x0
	v_cmpx_ne_u32_e32 47, v0
	s_cbranch_execz .LBB47_940
; %bb.931:
	v_cmp_ne_u32_e32 vcc_lo, 1, v102
	s_cbranch_vccnz .LBB47_933
; %bb.932:
	scratch_load_b64 v[102:103], v39, off
	ds_load_b64 v[104:105], v1
	s_wait_loadcnt_dscnt 0x0
	v_dual_mul_f32 v39, v105, v103 :: v_dual_mul_f32 v101, v104, v103
	s_delay_alu instid0(VALU_DEP_1)
	v_dual_fma_f32 v100, v104, v102, -v39 :: v_dual_fmac_f32 v101, v105, v102
	s_cbranch_execz .LBB47_934
	s_branch .LBB47_935
.LBB47_933:
                                        ; implicit-def: $vgpr101
.LBB47_934:
	ds_load_b64 v[100:101], v1
.LBB47_935:
	s_and_saveexec_b32 s3, s0
	s_cbranch_execz .LBB47_939
; %bb.936:
	v_add_nc_u32_e32 v1, 0x188, v38
	v_add3_u32 v38, 0, v38, 8
	s_mov_b32 s0, 0
.LBB47_937:                             ; =>This Inner Loop Header: Depth=1
	scratch_load_b64 v[102:103], v38, off
	ds_load_b64 v[104:105], v1
	s_wait_loadcnt_dscnt 0x0
	v_dual_add_nc_u32 v1, 8, v1 :: v_dual_mul_f32 v39, v105, v103
	v_dual_mul_f32 v103, v104, v103 :: v_dual_add_nc_u32 v0, 1, v0
	s_delay_alu instid0(VALU_DEP_2) | instskip(NEXT) | instid1(VALU_DEP_2)
	v_fma_f32 v39, v104, v102, -v39
	v_fmac_f32_e32 v103, v105, v102
	s_delay_alu instid0(VALU_DEP_3) | instskip(NEXT) | instid1(VALU_DEP_3)
	v_cmp_lt_u32_e32 vcc_lo, 45, v0
	v_dual_add_nc_u32 v38, 8, v38 :: v_dual_add_f32 v100, v100, v39
	s_delay_alu instid0(VALU_DEP_3) | instskip(SKIP_1) | instid1(SALU_CYCLE_1)
	v_add_f32_e32 v101, v101, v103
	s_or_b32 s0, vcc_lo, s0
	s_and_not1_b32 exec_lo, exec_lo, s0
	s_cbranch_execnz .LBB47_937
; %bb.938:
	s_or_b32 exec_lo, exec_lo, s0
.LBB47_939:
	s_delay_alu instid0(SALU_CYCLE_1)
	s_or_b32 exec_lo, exec_lo, s3
	v_mov_b32_e32 v0, 0
	s_movk_i32 s4, 0x17c
	s_or_b32 s1, s1, exec_lo
	ds_load_b64 v[0:1], v0 offset:376
	s_wait_dscnt 0x0
	v_dual_mul_f32 v38, v101, v1 :: v_dual_mul_f32 v132, v100, v1
	s_delay_alu instid0(VALU_DEP_1)
	v_dual_fma_f32 v1, v100, v0, -v38 :: v_dual_fmac_f32 v132, v101, v0
	scratch_store_b32 off, v1, off offset:376
.LBB47_940:
	s_wait_xcnt 0x0
	s_or_b32 exec_lo, exec_lo, s2
.LBB47_941:
	v_lshl_add_u64 v[128:129], v[6:7], 3, s[6:7]
	v_lshl_add_u64 v[130:131], v[8:9], 3, s[6:7]
	;; [unrolled: 1-line block ×46, first 2 shown]
	s_and_saveexec_b32 s0, s1
	s_cbranch_execz .LBB47_943
; %bb.942:
	scratch_store_b32 off, v132, s4
.LBB47_943:
	s_wait_xcnt 0x0
	s_or_b32 exec_lo, exec_lo, s0
	s_clause 0x6
	scratch_load_b128 v[64:67], off, off
	scratch_load_b128 v[68:71], off, off offset:16
	scratch_load_b128 v[72:75], off, off offset:32
	;; [unrolled: 1-line block ×6, first 2 shown]
	s_wait_loadcnt 0x6
	s_clause 0x1
	global_store_b64 v[2:3], v[64:65], off
	global_store_b64 v[4:5], v[66:67], off
	s_clause 0x1
	scratch_load_b128 v[2:5], off, off offset:112
	scratch_load_b128 v[64:67], off, off offset:128
	s_wait_loadcnt 0x7
	s_clause 0x1
	global_store_b64 v[128:129], v[68:69], off
	global_store_b64 v[130:131], v[70:71], off
	s_clause 0x1
	scratch_load_b128 v[68:71], off, off offset:144
	scratch_load_b128 v[92:95], off, off offset:160
	;; [unrolled: 7-line block ×8, first 2 shown]
	s_wait_loadcnt 0xe
	s_clause 0x1
	global_store_b64 v[100:101], v[64:65], off
	global_store_b64 v[102:103], v[66:67], off
	scratch_load_b128 v[64:67], off, off offset:368
	s_wait_loadcnt 0xe
	s_clause 0x1
	global_store_b64 v[8:9], v[68:69], off
	global_store_b64 v[10:11], v[70:71], off
	s_wait_loadcnt 0xd
	s_clause 0x1
	global_store_b64 v[12:13], v[92:93], off
	global_store_b64 v[14:15], v[94:95], off
	;; [unrolled: 4-line block ×15, first 2 shown]
.LBB47_944:
	s_sendmsg sendmsg(MSG_DEALLOC_VGPRS)
	s_endpgm
	.section	.rodata,"a",@progbits
	.p2align	6, 0x0
	.amdhsa_kernel _ZN9rocsolver6v33100L18trti2_kernel_smallILi48E19rocblas_complex_numIfEPS3_EEv13rocblas_fill_17rocblas_diagonal_T1_iil
		.amdhsa_group_segment_fixed_size 768
		.amdhsa_private_segment_fixed_size 400
		.amdhsa_kernarg_size 32
		.amdhsa_user_sgpr_count 2
		.amdhsa_user_sgpr_dispatch_ptr 0
		.amdhsa_user_sgpr_queue_ptr 0
		.amdhsa_user_sgpr_kernarg_segment_ptr 1
		.amdhsa_user_sgpr_dispatch_id 0
		.amdhsa_user_sgpr_kernarg_preload_length 0
		.amdhsa_user_sgpr_kernarg_preload_offset 0
		.amdhsa_user_sgpr_private_segment_size 0
		.amdhsa_wavefront_size32 1
		.amdhsa_uses_dynamic_stack 0
		.amdhsa_enable_private_segment 1
		.amdhsa_system_sgpr_workgroup_id_x 1
		.amdhsa_system_sgpr_workgroup_id_y 0
		.amdhsa_system_sgpr_workgroup_id_z 0
		.amdhsa_system_sgpr_workgroup_info 0
		.amdhsa_system_vgpr_workitem_id 0
		.amdhsa_next_free_vgpr 144
		.amdhsa_next_free_sgpr 31
		.amdhsa_named_barrier_count 0
		.amdhsa_reserve_vcc 1
		.amdhsa_float_round_mode_32 0
		.amdhsa_float_round_mode_16_64 0
		.amdhsa_float_denorm_mode_32 3
		.amdhsa_float_denorm_mode_16_64 3
		.amdhsa_fp16_overflow 0
		.amdhsa_memory_ordered 1
		.amdhsa_forward_progress 1
		.amdhsa_inst_pref_size 255
		.amdhsa_round_robin_scheduling 0
		.amdhsa_exception_fp_ieee_invalid_op 0
		.amdhsa_exception_fp_denorm_src 0
		.amdhsa_exception_fp_ieee_div_zero 0
		.amdhsa_exception_fp_ieee_overflow 0
		.amdhsa_exception_fp_ieee_underflow 0
		.amdhsa_exception_fp_ieee_inexact 0
		.amdhsa_exception_int_div_zero 0
	.end_amdhsa_kernel
	.section	.text._ZN9rocsolver6v33100L18trti2_kernel_smallILi48E19rocblas_complex_numIfEPS3_EEv13rocblas_fill_17rocblas_diagonal_T1_iil,"axG",@progbits,_ZN9rocsolver6v33100L18trti2_kernel_smallILi48E19rocblas_complex_numIfEPS3_EEv13rocblas_fill_17rocblas_diagonal_T1_iil,comdat
.Lfunc_end47:
	.size	_ZN9rocsolver6v33100L18trti2_kernel_smallILi48E19rocblas_complex_numIfEPS3_EEv13rocblas_fill_17rocblas_diagonal_T1_iil, .Lfunc_end47-_ZN9rocsolver6v33100L18trti2_kernel_smallILi48E19rocblas_complex_numIfEPS3_EEv13rocblas_fill_17rocblas_diagonal_T1_iil
                                        ; -- End function
	.set _ZN9rocsolver6v33100L18trti2_kernel_smallILi48E19rocblas_complex_numIfEPS3_EEv13rocblas_fill_17rocblas_diagonal_T1_iil.num_vgpr, 144
	.set _ZN9rocsolver6v33100L18trti2_kernel_smallILi48E19rocblas_complex_numIfEPS3_EEv13rocblas_fill_17rocblas_diagonal_T1_iil.num_agpr, 0
	.set _ZN9rocsolver6v33100L18trti2_kernel_smallILi48E19rocblas_complex_numIfEPS3_EEv13rocblas_fill_17rocblas_diagonal_T1_iil.numbered_sgpr, 31
	.set _ZN9rocsolver6v33100L18trti2_kernel_smallILi48E19rocblas_complex_numIfEPS3_EEv13rocblas_fill_17rocblas_diagonal_T1_iil.num_named_barrier, 0
	.set _ZN9rocsolver6v33100L18trti2_kernel_smallILi48E19rocblas_complex_numIfEPS3_EEv13rocblas_fill_17rocblas_diagonal_T1_iil.private_seg_size, 400
	.set _ZN9rocsolver6v33100L18trti2_kernel_smallILi48E19rocblas_complex_numIfEPS3_EEv13rocblas_fill_17rocblas_diagonal_T1_iil.uses_vcc, 1
	.set _ZN9rocsolver6v33100L18trti2_kernel_smallILi48E19rocblas_complex_numIfEPS3_EEv13rocblas_fill_17rocblas_diagonal_T1_iil.uses_flat_scratch, 1
	.set _ZN9rocsolver6v33100L18trti2_kernel_smallILi48E19rocblas_complex_numIfEPS3_EEv13rocblas_fill_17rocblas_diagonal_T1_iil.has_dyn_sized_stack, 0
	.set _ZN9rocsolver6v33100L18trti2_kernel_smallILi48E19rocblas_complex_numIfEPS3_EEv13rocblas_fill_17rocblas_diagonal_T1_iil.has_recursion, 0
	.set _ZN9rocsolver6v33100L18trti2_kernel_smallILi48E19rocblas_complex_numIfEPS3_EEv13rocblas_fill_17rocblas_diagonal_T1_iil.has_indirect_call, 0
	.section	.AMDGPU.csdata,"",@progbits
; Kernel info:
; codeLenInByte = 36368
; TotalNumSgprs: 33
; NumVgprs: 144
; ScratchSize: 400
; MemoryBound: 0
; FloatMode: 240
; IeeeMode: 1
; LDSByteSize: 768 bytes/workgroup (compile time only)
; SGPRBlocks: 0
; VGPRBlocks: 8
; NumSGPRsForWavesPerEU: 33
; NumVGPRsForWavesPerEU: 144
; NamedBarCnt: 0
; Occupancy: 7
; WaveLimiterHint : 0
; COMPUTE_PGM_RSRC2:SCRATCH_EN: 1
; COMPUTE_PGM_RSRC2:USER_SGPR: 2
; COMPUTE_PGM_RSRC2:TRAP_HANDLER: 0
; COMPUTE_PGM_RSRC2:TGID_X_EN: 1
; COMPUTE_PGM_RSRC2:TGID_Y_EN: 0
; COMPUTE_PGM_RSRC2:TGID_Z_EN: 0
; COMPUTE_PGM_RSRC2:TIDIG_COMP_CNT: 0
	.section	.text._ZN9rocsolver6v33100L18trti2_kernel_smallILi49E19rocblas_complex_numIfEPS3_EEv13rocblas_fill_17rocblas_diagonal_T1_iil,"axG",@progbits,_ZN9rocsolver6v33100L18trti2_kernel_smallILi49E19rocblas_complex_numIfEPS3_EEv13rocblas_fill_17rocblas_diagonal_T1_iil,comdat
	.globl	_ZN9rocsolver6v33100L18trti2_kernel_smallILi49E19rocblas_complex_numIfEPS3_EEv13rocblas_fill_17rocblas_diagonal_T1_iil ; -- Begin function _ZN9rocsolver6v33100L18trti2_kernel_smallILi49E19rocblas_complex_numIfEPS3_EEv13rocblas_fill_17rocblas_diagonal_T1_iil
	.p2align	8
	.type	_ZN9rocsolver6v33100L18trti2_kernel_smallILi49E19rocblas_complex_numIfEPS3_EEv13rocblas_fill_17rocblas_diagonal_T1_iil,@function
_ZN9rocsolver6v33100L18trti2_kernel_smallILi49E19rocblas_complex_numIfEPS3_EEv13rocblas_fill_17rocblas_diagonal_T1_iil: ; @_ZN9rocsolver6v33100L18trti2_kernel_smallILi49E19rocblas_complex_numIfEPS3_EEv13rocblas_fill_17rocblas_diagonal_T1_iil
; %bb.0:
	s_mov_b32 s2, exec_lo
	v_cmpx_gt_u32_e32 49, v0
	s_cbranch_execz .LBB48_964
; %bb.1:
	s_load_b256 s[4:11], s[0:1], 0x0
	s_wait_xcnt 0x0
	s_bfe_u32 s0, ttmp6, 0x4000c
	s_and_b32 s1, ttmp6, 15
	s_add_co_i32 s0, s0, 1
	s_getreg_b32 s2, hwreg(HW_REG_IB_STS2, 6, 4)
	s_mul_i32 s0, ttmp9, s0
	v_lshlrev_b32_e32 v42, 3, v0
	s_add_co_i32 s0, s1, s0
	v_mov_b32_e32 v43, 0
	s_wait_kmcnt 0x0
	v_add3_u32 v6, s9, s9, v0
	s_ashr_i32 s1, s8, 31
	s_cmp_eq_u32 s2, 0
	s_cselect_b32 s2, ttmp9, s0
	s_delay_alu instid0(VALU_DEP_1)
	v_add_nc_u32_e32 v8, s9, v6
	s_ashr_i32 s3, s2, 31
	s_mov_b32 s0, s8
	s_mul_u64 s[2:3], s[10:11], s[2:3]
	s_lshl_b64 s[0:1], s[0:1], 3
	v_add_nc_u32_e32 v10, s9, v8
	s_lshl_b64 s[2:3], s[2:3], 3
	s_delay_alu instid0(SALU_CYCLE_1) | instskip(NEXT) | instid1(VALU_DEP_1)
	s_add_nc_u64 s[2:3], s[6:7], s[2:3]
	v_add_nc_u32_e32 v12, s9, v10
	s_add_nc_u64 s[6:7], s[2:3], s[0:1]
	s_mov_b32 s0, s9
	s_ashr_i32 s1, s9, 31
	s_cmp_lg_u32 s5, 0x84
	v_add_nc_u32_e32 v14, s9, v12
	s_cselect_b32 s3, -1, 0
	v_add_nc_u64_e32 v[4:5], s[6:7], v[42:43]
	s_and_b32 vcc_lo, exec_lo, s3
	s_delay_alu instid0(VALU_DEP_2) | instskip(NEXT) | instid1(VALU_DEP_2)
	v_add_nc_u32_e32 v16, s9, v14
	v_lshl_add_u64 v[2:3], s[0:1], 3, v[4:5]
	s_delay_alu instid0(VALU_DEP_2)
	v_add_nc_u32_e32 v18, s9, v16
	s_mov_b32 s0, -1
	s_clause 0x7
	global_load_b64 v[76:77], v10, s[6:7] scale_offset
	global_load_b64 v[78:79], v12, s[6:7] scale_offset
	;; [unrolled: 1-line block ×3, first 2 shown]
	global_load_b64 v[82:83], v[2:3], off
	global_load_b64 v[84:85], v6, s[6:7] scale_offset
	global_load_b64 v[86:87], v8, s[6:7] scale_offset
	;; [unrolled: 1-line block ×4, first 2 shown]
	v_add_nc_u32_e32 v20, s9, v18
	s_delay_alu instid0(VALU_DEP_1) | instskip(NEXT) | instid1(VALU_DEP_1)
	v_add_nc_u32_e32 v22, s9, v20
	v_add_nc_u32_e32 v24, s9, v22
	s_delay_alu instid0(VALU_DEP_1) | instskip(NEXT) | instid1(VALU_DEP_1)
	v_add_nc_u32_e32 v26, s9, v24
	v_add_nc_u32_e32 v28, s9, v26
	s_delay_alu instid0(VALU_DEP_1)
	v_add_nc_u32_e32 v30, s9, v28
	s_clause 0x3
	global_load_b64 v[92:93], v18, s[6:7] scale_offset
	global_load_b64 v[94:95], v20, s[6:7] scale_offset
	;; [unrolled: 1-line block ×4, first 2 shown]
	v_add_nc_u32_e32 v32, s9, v30
	s_delay_alu instid0(VALU_DEP_1) | instskip(NEXT) | instid1(VALU_DEP_1)
	v_add_nc_u32_e32 v34, s9, v32
	v_add_nc_u32_e32 v36, s9, v34
	s_delay_alu instid0(VALU_DEP_1)
	v_add_nc_u32_e32 v38, s9, v36
	s_clause 0x3
	global_load_b64 v[100:101], v26, s[6:7] scale_offset
	global_load_b64 v[102:103], v28, s[6:7] scale_offset
	;; [unrolled: 1-line block ×4, first 2 shown]
	v_add_nc_u32_e32 v40, s9, v38
	s_delay_alu instid0(VALU_DEP_1)
	v_add_nc_u32_e32 v44, s9, v40
	s_clause 0x3
	global_load_b64 v[108:109], v34, s[6:7] scale_offset
	global_load_b64 v[110:111], v36, s[6:7] scale_offset
	;; [unrolled: 1-line block ×4, first 2 shown]
	v_add_nc_u32_e32 v46, s9, v44
	s_delay_alu instid0(VALU_DEP_1) | instskip(NEXT) | instid1(VALU_DEP_1)
	v_add_nc_u32_e32 v48, s9, v46
	v_add_nc_u32_e32 v50, s9, v48
	s_delay_alu instid0(VALU_DEP_1) | instskip(SKIP_4) | instid1(VALU_DEP_1)
	v_add_nc_u32_e32 v52, s9, v50
	s_clause 0x1
	global_load_b64 v[116:117], v44, s[6:7] scale_offset
	global_load_b64 v[118:119], v46, s[6:7] scale_offset
	v_add_nc_u32_e32 v54, s9, v52
	v_add_nc_u32_e32 v56, s9, v54
	s_clause 0x1
	global_load_b64 v[120:121], v48, s[6:7] scale_offset
	global_load_b64 v[122:123], v50, s[6:7] scale_offset
	s_wait_loadcnt 0x16
	scratch_store_b128 off, v[76:79], off offset:32
	s_wait_loadcnt 0x14
	scratch_store_b128 off, v[80:83], off
	v_add_nc_u32_e32 v58, s9, v56
	s_delay_alu instid0(VALU_DEP_1) | instskip(NEXT) | instid1(VALU_DEP_1)
	v_add_nc_u32_e32 v60, s9, v58
	v_add_nc_u32_e32 v62, s9, v60
	s_delay_alu instid0(VALU_DEP_1)
	v_add_nc_u32_e32 v64, s9, v62
	s_clause 0x3
	global_load_b64 v[124:125], v52, s[6:7] scale_offset
	global_load_b64 v[126:127], v54, s[6:7] scale_offset
	;; [unrolled: 1-line block ×4, first 2 shown]
	s_wait_loadcnt 0x16
	scratch_store_b128 off, v[84:87], off offset:16
	s_wait_loadcnt 0x14
	scratch_store_b128 off, v[88:91], off offset:48
	s_wait_loadcnt 0x12
	scratch_store_b128 off, v[92:95], off offset:64
	v_add_nc_u32_e32 v66, s9, v64
	s_delay_alu instid0(VALU_DEP_1)
	v_add_nc_u32_e32 v68, s9, v66
	s_clause 0x3
	global_load_b64 v[132:133], v60, s[6:7] scale_offset
	global_load_b64 v[134:135], v62, s[6:7] scale_offset
	;; [unrolled: 1-line block ×4, first 2 shown]
	s_wait_loadcnt 0x14
	scratch_store_b128 off, v[96:99], off offset:80
	s_wait_loadcnt 0x12
	scratch_store_b128 off, v[100:103], off offset:96
	v_add_nc_u32_e32 v70, s9, v68
	s_delay_alu instid0(VALU_DEP_1) | instskip(NEXT) | instid1(VALU_DEP_1)
	v_add_nc_u32_e32 v72, s9, v70
	v_add_nc_u32_e32 v74, s9, v72
	s_wait_xcnt 0xe
	s_delay_alu instid0(VALU_DEP_1) | instskip(NEXT) | instid1(VALU_DEP_1)
	v_add_nc_u32_e32 v76, s9, v74
	v_add_nc_u32_e32 v78, s9, v76
	s_wait_xcnt 0xd
	s_delay_alu instid0(VALU_DEP_1)
	v_add_nc_u32_e32 v80, s9, v78
	s_clause 0x3
	global_load_b64 v[100:101], v68, s[6:7] scale_offset
	global_load_b64 v[102:103], v70, s[6:7] scale_offset
	;; [unrolled: 1-line block ×4, first 2 shown]
	s_wait_loadcnt 0x14
	scratch_store_b128 off, v[104:107], off offset:112
	s_clause 0x1
	global_load_b64 v[104:105], v76, s[6:7] scale_offset
	global_load_b64 v[106:107], v78, s[6:7] scale_offset
	s_wait_loadcnt 0x14
	scratch_store_b128 off, v[108:111], off offset:128
	s_wait_loadcnt 0x12
	scratch_store_b128 off, v[112:115], off offset:144
	v_add_nc_u32_e32 v82, s9, v80
	s_wait_loadcnt 0x10
	scratch_store_b128 off, v[116:119], off offset:160
	v_add_nc_u32_e32 v84, s9, v82
	s_delay_alu instid0(VALU_DEP_1) | instskip(SKIP_3) | instid1(VALU_DEP_1)
	v_add_nc_u32_e32 v86, s9, v84
	s_wait_loadcnt 0xe
	scratch_store_b128 off, v[120:123], off offset:176
	v_add_nc_u32_e32 v88, s9, v86
	v_add_nc_u32_e32 v90, s9, v88
	s_delay_alu instid0(VALU_DEP_1) | instskip(NEXT) | instid1(VALU_DEP_1)
	v_add_nc_u32_e32 v92, s9, v90
	v_add_nc_u32_e32 v94, s9, v92
	s_delay_alu instid0(VALU_DEP_1) | instskip(NEXT) | instid1(VALU_DEP_1)
	v_add_nc_u32_e32 v96, s9, v94
	v_add_nc_u32_e32 v98, s9, v96
	s_wait_loadcnt 0xc
	scratch_store_b128 off, v[124:127], off offset:192
	s_wait_loadcnt 0xa
	scratch_store_b128 off, v[128:131], off offset:208
	s_clause 0x1
	global_load_b64 v[108:109], v80, s[6:7] scale_offset
	global_load_b64 v[110:111], v82, s[6:7] scale_offset
	s_wait_loadcnt 0xa
	scratch_store_b128 off, v[132:135], off offset:224
	s_wait_loadcnt 0x8
	scratch_store_b128 off, v[136:139], off offset:240
	s_clause 0x3
	global_load_b64 v[112:113], v84, s[6:7] scale_offset
	global_load_b64 v[114:115], v86, s[6:7] scale_offset
	;; [unrolled: 1-line block ×4, first 2 shown]
	s_wait_loadcnt 0xa
	scratch_store_b128 off, v[100:103], off offset:256
	s_wait_xcnt 0x0
	v_add_nc_u32_e32 v100, s9, v98
	s_wait_loadcnt 0x8
	scratch_store_b128 off, v[140:143], off offset:272
	s_wait_loadcnt 0x6
	scratch_store_b128 off, v[104:107], off offset:288
	s_clause 0x4
	global_load_b64 v[102:103], v92, s[6:7] scale_offset
	global_load_b64 v[104:105], v94, s[6:7] scale_offset
	;; [unrolled: 1-line block ×5, first 2 shown]
	s_wait_loadcnt 0x9
	scratch_store_b128 off, v[108:111], off offset:304
	s_wait_loadcnt 0x7
	scratch_store_b128 off, v[112:115], off offset:320
	;; [unrolled: 2-line block ×5, first 2 shown]
	s_wait_loadcnt 0x0
	scratch_store_b64 off, v[106:107], off offset:384
	s_cbranch_vccz .LBB48_7
; %bb.2:
	scratch_load_b64 v[102:103], v0, off scale_offset
                                        ; implicit-def: $vgpr107
                                        ; implicit-def: $vgpr104
	s_wait_loadcnt 0x0
	v_cmp_ngt_f32_e64 s0, |v102|, |v103|
	s_wait_xcnt 0x0
	s_and_saveexec_b32 s1, s0
	s_delay_alu instid0(SALU_CYCLE_1)
	s_xor_b32 s0, exec_lo, s1
	s_cbranch_execz .LBB48_4
; %bb.3:
	v_div_scale_f32 v1, null, v103, v103, v102
	v_div_scale_f32 v11, vcc_lo, v102, v103, v102
	s_delay_alu instid0(VALU_DEP_2) | instskip(SKIP_1) | instid1(TRANS32_DEP_1)
	v_rcp_f32_e32 v7, v1
	v_nop
	v_fma_f32 v9, -v1, v7, 1.0
	s_delay_alu instid0(VALU_DEP_1) | instskip(NEXT) | instid1(VALU_DEP_1)
	v_fmac_f32_e32 v7, v9, v7
	v_mul_f32_e32 v9, v11, v7
	s_delay_alu instid0(VALU_DEP_1) | instskip(NEXT) | instid1(VALU_DEP_1)
	v_fma_f32 v13, -v1, v9, v11
	v_fmac_f32_e32 v9, v13, v7
	s_delay_alu instid0(VALU_DEP_1) | instskip(NEXT) | instid1(VALU_DEP_1)
	v_fma_f32 v1, -v1, v9, v11
	v_div_fmas_f32 v1, v1, v7, v9
	s_delay_alu instid0(VALU_DEP_1) | instskip(NEXT) | instid1(VALU_DEP_1)
	v_div_fixup_f32 v1, v1, v103, v102
	v_fmac_f32_e32 v103, v102, v1
	s_delay_alu instid0(VALU_DEP_1) | instskip(NEXT) | instid1(VALU_DEP_1)
	v_div_scale_f32 v7, null, v103, v103, -1.0
	v_rcp_f32_e32 v9, v7
	v_nop
	s_delay_alu instid0(TRANS32_DEP_1) | instskip(NEXT) | instid1(VALU_DEP_1)
	v_fma_f32 v11, -v7, v9, 1.0
	v_fmac_f32_e32 v9, v11, v9
	v_div_scale_f32 v11, vcc_lo, -1.0, v103, -1.0
	s_delay_alu instid0(VALU_DEP_1) | instskip(NEXT) | instid1(VALU_DEP_1)
	v_mul_f32_e32 v13, v11, v9
	v_fma_f32 v15, -v7, v13, v11
	s_delay_alu instid0(VALU_DEP_1) | instskip(NEXT) | instid1(VALU_DEP_1)
	v_fmac_f32_e32 v13, v15, v9
	v_fma_f32 v7, -v7, v13, v11
	s_delay_alu instid0(VALU_DEP_1) | instskip(NEXT) | instid1(VALU_DEP_1)
	v_div_fmas_f32 v7, v7, v9, v13
	v_div_fixup_f32 v107, v7, v103, -1.0
                                        ; implicit-def: $vgpr102_vgpr103
	s_delay_alu instid0(VALU_DEP_1) | instskip(NEXT) | instid1(VALU_DEP_1)
	v_mul_f32_e32 v104, v1, v107
	v_xor_b32_e32 v106, 0x80000000, v104
.LBB48_4:
	s_or_saveexec_b32 s0, s0
	v_lshl_add_u32 v1, v0, 3, 0
	s_xor_b32 exec_lo, exec_lo, s0
	s_cbranch_execz .LBB48_6
; %bb.5:
	v_div_scale_f32 v7, null, v102, v102, v103
	v_div_scale_f32 v13, vcc_lo, v103, v102, v103
	s_delay_alu instid0(VALU_DEP_2) | instskip(SKIP_1) | instid1(TRANS32_DEP_1)
	v_rcp_f32_e32 v9, v7
	v_nop
	v_fma_f32 v11, -v7, v9, 1.0
	s_delay_alu instid0(VALU_DEP_1) | instskip(NEXT) | instid1(VALU_DEP_1)
	v_fmac_f32_e32 v9, v11, v9
	v_mul_f32_e32 v11, v13, v9
	s_delay_alu instid0(VALU_DEP_1) | instskip(NEXT) | instid1(VALU_DEP_1)
	v_fma_f32 v15, -v7, v11, v13
	v_fmac_f32_e32 v11, v15, v9
	s_delay_alu instid0(VALU_DEP_1) | instskip(NEXT) | instid1(VALU_DEP_1)
	v_fma_f32 v7, -v7, v11, v13
	v_div_fmas_f32 v7, v7, v9, v11
	s_delay_alu instid0(VALU_DEP_1) | instskip(NEXT) | instid1(VALU_DEP_1)
	v_div_fixup_f32 v7, v7, v102, v103
	v_fmac_f32_e32 v102, v103, v7
	s_delay_alu instid0(VALU_DEP_1) | instskip(SKIP_1) | instid1(VALU_DEP_2)
	v_div_scale_f32 v9, null, v102, v102, 1.0
	v_div_scale_f32 v15, vcc_lo, 1.0, v102, 1.0
	v_rcp_f32_e32 v11, v9
	v_nop
	s_delay_alu instid0(TRANS32_DEP_1) | instskip(NEXT) | instid1(VALU_DEP_1)
	v_fma_f32 v13, -v9, v11, 1.0
	v_fmac_f32_e32 v11, v13, v11
	s_delay_alu instid0(VALU_DEP_1) | instskip(NEXT) | instid1(VALU_DEP_1)
	v_mul_f32_e32 v13, v15, v11
	v_fma_f32 v17, -v9, v13, v15
	s_delay_alu instid0(VALU_DEP_1) | instskip(NEXT) | instid1(VALU_DEP_1)
	v_fmac_f32_e32 v13, v17, v11
	v_fma_f32 v9, -v9, v13, v15
	s_delay_alu instid0(VALU_DEP_1) | instskip(NEXT) | instid1(VALU_DEP_1)
	v_div_fmas_f32 v9, v9, v11, v13
	v_div_fixup_f32 v106, v9, v102, 1.0
	s_delay_alu instid0(VALU_DEP_1)
	v_xor_b32_e32 v104, 0x80000000, v106
	v_mul_f32_e64 v107, v7, -v106
.LBB48_6:
	s_or_b32 exec_lo, exec_lo, s0
	s_delay_alu instid0(VALU_DEP_1)
	v_xor_b32_e32 v105, 0x80000000, v107
	s_mov_b32 s0, 0
	scratch_store_b64 v1, v[106:107], off
	ds_store_b64 v42, v[104:105]
.LBB48_7:
	s_and_b32 vcc_lo, exec_lo, s0
	s_cbranch_vccz .LBB48_9
; %bb.8:
	s_mov_b64 s[0:1], 0xbf800000
	s_wait_xcnt 0x2
	v_mov_b64_e32 v[102:103], s[0:1]
	ds_store_b64 v42, v[102:103]
.LBB48_9:
	v_dual_ashrrev_i32 v7, 31, v6 :: v_dual_ashrrev_i32 v9, 31, v8
	v_dual_ashrrev_i32 v11, 31, v10 :: v_dual_ashrrev_i32 v13, 31, v12
	v_dual_ashrrev_i32 v15, 31, v14 :: v_dual_ashrrev_i32 v17, 31, v16
	v_dual_ashrrev_i32 v19, 31, v18 :: v_dual_ashrrev_i32 v21, 31, v20
	v_dual_ashrrev_i32 v23, 31, v22 :: v_dual_ashrrev_i32 v25, 31, v24
	v_dual_ashrrev_i32 v27, 31, v26 :: v_dual_ashrrev_i32 v29, 31, v28
	v_dual_ashrrev_i32 v31, 31, v30 :: v_dual_ashrrev_i32 v33, 31, v32
	v_dual_ashrrev_i32 v35, 31, v34 :: v_dual_ashrrev_i32 v37, 31, v36
	v_dual_ashrrev_i32 v39, 31, v38 :: v_dual_ashrrev_i32 v41, 31, v40
	v_dual_ashrrev_i32 v45, 31, v44 :: v_dual_ashrrev_i32 v47, 31, v46
	v_dual_ashrrev_i32 v49, 31, v48 :: v_dual_ashrrev_i32 v51, 31, v50
	v_dual_ashrrev_i32 v53, 31, v52 :: v_dual_ashrrev_i32 v55, 31, v54
	v_dual_ashrrev_i32 v57, 31, v56 :: v_dual_ashrrev_i32 v59, 31, v58
	v_dual_ashrrev_i32 v61, 31, v60 :: v_dual_ashrrev_i32 v63, 31, v62
	v_dual_ashrrev_i32 v65, 31, v64 :: v_dual_ashrrev_i32 v67, 31, v66
	v_dual_ashrrev_i32 v69, 31, v68 :: v_dual_ashrrev_i32 v71, 31, v70
	v_dual_ashrrev_i32 v73, 31, v72 :: v_dual_ashrrev_i32 v75, 31, v74
	v_dual_ashrrev_i32 v77, 31, v76 :: v_dual_ashrrev_i32 v79, 31, v78
	v_dual_ashrrev_i32 v81, 31, v80 :: v_dual_ashrrev_i32 v83, 31, v82
	v_dual_ashrrev_i32 v85, 31, v84 :: v_dual_ashrrev_i32 v87, 31, v86
	v_dual_ashrrev_i32 v89, 31, v88 :: v_dual_ashrrev_i32 v91, 31, v90
	v_dual_ashrrev_i32 v93, 31, v92 :: v_dual_ashrrev_i32 v95, 31, v94
	v_dual_ashrrev_i32 v97, 31, v96 :: v_dual_ashrrev_i32 v99, 31, v98
	v_dual_ashrrev_i32 v101, 31, v100 :: v_dual_mov_b32 v43, v42
	s_wait_xcnt 0x0
	v_add_nc_u32_e32 v1, 0x190, v42
	s_cmp_eq_u32 s4, 0x79
	s_cbranch_scc1 .LBB48_13
; %bb.10:
	scratch_load_b64 v[102:103], off, off offset:376
	v_cmp_eq_u32_e64 s0, 48, v0
	s_movk_i32 s1, 0x50
	s_movk_i32 s2, 0x60
	;; [unrolled: 1-line block ×19, first 2 shown]
	s_wait_loadcnt 0x0
	ds_store_b64 v1, v[102:103]
	s_wait_storecnt_dscnt 0x0
	s_barrier_signal -1
	s_barrier_wait -1
	s_wait_xcnt 0x0
	s_and_saveexec_b32 s4, s0
	s_cbranch_execz .LBB48_17
; %bb.11:
	s_and_b32 vcc_lo, exec_lo, s3
	s_cbranch_vccz .LBB48_14
; %bb.12:
	scratch_load_b64 v[102:103], v43, off
	ds_load_b64 v[104:105], v1
	s_wait_loadcnt_dscnt 0x0
	v_pk_mul_f32 v[106:107], v[104:105], v[102:103] op_sel:[1,1] op_sel_hi:[0,1]
	v_pk_mul_f32 v[108:109], v[104:105], v[102:103] op_sel_hi:[1,0]
	s_delay_alu instid0(VALU_DEP_2) | instskip(NEXT) | instid1(VALU_DEP_2)
	v_pk_fma_f32 v[102:103], v[104:105], v[102:103], v[106:107] op_sel_hi:[1,0,1]
	v_sub_f32_e32 v102, v108, v106
	s_cbranch_execz .LBB48_15
	s_branch .LBB48_16
.LBB48_13:
	s_mov_b32 s1, 0
                                        ; implicit-def: $vgpr134
                                        ; implicit-def: $sgpr4
	s_cbranch_execnz .LBB48_486
	s_branch .LBB48_961
.LBB48_14:
                                        ; implicit-def: $vgpr103
.LBB48_15:
	ds_load_b64 v[102:103], v1
.LBB48_16:
	s_wait_dscnt 0x0
	v_dual_mov_b32 v104, 0 :: v_dual_mov_b32 v106, v103
	v_mov_b32_e32 v107, v102
	ds_load_b64 v[104:105], v104 offset:376
	s_wait_dscnt 0x0
	v_pk_mul_f32 v[106:107], v[106:107], v[104:105] op_sel:[0,1]
	s_delay_alu instid0(VALU_DEP_1) | instskip(SKIP_1) | instid1(VALU_DEP_2)
	v_pk_fma_f32 v[108:109], v[102:103], v[104:105], v[106:107] op_sel_hi:[1,0,1]
	v_pk_fma_f32 v[102:103], v[102:103], v[104:105], v[106:107] neg_lo:[0,0,1] neg_hi:[0,0,1]
	v_mov_b32_e32 v103, v109
	scratch_store_b64 off, v[102:103], off offset:376
.LBB48_17:
	s_wait_xcnt 0x0
	s_or_b32 exec_lo, exec_lo, s4
	scratch_load_b64 v[102:103], off, off offset:368
	s_mov_b32 s11, s2
	v_cmp_lt_u32_e64 s2, 46, v0
	s_mov_b32 s4, 16
	s_mov_b32 s5, 32
	;; [unrolled: 1-line block ×5, first 2 shown]
	s_wait_loadcnt 0x0
	ds_store_b64 v1, v[102:103]
	s_wait_storecnt_dscnt 0x0
	s_barrier_signal -1
	s_barrier_wait -1
	s_wait_xcnt 0x0
	s_and_saveexec_b32 s1, s2
	s_cbranch_execz .LBB48_25
; %bb.18:
	s_and_not1_b32 vcc_lo, exec_lo, s3
	s_cbranch_vccnz .LBB48_20
; %bb.19:
	scratch_load_b64 v[102:103], v43, off
	ds_load_b64 v[104:105], v1
	s_wait_loadcnt_dscnt 0x0
	v_pk_mul_f32 v[106:107], v[104:105], v[102:103] op_sel:[1,1] op_sel_hi:[0,1]
	s_delay_alu instid0(VALU_DEP_1) | instskip(SKIP_1) | instid1(VALU_DEP_2)
	v_pk_fma_f32 v[108:109], v[104:105], v[102:103], v[106:107] op_sel_hi:[1,0,1]
	v_pk_fma_f32 v[102:103], v[104:105], v[102:103], v[106:107] neg_lo:[0,0,1] neg_hi:[0,0,1]
	v_mov_b32_e32 v103, v109
	s_cbranch_execz .LBB48_21
	s_branch .LBB48_22
.LBB48_20:
                                        ; implicit-def: $vgpr102_vgpr103
.LBB48_21:
	ds_load_b64 v[102:103], v1
.LBB48_22:
	s_and_saveexec_b32 s29, s0
	s_cbranch_execz .LBB48_24
; %bb.23:
	scratch_load_b64 v[104:105], off, off offset:376
	v_mov_b32_e32 v106, 0
	ds_load_b64 v[106:107], v106 offset:776
	s_wait_loadcnt_dscnt 0x0
	v_pk_mul_f32 v[108:109], v[106:107], v[104:105] op_sel:[1,1] op_sel_hi:[0,1]
	s_delay_alu instid0(VALU_DEP_1) | instskip(SKIP_1) | instid1(VALU_DEP_2)
	v_pk_fma_f32 v[110:111], v[106:107], v[104:105], v[108:109] op_sel_hi:[1,0,1]
	v_pk_fma_f32 v[104:105], v[106:107], v[104:105], v[108:109] neg_lo:[0,0,1] neg_hi:[0,0,1]
	v_mov_b32_e32 v105, v111
	s_delay_alu instid0(VALU_DEP_1)
	v_pk_add_f32 v[102:103], v[102:103], v[104:105]
.LBB48_24:
	s_or_b32 exec_lo, exec_lo, s29
	v_mov_b32_e32 v104, 0
	ds_load_b64 v[104:105], v104 offset:368
	s_wait_dscnt 0x0
	v_pk_mul_f32 v[106:107], v[102:103], v[104:105] op_sel:[1,1] op_sel_hi:[0,1]
	s_delay_alu instid0(VALU_DEP_1) | instskip(SKIP_1) | instid1(VALU_DEP_2)
	v_pk_fma_f32 v[108:109], v[102:103], v[104:105], v[106:107] op_sel_hi:[1,0,1]
	v_pk_fma_f32 v[102:103], v[102:103], v[104:105], v[106:107] neg_lo:[0,0,1] neg_hi:[0,0,1]
	v_mov_b32_e32 v103, v109
	scratch_store_b64 off, v[102:103], off offset:368
.LBB48_25:
	s_wait_xcnt 0x0
	s_or_b32 exec_lo, exec_lo, s1
	scratch_load_b64 v[102:103], off, off offset:360
	v_cmp_lt_u32_e64 s1, 45, v0
	s_wait_loadcnt 0x0
	ds_store_b64 v1, v[102:103]
	s_wait_storecnt_dscnt 0x0
	s_barrier_signal -1
	s_barrier_wait -1
	s_wait_xcnt 0x0
	s_and_saveexec_b32 s0, s1
	s_cbranch_execz .LBB48_35
; %bb.26:
	s_and_not1_b32 vcc_lo, exec_lo, s3
	s_cbranch_vccnz .LBB48_28
; %bb.27:
	scratch_load_b64 v[102:103], v43, off
	ds_load_b64 v[104:105], v1
	s_wait_loadcnt_dscnt 0x0
	v_pk_mul_f32 v[106:107], v[104:105], v[102:103] op_sel:[1,1] op_sel_hi:[0,1]
	s_delay_alu instid0(VALU_DEP_1) | instskip(SKIP_1) | instid1(VALU_DEP_2)
	v_pk_fma_f32 v[108:109], v[104:105], v[102:103], v[106:107] op_sel_hi:[1,0,1]
	v_pk_fma_f32 v[102:103], v[104:105], v[102:103], v[106:107] neg_lo:[0,0,1] neg_hi:[0,0,1]
	v_mov_b32_e32 v103, v109
	s_cbranch_execz .LBB48_29
	s_branch .LBB48_30
.LBB48_28:
                                        ; implicit-def: $vgpr102_vgpr103
.LBB48_29:
	ds_load_b64 v[102:103], v1
.LBB48_30:
	s_and_saveexec_b32 s29, s2
	s_cbranch_execz .LBB48_34
; %bb.31:
	v_subrev_nc_u32_e32 v104, 46, v0
	s_movk_i32 s30, 0x300
	s_mov_b32 s2, 0
.LBB48_32:                              ; =>This Inner Loop Header: Depth=1
	scratch_load_b64 v[106:107], off, s28
	v_dual_mov_b32 v105, s30 :: v_dual_add_nc_u32 v104, -1, v104
	s_add_co_i32 s30, s30, 8
	s_wait_xcnt 0x0
	s_add_co_i32 s28, s28, 8
	ds_load_b64 v[108:109], v105
	v_cmp_eq_u32_e32 vcc_lo, 0, v104
	s_or_b32 s2, vcc_lo, s2
	s_wait_loadcnt_dscnt 0x0
	v_pk_mul_f32 v[110:111], v[108:109], v[106:107] op_sel:[1,1] op_sel_hi:[0,1]
	s_delay_alu instid0(VALU_DEP_1) | instskip(SKIP_1) | instid1(VALU_DEP_2)
	v_pk_fma_f32 v[112:113], v[108:109], v[106:107], v[110:111] op_sel_hi:[1,0,1]
	v_pk_fma_f32 v[106:107], v[108:109], v[106:107], v[110:111] neg_lo:[0,0,1] neg_hi:[0,0,1]
	v_mov_b32_e32 v107, v113
	s_delay_alu instid0(VALU_DEP_1)
	v_pk_add_f32 v[102:103], v[102:103], v[106:107]
	s_and_not1_b32 exec_lo, exec_lo, s2
	s_cbranch_execnz .LBB48_32
; %bb.33:
	s_or_b32 exec_lo, exec_lo, s2
.LBB48_34:
	s_delay_alu instid0(SALU_CYCLE_1) | instskip(SKIP_4) | instid1(VALU_DEP_1)
	s_or_b32 exec_lo, exec_lo, s29
	v_mov_b32_e32 v104, 0
	ds_load_b64 v[104:105], v104 offset:360
	s_wait_dscnt 0x0
	v_pk_mul_f32 v[106:107], v[102:103], v[104:105] op_sel:[1,1] op_sel_hi:[0,1]
	v_pk_fma_f32 v[108:109], v[102:103], v[104:105], v[106:107] op_sel_hi:[1,0,1]
	v_pk_fma_f32 v[102:103], v[102:103], v[104:105], v[106:107] neg_lo:[0,0,1] neg_hi:[0,0,1]
	s_delay_alu instid0(VALU_DEP_2)
	v_mov_b32_e32 v103, v109
	scratch_store_b64 off, v[102:103], off offset:360
.LBB48_35:
	s_wait_xcnt 0x0
	s_or_b32 exec_lo, exec_lo, s0
	scratch_load_b64 v[102:103], off, off offset:352
	v_cmp_lt_u32_e64 s0, 44, v0
	s_wait_loadcnt 0x0
	ds_store_b64 v1, v[102:103]
	s_wait_storecnt_dscnt 0x0
	s_barrier_signal -1
	s_barrier_wait -1
	s_wait_xcnt 0x0
	s_and_saveexec_b32 s2, s0
	s_cbranch_execz .LBB48_45
; %bb.36:
	s_and_not1_b32 vcc_lo, exec_lo, s3
	s_cbranch_vccnz .LBB48_38
; %bb.37:
	scratch_load_b64 v[102:103], v43, off
	ds_load_b64 v[104:105], v1
	s_wait_loadcnt_dscnt 0x0
	v_pk_mul_f32 v[106:107], v[104:105], v[102:103] op_sel:[1,1] op_sel_hi:[0,1]
	s_delay_alu instid0(VALU_DEP_1) | instskip(SKIP_1) | instid1(VALU_DEP_2)
	v_pk_fma_f32 v[108:109], v[104:105], v[102:103], v[106:107] op_sel_hi:[1,0,1]
	v_pk_fma_f32 v[102:103], v[104:105], v[102:103], v[106:107] neg_lo:[0,0,1] neg_hi:[0,0,1]
	v_mov_b32_e32 v103, v109
	s_cbranch_execz .LBB48_39
	s_branch .LBB48_40
.LBB48_38:
                                        ; implicit-def: $vgpr102_vgpr103
.LBB48_39:
	ds_load_b64 v[102:103], v1
.LBB48_40:
	s_and_saveexec_b32 s28, s1
	s_cbranch_execz .LBB48_44
; %bb.41:
	v_subrev_nc_u32_e32 v104, 45, v0
	s_movk_i32 s1, 0x168
	s_movk_i32 s30, 0x2f8
	s_mov_b32 s29, 0
.LBB48_42:                              ; =>This Inner Loop Header: Depth=1
	scratch_load_b64 v[106:107], off, s1
	v_dual_mov_b32 v105, s30 :: v_dual_add_nc_u32 v104, -1, v104
	s_add_co_i32 s30, s30, 8
	s_wait_xcnt 0x0
	s_add_co_i32 s1, s1, 8
	ds_load_b64 v[108:109], v105
	v_cmp_eq_u32_e32 vcc_lo, 0, v104
	s_or_b32 s29, vcc_lo, s29
	s_wait_loadcnt_dscnt 0x0
	v_pk_mul_f32 v[110:111], v[108:109], v[106:107] op_sel:[1,1] op_sel_hi:[0,1]
	s_delay_alu instid0(VALU_DEP_1) | instskip(SKIP_1) | instid1(VALU_DEP_2)
	v_pk_fma_f32 v[112:113], v[108:109], v[106:107], v[110:111] op_sel_hi:[1,0,1]
	v_pk_fma_f32 v[106:107], v[108:109], v[106:107], v[110:111] neg_lo:[0,0,1] neg_hi:[0,0,1]
	v_mov_b32_e32 v107, v113
	s_delay_alu instid0(VALU_DEP_1)
	v_pk_add_f32 v[102:103], v[102:103], v[106:107]
	s_and_not1_b32 exec_lo, exec_lo, s29
	s_cbranch_execnz .LBB48_42
; %bb.43:
	s_or_b32 exec_lo, exec_lo, s29
.LBB48_44:
	s_delay_alu instid0(SALU_CYCLE_1) | instskip(SKIP_4) | instid1(VALU_DEP_1)
	s_or_b32 exec_lo, exec_lo, s28
	v_mov_b32_e32 v104, 0
	ds_load_b64 v[104:105], v104 offset:352
	s_wait_dscnt 0x0
	v_pk_mul_f32 v[106:107], v[102:103], v[104:105] op_sel:[1,1] op_sel_hi:[0,1]
	v_pk_fma_f32 v[108:109], v[102:103], v[104:105], v[106:107] op_sel_hi:[1,0,1]
	v_pk_fma_f32 v[102:103], v[102:103], v[104:105], v[106:107] neg_lo:[0,0,1] neg_hi:[0,0,1]
	s_delay_alu instid0(VALU_DEP_2)
	v_mov_b32_e32 v103, v109
	scratch_store_b64 off, v[102:103], off offset:352
.LBB48_45:
	s_wait_xcnt 0x0
	s_or_b32 exec_lo, exec_lo, s2
	scratch_load_b64 v[102:103], off, off offset:344
	v_cmp_lt_u32_e64 s1, 43, v0
	s_wait_loadcnt 0x0
	ds_store_b64 v1, v[102:103]
	s_wait_storecnt_dscnt 0x0
	s_barrier_signal -1
	s_barrier_wait -1
	s_wait_xcnt 0x0
	s_and_saveexec_b32 s2, s1
	s_cbranch_execz .LBB48_55
; %bb.46:
	s_and_not1_b32 vcc_lo, exec_lo, s3
	s_cbranch_vccnz .LBB48_48
; %bb.47:
	scratch_load_b64 v[102:103], v43, off
	ds_load_b64 v[104:105], v1
	s_wait_loadcnt_dscnt 0x0
	v_pk_mul_f32 v[106:107], v[104:105], v[102:103] op_sel:[1,1] op_sel_hi:[0,1]
	s_delay_alu instid0(VALU_DEP_1) | instskip(SKIP_1) | instid1(VALU_DEP_2)
	v_pk_fma_f32 v[108:109], v[104:105], v[102:103], v[106:107] op_sel_hi:[1,0,1]
	v_pk_fma_f32 v[102:103], v[104:105], v[102:103], v[106:107] neg_lo:[0,0,1] neg_hi:[0,0,1]
	v_mov_b32_e32 v103, v109
	s_cbranch_execz .LBB48_49
	s_branch .LBB48_50
.LBB48_48:
                                        ; implicit-def: $vgpr102_vgpr103
.LBB48_49:
	ds_load_b64 v[102:103], v1
.LBB48_50:
	s_and_saveexec_b32 s28, s0
	s_cbranch_execz .LBB48_54
; %bb.51:
	v_subrev_nc_u32_e32 v104, 44, v0
	s_movk_i32 s29, 0x2f0
	s_mov_b32 s0, 0
.LBB48_52:                              ; =>This Inner Loop Header: Depth=1
	scratch_load_b64 v[106:107], off, s27
	v_dual_mov_b32 v105, s29 :: v_dual_add_nc_u32 v104, -1, v104
	s_add_co_i32 s29, s29, 8
	s_wait_xcnt 0x0
	s_add_co_i32 s27, s27, 8
	ds_load_b64 v[108:109], v105
	v_cmp_eq_u32_e32 vcc_lo, 0, v104
	s_or_b32 s0, vcc_lo, s0
	s_wait_loadcnt_dscnt 0x0
	v_pk_mul_f32 v[110:111], v[108:109], v[106:107] op_sel:[1,1] op_sel_hi:[0,1]
	s_delay_alu instid0(VALU_DEP_1) | instskip(SKIP_1) | instid1(VALU_DEP_2)
	v_pk_fma_f32 v[112:113], v[108:109], v[106:107], v[110:111] op_sel_hi:[1,0,1]
	v_pk_fma_f32 v[106:107], v[108:109], v[106:107], v[110:111] neg_lo:[0,0,1] neg_hi:[0,0,1]
	v_mov_b32_e32 v107, v113
	s_delay_alu instid0(VALU_DEP_1)
	v_pk_add_f32 v[102:103], v[102:103], v[106:107]
	s_and_not1_b32 exec_lo, exec_lo, s0
	s_cbranch_execnz .LBB48_52
; %bb.53:
	s_or_b32 exec_lo, exec_lo, s0
.LBB48_54:
	s_delay_alu instid0(SALU_CYCLE_1) | instskip(SKIP_4) | instid1(VALU_DEP_1)
	s_or_b32 exec_lo, exec_lo, s28
	v_mov_b32_e32 v104, 0
	ds_load_b64 v[104:105], v104 offset:344
	s_wait_dscnt 0x0
	v_pk_mul_f32 v[106:107], v[102:103], v[104:105] op_sel:[1,1] op_sel_hi:[0,1]
	v_pk_fma_f32 v[108:109], v[102:103], v[104:105], v[106:107] op_sel_hi:[1,0,1]
	v_pk_fma_f32 v[102:103], v[102:103], v[104:105], v[106:107] neg_lo:[0,0,1] neg_hi:[0,0,1]
	s_delay_alu instid0(VALU_DEP_2)
	v_mov_b32_e32 v103, v109
	scratch_store_b64 off, v[102:103], off offset:344
.LBB48_55:
	s_wait_xcnt 0x0
	s_or_b32 exec_lo, exec_lo, s2
	scratch_load_b64 v[102:103], off, off offset:336
	v_cmp_lt_u32_e64 s0, 42, v0
	s_wait_loadcnt 0x0
	ds_store_b64 v1, v[102:103]
	s_wait_storecnt_dscnt 0x0
	s_barrier_signal -1
	s_barrier_wait -1
	s_wait_xcnt 0x0
	s_and_saveexec_b32 s2, s0
	s_cbranch_execz .LBB48_65
; %bb.56:
	s_and_not1_b32 vcc_lo, exec_lo, s3
	s_cbranch_vccnz .LBB48_58
; %bb.57:
	scratch_load_b64 v[102:103], v43, off
	ds_load_b64 v[104:105], v1
	s_wait_loadcnt_dscnt 0x0
	v_pk_mul_f32 v[106:107], v[104:105], v[102:103] op_sel:[1,1] op_sel_hi:[0,1]
	s_delay_alu instid0(VALU_DEP_1) | instskip(SKIP_1) | instid1(VALU_DEP_2)
	v_pk_fma_f32 v[108:109], v[104:105], v[102:103], v[106:107] op_sel_hi:[1,0,1]
	v_pk_fma_f32 v[102:103], v[104:105], v[102:103], v[106:107] neg_lo:[0,0,1] neg_hi:[0,0,1]
	v_mov_b32_e32 v103, v109
	s_cbranch_execz .LBB48_59
	s_branch .LBB48_60
.LBB48_58:
                                        ; implicit-def: $vgpr102_vgpr103
.LBB48_59:
	ds_load_b64 v[102:103], v1
.LBB48_60:
	s_and_saveexec_b32 s27, s1
	s_cbranch_execz .LBB48_64
; %bb.61:
	v_subrev_nc_u32_e32 v104, 43, v0
	s_movk_i32 s1, 0x158
	s_movk_i32 s29, 0x2e8
	s_mov_b32 s28, 0
.LBB48_62:                              ; =>This Inner Loop Header: Depth=1
	scratch_load_b64 v[106:107], off, s1
	v_dual_mov_b32 v105, s29 :: v_dual_add_nc_u32 v104, -1, v104
	s_add_co_i32 s29, s29, 8
	s_wait_xcnt 0x0
	s_add_co_i32 s1, s1, 8
	ds_load_b64 v[108:109], v105
	v_cmp_eq_u32_e32 vcc_lo, 0, v104
	s_or_b32 s28, vcc_lo, s28
	s_wait_loadcnt_dscnt 0x0
	v_pk_mul_f32 v[110:111], v[108:109], v[106:107] op_sel:[1,1] op_sel_hi:[0,1]
	s_delay_alu instid0(VALU_DEP_1) | instskip(SKIP_1) | instid1(VALU_DEP_2)
	v_pk_fma_f32 v[112:113], v[108:109], v[106:107], v[110:111] op_sel_hi:[1,0,1]
	v_pk_fma_f32 v[106:107], v[108:109], v[106:107], v[110:111] neg_lo:[0,0,1] neg_hi:[0,0,1]
	v_mov_b32_e32 v107, v113
	s_delay_alu instid0(VALU_DEP_1)
	v_pk_add_f32 v[102:103], v[102:103], v[106:107]
	s_and_not1_b32 exec_lo, exec_lo, s28
	s_cbranch_execnz .LBB48_62
; %bb.63:
	s_or_b32 exec_lo, exec_lo, s28
.LBB48_64:
	s_delay_alu instid0(SALU_CYCLE_1) | instskip(SKIP_4) | instid1(VALU_DEP_1)
	s_or_b32 exec_lo, exec_lo, s27
	v_mov_b32_e32 v104, 0
	ds_load_b64 v[104:105], v104 offset:336
	s_wait_dscnt 0x0
	v_pk_mul_f32 v[106:107], v[102:103], v[104:105] op_sel:[1,1] op_sel_hi:[0,1]
	v_pk_fma_f32 v[108:109], v[102:103], v[104:105], v[106:107] op_sel_hi:[1,0,1]
	v_pk_fma_f32 v[102:103], v[102:103], v[104:105], v[106:107] neg_lo:[0,0,1] neg_hi:[0,0,1]
	s_delay_alu instid0(VALU_DEP_2)
	v_mov_b32_e32 v103, v109
	scratch_store_b64 off, v[102:103], off offset:336
.LBB48_65:
	s_wait_xcnt 0x0
	s_or_b32 exec_lo, exec_lo, s2
	scratch_load_b64 v[102:103], off, off offset:328
	v_cmp_lt_u32_e64 s1, 41, v0
	s_wait_loadcnt 0x0
	ds_store_b64 v1, v[102:103]
	s_wait_storecnt_dscnt 0x0
	s_barrier_signal -1
	s_barrier_wait -1
	s_wait_xcnt 0x0
	s_and_saveexec_b32 s2, s1
	s_cbranch_execz .LBB48_75
; %bb.66:
	s_and_not1_b32 vcc_lo, exec_lo, s3
	s_cbranch_vccnz .LBB48_68
; %bb.67:
	scratch_load_b64 v[102:103], v43, off
	ds_load_b64 v[104:105], v1
	s_wait_loadcnt_dscnt 0x0
	v_pk_mul_f32 v[106:107], v[104:105], v[102:103] op_sel:[1,1] op_sel_hi:[0,1]
	s_delay_alu instid0(VALU_DEP_1) | instskip(SKIP_1) | instid1(VALU_DEP_2)
	v_pk_fma_f32 v[108:109], v[104:105], v[102:103], v[106:107] op_sel_hi:[1,0,1]
	v_pk_fma_f32 v[102:103], v[104:105], v[102:103], v[106:107] neg_lo:[0,0,1] neg_hi:[0,0,1]
	v_mov_b32_e32 v103, v109
	s_cbranch_execz .LBB48_69
	s_branch .LBB48_70
.LBB48_68:
                                        ; implicit-def: $vgpr102_vgpr103
.LBB48_69:
	ds_load_b64 v[102:103], v1
.LBB48_70:
	s_and_saveexec_b32 s27, s0
	s_cbranch_execz .LBB48_74
; %bb.71:
	v_subrev_nc_u32_e32 v104, 42, v0
	s_movk_i32 s28, 0x2e0
	s_mov_b32 s0, 0
.LBB48_72:                              ; =>This Inner Loop Header: Depth=1
	scratch_load_b64 v[106:107], off, s26
	v_dual_mov_b32 v105, s28 :: v_dual_add_nc_u32 v104, -1, v104
	s_add_co_i32 s28, s28, 8
	s_wait_xcnt 0x0
	s_add_co_i32 s26, s26, 8
	ds_load_b64 v[108:109], v105
	v_cmp_eq_u32_e32 vcc_lo, 0, v104
	s_or_b32 s0, vcc_lo, s0
	s_wait_loadcnt_dscnt 0x0
	v_pk_mul_f32 v[110:111], v[108:109], v[106:107] op_sel:[1,1] op_sel_hi:[0,1]
	s_delay_alu instid0(VALU_DEP_1) | instskip(SKIP_1) | instid1(VALU_DEP_2)
	v_pk_fma_f32 v[112:113], v[108:109], v[106:107], v[110:111] op_sel_hi:[1,0,1]
	v_pk_fma_f32 v[106:107], v[108:109], v[106:107], v[110:111] neg_lo:[0,0,1] neg_hi:[0,0,1]
	v_mov_b32_e32 v107, v113
	s_delay_alu instid0(VALU_DEP_1)
	v_pk_add_f32 v[102:103], v[102:103], v[106:107]
	s_and_not1_b32 exec_lo, exec_lo, s0
	s_cbranch_execnz .LBB48_72
; %bb.73:
	s_or_b32 exec_lo, exec_lo, s0
.LBB48_74:
	s_delay_alu instid0(SALU_CYCLE_1) | instskip(SKIP_4) | instid1(VALU_DEP_1)
	s_or_b32 exec_lo, exec_lo, s27
	v_mov_b32_e32 v104, 0
	ds_load_b64 v[104:105], v104 offset:328
	s_wait_dscnt 0x0
	v_pk_mul_f32 v[106:107], v[102:103], v[104:105] op_sel:[1,1] op_sel_hi:[0,1]
	v_pk_fma_f32 v[108:109], v[102:103], v[104:105], v[106:107] op_sel_hi:[1,0,1]
	v_pk_fma_f32 v[102:103], v[102:103], v[104:105], v[106:107] neg_lo:[0,0,1] neg_hi:[0,0,1]
	s_delay_alu instid0(VALU_DEP_2)
	v_mov_b32_e32 v103, v109
	scratch_store_b64 off, v[102:103], off offset:328
.LBB48_75:
	s_wait_xcnt 0x0
	s_or_b32 exec_lo, exec_lo, s2
	scratch_load_b64 v[102:103], off, off offset:320
	v_cmp_lt_u32_e64 s0, 40, v0
	s_wait_loadcnt 0x0
	ds_store_b64 v1, v[102:103]
	s_wait_storecnt_dscnt 0x0
	s_barrier_signal -1
	s_barrier_wait -1
	s_wait_xcnt 0x0
	s_and_saveexec_b32 s2, s0
	s_cbranch_execz .LBB48_85
; %bb.76:
	s_and_not1_b32 vcc_lo, exec_lo, s3
	s_cbranch_vccnz .LBB48_78
; %bb.77:
	scratch_load_b64 v[102:103], v43, off
	ds_load_b64 v[104:105], v1
	s_wait_loadcnt_dscnt 0x0
	v_pk_mul_f32 v[106:107], v[104:105], v[102:103] op_sel:[1,1] op_sel_hi:[0,1]
	s_delay_alu instid0(VALU_DEP_1) | instskip(SKIP_1) | instid1(VALU_DEP_2)
	v_pk_fma_f32 v[108:109], v[104:105], v[102:103], v[106:107] op_sel_hi:[1,0,1]
	v_pk_fma_f32 v[102:103], v[104:105], v[102:103], v[106:107] neg_lo:[0,0,1] neg_hi:[0,0,1]
	v_mov_b32_e32 v103, v109
	s_cbranch_execz .LBB48_79
	s_branch .LBB48_80
.LBB48_78:
                                        ; implicit-def: $vgpr102_vgpr103
.LBB48_79:
	ds_load_b64 v[102:103], v1
.LBB48_80:
	s_and_saveexec_b32 s26, s1
	s_cbranch_execz .LBB48_84
; %bb.81:
	v_subrev_nc_u32_e32 v104, 41, v0
	s_movk_i32 s1, 0x148
	s_movk_i32 s28, 0x2d8
	s_mov_b32 s27, 0
.LBB48_82:                              ; =>This Inner Loop Header: Depth=1
	scratch_load_b64 v[106:107], off, s1
	v_dual_mov_b32 v105, s28 :: v_dual_add_nc_u32 v104, -1, v104
	s_add_co_i32 s28, s28, 8
	s_wait_xcnt 0x0
	s_add_co_i32 s1, s1, 8
	ds_load_b64 v[108:109], v105
	v_cmp_eq_u32_e32 vcc_lo, 0, v104
	s_or_b32 s27, vcc_lo, s27
	s_wait_loadcnt_dscnt 0x0
	v_pk_mul_f32 v[110:111], v[108:109], v[106:107] op_sel:[1,1] op_sel_hi:[0,1]
	s_delay_alu instid0(VALU_DEP_1) | instskip(SKIP_1) | instid1(VALU_DEP_2)
	v_pk_fma_f32 v[112:113], v[108:109], v[106:107], v[110:111] op_sel_hi:[1,0,1]
	v_pk_fma_f32 v[106:107], v[108:109], v[106:107], v[110:111] neg_lo:[0,0,1] neg_hi:[0,0,1]
	v_mov_b32_e32 v107, v113
	s_delay_alu instid0(VALU_DEP_1)
	v_pk_add_f32 v[102:103], v[102:103], v[106:107]
	s_and_not1_b32 exec_lo, exec_lo, s27
	s_cbranch_execnz .LBB48_82
; %bb.83:
	s_or_b32 exec_lo, exec_lo, s27
.LBB48_84:
	s_delay_alu instid0(SALU_CYCLE_1) | instskip(SKIP_4) | instid1(VALU_DEP_1)
	s_or_b32 exec_lo, exec_lo, s26
	v_mov_b32_e32 v104, 0
	ds_load_b64 v[104:105], v104 offset:320
	s_wait_dscnt 0x0
	v_pk_mul_f32 v[106:107], v[102:103], v[104:105] op_sel:[1,1] op_sel_hi:[0,1]
	v_pk_fma_f32 v[108:109], v[102:103], v[104:105], v[106:107] op_sel_hi:[1,0,1]
	v_pk_fma_f32 v[102:103], v[102:103], v[104:105], v[106:107] neg_lo:[0,0,1] neg_hi:[0,0,1]
	s_delay_alu instid0(VALU_DEP_2)
	v_mov_b32_e32 v103, v109
	scratch_store_b64 off, v[102:103], off offset:320
.LBB48_85:
	s_wait_xcnt 0x0
	s_or_b32 exec_lo, exec_lo, s2
	scratch_load_b64 v[102:103], off, off offset:312
	v_cmp_lt_u32_e64 s1, 39, v0
	s_wait_loadcnt 0x0
	ds_store_b64 v1, v[102:103]
	s_wait_storecnt_dscnt 0x0
	s_barrier_signal -1
	s_barrier_wait -1
	s_wait_xcnt 0x0
	s_and_saveexec_b32 s2, s1
	s_cbranch_execz .LBB48_95
; %bb.86:
	s_and_not1_b32 vcc_lo, exec_lo, s3
	s_cbranch_vccnz .LBB48_88
; %bb.87:
	scratch_load_b64 v[102:103], v43, off
	ds_load_b64 v[104:105], v1
	s_wait_loadcnt_dscnt 0x0
	v_pk_mul_f32 v[106:107], v[104:105], v[102:103] op_sel:[1,1] op_sel_hi:[0,1]
	s_delay_alu instid0(VALU_DEP_1) | instskip(SKIP_1) | instid1(VALU_DEP_2)
	v_pk_fma_f32 v[108:109], v[104:105], v[102:103], v[106:107] op_sel_hi:[1,0,1]
	v_pk_fma_f32 v[102:103], v[104:105], v[102:103], v[106:107] neg_lo:[0,0,1] neg_hi:[0,0,1]
	v_mov_b32_e32 v103, v109
	s_cbranch_execz .LBB48_89
	s_branch .LBB48_90
.LBB48_88:
                                        ; implicit-def: $vgpr102_vgpr103
.LBB48_89:
	ds_load_b64 v[102:103], v1
.LBB48_90:
	s_and_saveexec_b32 s26, s0
	s_cbranch_execz .LBB48_94
; %bb.91:
	v_subrev_nc_u32_e32 v104, 40, v0
	s_movk_i32 s27, 0x2d0
	s_mov_b32 s0, 0
.LBB48_92:                              ; =>This Inner Loop Header: Depth=1
	scratch_load_b64 v[106:107], off, s25
	v_dual_mov_b32 v105, s27 :: v_dual_add_nc_u32 v104, -1, v104
	s_add_co_i32 s27, s27, 8
	s_wait_xcnt 0x0
	s_add_co_i32 s25, s25, 8
	ds_load_b64 v[108:109], v105
	v_cmp_eq_u32_e32 vcc_lo, 0, v104
	s_or_b32 s0, vcc_lo, s0
	s_wait_loadcnt_dscnt 0x0
	v_pk_mul_f32 v[110:111], v[108:109], v[106:107] op_sel:[1,1] op_sel_hi:[0,1]
	s_delay_alu instid0(VALU_DEP_1) | instskip(SKIP_1) | instid1(VALU_DEP_2)
	v_pk_fma_f32 v[112:113], v[108:109], v[106:107], v[110:111] op_sel_hi:[1,0,1]
	v_pk_fma_f32 v[106:107], v[108:109], v[106:107], v[110:111] neg_lo:[0,0,1] neg_hi:[0,0,1]
	v_mov_b32_e32 v107, v113
	s_delay_alu instid0(VALU_DEP_1)
	v_pk_add_f32 v[102:103], v[102:103], v[106:107]
	s_and_not1_b32 exec_lo, exec_lo, s0
	s_cbranch_execnz .LBB48_92
; %bb.93:
	s_or_b32 exec_lo, exec_lo, s0
.LBB48_94:
	s_delay_alu instid0(SALU_CYCLE_1) | instskip(SKIP_4) | instid1(VALU_DEP_1)
	s_or_b32 exec_lo, exec_lo, s26
	v_mov_b32_e32 v104, 0
	ds_load_b64 v[104:105], v104 offset:312
	s_wait_dscnt 0x0
	v_pk_mul_f32 v[106:107], v[102:103], v[104:105] op_sel:[1,1] op_sel_hi:[0,1]
	v_pk_fma_f32 v[108:109], v[102:103], v[104:105], v[106:107] op_sel_hi:[1,0,1]
	v_pk_fma_f32 v[102:103], v[102:103], v[104:105], v[106:107] neg_lo:[0,0,1] neg_hi:[0,0,1]
	s_delay_alu instid0(VALU_DEP_2)
	v_mov_b32_e32 v103, v109
	scratch_store_b64 off, v[102:103], off offset:312
.LBB48_95:
	s_wait_xcnt 0x0
	s_or_b32 exec_lo, exec_lo, s2
	scratch_load_b64 v[102:103], off, off offset:304
	v_cmp_lt_u32_e64 s0, 38, v0
	s_wait_loadcnt 0x0
	ds_store_b64 v1, v[102:103]
	s_wait_storecnt_dscnt 0x0
	s_barrier_signal -1
	s_barrier_wait -1
	s_wait_xcnt 0x0
	s_and_saveexec_b32 s2, s0
	s_cbranch_execz .LBB48_105
; %bb.96:
	s_and_not1_b32 vcc_lo, exec_lo, s3
	s_cbranch_vccnz .LBB48_98
; %bb.97:
	scratch_load_b64 v[102:103], v43, off
	ds_load_b64 v[104:105], v1
	s_wait_loadcnt_dscnt 0x0
	v_pk_mul_f32 v[106:107], v[104:105], v[102:103] op_sel:[1,1] op_sel_hi:[0,1]
	s_delay_alu instid0(VALU_DEP_1) | instskip(SKIP_1) | instid1(VALU_DEP_2)
	v_pk_fma_f32 v[108:109], v[104:105], v[102:103], v[106:107] op_sel_hi:[1,0,1]
	v_pk_fma_f32 v[102:103], v[104:105], v[102:103], v[106:107] neg_lo:[0,0,1] neg_hi:[0,0,1]
	v_mov_b32_e32 v103, v109
	s_cbranch_execz .LBB48_99
	s_branch .LBB48_100
.LBB48_98:
                                        ; implicit-def: $vgpr102_vgpr103
.LBB48_99:
	ds_load_b64 v[102:103], v1
.LBB48_100:
	s_and_saveexec_b32 s25, s1
	s_cbranch_execz .LBB48_104
; %bb.101:
	v_subrev_nc_u32_e32 v104, 39, v0
	s_movk_i32 s1, 0x138
	s_movk_i32 s27, 0x2c8
	s_mov_b32 s26, 0
.LBB48_102:                             ; =>This Inner Loop Header: Depth=1
	scratch_load_b64 v[106:107], off, s1
	v_dual_mov_b32 v105, s27 :: v_dual_add_nc_u32 v104, -1, v104
	s_add_co_i32 s27, s27, 8
	s_wait_xcnt 0x0
	s_add_co_i32 s1, s1, 8
	ds_load_b64 v[108:109], v105
	v_cmp_eq_u32_e32 vcc_lo, 0, v104
	s_or_b32 s26, vcc_lo, s26
	s_wait_loadcnt_dscnt 0x0
	v_pk_mul_f32 v[110:111], v[108:109], v[106:107] op_sel:[1,1] op_sel_hi:[0,1]
	s_delay_alu instid0(VALU_DEP_1) | instskip(SKIP_1) | instid1(VALU_DEP_2)
	v_pk_fma_f32 v[112:113], v[108:109], v[106:107], v[110:111] op_sel_hi:[1,0,1]
	v_pk_fma_f32 v[106:107], v[108:109], v[106:107], v[110:111] neg_lo:[0,0,1] neg_hi:[0,0,1]
	v_mov_b32_e32 v107, v113
	s_delay_alu instid0(VALU_DEP_1)
	v_pk_add_f32 v[102:103], v[102:103], v[106:107]
	s_and_not1_b32 exec_lo, exec_lo, s26
	s_cbranch_execnz .LBB48_102
; %bb.103:
	s_or_b32 exec_lo, exec_lo, s26
.LBB48_104:
	s_delay_alu instid0(SALU_CYCLE_1) | instskip(SKIP_4) | instid1(VALU_DEP_1)
	s_or_b32 exec_lo, exec_lo, s25
	v_mov_b32_e32 v104, 0
	ds_load_b64 v[104:105], v104 offset:304
	s_wait_dscnt 0x0
	v_pk_mul_f32 v[106:107], v[102:103], v[104:105] op_sel:[1,1] op_sel_hi:[0,1]
	v_pk_fma_f32 v[108:109], v[102:103], v[104:105], v[106:107] op_sel_hi:[1,0,1]
	v_pk_fma_f32 v[102:103], v[102:103], v[104:105], v[106:107] neg_lo:[0,0,1] neg_hi:[0,0,1]
	s_delay_alu instid0(VALU_DEP_2)
	v_mov_b32_e32 v103, v109
	scratch_store_b64 off, v[102:103], off offset:304
.LBB48_105:
	s_wait_xcnt 0x0
	s_or_b32 exec_lo, exec_lo, s2
	scratch_load_b64 v[102:103], off, off offset:296
	v_cmp_lt_u32_e64 s1, 37, v0
	s_wait_loadcnt 0x0
	ds_store_b64 v1, v[102:103]
	s_wait_storecnt_dscnt 0x0
	s_barrier_signal -1
	s_barrier_wait -1
	s_wait_xcnt 0x0
	s_and_saveexec_b32 s2, s1
	s_cbranch_execz .LBB48_115
; %bb.106:
	s_and_not1_b32 vcc_lo, exec_lo, s3
	s_cbranch_vccnz .LBB48_108
; %bb.107:
	scratch_load_b64 v[102:103], v43, off
	ds_load_b64 v[104:105], v1
	s_wait_loadcnt_dscnt 0x0
	v_pk_mul_f32 v[106:107], v[104:105], v[102:103] op_sel:[1,1] op_sel_hi:[0,1]
	s_delay_alu instid0(VALU_DEP_1) | instskip(SKIP_1) | instid1(VALU_DEP_2)
	v_pk_fma_f32 v[108:109], v[104:105], v[102:103], v[106:107] op_sel_hi:[1,0,1]
	v_pk_fma_f32 v[102:103], v[104:105], v[102:103], v[106:107] neg_lo:[0,0,1] neg_hi:[0,0,1]
	v_mov_b32_e32 v103, v109
	s_cbranch_execz .LBB48_109
	s_branch .LBB48_110
.LBB48_108:
                                        ; implicit-def: $vgpr102_vgpr103
.LBB48_109:
	ds_load_b64 v[102:103], v1
.LBB48_110:
	s_and_saveexec_b32 s25, s0
	s_cbranch_execz .LBB48_114
; %bb.111:
	v_subrev_nc_u32_e32 v104, 38, v0
	s_movk_i32 s26, 0x2c0
	s_mov_b32 s0, 0
.LBB48_112:                             ; =>This Inner Loop Header: Depth=1
	scratch_load_b64 v[106:107], off, s24
	v_dual_mov_b32 v105, s26 :: v_dual_add_nc_u32 v104, -1, v104
	s_add_co_i32 s26, s26, 8
	s_wait_xcnt 0x0
	s_add_co_i32 s24, s24, 8
	ds_load_b64 v[108:109], v105
	v_cmp_eq_u32_e32 vcc_lo, 0, v104
	s_or_b32 s0, vcc_lo, s0
	s_wait_loadcnt_dscnt 0x0
	v_pk_mul_f32 v[110:111], v[108:109], v[106:107] op_sel:[1,1] op_sel_hi:[0,1]
	s_delay_alu instid0(VALU_DEP_1) | instskip(SKIP_1) | instid1(VALU_DEP_2)
	v_pk_fma_f32 v[112:113], v[108:109], v[106:107], v[110:111] op_sel_hi:[1,0,1]
	v_pk_fma_f32 v[106:107], v[108:109], v[106:107], v[110:111] neg_lo:[0,0,1] neg_hi:[0,0,1]
	v_mov_b32_e32 v107, v113
	s_delay_alu instid0(VALU_DEP_1)
	v_pk_add_f32 v[102:103], v[102:103], v[106:107]
	s_and_not1_b32 exec_lo, exec_lo, s0
	s_cbranch_execnz .LBB48_112
; %bb.113:
	s_or_b32 exec_lo, exec_lo, s0
.LBB48_114:
	s_delay_alu instid0(SALU_CYCLE_1) | instskip(SKIP_4) | instid1(VALU_DEP_1)
	s_or_b32 exec_lo, exec_lo, s25
	v_mov_b32_e32 v104, 0
	ds_load_b64 v[104:105], v104 offset:296
	s_wait_dscnt 0x0
	v_pk_mul_f32 v[106:107], v[102:103], v[104:105] op_sel:[1,1] op_sel_hi:[0,1]
	v_pk_fma_f32 v[108:109], v[102:103], v[104:105], v[106:107] op_sel_hi:[1,0,1]
	v_pk_fma_f32 v[102:103], v[102:103], v[104:105], v[106:107] neg_lo:[0,0,1] neg_hi:[0,0,1]
	s_delay_alu instid0(VALU_DEP_2)
	v_mov_b32_e32 v103, v109
	scratch_store_b64 off, v[102:103], off offset:296
.LBB48_115:
	s_wait_xcnt 0x0
	s_or_b32 exec_lo, exec_lo, s2
	scratch_load_b64 v[102:103], off, off offset:288
	v_cmp_lt_u32_e64 s0, 36, v0
	s_wait_loadcnt 0x0
	ds_store_b64 v1, v[102:103]
	s_wait_storecnt_dscnt 0x0
	s_barrier_signal -1
	s_barrier_wait -1
	s_wait_xcnt 0x0
	s_and_saveexec_b32 s2, s0
	s_cbranch_execz .LBB48_125
; %bb.116:
	s_and_not1_b32 vcc_lo, exec_lo, s3
	s_cbranch_vccnz .LBB48_118
; %bb.117:
	scratch_load_b64 v[102:103], v43, off
	ds_load_b64 v[104:105], v1
	s_wait_loadcnt_dscnt 0x0
	v_pk_mul_f32 v[106:107], v[104:105], v[102:103] op_sel:[1,1] op_sel_hi:[0,1]
	s_delay_alu instid0(VALU_DEP_1) | instskip(SKIP_1) | instid1(VALU_DEP_2)
	v_pk_fma_f32 v[108:109], v[104:105], v[102:103], v[106:107] op_sel_hi:[1,0,1]
	v_pk_fma_f32 v[102:103], v[104:105], v[102:103], v[106:107] neg_lo:[0,0,1] neg_hi:[0,0,1]
	v_mov_b32_e32 v103, v109
	s_cbranch_execz .LBB48_119
	s_branch .LBB48_120
.LBB48_118:
                                        ; implicit-def: $vgpr102_vgpr103
.LBB48_119:
	ds_load_b64 v[102:103], v1
.LBB48_120:
	s_and_saveexec_b32 s24, s1
	s_cbranch_execz .LBB48_124
; %bb.121:
	v_subrev_nc_u32_e32 v104, 37, v0
	s_movk_i32 s1, 0x128
	s_movk_i32 s26, 0x2b8
	s_mov_b32 s25, 0
.LBB48_122:                             ; =>This Inner Loop Header: Depth=1
	scratch_load_b64 v[106:107], off, s1
	v_dual_mov_b32 v105, s26 :: v_dual_add_nc_u32 v104, -1, v104
	s_add_co_i32 s26, s26, 8
	s_wait_xcnt 0x0
	s_add_co_i32 s1, s1, 8
	ds_load_b64 v[108:109], v105
	v_cmp_eq_u32_e32 vcc_lo, 0, v104
	s_or_b32 s25, vcc_lo, s25
	s_wait_loadcnt_dscnt 0x0
	v_pk_mul_f32 v[110:111], v[108:109], v[106:107] op_sel:[1,1] op_sel_hi:[0,1]
	s_delay_alu instid0(VALU_DEP_1) | instskip(SKIP_1) | instid1(VALU_DEP_2)
	v_pk_fma_f32 v[112:113], v[108:109], v[106:107], v[110:111] op_sel_hi:[1,0,1]
	v_pk_fma_f32 v[106:107], v[108:109], v[106:107], v[110:111] neg_lo:[0,0,1] neg_hi:[0,0,1]
	v_mov_b32_e32 v107, v113
	s_delay_alu instid0(VALU_DEP_1)
	v_pk_add_f32 v[102:103], v[102:103], v[106:107]
	s_and_not1_b32 exec_lo, exec_lo, s25
	s_cbranch_execnz .LBB48_122
; %bb.123:
	s_or_b32 exec_lo, exec_lo, s25
.LBB48_124:
	s_delay_alu instid0(SALU_CYCLE_1) | instskip(SKIP_4) | instid1(VALU_DEP_1)
	s_or_b32 exec_lo, exec_lo, s24
	v_mov_b32_e32 v104, 0
	ds_load_b64 v[104:105], v104 offset:288
	s_wait_dscnt 0x0
	v_pk_mul_f32 v[106:107], v[102:103], v[104:105] op_sel:[1,1] op_sel_hi:[0,1]
	v_pk_fma_f32 v[108:109], v[102:103], v[104:105], v[106:107] op_sel_hi:[1,0,1]
	v_pk_fma_f32 v[102:103], v[102:103], v[104:105], v[106:107] neg_lo:[0,0,1] neg_hi:[0,0,1]
	s_delay_alu instid0(VALU_DEP_2)
	v_mov_b32_e32 v103, v109
	scratch_store_b64 off, v[102:103], off offset:288
.LBB48_125:
	s_wait_xcnt 0x0
	s_or_b32 exec_lo, exec_lo, s2
	scratch_load_b64 v[102:103], off, off offset:280
	v_cmp_lt_u32_e64 s1, 35, v0
	s_wait_loadcnt 0x0
	ds_store_b64 v1, v[102:103]
	s_wait_storecnt_dscnt 0x0
	s_barrier_signal -1
	s_barrier_wait -1
	s_wait_xcnt 0x0
	s_and_saveexec_b32 s2, s1
	s_cbranch_execz .LBB48_135
; %bb.126:
	s_and_not1_b32 vcc_lo, exec_lo, s3
	s_cbranch_vccnz .LBB48_128
; %bb.127:
	scratch_load_b64 v[102:103], v43, off
	ds_load_b64 v[104:105], v1
	s_wait_loadcnt_dscnt 0x0
	v_pk_mul_f32 v[106:107], v[104:105], v[102:103] op_sel:[1,1] op_sel_hi:[0,1]
	s_delay_alu instid0(VALU_DEP_1) | instskip(SKIP_1) | instid1(VALU_DEP_2)
	v_pk_fma_f32 v[108:109], v[104:105], v[102:103], v[106:107] op_sel_hi:[1,0,1]
	v_pk_fma_f32 v[102:103], v[104:105], v[102:103], v[106:107] neg_lo:[0,0,1] neg_hi:[0,0,1]
	v_mov_b32_e32 v103, v109
	s_cbranch_execz .LBB48_129
	s_branch .LBB48_130
.LBB48_128:
                                        ; implicit-def: $vgpr102_vgpr103
.LBB48_129:
	ds_load_b64 v[102:103], v1
.LBB48_130:
	s_and_saveexec_b32 s24, s0
	s_cbranch_execz .LBB48_134
; %bb.131:
	v_subrev_nc_u32_e32 v104, 36, v0
	s_movk_i32 s25, 0x2b0
	s_mov_b32 s0, 0
.LBB48_132:                             ; =>This Inner Loop Header: Depth=1
	scratch_load_b64 v[106:107], off, s23
	v_dual_mov_b32 v105, s25 :: v_dual_add_nc_u32 v104, -1, v104
	s_add_co_i32 s25, s25, 8
	s_wait_xcnt 0x0
	s_add_co_i32 s23, s23, 8
	ds_load_b64 v[108:109], v105
	v_cmp_eq_u32_e32 vcc_lo, 0, v104
	s_or_b32 s0, vcc_lo, s0
	s_wait_loadcnt_dscnt 0x0
	v_pk_mul_f32 v[110:111], v[108:109], v[106:107] op_sel:[1,1] op_sel_hi:[0,1]
	s_delay_alu instid0(VALU_DEP_1) | instskip(SKIP_1) | instid1(VALU_DEP_2)
	v_pk_fma_f32 v[112:113], v[108:109], v[106:107], v[110:111] op_sel_hi:[1,0,1]
	v_pk_fma_f32 v[106:107], v[108:109], v[106:107], v[110:111] neg_lo:[0,0,1] neg_hi:[0,0,1]
	v_mov_b32_e32 v107, v113
	s_delay_alu instid0(VALU_DEP_1)
	v_pk_add_f32 v[102:103], v[102:103], v[106:107]
	s_and_not1_b32 exec_lo, exec_lo, s0
	s_cbranch_execnz .LBB48_132
; %bb.133:
	s_or_b32 exec_lo, exec_lo, s0
.LBB48_134:
	s_delay_alu instid0(SALU_CYCLE_1) | instskip(SKIP_4) | instid1(VALU_DEP_1)
	s_or_b32 exec_lo, exec_lo, s24
	v_mov_b32_e32 v104, 0
	ds_load_b64 v[104:105], v104 offset:280
	s_wait_dscnt 0x0
	v_pk_mul_f32 v[106:107], v[102:103], v[104:105] op_sel:[1,1] op_sel_hi:[0,1]
	v_pk_fma_f32 v[108:109], v[102:103], v[104:105], v[106:107] op_sel_hi:[1,0,1]
	v_pk_fma_f32 v[102:103], v[102:103], v[104:105], v[106:107] neg_lo:[0,0,1] neg_hi:[0,0,1]
	s_delay_alu instid0(VALU_DEP_2)
	v_mov_b32_e32 v103, v109
	scratch_store_b64 off, v[102:103], off offset:280
.LBB48_135:
	s_wait_xcnt 0x0
	s_or_b32 exec_lo, exec_lo, s2
	scratch_load_b64 v[102:103], off, off offset:272
	v_cmp_lt_u32_e64 s0, 34, v0
	s_wait_loadcnt 0x0
	ds_store_b64 v1, v[102:103]
	s_wait_storecnt_dscnt 0x0
	s_barrier_signal -1
	s_barrier_wait -1
	s_wait_xcnt 0x0
	s_and_saveexec_b32 s2, s0
	s_cbranch_execz .LBB48_145
; %bb.136:
	s_and_not1_b32 vcc_lo, exec_lo, s3
	s_cbranch_vccnz .LBB48_138
; %bb.137:
	scratch_load_b64 v[102:103], v43, off
	ds_load_b64 v[104:105], v1
	s_wait_loadcnt_dscnt 0x0
	v_pk_mul_f32 v[106:107], v[104:105], v[102:103] op_sel:[1,1] op_sel_hi:[0,1]
	s_delay_alu instid0(VALU_DEP_1) | instskip(SKIP_1) | instid1(VALU_DEP_2)
	v_pk_fma_f32 v[108:109], v[104:105], v[102:103], v[106:107] op_sel_hi:[1,0,1]
	v_pk_fma_f32 v[102:103], v[104:105], v[102:103], v[106:107] neg_lo:[0,0,1] neg_hi:[0,0,1]
	v_mov_b32_e32 v103, v109
	s_cbranch_execz .LBB48_139
	s_branch .LBB48_140
.LBB48_138:
                                        ; implicit-def: $vgpr102_vgpr103
.LBB48_139:
	ds_load_b64 v[102:103], v1
.LBB48_140:
	s_and_saveexec_b32 s23, s1
	s_cbranch_execz .LBB48_144
; %bb.141:
	v_subrev_nc_u32_e32 v104, 35, v0
	s_movk_i32 s1, 0x118
	s_movk_i32 s25, 0x2a8
	s_mov_b32 s24, 0
.LBB48_142:                             ; =>This Inner Loop Header: Depth=1
	scratch_load_b64 v[106:107], off, s1
	v_dual_mov_b32 v105, s25 :: v_dual_add_nc_u32 v104, -1, v104
	s_add_co_i32 s25, s25, 8
	s_wait_xcnt 0x0
	s_add_co_i32 s1, s1, 8
	ds_load_b64 v[108:109], v105
	v_cmp_eq_u32_e32 vcc_lo, 0, v104
	s_or_b32 s24, vcc_lo, s24
	s_wait_loadcnt_dscnt 0x0
	v_pk_mul_f32 v[110:111], v[108:109], v[106:107] op_sel:[1,1] op_sel_hi:[0,1]
	s_delay_alu instid0(VALU_DEP_1) | instskip(SKIP_1) | instid1(VALU_DEP_2)
	v_pk_fma_f32 v[112:113], v[108:109], v[106:107], v[110:111] op_sel_hi:[1,0,1]
	v_pk_fma_f32 v[106:107], v[108:109], v[106:107], v[110:111] neg_lo:[0,0,1] neg_hi:[0,0,1]
	v_mov_b32_e32 v107, v113
	s_delay_alu instid0(VALU_DEP_1)
	v_pk_add_f32 v[102:103], v[102:103], v[106:107]
	s_and_not1_b32 exec_lo, exec_lo, s24
	s_cbranch_execnz .LBB48_142
; %bb.143:
	s_or_b32 exec_lo, exec_lo, s24
.LBB48_144:
	s_delay_alu instid0(SALU_CYCLE_1) | instskip(SKIP_4) | instid1(VALU_DEP_1)
	s_or_b32 exec_lo, exec_lo, s23
	v_mov_b32_e32 v104, 0
	ds_load_b64 v[104:105], v104 offset:272
	s_wait_dscnt 0x0
	v_pk_mul_f32 v[106:107], v[102:103], v[104:105] op_sel:[1,1] op_sel_hi:[0,1]
	v_pk_fma_f32 v[108:109], v[102:103], v[104:105], v[106:107] op_sel_hi:[1,0,1]
	v_pk_fma_f32 v[102:103], v[102:103], v[104:105], v[106:107] neg_lo:[0,0,1] neg_hi:[0,0,1]
	s_delay_alu instid0(VALU_DEP_2)
	v_mov_b32_e32 v103, v109
	scratch_store_b64 off, v[102:103], off offset:272
.LBB48_145:
	s_wait_xcnt 0x0
	s_or_b32 exec_lo, exec_lo, s2
	scratch_load_b64 v[102:103], off, off offset:264
	v_cmp_lt_u32_e64 s1, 33, v0
	s_wait_loadcnt 0x0
	ds_store_b64 v1, v[102:103]
	s_wait_storecnt_dscnt 0x0
	s_barrier_signal -1
	s_barrier_wait -1
	s_wait_xcnt 0x0
	s_and_saveexec_b32 s2, s1
	s_cbranch_execz .LBB48_155
; %bb.146:
	s_and_not1_b32 vcc_lo, exec_lo, s3
	s_cbranch_vccnz .LBB48_148
; %bb.147:
	scratch_load_b64 v[102:103], v43, off
	ds_load_b64 v[104:105], v1
	s_wait_loadcnt_dscnt 0x0
	v_pk_mul_f32 v[106:107], v[104:105], v[102:103] op_sel:[1,1] op_sel_hi:[0,1]
	s_delay_alu instid0(VALU_DEP_1) | instskip(SKIP_1) | instid1(VALU_DEP_2)
	v_pk_fma_f32 v[108:109], v[104:105], v[102:103], v[106:107] op_sel_hi:[1,0,1]
	v_pk_fma_f32 v[102:103], v[104:105], v[102:103], v[106:107] neg_lo:[0,0,1] neg_hi:[0,0,1]
	v_mov_b32_e32 v103, v109
	s_cbranch_execz .LBB48_149
	s_branch .LBB48_150
.LBB48_148:
                                        ; implicit-def: $vgpr102_vgpr103
.LBB48_149:
	ds_load_b64 v[102:103], v1
.LBB48_150:
	s_and_saveexec_b32 s23, s0
	s_cbranch_execz .LBB48_154
; %bb.151:
	v_subrev_nc_u32_e32 v104, 34, v0
	s_movk_i32 s24, 0x2a0
	s_mov_b32 s0, 0
.LBB48_152:                             ; =>This Inner Loop Header: Depth=1
	scratch_load_b64 v[106:107], off, s22
	v_dual_mov_b32 v105, s24 :: v_dual_add_nc_u32 v104, -1, v104
	s_add_co_i32 s24, s24, 8
	s_wait_xcnt 0x0
	s_add_co_i32 s22, s22, 8
	ds_load_b64 v[108:109], v105
	v_cmp_eq_u32_e32 vcc_lo, 0, v104
	s_or_b32 s0, vcc_lo, s0
	s_wait_loadcnt_dscnt 0x0
	v_pk_mul_f32 v[110:111], v[108:109], v[106:107] op_sel:[1,1] op_sel_hi:[0,1]
	s_delay_alu instid0(VALU_DEP_1) | instskip(SKIP_1) | instid1(VALU_DEP_2)
	v_pk_fma_f32 v[112:113], v[108:109], v[106:107], v[110:111] op_sel_hi:[1,0,1]
	v_pk_fma_f32 v[106:107], v[108:109], v[106:107], v[110:111] neg_lo:[0,0,1] neg_hi:[0,0,1]
	v_mov_b32_e32 v107, v113
	s_delay_alu instid0(VALU_DEP_1)
	v_pk_add_f32 v[102:103], v[102:103], v[106:107]
	s_and_not1_b32 exec_lo, exec_lo, s0
	s_cbranch_execnz .LBB48_152
; %bb.153:
	s_or_b32 exec_lo, exec_lo, s0
.LBB48_154:
	s_delay_alu instid0(SALU_CYCLE_1) | instskip(SKIP_4) | instid1(VALU_DEP_1)
	s_or_b32 exec_lo, exec_lo, s23
	v_mov_b32_e32 v104, 0
	ds_load_b64 v[104:105], v104 offset:264
	s_wait_dscnt 0x0
	v_pk_mul_f32 v[106:107], v[102:103], v[104:105] op_sel:[1,1] op_sel_hi:[0,1]
	v_pk_fma_f32 v[108:109], v[102:103], v[104:105], v[106:107] op_sel_hi:[1,0,1]
	v_pk_fma_f32 v[102:103], v[102:103], v[104:105], v[106:107] neg_lo:[0,0,1] neg_hi:[0,0,1]
	s_delay_alu instid0(VALU_DEP_2)
	v_mov_b32_e32 v103, v109
	scratch_store_b64 off, v[102:103], off offset:264
.LBB48_155:
	s_wait_xcnt 0x0
	s_or_b32 exec_lo, exec_lo, s2
	scratch_load_b64 v[102:103], off, off offset:256
	v_cmp_lt_u32_e64 s0, 32, v0
	s_wait_loadcnt 0x0
	ds_store_b64 v1, v[102:103]
	s_wait_storecnt_dscnt 0x0
	s_barrier_signal -1
	s_barrier_wait -1
	s_wait_xcnt 0x0
	s_and_saveexec_b32 s2, s0
	s_cbranch_execz .LBB48_165
; %bb.156:
	s_and_not1_b32 vcc_lo, exec_lo, s3
	s_cbranch_vccnz .LBB48_158
; %bb.157:
	scratch_load_b64 v[102:103], v43, off
	ds_load_b64 v[104:105], v1
	s_wait_loadcnt_dscnt 0x0
	v_pk_mul_f32 v[106:107], v[104:105], v[102:103] op_sel:[1,1] op_sel_hi:[0,1]
	s_delay_alu instid0(VALU_DEP_1) | instskip(SKIP_1) | instid1(VALU_DEP_2)
	v_pk_fma_f32 v[108:109], v[104:105], v[102:103], v[106:107] op_sel_hi:[1,0,1]
	v_pk_fma_f32 v[102:103], v[104:105], v[102:103], v[106:107] neg_lo:[0,0,1] neg_hi:[0,0,1]
	v_mov_b32_e32 v103, v109
	s_cbranch_execz .LBB48_159
	s_branch .LBB48_160
.LBB48_158:
                                        ; implicit-def: $vgpr102_vgpr103
.LBB48_159:
	ds_load_b64 v[102:103], v1
.LBB48_160:
	s_and_saveexec_b32 s22, s1
	s_cbranch_execz .LBB48_164
; %bb.161:
	v_subrev_nc_u32_e32 v104, 33, v0
	s_movk_i32 s1, 0x108
	s_movk_i32 s24, 0x298
	s_mov_b32 s23, 0
.LBB48_162:                             ; =>This Inner Loop Header: Depth=1
	scratch_load_b64 v[106:107], off, s1
	v_dual_mov_b32 v105, s24 :: v_dual_add_nc_u32 v104, -1, v104
	s_add_co_i32 s24, s24, 8
	s_wait_xcnt 0x0
	s_add_co_i32 s1, s1, 8
	ds_load_b64 v[108:109], v105
	v_cmp_eq_u32_e32 vcc_lo, 0, v104
	s_or_b32 s23, vcc_lo, s23
	s_wait_loadcnt_dscnt 0x0
	v_pk_mul_f32 v[110:111], v[108:109], v[106:107] op_sel:[1,1] op_sel_hi:[0,1]
	s_delay_alu instid0(VALU_DEP_1) | instskip(SKIP_1) | instid1(VALU_DEP_2)
	v_pk_fma_f32 v[112:113], v[108:109], v[106:107], v[110:111] op_sel_hi:[1,0,1]
	v_pk_fma_f32 v[106:107], v[108:109], v[106:107], v[110:111] neg_lo:[0,0,1] neg_hi:[0,0,1]
	v_mov_b32_e32 v107, v113
	s_delay_alu instid0(VALU_DEP_1)
	v_pk_add_f32 v[102:103], v[102:103], v[106:107]
	s_and_not1_b32 exec_lo, exec_lo, s23
	s_cbranch_execnz .LBB48_162
; %bb.163:
	s_or_b32 exec_lo, exec_lo, s23
.LBB48_164:
	s_delay_alu instid0(SALU_CYCLE_1) | instskip(SKIP_4) | instid1(VALU_DEP_1)
	s_or_b32 exec_lo, exec_lo, s22
	v_mov_b32_e32 v104, 0
	ds_load_b64 v[104:105], v104 offset:256
	s_wait_dscnt 0x0
	v_pk_mul_f32 v[106:107], v[102:103], v[104:105] op_sel:[1,1] op_sel_hi:[0,1]
	v_pk_fma_f32 v[108:109], v[102:103], v[104:105], v[106:107] op_sel_hi:[1,0,1]
	v_pk_fma_f32 v[102:103], v[102:103], v[104:105], v[106:107] neg_lo:[0,0,1] neg_hi:[0,0,1]
	s_delay_alu instid0(VALU_DEP_2)
	v_mov_b32_e32 v103, v109
	scratch_store_b64 off, v[102:103], off offset:256
.LBB48_165:
	s_wait_xcnt 0x0
	s_or_b32 exec_lo, exec_lo, s2
	scratch_load_b64 v[102:103], off, off offset:248
	v_cmp_lt_u32_e64 s1, 31, v0
	s_wait_loadcnt 0x0
	ds_store_b64 v1, v[102:103]
	s_wait_storecnt_dscnt 0x0
	s_barrier_signal -1
	s_barrier_wait -1
	s_wait_xcnt 0x0
	s_and_saveexec_b32 s2, s1
	s_cbranch_execz .LBB48_175
; %bb.166:
	s_and_not1_b32 vcc_lo, exec_lo, s3
	s_cbranch_vccnz .LBB48_168
; %bb.167:
	scratch_load_b64 v[102:103], v43, off
	ds_load_b64 v[104:105], v1
	s_wait_loadcnt_dscnt 0x0
	v_pk_mul_f32 v[106:107], v[104:105], v[102:103] op_sel:[1,1] op_sel_hi:[0,1]
	s_delay_alu instid0(VALU_DEP_1) | instskip(SKIP_1) | instid1(VALU_DEP_2)
	v_pk_fma_f32 v[108:109], v[104:105], v[102:103], v[106:107] op_sel_hi:[1,0,1]
	v_pk_fma_f32 v[102:103], v[104:105], v[102:103], v[106:107] neg_lo:[0,0,1] neg_hi:[0,0,1]
	v_mov_b32_e32 v103, v109
	s_cbranch_execz .LBB48_169
	s_branch .LBB48_170
.LBB48_168:
                                        ; implicit-def: $vgpr102_vgpr103
.LBB48_169:
	ds_load_b64 v[102:103], v1
.LBB48_170:
	s_and_saveexec_b32 s22, s0
	s_cbranch_execz .LBB48_174
; %bb.171:
	v_subrev_nc_u32_e32 v104, 32, v0
	s_movk_i32 s23, 0x290
	s_mov_b32 s0, 0
.LBB48_172:                             ; =>This Inner Loop Header: Depth=1
	scratch_load_b64 v[106:107], off, s21
	v_dual_mov_b32 v105, s23 :: v_dual_add_nc_u32 v104, -1, v104
	s_add_co_i32 s23, s23, 8
	s_wait_xcnt 0x0
	s_add_co_i32 s21, s21, 8
	ds_load_b64 v[108:109], v105
	v_cmp_eq_u32_e32 vcc_lo, 0, v104
	s_or_b32 s0, vcc_lo, s0
	s_wait_loadcnt_dscnt 0x0
	v_pk_mul_f32 v[110:111], v[108:109], v[106:107] op_sel:[1,1] op_sel_hi:[0,1]
	s_delay_alu instid0(VALU_DEP_1) | instskip(SKIP_1) | instid1(VALU_DEP_2)
	v_pk_fma_f32 v[112:113], v[108:109], v[106:107], v[110:111] op_sel_hi:[1,0,1]
	v_pk_fma_f32 v[106:107], v[108:109], v[106:107], v[110:111] neg_lo:[0,0,1] neg_hi:[0,0,1]
	v_mov_b32_e32 v107, v113
	s_delay_alu instid0(VALU_DEP_1)
	v_pk_add_f32 v[102:103], v[102:103], v[106:107]
	s_and_not1_b32 exec_lo, exec_lo, s0
	s_cbranch_execnz .LBB48_172
; %bb.173:
	s_or_b32 exec_lo, exec_lo, s0
.LBB48_174:
	s_delay_alu instid0(SALU_CYCLE_1) | instskip(SKIP_4) | instid1(VALU_DEP_1)
	s_or_b32 exec_lo, exec_lo, s22
	v_mov_b32_e32 v104, 0
	ds_load_b64 v[104:105], v104 offset:248
	s_wait_dscnt 0x0
	v_pk_mul_f32 v[106:107], v[102:103], v[104:105] op_sel:[1,1] op_sel_hi:[0,1]
	v_pk_fma_f32 v[108:109], v[102:103], v[104:105], v[106:107] op_sel_hi:[1,0,1]
	v_pk_fma_f32 v[102:103], v[102:103], v[104:105], v[106:107] neg_lo:[0,0,1] neg_hi:[0,0,1]
	s_delay_alu instid0(VALU_DEP_2)
	v_mov_b32_e32 v103, v109
	scratch_store_b64 off, v[102:103], off offset:248
.LBB48_175:
	s_wait_xcnt 0x0
	s_or_b32 exec_lo, exec_lo, s2
	scratch_load_b64 v[102:103], off, off offset:240
	v_cmp_lt_u32_e64 s0, 30, v0
	s_wait_loadcnt 0x0
	ds_store_b64 v1, v[102:103]
	s_wait_storecnt_dscnt 0x0
	s_barrier_signal -1
	s_barrier_wait -1
	s_wait_xcnt 0x0
	s_and_saveexec_b32 s2, s0
	s_cbranch_execz .LBB48_185
; %bb.176:
	s_and_not1_b32 vcc_lo, exec_lo, s3
	s_cbranch_vccnz .LBB48_178
; %bb.177:
	scratch_load_b64 v[102:103], v43, off
	ds_load_b64 v[104:105], v1
	s_wait_loadcnt_dscnt 0x0
	v_pk_mul_f32 v[106:107], v[104:105], v[102:103] op_sel:[1,1] op_sel_hi:[0,1]
	s_delay_alu instid0(VALU_DEP_1) | instskip(SKIP_1) | instid1(VALU_DEP_2)
	v_pk_fma_f32 v[108:109], v[104:105], v[102:103], v[106:107] op_sel_hi:[1,0,1]
	v_pk_fma_f32 v[102:103], v[104:105], v[102:103], v[106:107] neg_lo:[0,0,1] neg_hi:[0,0,1]
	v_mov_b32_e32 v103, v109
	s_cbranch_execz .LBB48_179
	s_branch .LBB48_180
.LBB48_178:
                                        ; implicit-def: $vgpr102_vgpr103
.LBB48_179:
	ds_load_b64 v[102:103], v1
.LBB48_180:
	s_and_saveexec_b32 s21, s1
	s_cbranch_execz .LBB48_184
; %bb.181:
	v_subrev_nc_u32_e32 v104, 31, v0
	s_movk_i32 s1, 0xf8
	s_movk_i32 s23, 0x288
	s_mov_b32 s22, 0
.LBB48_182:                             ; =>This Inner Loop Header: Depth=1
	scratch_load_b64 v[106:107], off, s1
	v_dual_mov_b32 v105, s23 :: v_dual_add_nc_u32 v104, -1, v104
	s_add_co_i32 s23, s23, 8
	s_wait_xcnt 0x0
	s_add_co_i32 s1, s1, 8
	ds_load_b64 v[108:109], v105
	v_cmp_eq_u32_e32 vcc_lo, 0, v104
	s_or_b32 s22, vcc_lo, s22
	s_wait_loadcnt_dscnt 0x0
	v_pk_mul_f32 v[110:111], v[108:109], v[106:107] op_sel:[1,1] op_sel_hi:[0,1]
	s_delay_alu instid0(VALU_DEP_1) | instskip(SKIP_1) | instid1(VALU_DEP_2)
	v_pk_fma_f32 v[112:113], v[108:109], v[106:107], v[110:111] op_sel_hi:[1,0,1]
	v_pk_fma_f32 v[106:107], v[108:109], v[106:107], v[110:111] neg_lo:[0,0,1] neg_hi:[0,0,1]
	v_mov_b32_e32 v107, v113
	s_delay_alu instid0(VALU_DEP_1)
	v_pk_add_f32 v[102:103], v[102:103], v[106:107]
	s_and_not1_b32 exec_lo, exec_lo, s22
	s_cbranch_execnz .LBB48_182
; %bb.183:
	s_or_b32 exec_lo, exec_lo, s22
.LBB48_184:
	s_delay_alu instid0(SALU_CYCLE_1) | instskip(SKIP_4) | instid1(VALU_DEP_1)
	s_or_b32 exec_lo, exec_lo, s21
	v_mov_b32_e32 v104, 0
	ds_load_b64 v[104:105], v104 offset:240
	s_wait_dscnt 0x0
	v_pk_mul_f32 v[106:107], v[102:103], v[104:105] op_sel:[1,1] op_sel_hi:[0,1]
	v_pk_fma_f32 v[108:109], v[102:103], v[104:105], v[106:107] op_sel_hi:[1,0,1]
	v_pk_fma_f32 v[102:103], v[102:103], v[104:105], v[106:107] neg_lo:[0,0,1] neg_hi:[0,0,1]
	s_delay_alu instid0(VALU_DEP_2)
	v_mov_b32_e32 v103, v109
	scratch_store_b64 off, v[102:103], off offset:240
.LBB48_185:
	s_wait_xcnt 0x0
	s_or_b32 exec_lo, exec_lo, s2
	scratch_load_b64 v[102:103], off, off offset:232
	v_cmp_lt_u32_e64 s1, 29, v0
	s_wait_loadcnt 0x0
	ds_store_b64 v1, v[102:103]
	s_wait_storecnt_dscnt 0x0
	s_barrier_signal -1
	s_barrier_wait -1
	s_wait_xcnt 0x0
	s_and_saveexec_b32 s2, s1
	s_cbranch_execz .LBB48_195
; %bb.186:
	s_and_not1_b32 vcc_lo, exec_lo, s3
	s_cbranch_vccnz .LBB48_188
; %bb.187:
	scratch_load_b64 v[102:103], v43, off
	ds_load_b64 v[104:105], v1
	s_wait_loadcnt_dscnt 0x0
	v_pk_mul_f32 v[106:107], v[104:105], v[102:103] op_sel:[1,1] op_sel_hi:[0,1]
	s_delay_alu instid0(VALU_DEP_1) | instskip(SKIP_1) | instid1(VALU_DEP_2)
	v_pk_fma_f32 v[108:109], v[104:105], v[102:103], v[106:107] op_sel_hi:[1,0,1]
	v_pk_fma_f32 v[102:103], v[104:105], v[102:103], v[106:107] neg_lo:[0,0,1] neg_hi:[0,0,1]
	v_mov_b32_e32 v103, v109
	s_cbranch_execz .LBB48_189
	s_branch .LBB48_190
.LBB48_188:
                                        ; implicit-def: $vgpr102_vgpr103
.LBB48_189:
	ds_load_b64 v[102:103], v1
.LBB48_190:
	s_and_saveexec_b32 s21, s0
	s_cbranch_execz .LBB48_194
; %bb.191:
	v_subrev_nc_u32_e32 v104, 30, v0
	s_movk_i32 s22, 0x280
	s_mov_b32 s0, 0
.LBB48_192:                             ; =>This Inner Loop Header: Depth=1
	scratch_load_b64 v[106:107], off, s20
	v_dual_mov_b32 v105, s22 :: v_dual_add_nc_u32 v104, -1, v104
	s_add_co_i32 s22, s22, 8
	s_wait_xcnt 0x0
	s_add_co_i32 s20, s20, 8
	ds_load_b64 v[108:109], v105
	v_cmp_eq_u32_e32 vcc_lo, 0, v104
	s_or_b32 s0, vcc_lo, s0
	s_wait_loadcnt_dscnt 0x0
	v_pk_mul_f32 v[110:111], v[108:109], v[106:107] op_sel:[1,1] op_sel_hi:[0,1]
	s_delay_alu instid0(VALU_DEP_1) | instskip(SKIP_1) | instid1(VALU_DEP_2)
	v_pk_fma_f32 v[112:113], v[108:109], v[106:107], v[110:111] op_sel_hi:[1,0,1]
	v_pk_fma_f32 v[106:107], v[108:109], v[106:107], v[110:111] neg_lo:[0,0,1] neg_hi:[0,0,1]
	v_mov_b32_e32 v107, v113
	s_delay_alu instid0(VALU_DEP_1)
	v_pk_add_f32 v[102:103], v[102:103], v[106:107]
	s_and_not1_b32 exec_lo, exec_lo, s0
	s_cbranch_execnz .LBB48_192
; %bb.193:
	s_or_b32 exec_lo, exec_lo, s0
.LBB48_194:
	s_delay_alu instid0(SALU_CYCLE_1) | instskip(SKIP_4) | instid1(VALU_DEP_1)
	s_or_b32 exec_lo, exec_lo, s21
	v_mov_b32_e32 v104, 0
	ds_load_b64 v[104:105], v104 offset:232
	s_wait_dscnt 0x0
	v_pk_mul_f32 v[106:107], v[102:103], v[104:105] op_sel:[1,1] op_sel_hi:[0,1]
	v_pk_fma_f32 v[108:109], v[102:103], v[104:105], v[106:107] op_sel_hi:[1,0,1]
	v_pk_fma_f32 v[102:103], v[102:103], v[104:105], v[106:107] neg_lo:[0,0,1] neg_hi:[0,0,1]
	s_delay_alu instid0(VALU_DEP_2)
	v_mov_b32_e32 v103, v109
	scratch_store_b64 off, v[102:103], off offset:232
.LBB48_195:
	s_wait_xcnt 0x0
	s_or_b32 exec_lo, exec_lo, s2
	scratch_load_b64 v[102:103], off, off offset:224
	v_cmp_lt_u32_e64 s0, 28, v0
	s_wait_loadcnt 0x0
	ds_store_b64 v1, v[102:103]
	s_wait_storecnt_dscnt 0x0
	s_barrier_signal -1
	s_barrier_wait -1
	s_wait_xcnt 0x0
	s_and_saveexec_b32 s2, s0
	s_cbranch_execz .LBB48_205
; %bb.196:
	s_and_not1_b32 vcc_lo, exec_lo, s3
	s_cbranch_vccnz .LBB48_198
; %bb.197:
	scratch_load_b64 v[102:103], v43, off
	ds_load_b64 v[104:105], v1
	s_wait_loadcnt_dscnt 0x0
	v_pk_mul_f32 v[106:107], v[104:105], v[102:103] op_sel:[1,1] op_sel_hi:[0,1]
	s_delay_alu instid0(VALU_DEP_1) | instskip(SKIP_1) | instid1(VALU_DEP_2)
	v_pk_fma_f32 v[108:109], v[104:105], v[102:103], v[106:107] op_sel_hi:[1,0,1]
	v_pk_fma_f32 v[102:103], v[104:105], v[102:103], v[106:107] neg_lo:[0,0,1] neg_hi:[0,0,1]
	v_mov_b32_e32 v103, v109
	s_cbranch_execz .LBB48_199
	s_branch .LBB48_200
.LBB48_198:
                                        ; implicit-def: $vgpr102_vgpr103
.LBB48_199:
	ds_load_b64 v[102:103], v1
.LBB48_200:
	s_and_saveexec_b32 s20, s1
	s_cbranch_execz .LBB48_204
; %bb.201:
	v_subrev_nc_u32_e32 v104, 29, v0
	s_movk_i32 s1, 0xe8
	s_movk_i32 s22, 0x278
	s_mov_b32 s21, 0
.LBB48_202:                             ; =>This Inner Loop Header: Depth=1
	scratch_load_b64 v[106:107], off, s1
	v_dual_mov_b32 v105, s22 :: v_dual_add_nc_u32 v104, -1, v104
	s_add_co_i32 s22, s22, 8
	s_wait_xcnt 0x0
	s_add_co_i32 s1, s1, 8
	ds_load_b64 v[108:109], v105
	v_cmp_eq_u32_e32 vcc_lo, 0, v104
	s_or_b32 s21, vcc_lo, s21
	s_wait_loadcnt_dscnt 0x0
	v_pk_mul_f32 v[110:111], v[108:109], v[106:107] op_sel:[1,1] op_sel_hi:[0,1]
	s_delay_alu instid0(VALU_DEP_1) | instskip(SKIP_1) | instid1(VALU_DEP_2)
	v_pk_fma_f32 v[112:113], v[108:109], v[106:107], v[110:111] op_sel_hi:[1,0,1]
	v_pk_fma_f32 v[106:107], v[108:109], v[106:107], v[110:111] neg_lo:[0,0,1] neg_hi:[0,0,1]
	v_mov_b32_e32 v107, v113
	s_delay_alu instid0(VALU_DEP_1)
	v_pk_add_f32 v[102:103], v[102:103], v[106:107]
	s_and_not1_b32 exec_lo, exec_lo, s21
	s_cbranch_execnz .LBB48_202
; %bb.203:
	s_or_b32 exec_lo, exec_lo, s21
.LBB48_204:
	s_delay_alu instid0(SALU_CYCLE_1) | instskip(SKIP_4) | instid1(VALU_DEP_1)
	s_or_b32 exec_lo, exec_lo, s20
	v_mov_b32_e32 v104, 0
	ds_load_b64 v[104:105], v104 offset:224
	s_wait_dscnt 0x0
	v_pk_mul_f32 v[106:107], v[102:103], v[104:105] op_sel:[1,1] op_sel_hi:[0,1]
	v_pk_fma_f32 v[108:109], v[102:103], v[104:105], v[106:107] op_sel_hi:[1,0,1]
	v_pk_fma_f32 v[102:103], v[102:103], v[104:105], v[106:107] neg_lo:[0,0,1] neg_hi:[0,0,1]
	s_delay_alu instid0(VALU_DEP_2)
	v_mov_b32_e32 v103, v109
	scratch_store_b64 off, v[102:103], off offset:224
.LBB48_205:
	s_wait_xcnt 0x0
	s_or_b32 exec_lo, exec_lo, s2
	scratch_load_b64 v[102:103], off, off offset:216
	v_cmp_lt_u32_e64 s1, 27, v0
	s_wait_loadcnt 0x0
	ds_store_b64 v1, v[102:103]
	s_wait_storecnt_dscnt 0x0
	s_barrier_signal -1
	s_barrier_wait -1
	s_wait_xcnt 0x0
	s_and_saveexec_b32 s2, s1
	s_cbranch_execz .LBB48_215
; %bb.206:
	s_and_not1_b32 vcc_lo, exec_lo, s3
	s_cbranch_vccnz .LBB48_208
; %bb.207:
	scratch_load_b64 v[102:103], v43, off
	ds_load_b64 v[104:105], v1
	s_wait_loadcnt_dscnt 0x0
	v_pk_mul_f32 v[106:107], v[104:105], v[102:103] op_sel:[1,1] op_sel_hi:[0,1]
	s_delay_alu instid0(VALU_DEP_1) | instskip(SKIP_1) | instid1(VALU_DEP_2)
	v_pk_fma_f32 v[108:109], v[104:105], v[102:103], v[106:107] op_sel_hi:[1,0,1]
	v_pk_fma_f32 v[102:103], v[104:105], v[102:103], v[106:107] neg_lo:[0,0,1] neg_hi:[0,0,1]
	v_mov_b32_e32 v103, v109
	s_cbranch_execz .LBB48_209
	s_branch .LBB48_210
.LBB48_208:
                                        ; implicit-def: $vgpr102_vgpr103
.LBB48_209:
	ds_load_b64 v[102:103], v1
.LBB48_210:
	s_and_saveexec_b32 s20, s0
	s_cbranch_execz .LBB48_214
; %bb.211:
	v_subrev_nc_u32_e32 v104, 28, v0
	s_movk_i32 s21, 0x270
	s_mov_b32 s0, 0
.LBB48_212:                             ; =>This Inner Loop Header: Depth=1
	scratch_load_b64 v[106:107], off, s19
	v_dual_mov_b32 v105, s21 :: v_dual_add_nc_u32 v104, -1, v104
	s_add_co_i32 s21, s21, 8
	s_wait_xcnt 0x0
	s_add_co_i32 s19, s19, 8
	ds_load_b64 v[108:109], v105
	v_cmp_eq_u32_e32 vcc_lo, 0, v104
	s_or_b32 s0, vcc_lo, s0
	s_wait_loadcnt_dscnt 0x0
	v_pk_mul_f32 v[110:111], v[108:109], v[106:107] op_sel:[1,1] op_sel_hi:[0,1]
	s_delay_alu instid0(VALU_DEP_1) | instskip(SKIP_1) | instid1(VALU_DEP_2)
	v_pk_fma_f32 v[112:113], v[108:109], v[106:107], v[110:111] op_sel_hi:[1,0,1]
	v_pk_fma_f32 v[106:107], v[108:109], v[106:107], v[110:111] neg_lo:[0,0,1] neg_hi:[0,0,1]
	v_mov_b32_e32 v107, v113
	s_delay_alu instid0(VALU_DEP_1)
	v_pk_add_f32 v[102:103], v[102:103], v[106:107]
	s_and_not1_b32 exec_lo, exec_lo, s0
	s_cbranch_execnz .LBB48_212
; %bb.213:
	s_or_b32 exec_lo, exec_lo, s0
.LBB48_214:
	s_delay_alu instid0(SALU_CYCLE_1) | instskip(SKIP_4) | instid1(VALU_DEP_1)
	s_or_b32 exec_lo, exec_lo, s20
	v_mov_b32_e32 v104, 0
	ds_load_b64 v[104:105], v104 offset:216
	s_wait_dscnt 0x0
	v_pk_mul_f32 v[106:107], v[102:103], v[104:105] op_sel:[1,1] op_sel_hi:[0,1]
	v_pk_fma_f32 v[108:109], v[102:103], v[104:105], v[106:107] op_sel_hi:[1,0,1]
	v_pk_fma_f32 v[102:103], v[102:103], v[104:105], v[106:107] neg_lo:[0,0,1] neg_hi:[0,0,1]
	s_delay_alu instid0(VALU_DEP_2)
	v_mov_b32_e32 v103, v109
	scratch_store_b64 off, v[102:103], off offset:216
.LBB48_215:
	s_wait_xcnt 0x0
	s_or_b32 exec_lo, exec_lo, s2
	scratch_load_b64 v[102:103], off, off offset:208
	v_cmp_lt_u32_e64 s0, 26, v0
	s_wait_loadcnt 0x0
	ds_store_b64 v1, v[102:103]
	s_wait_storecnt_dscnt 0x0
	s_barrier_signal -1
	s_barrier_wait -1
	s_wait_xcnt 0x0
	s_and_saveexec_b32 s2, s0
	s_cbranch_execz .LBB48_225
; %bb.216:
	s_and_not1_b32 vcc_lo, exec_lo, s3
	s_cbranch_vccnz .LBB48_218
; %bb.217:
	scratch_load_b64 v[102:103], v43, off
	ds_load_b64 v[104:105], v1
	s_wait_loadcnt_dscnt 0x0
	v_pk_mul_f32 v[106:107], v[104:105], v[102:103] op_sel:[1,1] op_sel_hi:[0,1]
	s_delay_alu instid0(VALU_DEP_1) | instskip(SKIP_1) | instid1(VALU_DEP_2)
	v_pk_fma_f32 v[108:109], v[104:105], v[102:103], v[106:107] op_sel_hi:[1,0,1]
	v_pk_fma_f32 v[102:103], v[104:105], v[102:103], v[106:107] neg_lo:[0,0,1] neg_hi:[0,0,1]
	v_mov_b32_e32 v103, v109
	s_cbranch_execz .LBB48_219
	s_branch .LBB48_220
.LBB48_218:
                                        ; implicit-def: $vgpr102_vgpr103
.LBB48_219:
	ds_load_b64 v[102:103], v1
.LBB48_220:
	s_and_saveexec_b32 s19, s1
	s_cbranch_execz .LBB48_224
; %bb.221:
	v_subrev_nc_u32_e32 v104, 27, v0
	s_movk_i32 s1, 0xd8
	s_movk_i32 s21, 0x268
	s_mov_b32 s20, 0
.LBB48_222:                             ; =>This Inner Loop Header: Depth=1
	scratch_load_b64 v[106:107], off, s1
	v_dual_mov_b32 v105, s21 :: v_dual_add_nc_u32 v104, -1, v104
	s_add_co_i32 s21, s21, 8
	s_wait_xcnt 0x0
	s_add_co_i32 s1, s1, 8
	ds_load_b64 v[108:109], v105
	v_cmp_eq_u32_e32 vcc_lo, 0, v104
	s_or_b32 s20, vcc_lo, s20
	s_wait_loadcnt_dscnt 0x0
	v_pk_mul_f32 v[110:111], v[108:109], v[106:107] op_sel:[1,1] op_sel_hi:[0,1]
	s_delay_alu instid0(VALU_DEP_1) | instskip(SKIP_1) | instid1(VALU_DEP_2)
	v_pk_fma_f32 v[112:113], v[108:109], v[106:107], v[110:111] op_sel_hi:[1,0,1]
	v_pk_fma_f32 v[106:107], v[108:109], v[106:107], v[110:111] neg_lo:[0,0,1] neg_hi:[0,0,1]
	v_mov_b32_e32 v107, v113
	s_delay_alu instid0(VALU_DEP_1)
	v_pk_add_f32 v[102:103], v[102:103], v[106:107]
	s_and_not1_b32 exec_lo, exec_lo, s20
	s_cbranch_execnz .LBB48_222
; %bb.223:
	s_or_b32 exec_lo, exec_lo, s20
.LBB48_224:
	s_delay_alu instid0(SALU_CYCLE_1) | instskip(SKIP_4) | instid1(VALU_DEP_1)
	s_or_b32 exec_lo, exec_lo, s19
	v_mov_b32_e32 v104, 0
	ds_load_b64 v[104:105], v104 offset:208
	s_wait_dscnt 0x0
	v_pk_mul_f32 v[106:107], v[102:103], v[104:105] op_sel:[1,1] op_sel_hi:[0,1]
	v_pk_fma_f32 v[108:109], v[102:103], v[104:105], v[106:107] op_sel_hi:[1,0,1]
	v_pk_fma_f32 v[102:103], v[102:103], v[104:105], v[106:107] neg_lo:[0,0,1] neg_hi:[0,0,1]
	s_delay_alu instid0(VALU_DEP_2)
	v_mov_b32_e32 v103, v109
	scratch_store_b64 off, v[102:103], off offset:208
.LBB48_225:
	s_wait_xcnt 0x0
	s_or_b32 exec_lo, exec_lo, s2
	scratch_load_b64 v[102:103], off, off offset:200
	v_cmp_lt_u32_e64 s1, 25, v0
	s_wait_loadcnt 0x0
	ds_store_b64 v1, v[102:103]
	s_wait_storecnt_dscnt 0x0
	s_barrier_signal -1
	s_barrier_wait -1
	s_wait_xcnt 0x0
	s_and_saveexec_b32 s2, s1
	s_cbranch_execz .LBB48_235
; %bb.226:
	s_and_not1_b32 vcc_lo, exec_lo, s3
	s_cbranch_vccnz .LBB48_228
; %bb.227:
	scratch_load_b64 v[102:103], v43, off
	ds_load_b64 v[104:105], v1
	s_wait_loadcnt_dscnt 0x0
	v_pk_mul_f32 v[106:107], v[104:105], v[102:103] op_sel:[1,1] op_sel_hi:[0,1]
	s_delay_alu instid0(VALU_DEP_1) | instskip(SKIP_1) | instid1(VALU_DEP_2)
	v_pk_fma_f32 v[108:109], v[104:105], v[102:103], v[106:107] op_sel_hi:[1,0,1]
	v_pk_fma_f32 v[102:103], v[104:105], v[102:103], v[106:107] neg_lo:[0,0,1] neg_hi:[0,0,1]
	v_mov_b32_e32 v103, v109
	s_cbranch_execz .LBB48_229
	s_branch .LBB48_230
.LBB48_228:
                                        ; implicit-def: $vgpr102_vgpr103
.LBB48_229:
	ds_load_b64 v[102:103], v1
.LBB48_230:
	s_and_saveexec_b32 s19, s0
	s_cbranch_execz .LBB48_234
; %bb.231:
	v_subrev_nc_u32_e32 v104, 26, v0
	s_movk_i32 s20, 0x260
	s_mov_b32 s0, 0
.LBB48_232:                             ; =>This Inner Loop Header: Depth=1
	scratch_load_b64 v[106:107], off, s18
	v_dual_mov_b32 v105, s20 :: v_dual_add_nc_u32 v104, -1, v104
	s_add_co_i32 s20, s20, 8
	s_wait_xcnt 0x0
	s_add_co_i32 s18, s18, 8
	ds_load_b64 v[108:109], v105
	v_cmp_eq_u32_e32 vcc_lo, 0, v104
	s_or_b32 s0, vcc_lo, s0
	s_wait_loadcnt_dscnt 0x0
	v_pk_mul_f32 v[110:111], v[108:109], v[106:107] op_sel:[1,1] op_sel_hi:[0,1]
	s_delay_alu instid0(VALU_DEP_1) | instskip(SKIP_1) | instid1(VALU_DEP_2)
	v_pk_fma_f32 v[112:113], v[108:109], v[106:107], v[110:111] op_sel_hi:[1,0,1]
	v_pk_fma_f32 v[106:107], v[108:109], v[106:107], v[110:111] neg_lo:[0,0,1] neg_hi:[0,0,1]
	v_mov_b32_e32 v107, v113
	s_delay_alu instid0(VALU_DEP_1)
	v_pk_add_f32 v[102:103], v[102:103], v[106:107]
	s_and_not1_b32 exec_lo, exec_lo, s0
	s_cbranch_execnz .LBB48_232
; %bb.233:
	s_or_b32 exec_lo, exec_lo, s0
.LBB48_234:
	s_delay_alu instid0(SALU_CYCLE_1) | instskip(SKIP_4) | instid1(VALU_DEP_1)
	s_or_b32 exec_lo, exec_lo, s19
	v_mov_b32_e32 v104, 0
	ds_load_b64 v[104:105], v104 offset:200
	s_wait_dscnt 0x0
	v_pk_mul_f32 v[106:107], v[102:103], v[104:105] op_sel:[1,1] op_sel_hi:[0,1]
	v_pk_fma_f32 v[108:109], v[102:103], v[104:105], v[106:107] op_sel_hi:[1,0,1]
	v_pk_fma_f32 v[102:103], v[102:103], v[104:105], v[106:107] neg_lo:[0,0,1] neg_hi:[0,0,1]
	s_delay_alu instid0(VALU_DEP_2)
	v_mov_b32_e32 v103, v109
	scratch_store_b64 off, v[102:103], off offset:200
.LBB48_235:
	s_wait_xcnt 0x0
	s_or_b32 exec_lo, exec_lo, s2
	scratch_load_b64 v[102:103], off, off offset:192
	v_cmp_lt_u32_e64 s0, 24, v0
	s_wait_loadcnt 0x0
	ds_store_b64 v1, v[102:103]
	s_wait_storecnt_dscnt 0x0
	s_barrier_signal -1
	s_barrier_wait -1
	s_wait_xcnt 0x0
	s_and_saveexec_b32 s2, s0
	s_cbranch_execz .LBB48_245
; %bb.236:
	s_and_not1_b32 vcc_lo, exec_lo, s3
	s_cbranch_vccnz .LBB48_238
; %bb.237:
	scratch_load_b64 v[102:103], v43, off
	ds_load_b64 v[104:105], v1
	s_wait_loadcnt_dscnt 0x0
	v_pk_mul_f32 v[106:107], v[104:105], v[102:103] op_sel:[1,1] op_sel_hi:[0,1]
	s_delay_alu instid0(VALU_DEP_1) | instskip(SKIP_1) | instid1(VALU_DEP_2)
	v_pk_fma_f32 v[108:109], v[104:105], v[102:103], v[106:107] op_sel_hi:[1,0,1]
	v_pk_fma_f32 v[102:103], v[104:105], v[102:103], v[106:107] neg_lo:[0,0,1] neg_hi:[0,0,1]
	v_mov_b32_e32 v103, v109
	s_cbranch_execz .LBB48_239
	s_branch .LBB48_240
.LBB48_238:
                                        ; implicit-def: $vgpr102_vgpr103
.LBB48_239:
	ds_load_b64 v[102:103], v1
.LBB48_240:
	s_and_saveexec_b32 s18, s1
	s_cbranch_execz .LBB48_244
; %bb.241:
	v_subrev_nc_u32_e32 v104, 25, v0
	s_movk_i32 s1, 0xc8
	s_movk_i32 s20, 0x258
	s_mov_b32 s19, 0
.LBB48_242:                             ; =>This Inner Loop Header: Depth=1
	scratch_load_b64 v[106:107], off, s1
	v_dual_mov_b32 v105, s20 :: v_dual_add_nc_u32 v104, -1, v104
	s_add_co_i32 s20, s20, 8
	s_wait_xcnt 0x0
	s_add_co_i32 s1, s1, 8
	ds_load_b64 v[108:109], v105
	v_cmp_eq_u32_e32 vcc_lo, 0, v104
	s_or_b32 s19, vcc_lo, s19
	s_wait_loadcnt_dscnt 0x0
	v_pk_mul_f32 v[110:111], v[108:109], v[106:107] op_sel:[1,1] op_sel_hi:[0,1]
	s_delay_alu instid0(VALU_DEP_1) | instskip(SKIP_1) | instid1(VALU_DEP_2)
	v_pk_fma_f32 v[112:113], v[108:109], v[106:107], v[110:111] op_sel_hi:[1,0,1]
	v_pk_fma_f32 v[106:107], v[108:109], v[106:107], v[110:111] neg_lo:[0,0,1] neg_hi:[0,0,1]
	v_mov_b32_e32 v107, v113
	s_delay_alu instid0(VALU_DEP_1)
	v_pk_add_f32 v[102:103], v[102:103], v[106:107]
	s_and_not1_b32 exec_lo, exec_lo, s19
	s_cbranch_execnz .LBB48_242
; %bb.243:
	s_or_b32 exec_lo, exec_lo, s19
.LBB48_244:
	s_delay_alu instid0(SALU_CYCLE_1) | instskip(SKIP_4) | instid1(VALU_DEP_1)
	s_or_b32 exec_lo, exec_lo, s18
	v_mov_b32_e32 v104, 0
	ds_load_b64 v[104:105], v104 offset:192
	s_wait_dscnt 0x0
	v_pk_mul_f32 v[106:107], v[102:103], v[104:105] op_sel:[1,1] op_sel_hi:[0,1]
	v_pk_fma_f32 v[108:109], v[102:103], v[104:105], v[106:107] op_sel_hi:[1,0,1]
	v_pk_fma_f32 v[102:103], v[102:103], v[104:105], v[106:107] neg_lo:[0,0,1] neg_hi:[0,0,1]
	s_delay_alu instid0(VALU_DEP_2)
	v_mov_b32_e32 v103, v109
	scratch_store_b64 off, v[102:103], off offset:192
.LBB48_245:
	s_wait_xcnt 0x0
	s_or_b32 exec_lo, exec_lo, s2
	scratch_load_b64 v[102:103], off, off offset:184
	v_cmp_lt_u32_e64 s1, 23, v0
	s_wait_loadcnt 0x0
	ds_store_b64 v1, v[102:103]
	s_wait_storecnt_dscnt 0x0
	s_barrier_signal -1
	s_barrier_wait -1
	s_wait_xcnt 0x0
	s_and_saveexec_b32 s2, s1
	s_cbranch_execz .LBB48_255
; %bb.246:
	s_and_not1_b32 vcc_lo, exec_lo, s3
	s_cbranch_vccnz .LBB48_248
; %bb.247:
	scratch_load_b64 v[102:103], v43, off
	ds_load_b64 v[104:105], v1
	s_wait_loadcnt_dscnt 0x0
	v_pk_mul_f32 v[106:107], v[104:105], v[102:103] op_sel:[1,1] op_sel_hi:[0,1]
	s_delay_alu instid0(VALU_DEP_1) | instskip(SKIP_1) | instid1(VALU_DEP_2)
	v_pk_fma_f32 v[108:109], v[104:105], v[102:103], v[106:107] op_sel_hi:[1,0,1]
	v_pk_fma_f32 v[102:103], v[104:105], v[102:103], v[106:107] neg_lo:[0,0,1] neg_hi:[0,0,1]
	v_mov_b32_e32 v103, v109
	s_cbranch_execz .LBB48_249
	s_branch .LBB48_250
.LBB48_248:
                                        ; implicit-def: $vgpr102_vgpr103
.LBB48_249:
	ds_load_b64 v[102:103], v1
.LBB48_250:
	s_and_saveexec_b32 s18, s0
	s_cbranch_execz .LBB48_254
; %bb.251:
	v_subrev_nc_u32_e32 v104, 24, v0
	s_movk_i32 s19, 0x250
	s_mov_b32 s0, 0
.LBB48_252:                             ; =>This Inner Loop Header: Depth=1
	scratch_load_b64 v[106:107], off, s17
	v_dual_mov_b32 v105, s19 :: v_dual_add_nc_u32 v104, -1, v104
	s_add_co_i32 s19, s19, 8
	s_wait_xcnt 0x0
	s_add_co_i32 s17, s17, 8
	ds_load_b64 v[108:109], v105
	v_cmp_eq_u32_e32 vcc_lo, 0, v104
	s_or_b32 s0, vcc_lo, s0
	s_wait_loadcnt_dscnt 0x0
	v_pk_mul_f32 v[110:111], v[108:109], v[106:107] op_sel:[1,1] op_sel_hi:[0,1]
	s_delay_alu instid0(VALU_DEP_1) | instskip(SKIP_1) | instid1(VALU_DEP_2)
	v_pk_fma_f32 v[112:113], v[108:109], v[106:107], v[110:111] op_sel_hi:[1,0,1]
	v_pk_fma_f32 v[106:107], v[108:109], v[106:107], v[110:111] neg_lo:[0,0,1] neg_hi:[0,0,1]
	v_mov_b32_e32 v107, v113
	s_delay_alu instid0(VALU_DEP_1)
	v_pk_add_f32 v[102:103], v[102:103], v[106:107]
	s_and_not1_b32 exec_lo, exec_lo, s0
	s_cbranch_execnz .LBB48_252
; %bb.253:
	s_or_b32 exec_lo, exec_lo, s0
.LBB48_254:
	s_delay_alu instid0(SALU_CYCLE_1) | instskip(SKIP_4) | instid1(VALU_DEP_1)
	s_or_b32 exec_lo, exec_lo, s18
	v_mov_b32_e32 v104, 0
	ds_load_b64 v[104:105], v104 offset:184
	s_wait_dscnt 0x0
	v_pk_mul_f32 v[106:107], v[102:103], v[104:105] op_sel:[1,1] op_sel_hi:[0,1]
	v_pk_fma_f32 v[108:109], v[102:103], v[104:105], v[106:107] op_sel_hi:[1,0,1]
	v_pk_fma_f32 v[102:103], v[102:103], v[104:105], v[106:107] neg_lo:[0,0,1] neg_hi:[0,0,1]
	s_delay_alu instid0(VALU_DEP_2)
	v_mov_b32_e32 v103, v109
	scratch_store_b64 off, v[102:103], off offset:184
.LBB48_255:
	s_wait_xcnt 0x0
	s_or_b32 exec_lo, exec_lo, s2
	scratch_load_b64 v[102:103], off, off offset:176
	v_cmp_lt_u32_e64 s0, 22, v0
	s_wait_loadcnt 0x0
	ds_store_b64 v1, v[102:103]
	s_wait_storecnt_dscnt 0x0
	s_barrier_signal -1
	s_barrier_wait -1
	s_wait_xcnt 0x0
	s_and_saveexec_b32 s2, s0
	s_cbranch_execz .LBB48_265
; %bb.256:
	s_and_not1_b32 vcc_lo, exec_lo, s3
	s_cbranch_vccnz .LBB48_258
; %bb.257:
	scratch_load_b64 v[102:103], v43, off
	ds_load_b64 v[104:105], v1
	s_wait_loadcnt_dscnt 0x0
	v_pk_mul_f32 v[106:107], v[104:105], v[102:103] op_sel:[1,1] op_sel_hi:[0,1]
	s_delay_alu instid0(VALU_DEP_1) | instskip(SKIP_1) | instid1(VALU_DEP_2)
	v_pk_fma_f32 v[108:109], v[104:105], v[102:103], v[106:107] op_sel_hi:[1,0,1]
	v_pk_fma_f32 v[102:103], v[104:105], v[102:103], v[106:107] neg_lo:[0,0,1] neg_hi:[0,0,1]
	v_mov_b32_e32 v103, v109
	s_cbranch_execz .LBB48_259
	s_branch .LBB48_260
.LBB48_258:
                                        ; implicit-def: $vgpr102_vgpr103
.LBB48_259:
	ds_load_b64 v[102:103], v1
.LBB48_260:
	s_and_saveexec_b32 s17, s1
	s_cbranch_execz .LBB48_264
; %bb.261:
	v_subrev_nc_u32_e32 v104, 23, v0
	s_movk_i32 s1, 0xb8
	s_movk_i32 s19, 0x248
	s_mov_b32 s18, 0
.LBB48_262:                             ; =>This Inner Loop Header: Depth=1
	scratch_load_b64 v[106:107], off, s1
	v_dual_mov_b32 v105, s19 :: v_dual_add_nc_u32 v104, -1, v104
	s_add_co_i32 s19, s19, 8
	s_wait_xcnt 0x0
	s_add_co_i32 s1, s1, 8
	ds_load_b64 v[108:109], v105
	v_cmp_eq_u32_e32 vcc_lo, 0, v104
	s_or_b32 s18, vcc_lo, s18
	s_wait_loadcnt_dscnt 0x0
	v_pk_mul_f32 v[110:111], v[108:109], v[106:107] op_sel:[1,1] op_sel_hi:[0,1]
	s_delay_alu instid0(VALU_DEP_1) | instskip(SKIP_1) | instid1(VALU_DEP_2)
	v_pk_fma_f32 v[112:113], v[108:109], v[106:107], v[110:111] op_sel_hi:[1,0,1]
	v_pk_fma_f32 v[106:107], v[108:109], v[106:107], v[110:111] neg_lo:[0,0,1] neg_hi:[0,0,1]
	v_mov_b32_e32 v107, v113
	s_delay_alu instid0(VALU_DEP_1)
	v_pk_add_f32 v[102:103], v[102:103], v[106:107]
	s_and_not1_b32 exec_lo, exec_lo, s18
	s_cbranch_execnz .LBB48_262
; %bb.263:
	s_or_b32 exec_lo, exec_lo, s18
.LBB48_264:
	s_delay_alu instid0(SALU_CYCLE_1) | instskip(SKIP_4) | instid1(VALU_DEP_1)
	s_or_b32 exec_lo, exec_lo, s17
	v_mov_b32_e32 v104, 0
	ds_load_b64 v[104:105], v104 offset:176
	s_wait_dscnt 0x0
	v_pk_mul_f32 v[106:107], v[102:103], v[104:105] op_sel:[1,1] op_sel_hi:[0,1]
	v_pk_fma_f32 v[108:109], v[102:103], v[104:105], v[106:107] op_sel_hi:[1,0,1]
	v_pk_fma_f32 v[102:103], v[102:103], v[104:105], v[106:107] neg_lo:[0,0,1] neg_hi:[0,0,1]
	s_delay_alu instid0(VALU_DEP_2)
	v_mov_b32_e32 v103, v109
	scratch_store_b64 off, v[102:103], off offset:176
.LBB48_265:
	s_wait_xcnt 0x0
	s_or_b32 exec_lo, exec_lo, s2
	scratch_load_b64 v[102:103], off, off offset:168
	v_cmp_lt_u32_e64 s1, 21, v0
	s_wait_loadcnt 0x0
	ds_store_b64 v1, v[102:103]
	s_wait_storecnt_dscnt 0x0
	s_barrier_signal -1
	s_barrier_wait -1
	s_wait_xcnt 0x0
	s_and_saveexec_b32 s2, s1
	s_cbranch_execz .LBB48_275
; %bb.266:
	s_and_not1_b32 vcc_lo, exec_lo, s3
	s_cbranch_vccnz .LBB48_268
; %bb.267:
	scratch_load_b64 v[102:103], v43, off
	ds_load_b64 v[104:105], v1
	s_wait_loadcnt_dscnt 0x0
	v_pk_mul_f32 v[106:107], v[104:105], v[102:103] op_sel:[1,1] op_sel_hi:[0,1]
	s_delay_alu instid0(VALU_DEP_1) | instskip(SKIP_1) | instid1(VALU_DEP_2)
	v_pk_fma_f32 v[108:109], v[104:105], v[102:103], v[106:107] op_sel_hi:[1,0,1]
	v_pk_fma_f32 v[102:103], v[104:105], v[102:103], v[106:107] neg_lo:[0,0,1] neg_hi:[0,0,1]
	v_mov_b32_e32 v103, v109
	s_cbranch_execz .LBB48_269
	s_branch .LBB48_270
.LBB48_268:
                                        ; implicit-def: $vgpr102_vgpr103
.LBB48_269:
	ds_load_b64 v[102:103], v1
.LBB48_270:
	s_and_saveexec_b32 s17, s0
	s_cbranch_execz .LBB48_274
; %bb.271:
	v_subrev_nc_u32_e32 v104, 22, v0
	s_movk_i32 s18, 0x240
	s_mov_b32 s0, 0
.LBB48_272:                             ; =>This Inner Loop Header: Depth=1
	scratch_load_b64 v[106:107], off, s16
	v_dual_mov_b32 v105, s18 :: v_dual_add_nc_u32 v104, -1, v104
	s_add_co_i32 s18, s18, 8
	s_wait_xcnt 0x0
	s_add_co_i32 s16, s16, 8
	ds_load_b64 v[108:109], v105
	v_cmp_eq_u32_e32 vcc_lo, 0, v104
	s_or_b32 s0, vcc_lo, s0
	s_wait_loadcnt_dscnt 0x0
	v_pk_mul_f32 v[110:111], v[108:109], v[106:107] op_sel:[1,1] op_sel_hi:[0,1]
	s_delay_alu instid0(VALU_DEP_1) | instskip(SKIP_1) | instid1(VALU_DEP_2)
	v_pk_fma_f32 v[112:113], v[108:109], v[106:107], v[110:111] op_sel_hi:[1,0,1]
	v_pk_fma_f32 v[106:107], v[108:109], v[106:107], v[110:111] neg_lo:[0,0,1] neg_hi:[0,0,1]
	v_mov_b32_e32 v107, v113
	s_delay_alu instid0(VALU_DEP_1)
	v_pk_add_f32 v[102:103], v[102:103], v[106:107]
	s_and_not1_b32 exec_lo, exec_lo, s0
	s_cbranch_execnz .LBB48_272
; %bb.273:
	s_or_b32 exec_lo, exec_lo, s0
.LBB48_274:
	s_delay_alu instid0(SALU_CYCLE_1) | instskip(SKIP_4) | instid1(VALU_DEP_1)
	s_or_b32 exec_lo, exec_lo, s17
	v_mov_b32_e32 v104, 0
	ds_load_b64 v[104:105], v104 offset:168
	s_wait_dscnt 0x0
	v_pk_mul_f32 v[106:107], v[102:103], v[104:105] op_sel:[1,1] op_sel_hi:[0,1]
	v_pk_fma_f32 v[108:109], v[102:103], v[104:105], v[106:107] op_sel_hi:[1,0,1]
	v_pk_fma_f32 v[102:103], v[102:103], v[104:105], v[106:107] neg_lo:[0,0,1] neg_hi:[0,0,1]
	s_delay_alu instid0(VALU_DEP_2)
	v_mov_b32_e32 v103, v109
	scratch_store_b64 off, v[102:103], off offset:168
.LBB48_275:
	s_wait_xcnt 0x0
	s_or_b32 exec_lo, exec_lo, s2
	scratch_load_b64 v[102:103], off, off offset:160
	v_cmp_lt_u32_e64 s0, 20, v0
	s_wait_loadcnt 0x0
	ds_store_b64 v1, v[102:103]
	s_wait_storecnt_dscnt 0x0
	s_barrier_signal -1
	s_barrier_wait -1
	s_wait_xcnt 0x0
	s_and_saveexec_b32 s2, s0
	s_cbranch_execz .LBB48_285
; %bb.276:
	s_and_not1_b32 vcc_lo, exec_lo, s3
	s_cbranch_vccnz .LBB48_278
; %bb.277:
	scratch_load_b64 v[102:103], v43, off
	ds_load_b64 v[104:105], v1
	s_wait_loadcnt_dscnt 0x0
	v_pk_mul_f32 v[106:107], v[104:105], v[102:103] op_sel:[1,1] op_sel_hi:[0,1]
	s_delay_alu instid0(VALU_DEP_1) | instskip(SKIP_1) | instid1(VALU_DEP_2)
	v_pk_fma_f32 v[108:109], v[104:105], v[102:103], v[106:107] op_sel_hi:[1,0,1]
	v_pk_fma_f32 v[102:103], v[104:105], v[102:103], v[106:107] neg_lo:[0,0,1] neg_hi:[0,0,1]
	v_mov_b32_e32 v103, v109
	s_cbranch_execz .LBB48_279
	s_branch .LBB48_280
.LBB48_278:
                                        ; implicit-def: $vgpr102_vgpr103
.LBB48_279:
	ds_load_b64 v[102:103], v1
.LBB48_280:
	s_and_saveexec_b32 s16, s1
	s_cbranch_execz .LBB48_284
; %bb.281:
	v_subrev_nc_u32_e32 v104, 21, v0
	s_movk_i32 s1, 0xa8
	s_movk_i32 s18, 0x238
	s_mov_b32 s17, 0
.LBB48_282:                             ; =>This Inner Loop Header: Depth=1
	scratch_load_b64 v[106:107], off, s1
	v_dual_mov_b32 v105, s18 :: v_dual_add_nc_u32 v104, -1, v104
	s_add_co_i32 s18, s18, 8
	s_wait_xcnt 0x0
	s_add_co_i32 s1, s1, 8
	ds_load_b64 v[108:109], v105
	v_cmp_eq_u32_e32 vcc_lo, 0, v104
	s_or_b32 s17, vcc_lo, s17
	s_wait_loadcnt_dscnt 0x0
	v_pk_mul_f32 v[110:111], v[108:109], v[106:107] op_sel:[1,1] op_sel_hi:[0,1]
	s_delay_alu instid0(VALU_DEP_1) | instskip(SKIP_1) | instid1(VALU_DEP_2)
	v_pk_fma_f32 v[112:113], v[108:109], v[106:107], v[110:111] op_sel_hi:[1,0,1]
	v_pk_fma_f32 v[106:107], v[108:109], v[106:107], v[110:111] neg_lo:[0,0,1] neg_hi:[0,0,1]
	v_mov_b32_e32 v107, v113
	s_delay_alu instid0(VALU_DEP_1)
	v_pk_add_f32 v[102:103], v[102:103], v[106:107]
	s_and_not1_b32 exec_lo, exec_lo, s17
	s_cbranch_execnz .LBB48_282
; %bb.283:
	s_or_b32 exec_lo, exec_lo, s17
.LBB48_284:
	s_delay_alu instid0(SALU_CYCLE_1) | instskip(SKIP_4) | instid1(VALU_DEP_1)
	s_or_b32 exec_lo, exec_lo, s16
	v_mov_b32_e32 v104, 0
	ds_load_b64 v[104:105], v104 offset:160
	s_wait_dscnt 0x0
	v_pk_mul_f32 v[106:107], v[102:103], v[104:105] op_sel:[1,1] op_sel_hi:[0,1]
	v_pk_fma_f32 v[108:109], v[102:103], v[104:105], v[106:107] op_sel_hi:[1,0,1]
	v_pk_fma_f32 v[102:103], v[102:103], v[104:105], v[106:107] neg_lo:[0,0,1] neg_hi:[0,0,1]
	s_delay_alu instid0(VALU_DEP_2)
	v_mov_b32_e32 v103, v109
	scratch_store_b64 off, v[102:103], off offset:160
.LBB48_285:
	s_wait_xcnt 0x0
	s_or_b32 exec_lo, exec_lo, s2
	scratch_load_b64 v[102:103], off, off offset:152
	v_cmp_lt_u32_e64 s1, 19, v0
	s_wait_loadcnt 0x0
	ds_store_b64 v1, v[102:103]
	s_wait_storecnt_dscnt 0x0
	s_barrier_signal -1
	s_barrier_wait -1
	s_wait_xcnt 0x0
	s_and_saveexec_b32 s2, s1
	s_cbranch_execz .LBB48_295
; %bb.286:
	s_and_not1_b32 vcc_lo, exec_lo, s3
	s_cbranch_vccnz .LBB48_288
; %bb.287:
	scratch_load_b64 v[102:103], v43, off
	ds_load_b64 v[104:105], v1
	s_wait_loadcnt_dscnt 0x0
	v_pk_mul_f32 v[106:107], v[104:105], v[102:103] op_sel:[1,1] op_sel_hi:[0,1]
	s_delay_alu instid0(VALU_DEP_1) | instskip(SKIP_1) | instid1(VALU_DEP_2)
	v_pk_fma_f32 v[108:109], v[104:105], v[102:103], v[106:107] op_sel_hi:[1,0,1]
	v_pk_fma_f32 v[102:103], v[104:105], v[102:103], v[106:107] neg_lo:[0,0,1] neg_hi:[0,0,1]
	v_mov_b32_e32 v103, v109
	s_cbranch_execz .LBB48_289
	s_branch .LBB48_290
.LBB48_288:
                                        ; implicit-def: $vgpr102_vgpr103
.LBB48_289:
	ds_load_b64 v[102:103], v1
.LBB48_290:
	s_and_saveexec_b32 s16, s0
	s_cbranch_execz .LBB48_294
; %bb.291:
	v_subrev_nc_u32_e32 v104, 20, v0
	s_movk_i32 s17, 0x230
	s_mov_b32 s0, 0
.LBB48_292:                             ; =>This Inner Loop Header: Depth=1
	scratch_load_b64 v[106:107], off, s15
	v_dual_mov_b32 v105, s17 :: v_dual_add_nc_u32 v104, -1, v104
	s_add_co_i32 s17, s17, 8
	s_wait_xcnt 0x0
	s_add_co_i32 s15, s15, 8
	ds_load_b64 v[108:109], v105
	v_cmp_eq_u32_e32 vcc_lo, 0, v104
	s_or_b32 s0, vcc_lo, s0
	s_wait_loadcnt_dscnt 0x0
	v_pk_mul_f32 v[110:111], v[108:109], v[106:107] op_sel:[1,1] op_sel_hi:[0,1]
	s_delay_alu instid0(VALU_DEP_1) | instskip(SKIP_1) | instid1(VALU_DEP_2)
	v_pk_fma_f32 v[112:113], v[108:109], v[106:107], v[110:111] op_sel_hi:[1,0,1]
	v_pk_fma_f32 v[106:107], v[108:109], v[106:107], v[110:111] neg_lo:[0,0,1] neg_hi:[0,0,1]
	v_mov_b32_e32 v107, v113
	s_delay_alu instid0(VALU_DEP_1)
	v_pk_add_f32 v[102:103], v[102:103], v[106:107]
	s_and_not1_b32 exec_lo, exec_lo, s0
	s_cbranch_execnz .LBB48_292
; %bb.293:
	s_or_b32 exec_lo, exec_lo, s0
.LBB48_294:
	s_delay_alu instid0(SALU_CYCLE_1) | instskip(SKIP_4) | instid1(VALU_DEP_1)
	s_or_b32 exec_lo, exec_lo, s16
	v_mov_b32_e32 v104, 0
	ds_load_b64 v[104:105], v104 offset:152
	s_wait_dscnt 0x0
	v_pk_mul_f32 v[106:107], v[102:103], v[104:105] op_sel:[1,1] op_sel_hi:[0,1]
	v_pk_fma_f32 v[108:109], v[102:103], v[104:105], v[106:107] op_sel_hi:[1,0,1]
	v_pk_fma_f32 v[102:103], v[102:103], v[104:105], v[106:107] neg_lo:[0,0,1] neg_hi:[0,0,1]
	s_delay_alu instid0(VALU_DEP_2)
	v_mov_b32_e32 v103, v109
	scratch_store_b64 off, v[102:103], off offset:152
.LBB48_295:
	s_wait_xcnt 0x0
	s_or_b32 exec_lo, exec_lo, s2
	scratch_load_b64 v[102:103], off, off offset:144
	v_cmp_lt_u32_e64 s0, 18, v0
	s_wait_loadcnt 0x0
	ds_store_b64 v1, v[102:103]
	s_wait_storecnt_dscnt 0x0
	s_barrier_signal -1
	s_barrier_wait -1
	s_wait_xcnt 0x0
	s_and_saveexec_b32 s2, s0
	s_cbranch_execz .LBB48_305
; %bb.296:
	s_and_not1_b32 vcc_lo, exec_lo, s3
	s_cbranch_vccnz .LBB48_298
; %bb.297:
	scratch_load_b64 v[102:103], v43, off
	ds_load_b64 v[104:105], v1
	s_wait_loadcnt_dscnt 0x0
	v_pk_mul_f32 v[106:107], v[104:105], v[102:103] op_sel:[1,1] op_sel_hi:[0,1]
	s_delay_alu instid0(VALU_DEP_1) | instskip(SKIP_1) | instid1(VALU_DEP_2)
	v_pk_fma_f32 v[108:109], v[104:105], v[102:103], v[106:107] op_sel_hi:[1,0,1]
	v_pk_fma_f32 v[102:103], v[104:105], v[102:103], v[106:107] neg_lo:[0,0,1] neg_hi:[0,0,1]
	v_mov_b32_e32 v103, v109
	s_cbranch_execz .LBB48_299
	s_branch .LBB48_300
.LBB48_298:
                                        ; implicit-def: $vgpr102_vgpr103
.LBB48_299:
	ds_load_b64 v[102:103], v1
.LBB48_300:
	s_and_saveexec_b32 s15, s1
	s_cbranch_execz .LBB48_304
; %bb.301:
	v_subrev_nc_u32_e32 v104, 19, v0
	s_movk_i32 s1, 0x98
	s_movk_i32 s17, 0x228
	s_mov_b32 s16, 0
.LBB48_302:                             ; =>This Inner Loop Header: Depth=1
	scratch_load_b64 v[106:107], off, s1
	v_dual_mov_b32 v105, s17 :: v_dual_add_nc_u32 v104, -1, v104
	s_add_co_i32 s17, s17, 8
	s_wait_xcnt 0x0
	s_add_co_i32 s1, s1, 8
	ds_load_b64 v[108:109], v105
	v_cmp_eq_u32_e32 vcc_lo, 0, v104
	s_or_b32 s16, vcc_lo, s16
	s_wait_loadcnt_dscnt 0x0
	v_pk_mul_f32 v[110:111], v[108:109], v[106:107] op_sel:[1,1] op_sel_hi:[0,1]
	s_delay_alu instid0(VALU_DEP_1) | instskip(SKIP_1) | instid1(VALU_DEP_2)
	v_pk_fma_f32 v[112:113], v[108:109], v[106:107], v[110:111] op_sel_hi:[1,0,1]
	v_pk_fma_f32 v[106:107], v[108:109], v[106:107], v[110:111] neg_lo:[0,0,1] neg_hi:[0,0,1]
	v_mov_b32_e32 v107, v113
	s_delay_alu instid0(VALU_DEP_1)
	v_pk_add_f32 v[102:103], v[102:103], v[106:107]
	s_and_not1_b32 exec_lo, exec_lo, s16
	s_cbranch_execnz .LBB48_302
; %bb.303:
	s_or_b32 exec_lo, exec_lo, s16
.LBB48_304:
	s_delay_alu instid0(SALU_CYCLE_1) | instskip(SKIP_4) | instid1(VALU_DEP_1)
	s_or_b32 exec_lo, exec_lo, s15
	v_mov_b32_e32 v104, 0
	ds_load_b64 v[104:105], v104 offset:144
	s_wait_dscnt 0x0
	v_pk_mul_f32 v[106:107], v[102:103], v[104:105] op_sel:[1,1] op_sel_hi:[0,1]
	v_pk_fma_f32 v[108:109], v[102:103], v[104:105], v[106:107] op_sel_hi:[1,0,1]
	v_pk_fma_f32 v[102:103], v[102:103], v[104:105], v[106:107] neg_lo:[0,0,1] neg_hi:[0,0,1]
	s_delay_alu instid0(VALU_DEP_2)
	v_mov_b32_e32 v103, v109
	scratch_store_b64 off, v[102:103], off offset:144
.LBB48_305:
	s_wait_xcnt 0x0
	s_or_b32 exec_lo, exec_lo, s2
	scratch_load_b64 v[102:103], off, off offset:136
	v_cmp_lt_u32_e64 s1, 17, v0
	s_wait_loadcnt 0x0
	ds_store_b64 v1, v[102:103]
	s_wait_storecnt_dscnt 0x0
	s_barrier_signal -1
	s_barrier_wait -1
	s_wait_xcnt 0x0
	s_and_saveexec_b32 s2, s1
	s_cbranch_execz .LBB48_315
; %bb.306:
	s_and_not1_b32 vcc_lo, exec_lo, s3
	s_cbranch_vccnz .LBB48_308
; %bb.307:
	scratch_load_b64 v[102:103], v43, off
	ds_load_b64 v[104:105], v1
	s_wait_loadcnt_dscnt 0x0
	v_pk_mul_f32 v[106:107], v[104:105], v[102:103] op_sel:[1,1] op_sel_hi:[0,1]
	s_delay_alu instid0(VALU_DEP_1) | instskip(SKIP_1) | instid1(VALU_DEP_2)
	v_pk_fma_f32 v[108:109], v[104:105], v[102:103], v[106:107] op_sel_hi:[1,0,1]
	v_pk_fma_f32 v[102:103], v[104:105], v[102:103], v[106:107] neg_lo:[0,0,1] neg_hi:[0,0,1]
	v_mov_b32_e32 v103, v109
	s_cbranch_execz .LBB48_309
	s_branch .LBB48_310
.LBB48_308:
                                        ; implicit-def: $vgpr102_vgpr103
.LBB48_309:
	ds_load_b64 v[102:103], v1
.LBB48_310:
	s_and_saveexec_b32 s15, s0
	s_cbranch_execz .LBB48_314
; %bb.311:
	v_subrev_nc_u32_e32 v104, 18, v0
	s_movk_i32 s16, 0x220
	s_mov_b32 s0, 0
.LBB48_312:                             ; =>This Inner Loop Header: Depth=1
	scratch_load_b64 v[106:107], off, s14
	v_dual_mov_b32 v105, s16 :: v_dual_add_nc_u32 v104, -1, v104
	s_add_co_i32 s16, s16, 8
	s_wait_xcnt 0x0
	s_add_co_i32 s14, s14, 8
	ds_load_b64 v[108:109], v105
	v_cmp_eq_u32_e32 vcc_lo, 0, v104
	s_or_b32 s0, vcc_lo, s0
	s_wait_loadcnt_dscnt 0x0
	v_pk_mul_f32 v[110:111], v[108:109], v[106:107] op_sel:[1,1] op_sel_hi:[0,1]
	s_delay_alu instid0(VALU_DEP_1) | instskip(SKIP_1) | instid1(VALU_DEP_2)
	v_pk_fma_f32 v[112:113], v[108:109], v[106:107], v[110:111] op_sel_hi:[1,0,1]
	v_pk_fma_f32 v[106:107], v[108:109], v[106:107], v[110:111] neg_lo:[0,0,1] neg_hi:[0,0,1]
	v_mov_b32_e32 v107, v113
	s_delay_alu instid0(VALU_DEP_1)
	v_pk_add_f32 v[102:103], v[102:103], v[106:107]
	s_and_not1_b32 exec_lo, exec_lo, s0
	s_cbranch_execnz .LBB48_312
; %bb.313:
	s_or_b32 exec_lo, exec_lo, s0
.LBB48_314:
	s_delay_alu instid0(SALU_CYCLE_1) | instskip(SKIP_4) | instid1(VALU_DEP_1)
	s_or_b32 exec_lo, exec_lo, s15
	v_mov_b32_e32 v104, 0
	ds_load_b64 v[104:105], v104 offset:136
	s_wait_dscnt 0x0
	v_pk_mul_f32 v[106:107], v[102:103], v[104:105] op_sel:[1,1] op_sel_hi:[0,1]
	v_pk_fma_f32 v[108:109], v[102:103], v[104:105], v[106:107] op_sel_hi:[1,0,1]
	v_pk_fma_f32 v[102:103], v[102:103], v[104:105], v[106:107] neg_lo:[0,0,1] neg_hi:[0,0,1]
	s_delay_alu instid0(VALU_DEP_2)
	v_mov_b32_e32 v103, v109
	scratch_store_b64 off, v[102:103], off offset:136
.LBB48_315:
	s_wait_xcnt 0x0
	s_or_b32 exec_lo, exec_lo, s2
	scratch_load_b64 v[102:103], off, off offset:128
	v_cmp_lt_u32_e64 s0, 16, v0
	s_wait_loadcnt 0x0
	ds_store_b64 v1, v[102:103]
	s_wait_storecnt_dscnt 0x0
	s_barrier_signal -1
	s_barrier_wait -1
	s_wait_xcnt 0x0
	s_and_saveexec_b32 s2, s0
	s_cbranch_execz .LBB48_325
; %bb.316:
	s_and_not1_b32 vcc_lo, exec_lo, s3
	s_cbranch_vccnz .LBB48_318
; %bb.317:
	scratch_load_b64 v[102:103], v43, off
	ds_load_b64 v[104:105], v1
	s_wait_loadcnt_dscnt 0x0
	v_pk_mul_f32 v[106:107], v[104:105], v[102:103] op_sel:[1,1] op_sel_hi:[0,1]
	s_delay_alu instid0(VALU_DEP_1) | instskip(SKIP_1) | instid1(VALU_DEP_2)
	v_pk_fma_f32 v[108:109], v[104:105], v[102:103], v[106:107] op_sel_hi:[1,0,1]
	v_pk_fma_f32 v[102:103], v[104:105], v[102:103], v[106:107] neg_lo:[0,0,1] neg_hi:[0,0,1]
	v_mov_b32_e32 v103, v109
	s_cbranch_execz .LBB48_319
	s_branch .LBB48_320
.LBB48_318:
                                        ; implicit-def: $vgpr102_vgpr103
.LBB48_319:
	ds_load_b64 v[102:103], v1
.LBB48_320:
	s_and_saveexec_b32 s14, s1
	s_cbranch_execz .LBB48_324
; %bb.321:
	v_subrev_nc_u32_e32 v104, 17, v0
	s_movk_i32 s1, 0x88
	s_movk_i32 s16, 0x218
	s_mov_b32 s15, 0
.LBB48_322:                             ; =>This Inner Loop Header: Depth=1
	scratch_load_b64 v[106:107], off, s1
	v_dual_mov_b32 v105, s16 :: v_dual_add_nc_u32 v104, -1, v104
	s_add_co_i32 s16, s16, 8
	s_wait_xcnt 0x0
	s_add_co_i32 s1, s1, 8
	ds_load_b64 v[108:109], v105
	v_cmp_eq_u32_e32 vcc_lo, 0, v104
	s_or_b32 s15, vcc_lo, s15
	s_wait_loadcnt_dscnt 0x0
	v_pk_mul_f32 v[110:111], v[108:109], v[106:107] op_sel:[1,1] op_sel_hi:[0,1]
	s_delay_alu instid0(VALU_DEP_1) | instskip(SKIP_1) | instid1(VALU_DEP_2)
	v_pk_fma_f32 v[112:113], v[108:109], v[106:107], v[110:111] op_sel_hi:[1,0,1]
	v_pk_fma_f32 v[106:107], v[108:109], v[106:107], v[110:111] neg_lo:[0,0,1] neg_hi:[0,0,1]
	v_mov_b32_e32 v107, v113
	s_delay_alu instid0(VALU_DEP_1)
	v_pk_add_f32 v[102:103], v[102:103], v[106:107]
	s_and_not1_b32 exec_lo, exec_lo, s15
	s_cbranch_execnz .LBB48_322
; %bb.323:
	s_or_b32 exec_lo, exec_lo, s15
.LBB48_324:
	s_delay_alu instid0(SALU_CYCLE_1) | instskip(SKIP_4) | instid1(VALU_DEP_1)
	s_or_b32 exec_lo, exec_lo, s14
	v_mov_b32_e32 v104, 0
	ds_load_b64 v[104:105], v104 offset:128
	s_wait_dscnt 0x0
	v_pk_mul_f32 v[106:107], v[102:103], v[104:105] op_sel:[1,1] op_sel_hi:[0,1]
	v_pk_fma_f32 v[108:109], v[102:103], v[104:105], v[106:107] op_sel_hi:[1,0,1]
	v_pk_fma_f32 v[102:103], v[102:103], v[104:105], v[106:107] neg_lo:[0,0,1] neg_hi:[0,0,1]
	s_delay_alu instid0(VALU_DEP_2)
	v_mov_b32_e32 v103, v109
	scratch_store_b64 off, v[102:103], off offset:128
.LBB48_325:
	s_wait_xcnt 0x0
	s_or_b32 exec_lo, exec_lo, s2
	scratch_load_b64 v[102:103], off, off offset:120
	v_cmp_lt_u32_e64 s1, 15, v0
	s_wait_loadcnt 0x0
	ds_store_b64 v1, v[102:103]
	s_wait_storecnt_dscnt 0x0
	s_barrier_signal -1
	s_barrier_wait -1
	s_wait_xcnt 0x0
	s_and_saveexec_b32 s2, s1
	s_cbranch_execz .LBB48_335
; %bb.326:
	s_and_not1_b32 vcc_lo, exec_lo, s3
	s_cbranch_vccnz .LBB48_328
; %bb.327:
	scratch_load_b64 v[102:103], v43, off
	ds_load_b64 v[104:105], v1
	s_wait_loadcnt_dscnt 0x0
	v_pk_mul_f32 v[106:107], v[104:105], v[102:103] op_sel:[1,1] op_sel_hi:[0,1]
	s_delay_alu instid0(VALU_DEP_1) | instskip(SKIP_1) | instid1(VALU_DEP_2)
	v_pk_fma_f32 v[108:109], v[104:105], v[102:103], v[106:107] op_sel_hi:[1,0,1]
	v_pk_fma_f32 v[102:103], v[104:105], v[102:103], v[106:107] neg_lo:[0,0,1] neg_hi:[0,0,1]
	v_mov_b32_e32 v103, v109
	s_cbranch_execz .LBB48_329
	s_branch .LBB48_330
.LBB48_328:
                                        ; implicit-def: $vgpr102_vgpr103
.LBB48_329:
	ds_load_b64 v[102:103], v1
.LBB48_330:
	s_and_saveexec_b32 s14, s0
	s_cbranch_execz .LBB48_334
; %bb.331:
	v_add_nc_u32_e32 v104, -16, v0
	s_movk_i32 s15, 0x210
	s_mov_b32 s0, 0
.LBB48_332:                             ; =>This Inner Loop Header: Depth=1
	scratch_load_b64 v[106:107], off, s13
	v_dual_mov_b32 v105, s15 :: v_dual_add_nc_u32 v104, -1, v104
	s_add_co_i32 s15, s15, 8
	s_wait_xcnt 0x0
	s_add_co_i32 s13, s13, 8
	ds_load_b64 v[108:109], v105
	v_cmp_eq_u32_e32 vcc_lo, 0, v104
	s_or_b32 s0, vcc_lo, s0
	s_wait_loadcnt_dscnt 0x0
	v_pk_mul_f32 v[110:111], v[108:109], v[106:107] op_sel:[1,1] op_sel_hi:[0,1]
	s_delay_alu instid0(VALU_DEP_1) | instskip(SKIP_1) | instid1(VALU_DEP_2)
	v_pk_fma_f32 v[112:113], v[108:109], v[106:107], v[110:111] op_sel_hi:[1,0,1]
	v_pk_fma_f32 v[106:107], v[108:109], v[106:107], v[110:111] neg_lo:[0,0,1] neg_hi:[0,0,1]
	v_mov_b32_e32 v107, v113
	s_delay_alu instid0(VALU_DEP_1)
	v_pk_add_f32 v[102:103], v[102:103], v[106:107]
	s_and_not1_b32 exec_lo, exec_lo, s0
	s_cbranch_execnz .LBB48_332
; %bb.333:
	s_or_b32 exec_lo, exec_lo, s0
.LBB48_334:
	s_delay_alu instid0(SALU_CYCLE_1) | instskip(SKIP_4) | instid1(VALU_DEP_1)
	s_or_b32 exec_lo, exec_lo, s14
	v_mov_b32_e32 v104, 0
	ds_load_b64 v[104:105], v104 offset:120
	s_wait_dscnt 0x0
	v_pk_mul_f32 v[106:107], v[102:103], v[104:105] op_sel:[1,1] op_sel_hi:[0,1]
	v_pk_fma_f32 v[108:109], v[102:103], v[104:105], v[106:107] op_sel_hi:[1,0,1]
	v_pk_fma_f32 v[102:103], v[102:103], v[104:105], v[106:107] neg_lo:[0,0,1] neg_hi:[0,0,1]
	s_delay_alu instid0(VALU_DEP_2)
	v_mov_b32_e32 v103, v109
	scratch_store_b64 off, v[102:103], off offset:120
.LBB48_335:
	s_wait_xcnt 0x0
	s_or_b32 exec_lo, exec_lo, s2
	scratch_load_b64 v[102:103], off, off offset:112
	v_cmp_lt_u32_e64 s0, 14, v0
	s_wait_loadcnt 0x0
	ds_store_b64 v1, v[102:103]
	s_wait_storecnt_dscnt 0x0
	s_barrier_signal -1
	s_barrier_wait -1
	s_wait_xcnt 0x0
	s_and_saveexec_b32 s2, s0
	s_cbranch_execz .LBB48_345
; %bb.336:
	s_and_not1_b32 vcc_lo, exec_lo, s3
	s_cbranch_vccnz .LBB48_338
; %bb.337:
	scratch_load_b64 v[102:103], v43, off
	ds_load_b64 v[104:105], v1
	s_wait_loadcnt_dscnt 0x0
	v_pk_mul_f32 v[106:107], v[104:105], v[102:103] op_sel:[1,1] op_sel_hi:[0,1]
	s_delay_alu instid0(VALU_DEP_1) | instskip(SKIP_1) | instid1(VALU_DEP_2)
	v_pk_fma_f32 v[108:109], v[104:105], v[102:103], v[106:107] op_sel_hi:[1,0,1]
	v_pk_fma_f32 v[102:103], v[104:105], v[102:103], v[106:107] neg_lo:[0,0,1] neg_hi:[0,0,1]
	v_mov_b32_e32 v103, v109
	s_cbranch_execz .LBB48_339
	s_branch .LBB48_340
.LBB48_338:
                                        ; implicit-def: $vgpr102_vgpr103
.LBB48_339:
	ds_load_b64 v[102:103], v1
.LBB48_340:
	s_and_saveexec_b32 s13, s1
	s_cbranch_execz .LBB48_344
; %bb.341:
	v_add_nc_u32_e32 v104, -15, v0
	s_movk_i32 s1, 0x78
	s_movk_i32 s15, 0x208
	s_mov_b32 s14, 0
.LBB48_342:                             ; =>This Inner Loop Header: Depth=1
	scratch_load_b64 v[106:107], off, s1
	v_dual_mov_b32 v105, s15 :: v_dual_add_nc_u32 v104, -1, v104
	s_add_co_i32 s15, s15, 8
	s_wait_xcnt 0x0
	s_add_co_i32 s1, s1, 8
	ds_load_b64 v[108:109], v105
	v_cmp_eq_u32_e32 vcc_lo, 0, v104
	s_or_b32 s14, vcc_lo, s14
	s_wait_loadcnt_dscnt 0x0
	v_pk_mul_f32 v[110:111], v[108:109], v[106:107] op_sel:[1,1] op_sel_hi:[0,1]
	s_delay_alu instid0(VALU_DEP_1) | instskip(SKIP_1) | instid1(VALU_DEP_2)
	v_pk_fma_f32 v[112:113], v[108:109], v[106:107], v[110:111] op_sel_hi:[1,0,1]
	v_pk_fma_f32 v[106:107], v[108:109], v[106:107], v[110:111] neg_lo:[0,0,1] neg_hi:[0,0,1]
	v_mov_b32_e32 v107, v113
	s_delay_alu instid0(VALU_DEP_1)
	v_pk_add_f32 v[102:103], v[102:103], v[106:107]
	s_and_not1_b32 exec_lo, exec_lo, s14
	s_cbranch_execnz .LBB48_342
; %bb.343:
	s_or_b32 exec_lo, exec_lo, s14
.LBB48_344:
	s_delay_alu instid0(SALU_CYCLE_1) | instskip(SKIP_4) | instid1(VALU_DEP_1)
	s_or_b32 exec_lo, exec_lo, s13
	v_mov_b32_e32 v104, 0
	ds_load_b64 v[104:105], v104 offset:112
	s_wait_dscnt 0x0
	v_pk_mul_f32 v[106:107], v[102:103], v[104:105] op_sel:[1,1] op_sel_hi:[0,1]
	v_pk_fma_f32 v[108:109], v[102:103], v[104:105], v[106:107] op_sel_hi:[1,0,1]
	v_pk_fma_f32 v[102:103], v[102:103], v[104:105], v[106:107] neg_lo:[0,0,1] neg_hi:[0,0,1]
	s_delay_alu instid0(VALU_DEP_2)
	v_mov_b32_e32 v103, v109
	scratch_store_b64 off, v[102:103], off offset:112
.LBB48_345:
	s_wait_xcnt 0x0
	s_or_b32 exec_lo, exec_lo, s2
	scratch_load_b64 v[102:103], off, off offset:104
	v_cmp_lt_u32_e64 s1, 13, v0
	s_wait_loadcnt 0x0
	ds_store_b64 v1, v[102:103]
	s_wait_storecnt_dscnt 0x0
	s_barrier_signal -1
	s_barrier_wait -1
	s_wait_xcnt 0x0
	s_and_saveexec_b32 s2, s1
	s_cbranch_execz .LBB48_355
; %bb.346:
	s_and_not1_b32 vcc_lo, exec_lo, s3
	s_cbranch_vccnz .LBB48_348
; %bb.347:
	scratch_load_b64 v[102:103], v43, off
	ds_load_b64 v[104:105], v1
	s_wait_loadcnt_dscnt 0x0
	v_pk_mul_f32 v[106:107], v[104:105], v[102:103] op_sel:[1,1] op_sel_hi:[0,1]
	s_delay_alu instid0(VALU_DEP_1) | instskip(SKIP_1) | instid1(VALU_DEP_2)
	v_pk_fma_f32 v[108:109], v[104:105], v[102:103], v[106:107] op_sel_hi:[1,0,1]
	v_pk_fma_f32 v[102:103], v[104:105], v[102:103], v[106:107] neg_lo:[0,0,1] neg_hi:[0,0,1]
	v_mov_b32_e32 v103, v109
	s_cbranch_execz .LBB48_349
	s_branch .LBB48_350
.LBB48_348:
                                        ; implicit-def: $vgpr102_vgpr103
.LBB48_349:
	ds_load_b64 v[102:103], v1
.LBB48_350:
	s_and_saveexec_b32 s13, s0
	s_cbranch_execz .LBB48_354
; %bb.351:
	v_add_nc_u32_e32 v104, -14, v0
	s_movk_i32 s14, 0x200
	s_mov_b32 s0, 0
.LBB48_352:                             ; =>This Inner Loop Header: Depth=1
	scratch_load_b64 v[106:107], off, s12
	v_dual_mov_b32 v105, s14 :: v_dual_add_nc_u32 v104, -1, v104
	s_add_co_i32 s14, s14, 8
	s_wait_xcnt 0x0
	s_add_co_i32 s12, s12, 8
	ds_load_b64 v[108:109], v105
	v_cmp_eq_u32_e32 vcc_lo, 0, v104
	s_or_b32 s0, vcc_lo, s0
	s_wait_loadcnt_dscnt 0x0
	v_pk_mul_f32 v[110:111], v[108:109], v[106:107] op_sel:[1,1] op_sel_hi:[0,1]
	s_delay_alu instid0(VALU_DEP_1) | instskip(SKIP_1) | instid1(VALU_DEP_2)
	v_pk_fma_f32 v[112:113], v[108:109], v[106:107], v[110:111] op_sel_hi:[1,0,1]
	v_pk_fma_f32 v[106:107], v[108:109], v[106:107], v[110:111] neg_lo:[0,0,1] neg_hi:[0,0,1]
	v_mov_b32_e32 v107, v113
	s_delay_alu instid0(VALU_DEP_1)
	v_pk_add_f32 v[102:103], v[102:103], v[106:107]
	s_and_not1_b32 exec_lo, exec_lo, s0
	s_cbranch_execnz .LBB48_352
; %bb.353:
	s_or_b32 exec_lo, exec_lo, s0
.LBB48_354:
	s_delay_alu instid0(SALU_CYCLE_1) | instskip(SKIP_4) | instid1(VALU_DEP_1)
	s_or_b32 exec_lo, exec_lo, s13
	v_mov_b32_e32 v104, 0
	ds_load_b64 v[104:105], v104 offset:104
	s_wait_dscnt 0x0
	v_pk_mul_f32 v[106:107], v[102:103], v[104:105] op_sel:[1,1] op_sel_hi:[0,1]
	v_pk_fma_f32 v[108:109], v[102:103], v[104:105], v[106:107] op_sel_hi:[1,0,1]
	v_pk_fma_f32 v[102:103], v[102:103], v[104:105], v[106:107] neg_lo:[0,0,1] neg_hi:[0,0,1]
	s_delay_alu instid0(VALU_DEP_2)
	v_mov_b32_e32 v103, v109
	scratch_store_b64 off, v[102:103], off offset:104
.LBB48_355:
	s_wait_xcnt 0x0
	s_or_b32 exec_lo, exec_lo, s2
	scratch_load_b64 v[102:103], off, off offset:96
	v_cmp_lt_u32_e64 s0, 12, v0
	s_wait_loadcnt 0x0
	ds_store_b64 v1, v[102:103]
	s_wait_storecnt_dscnt 0x0
	s_barrier_signal -1
	s_barrier_wait -1
	s_wait_xcnt 0x0
	s_and_saveexec_b32 s2, s0
	s_cbranch_execz .LBB48_365
; %bb.356:
	s_and_not1_b32 vcc_lo, exec_lo, s3
	s_cbranch_vccnz .LBB48_358
; %bb.357:
	scratch_load_b64 v[102:103], v43, off
	ds_load_b64 v[104:105], v1
	s_wait_loadcnt_dscnt 0x0
	v_pk_mul_f32 v[106:107], v[104:105], v[102:103] op_sel:[1,1] op_sel_hi:[0,1]
	s_delay_alu instid0(VALU_DEP_1) | instskip(SKIP_1) | instid1(VALU_DEP_2)
	v_pk_fma_f32 v[108:109], v[104:105], v[102:103], v[106:107] op_sel_hi:[1,0,1]
	v_pk_fma_f32 v[102:103], v[104:105], v[102:103], v[106:107] neg_lo:[0,0,1] neg_hi:[0,0,1]
	v_mov_b32_e32 v103, v109
	s_cbranch_execz .LBB48_359
	s_branch .LBB48_360
.LBB48_358:
                                        ; implicit-def: $vgpr102_vgpr103
.LBB48_359:
	ds_load_b64 v[102:103], v1
.LBB48_360:
	s_and_saveexec_b32 s12, s1
	s_cbranch_execz .LBB48_364
; %bb.361:
	v_add_nc_u32_e32 v104, -13, v0
	s_movk_i32 s1, 0x68
	s_movk_i32 s14, 0x1f8
	s_mov_b32 s13, 0
.LBB48_362:                             ; =>This Inner Loop Header: Depth=1
	scratch_load_b64 v[106:107], off, s1
	v_dual_mov_b32 v105, s14 :: v_dual_add_nc_u32 v104, -1, v104
	s_add_co_i32 s14, s14, 8
	s_wait_xcnt 0x0
	s_add_co_i32 s1, s1, 8
	ds_load_b64 v[108:109], v105
	v_cmp_eq_u32_e32 vcc_lo, 0, v104
	s_or_b32 s13, vcc_lo, s13
	s_wait_loadcnt_dscnt 0x0
	v_pk_mul_f32 v[110:111], v[108:109], v[106:107] op_sel:[1,1] op_sel_hi:[0,1]
	s_delay_alu instid0(VALU_DEP_1) | instskip(SKIP_1) | instid1(VALU_DEP_2)
	v_pk_fma_f32 v[112:113], v[108:109], v[106:107], v[110:111] op_sel_hi:[1,0,1]
	v_pk_fma_f32 v[106:107], v[108:109], v[106:107], v[110:111] neg_lo:[0,0,1] neg_hi:[0,0,1]
	v_mov_b32_e32 v107, v113
	s_delay_alu instid0(VALU_DEP_1)
	v_pk_add_f32 v[102:103], v[102:103], v[106:107]
	s_and_not1_b32 exec_lo, exec_lo, s13
	s_cbranch_execnz .LBB48_362
; %bb.363:
	s_or_b32 exec_lo, exec_lo, s13
.LBB48_364:
	s_delay_alu instid0(SALU_CYCLE_1) | instskip(SKIP_4) | instid1(VALU_DEP_1)
	s_or_b32 exec_lo, exec_lo, s12
	v_mov_b32_e32 v104, 0
	ds_load_b64 v[104:105], v104 offset:96
	s_wait_dscnt 0x0
	v_pk_mul_f32 v[106:107], v[102:103], v[104:105] op_sel:[1,1] op_sel_hi:[0,1]
	v_pk_fma_f32 v[108:109], v[102:103], v[104:105], v[106:107] op_sel_hi:[1,0,1]
	v_pk_fma_f32 v[102:103], v[102:103], v[104:105], v[106:107] neg_lo:[0,0,1] neg_hi:[0,0,1]
	s_delay_alu instid0(VALU_DEP_2)
	v_mov_b32_e32 v103, v109
	scratch_store_b64 off, v[102:103], off offset:96
.LBB48_365:
	s_wait_xcnt 0x0
	s_or_b32 exec_lo, exec_lo, s2
	scratch_load_b64 v[102:103], off, off offset:88
	v_cmp_lt_u32_e64 s1, 11, v0
	s_wait_loadcnt 0x0
	ds_store_b64 v1, v[102:103]
	s_wait_storecnt_dscnt 0x0
	s_barrier_signal -1
	s_barrier_wait -1
	s_wait_xcnt 0x0
	s_and_saveexec_b32 s2, s1
	s_cbranch_execz .LBB48_375
; %bb.366:
	s_and_not1_b32 vcc_lo, exec_lo, s3
	s_cbranch_vccnz .LBB48_368
; %bb.367:
	scratch_load_b64 v[102:103], v43, off
	ds_load_b64 v[104:105], v1
	s_wait_loadcnt_dscnt 0x0
	v_pk_mul_f32 v[106:107], v[104:105], v[102:103] op_sel:[1,1] op_sel_hi:[0,1]
	s_delay_alu instid0(VALU_DEP_1) | instskip(SKIP_1) | instid1(VALU_DEP_2)
	v_pk_fma_f32 v[108:109], v[104:105], v[102:103], v[106:107] op_sel_hi:[1,0,1]
	v_pk_fma_f32 v[102:103], v[104:105], v[102:103], v[106:107] neg_lo:[0,0,1] neg_hi:[0,0,1]
	v_mov_b32_e32 v103, v109
	s_cbranch_execz .LBB48_369
	s_branch .LBB48_370
.LBB48_368:
                                        ; implicit-def: $vgpr102_vgpr103
.LBB48_369:
	ds_load_b64 v[102:103], v1
.LBB48_370:
	s_and_saveexec_b32 s12, s0
	s_cbranch_execz .LBB48_374
; %bb.371:
	v_add_nc_u32_e32 v104, -12, v0
	s_movk_i32 s13, 0x1f0
	s_mov_b32 s0, 0
.LBB48_372:                             ; =>This Inner Loop Header: Depth=1
	scratch_load_b64 v[106:107], off, s11
	v_dual_mov_b32 v105, s13 :: v_dual_add_nc_u32 v104, -1, v104
	s_add_co_i32 s13, s13, 8
	s_wait_xcnt 0x0
	s_add_co_i32 s11, s11, 8
	ds_load_b64 v[108:109], v105
	v_cmp_eq_u32_e32 vcc_lo, 0, v104
	s_or_b32 s0, vcc_lo, s0
	s_wait_loadcnt_dscnt 0x0
	v_pk_mul_f32 v[110:111], v[108:109], v[106:107] op_sel:[1,1] op_sel_hi:[0,1]
	s_delay_alu instid0(VALU_DEP_1) | instskip(SKIP_1) | instid1(VALU_DEP_2)
	v_pk_fma_f32 v[112:113], v[108:109], v[106:107], v[110:111] op_sel_hi:[1,0,1]
	v_pk_fma_f32 v[106:107], v[108:109], v[106:107], v[110:111] neg_lo:[0,0,1] neg_hi:[0,0,1]
	v_mov_b32_e32 v107, v113
	s_delay_alu instid0(VALU_DEP_1)
	v_pk_add_f32 v[102:103], v[102:103], v[106:107]
	s_and_not1_b32 exec_lo, exec_lo, s0
	s_cbranch_execnz .LBB48_372
; %bb.373:
	s_or_b32 exec_lo, exec_lo, s0
.LBB48_374:
	s_delay_alu instid0(SALU_CYCLE_1) | instskip(SKIP_4) | instid1(VALU_DEP_1)
	s_or_b32 exec_lo, exec_lo, s12
	v_mov_b32_e32 v104, 0
	ds_load_b64 v[104:105], v104 offset:88
	s_wait_dscnt 0x0
	v_pk_mul_f32 v[106:107], v[102:103], v[104:105] op_sel:[1,1] op_sel_hi:[0,1]
	v_pk_fma_f32 v[108:109], v[102:103], v[104:105], v[106:107] op_sel_hi:[1,0,1]
	v_pk_fma_f32 v[102:103], v[102:103], v[104:105], v[106:107] neg_lo:[0,0,1] neg_hi:[0,0,1]
	s_delay_alu instid0(VALU_DEP_2)
	v_mov_b32_e32 v103, v109
	scratch_store_b64 off, v[102:103], off offset:88
.LBB48_375:
	s_wait_xcnt 0x0
	s_or_b32 exec_lo, exec_lo, s2
	scratch_load_b64 v[102:103], off, off offset:80
	v_cmp_lt_u32_e64 s0, 10, v0
	s_wait_loadcnt 0x0
	ds_store_b64 v1, v[102:103]
	s_wait_storecnt_dscnt 0x0
	s_barrier_signal -1
	s_barrier_wait -1
	s_wait_xcnt 0x0
	s_and_saveexec_b32 s2, s0
	s_cbranch_execz .LBB48_385
; %bb.376:
	s_and_not1_b32 vcc_lo, exec_lo, s3
	s_cbranch_vccnz .LBB48_378
; %bb.377:
	scratch_load_b64 v[102:103], v43, off
	ds_load_b64 v[104:105], v1
	s_wait_loadcnt_dscnt 0x0
	v_pk_mul_f32 v[106:107], v[104:105], v[102:103] op_sel:[1,1] op_sel_hi:[0,1]
	s_delay_alu instid0(VALU_DEP_1) | instskip(SKIP_1) | instid1(VALU_DEP_2)
	v_pk_fma_f32 v[108:109], v[104:105], v[102:103], v[106:107] op_sel_hi:[1,0,1]
	v_pk_fma_f32 v[102:103], v[104:105], v[102:103], v[106:107] neg_lo:[0,0,1] neg_hi:[0,0,1]
	v_mov_b32_e32 v103, v109
	s_cbranch_execz .LBB48_379
	s_branch .LBB48_380
.LBB48_378:
                                        ; implicit-def: $vgpr102_vgpr103
.LBB48_379:
	ds_load_b64 v[102:103], v1
.LBB48_380:
	s_and_saveexec_b32 s11, s1
	s_cbranch_execz .LBB48_384
; %bb.381:
	v_add_nc_u32_e32 v104, -11, v0
	s_movk_i32 s1, 0x58
	s_movk_i32 s13, 0x1e8
	s_mov_b32 s12, 0
.LBB48_382:                             ; =>This Inner Loop Header: Depth=1
	scratch_load_b64 v[106:107], off, s1
	v_dual_mov_b32 v105, s13 :: v_dual_add_nc_u32 v104, -1, v104
	s_add_co_i32 s13, s13, 8
	s_wait_xcnt 0x0
	s_add_co_i32 s1, s1, 8
	ds_load_b64 v[108:109], v105
	v_cmp_eq_u32_e32 vcc_lo, 0, v104
	s_or_b32 s12, vcc_lo, s12
	s_wait_loadcnt_dscnt 0x0
	v_pk_mul_f32 v[110:111], v[108:109], v[106:107] op_sel:[1,1] op_sel_hi:[0,1]
	s_delay_alu instid0(VALU_DEP_1) | instskip(SKIP_1) | instid1(VALU_DEP_2)
	v_pk_fma_f32 v[112:113], v[108:109], v[106:107], v[110:111] op_sel_hi:[1,0,1]
	v_pk_fma_f32 v[106:107], v[108:109], v[106:107], v[110:111] neg_lo:[0,0,1] neg_hi:[0,0,1]
	v_mov_b32_e32 v107, v113
	s_delay_alu instid0(VALU_DEP_1)
	v_pk_add_f32 v[102:103], v[102:103], v[106:107]
	s_and_not1_b32 exec_lo, exec_lo, s12
	s_cbranch_execnz .LBB48_382
; %bb.383:
	s_or_b32 exec_lo, exec_lo, s12
.LBB48_384:
	s_delay_alu instid0(SALU_CYCLE_1) | instskip(SKIP_4) | instid1(VALU_DEP_1)
	s_or_b32 exec_lo, exec_lo, s11
	v_mov_b32_e32 v104, 0
	ds_load_b64 v[104:105], v104 offset:80
	s_wait_dscnt 0x0
	v_pk_mul_f32 v[106:107], v[102:103], v[104:105] op_sel:[1,1] op_sel_hi:[0,1]
	v_pk_fma_f32 v[108:109], v[102:103], v[104:105], v[106:107] op_sel_hi:[1,0,1]
	v_pk_fma_f32 v[102:103], v[102:103], v[104:105], v[106:107] neg_lo:[0,0,1] neg_hi:[0,0,1]
	s_delay_alu instid0(VALU_DEP_2)
	v_mov_b32_e32 v103, v109
	scratch_store_b64 off, v[102:103], off offset:80
.LBB48_385:
	s_wait_xcnt 0x0
	s_or_b32 exec_lo, exec_lo, s2
	scratch_load_b64 v[102:103], off, off offset:72
	v_cmp_lt_u32_e64 s1, 9, v0
	s_wait_loadcnt 0x0
	ds_store_b64 v1, v[102:103]
	s_wait_storecnt_dscnt 0x0
	s_barrier_signal -1
	s_barrier_wait -1
	s_wait_xcnt 0x0
	s_and_saveexec_b32 s2, s1
	s_cbranch_execz .LBB48_395
; %bb.386:
	s_and_not1_b32 vcc_lo, exec_lo, s3
	s_cbranch_vccnz .LBB48_388
; %bb.387:
	scratch_load_b64 v[102:103], v43, off
	ds_load_b64 v[104:105], v1
	s_wait_loadcnt_dscnt 0x0
	v_pk_mul_f32 v[106:107], v[104:105], v[102:103] op_sel:[1,1] op_sel_hi:[0,1]
	s_delay_alu instid0(VALU_DEP_1) | instskip(SKIP_1) | instid1(VALU_DEP_2)
	v_pk_fma_f32 v[108:109], v[104:105], v[102:103], v[106:107] op_sel_hi:[1,0,1]
	v_pk_fma_f32 v[102:103], v[104:105], v[102:103], v[106:107] neg_lo:[0,0,1] neg_hi:[0,0,1]
	v_mov_b32_e32 v103, v109
	s_cbranch_execz .LBB48_389
	s_branch .LBB48_390
.LBB48_388:
                                        ; implicit-def: $vgpr102_vgpr103
.LBB48_389:
	ds_load_b64 v[102:103], v1
.LBB48_390:
	s_and_saveexec_b32 s11, s0
	s_cbranch_execz .LBB48_394
; %bb.391:
	v_add_nc_u32_e32 v104, -10, v0
	s_movk_i32 s12, 0x1e0
	s_mov_b32 s0, 0
.LBB48_392:                             ; =>This Inner Loop Header: Depth=1
	scratch_load_b64 v[106:107], off, s10
	v_dual_mov_b32 v105, s12 :: v_dual_add_nc_u32 v104, -1, v104
	s_add_co_i32 s12, s12, 8
	s_wait_xcnt 0x0
	s_add_co_i32 s10, s10, 8
	ds_load_b64 v[108:109], v105
	v_cmp_eq_u32_e32 vcc_lo, 0, v104
	s_or_b32 s0, vcc_lo, s0
	s_wait_loadcnt_dscnt 0x0
	v_pk_mul_f32 v[110:111], v[108:109], v[106:107] op_sel:[1,1] op_sel_hi:[0,1]
	s_delay_alu instid0(VALU_DEP_1) | instskip(SKIP_1) | instid1(VALU_DEP_2)
	v_pk_fma_f32 v[112:113], v[108:109], v[106:107], v[110:111] op_sel_hi:[1,0,1]
	v_pk_fma_f32 v[106:107], v[108:109], v[106:107], v[110:111] neg_lo:[0,0,1] neg_hi:[0,0,1]
	v_mov_b32_e32 v107, v113
	s_delay_alu instid0(VALU_DEP_1)
	v_pk_add_f32 v[102:103], v[102:103], v[106:107]
	s_and_not1_b32 exec_lo, exec_lo, s0
	s_cbranch_execnz .LBB48_392
; %bb.393:
	s_or_b32 exec_lo, exec_lo, s0
.LBB48_394:
	s_delay_alu instid0(SALU_CYCLE_1) | instskip(SKIP_4) | instid1(VALU_DEP_1)
	s_or_b32 exec_lo, exec_lo, s11
	v_mov_b32_e32 v104, 0
	ds_load_b64 v[104:105], v104 offset:72
	s_wait_dscnt 0x0
	v_pk_mul_f32 v[106:107], v[102:103], v[104:105] op_sel:[1,1] op_sel_hi:[0,1]
	v_pk_fma_f32 v[108:109], v[102:103], v[104:105], v[106:107] op_sel_hi:[1,0,1]
	v_pk_fma_f32 v[102:103], v[102:103], v[104:105], v[106:107] neg_lo:[0,0,1] neg_hi:[0,0,1]
	s_delay_alu instid0(VALU_DEP_2)
	v_mov_b32_e32 v103, v109
	scratch_store_b64 off, v[102:103], off offset:72
.LBB48_395:
	s_wait_xcnt 0x0
	s_or_b32 exec_lo, exec_lo, s2
	scratch_load_b64 v[102:103], off, off offset:64
	v_cmp_lt_u32_e64 s0, 8, v0
	s_wait_loadcnt 0x0
	ds_store_b64 v1, v[102:103]
	s_wait_storecnt_dscnt 0x0
	s_barrier_signal -1
	s_barrier_wait -1
	s_wait_xcnt 0x0
	s_and_saveexec_b32 s2, s0
	s_cbranch_execz .LBB48_405
; %bb.396:
	s_and_not1_b32 vcc_lo, exec_lo, s3
	s_cbranch_vccnz .LBB48_398
; %bb.397:
	scratch_load_b64 v[102:103], v43, off
	ds_load_b64 v[104:105], v1
	s_wait_loadcnt_dscnt 0x0
	v_pk_mul_f32 v[106:107], v[104:105], v[102:103] op_sel:[1,1] op_sel_hi:[0,1]
	s_delay_alu instid0(VALU_DEP_1) | instskip(SKIP_1) | instid1(VALU_DEP_2)
	v_pk_fma_f32 v[108:109], v[104:105], v[102:103], v[106:107] op_sel_hi:[1,0,1]
	v_pk_fma_f32 v[102:103], v[104:105], v[102:103], v[106:107] neg_lo:[0,0,1] neg_hi:[0,0,1]
	v_mov_b32_e32 v103, v109
	s_cbranch_execz .LBB48_399
	s_branch .LBB48_400
.LBB48_398:
                                        ; implicit-def: $vgpr102_vgpr103
.LBB48_399:
	ds_load_b64 v[102:103], v1
.LBB48_400:
	s_and_saveexec_b32 s10, s1
	s_cbranch_execz .LBB48_404
; %bb.401:
	v_add_nc_u32_e32 v104, -9, v0
	s_movk_i32 s1, 0x48
	s_movk_i32 s12, 0x1d8
	s_mov_b32 s11, 0
.LBB48_402:                             ; =>This Inner Loop Header: Depth=1
	scratch_load_b64 v[106:107], off, s1
	v_dual_mov_b32 v105, s12 :: v_dual_add_nc_u32 v104, -1, v104
	s_add_co_i32 s12, s12, 8
	s_wait_xcnt 0x0
	s_add_co_i32 s1, s1, 8
	ds_load_b64 v[108:109], v105
	v_cmp_eq_u32_e32 vcc_lo, 0, v104
	s_or_b32 s11, vcc_lo, s11
	s_wait_loadcnt_dscnt 0x0
	v_pk_mul_f32 v[110:111], v[108:109], v[106:107] op_sel:[1,1] op_sel_hi:[0,1]
	s_delay_alu instid0(VALU_DEP_1) | instskip(SKIP_1) | instid1(VALU_DEP_2)
	v_pk_fma_f32 v[112:113], v[108:109], v[106:107], v[110:111] op_sel_hi:[1,0,1]
	v_pk_fma_f32 v[106:107], v[108:109], v[106:107], v[110:111] neg_lo:[0,0,1] neg_hi:[0,0,1]
	v_mov_b32_e32 v107, v113
	s_delay_alu instid0(VALU_DEP_1)
	v_pk_add_f32 v[102:103], v[102:103], v[106:107]
	s_and_not1_b32 exec_lo, exec_lo, s11
	s_cbranch_execnz .LBB48_402
; %bb.403:
	s_or_b32 exec_lo, exec_lo, s11
.LBB48_404:
	s_delay_alu instid0(SALU_CYCLE_1) | instskip(SKIP_4) | instid1(VALU_DEP_1)
	s_or_b32 exec_lo, exec_lo, s10
	v_mov_b32_e32 v104, 0
	ds_load_b64 v[104:105], v104 offset:64
	s_wait_dscnt 0x0
	v_pk_mul_f32 v[106:107], v[102:103], v[104:105] op_sel:[1,1] op_sel_hi:[0,1]
	v_pk_fma_f32 v[108:109], v[102:103], v[104:105], v[106:107] op_sel_hi:[1,0,1]
	v_pk_fma_f32 v[102:103], v[102:103], v[104:105], v[106:107] neg_lo:[0,0,1] neg_hi:[0,0,1]
	s_delay_alu instid0(VALU_DEP_2)
	v_mov_b32_e32 v103, v109
	scratch_store_b64 off, v[102:103], off offset:64
.LBB48_405:
	s_wait_xcnt 0x0
	s_or_b32 exec_lo, exec_lo, s2
	scratch_load_b64 v[102:103], off, off offset:56
	v_cmp_lt_u32_e64 s1, 7, v0
	s_wait_loadcnt 0x0
	ds_store_b64 v1, v[102:103]
	s_wait_storecnt_dscnt 0x0
	s_barrier_signal -1
	s_barrier_wait -1
	s_wait_xcnt 0x0
	s_and_saveexec_b32 s2, s1
	s_cbranch_execz .LBB48_415
; %bb.406:
	s_and_not1_b32 vcc_lo, exec_lo, s3
	s_cbranch_vccnz .LBB48_408
; %bb.407:
	scratch_load_b64 v[102:103], v43, off
	ds_load_b64 v[104:105], v1
	s_wait_loadcnt_dscnt 0x0
	v_pk_mul_f32 v[106:107], v[104:105], v[102:103] op_sel:[1,1] op_sel_hi:[0,1]
	s_delay_alu instid0(VALU_DEP_1) | instskip(SKIP_1) | instid1(VALU_DEP_2)
	v_pk_fma_f32 v[108:109], v[104:105], v[102:103], v[106:107] op_sel_hi:[1,0,1]
	v_pk_fma_f32 v[102:103], v[104:105], v[102:103], v[106:107] neg_lo:[0,0,1] neg_hi:[0,0,1]
	v_mov_b32_e32 v103, v109
	s_cbranch_execz .LBB48_409
	s_branch .LBB48_410
.LBB48_408:
                                        ; implicit-def: $vgpr102_vgpr103
.LBB48_409:
	ds_load_b64 v[102:103], v1
.LBB48_410:
	s_and_saveexec_b32 s10, s0
	s_cbranch_execz .LBB48_414
; %bb.411:
	v_add_nc_u32_e32 v104, -8, v0
	s_movk_i32 s11, 0x1d0
	s_mov_b32 s0, 0
.LBB48_412:                             ; =>This Inner Loop Header: Depth=1
	scratch_load_b64 v[106:107], off, s9
	v_dual_mov_b32 v105, s11 :: v_dual_add_nc_u32 v104, -1, v104
	s_add_co_i32 s11, s11, 8
	s_wait_xcnt 0x0
	s_add_co_i32 s9, s9, 8
	ds_load_b64 v[108:109], v105
	v_cmp_eq_u32_e32 vcc_lo, 0, v104
	s_or_b32 s0, vcc_lo, s0
	s_wait_loadcnt_dscnt 0x0
	v_pk_mul_f32 v[110:111], v[108:109], v[106:107] op_sel:[1,1] op_sel_hi:[0,1]
	s_delay_alu instid0(VALU_DEP_1) | instskip(SKIP_1) | instid1(VALU_DEP_2)
	v_pk_fma_f32 v[112:113], v[108:109], v[106:107], v[110:111] op_sel_hi:[1,0,1]
	v_pk_fma_f32 v[106:107], v[108:109], v[106:107], v[110:111] neg_lo:[0,0,1] neg_hi:[0,0,1]
	v_mov_b32_e32 v107, v113
	s_delay_alu instid0(VALU_DEP_1)
	v_pk_add_f32 v[102:103], v[102:103], v[106:107]
	s_and_not1_b32 exec_lo, exec_lo, s0
	s_cbranch_execnz .LBB48_412
; %bb.413:
	s_or_b32 exec_lo, exec_lo, s0
.LBB48_414:
	s_delay_alu instid0(SALU_CYCLE_1) | instskip(SKIP_4) | instid1(VALU_DEP_1)
	s_or_b32 exec_lo, exec_lo, s10
	v_mov_b32_e32 v104, 0
	ds_load_b64 v[104:105], v104 offset:56
	s_wait_dscnt 0x0
	v_pk_mul_f32 v[106:107], v[102:103], v[104:105] op_sel:[1,1] op_sel_hi:[0,1]
	v_pk_fma_f32 v[108:109], v[102:103], v[104:105], v[106:107] op_sel_hi:[1,0,1]
	v_pk_fma_f32 v[102:103], v[102:103], v[104:105], v[106:107] neg_lo:[0,0,1] neg_hi:[0,0,1]
	s_delay_alu instid0(VALU_DEP_2)
	v_mov_b32_e32 v103, v109
	scratch_store_b64 off, v[102:103], off offset:56
.LBB48_415:
	s_wait_xcnt 0x0
	s_or_b32 exec_lo, exec_lo, s2
	scratch_load_b64 v[102:103], off, off offset:48
	v_cmp_lt_u32_e64 s0, 6, v0
	s_wait_loadcnt 0x0
	ds_store_b64 v1, v[102:103]
	s_wait_storecnt_dscnt 0x0
	s_barrier_signal -1
	s_barrier_wait -1
	s_wait_xcnt 0x0
	s_and_saveexec_b32 s2, s0
	s_cbranch_execz .LBB48_425
; %bb.416:
	s_and_not1_b32 vcc_lo, exec_lo, s3
	s_cbranch_vccnz .LBB48_418
; %bb.417:
	scratch_load_b64 v[102:103], v43, off
	ds_load_b64 v[104:105], v1
	s_wait_loadcnt_dscnt 0x0
	v_pk_mul_f32 v[106:107], v[104:105], v[102:103] op_sel:[1,1] op_sel_hi:[0,1]
	s_delay_alu instid0(VALU_DEP_1) | instskip(SKIP_1) | instid1(VALU_DEP_2)
	v_pk_fma_f32 v[108:109], v[104:105], v[102:103], v[106:107] op_sel_hi:[1,0,1]
	v_pk_fma_f32 v[102:103], v[104:105], v[102:103], v[106:107] neg_lo:[0,0,1] neg_hi:[0,0,1]
	v_mov_b32_e32 v103, v109
	s_cbranch_execz .LBB48_419
	s_branch .LBB48_420
.LBB48_418:
                                        ; implicit-def: $vgpr102_vgpr103
.LBB48_419:
	ds_load_b64 v[102:103], v1
.LBB48_420:
	s_and_saveexec_b32 s9, s1
	s_cbranch_execz .LBB48_424
; %bb.421:
	v_add_nc_u32_e32 v104, -7, v0
	s_mov_b32 s1, 56
	s_movk_i32 s11, 0x1c8
	s_mov_b32 s10, 0
.LBB48_422:                             ; =>This Inner Loop Header: Depth=1
	scratch_load_b64 v[106:107], off, s1
	v_dual_mov_b32 v105, s11 :: v_dual_add_nc_u32 v104, -1, v104
	s_add_co_i32 s11, s11, 8
	s_wait_xcnt 0x0
	s_add_co_i32 s1, s1, 8
	ds_load_b64 v[108:109], v105
	v_cmp_eq_u32_e32 vcc_lo, 0, v104
	s_or_b32 s10, vcc_lo, s10
	s_wait_loadcnt_dscnt 0x0
	v_pk_mul_f32 v[110:111], v[108:109], v[106:107] op_sel:[1,1] op_sel_hi:[0,1]
	s_delay_alu instid0(VALU_DEP_1) | instskip(SKIP_1) | instid1(VALU_DEP_2)
	v_pk_fma_f32 v[112:113], v[108:109], v[106:107], v[110:111] op_sel_hi:[1,0,1]
	v_pk_fma_f32 v[106:107], v[108:109], v[106:107], v[110:111] neg_lo:[0,0,1] neg_hi:[0,0,1]
	v_mov_b32_e32 v107, v113
	s_delay_alu instid0(VALU_DEP_1)
	v_pk_add_f32 v[102:103], v[102:103], v[106:107]
	s_and_not1_b32 exec_lo, exec_lo, s10
	s_cbranch_execnz .LBB48_422
; %bb.423:
	s_or_b32 exec_lo, exec_lo, s10
.LBB48_424:
	s_delay_alu instid0(SALU_CYCLE_1) | instskip(SKIP_4) | instid1(VALU_DEP_1)
	s_or_b32 exec_lo, exec_lo, s9
	v_mov_b32_e32 v104, 0
	ds_load_b64 v[104:105], v104 offset:48
	s_wait_dscnt 0x0
	v_pk_mul_f32 v[106:107], v[102:103], v[104:105] op_sel:[1,1] op_sel_hi:[0,1]
	v_pk_fma_f32 v[108:109], v[102:103], v[104:105], v[106:107] op_sel_hi:[1,0,1]
	v_pk_fma_f32 v[102:103], v[102:103], v[104:105], v[106:107] neg_lo:[0,0,1] neg_hi:[0,0,1]
	s_delay_alu instid0(VALU_DEP_2)
	v_mov_b32_e32 v103, v109
	scratch_store_b64 off, v[102:103], off offset:48
.LBB48_425:
	s_wait_xcnt 0x0
	s_or_b32 exec_lo, exec_lo, s2
	scratch_load_b64 v[102:103], off, off offset:40
	v_cmp_lt_u32_e64 s1, 5, v0
	s_wait_loadcnt 0x0
	ds_store_b64 v1, v[102:103]
	s_wait_storecnt_dscnt 0x0
	s_barrier_signal -1
	s_barrier_wait -1
	s_wait_xcnt 0x0
	s_and_saveexec_b32 s2, s1
	s_cbranch_execz .LBB48_435
; %bb.426:
	s_and_not1_b32 vcc_lo, exec_lo, s3
	s_cbranch_vccnz .LBB48_428
; %bb.427:
	scratch_load_b64 v[102:103], v43, off
	ds_load_b64 v[104:105], v1
	s_wait_loadcnt_dscnt 0x0
	v_pk_mul_f32 v[106:107], v[104:105], v[102:103] op_sel:[1,1] op_sel_hi:[0,1]
	s_delay_alu instid0(VALU_DEP_1) | instskip(SKIP_1) | instid1(VALU_DEP_2)
	v_pk_fma_f32 v[108:109], v[104:105], v[102:103], v[106:107] op_sel_hi:[1,0,1]
	v_pk_fma_f32 v[102:103], v[104:105], v[102:103], v[106:107] neg_lo:[0,0,1] neg_hi:[0,0,1]
	v_mov_b32_e32 v103, v109
	s_cbranch_execz .LBB48_429
	s_branch .LBB48_430
.LBB48_428:
                                        ; implicit-def: $vgpr102_vgpr103
.LBB48_429:
	ds_load_b64 v[102:103], v1
.LBB48_430:
	s_and_saveexec_b32 s9, s0
	s_cbranch_execz .LBB48_434
; %bb.431:
	v_add_nc_u32_e32 v104, -6, v0
	s_movk_i32 s10, 0x1c0
	s_mov_b32 s0, 0
.LBB48_432:                             ; =>This Inner Loop Header: Depth=1
	scratch_load_b64 v[106:107], off, s8
	v_dual_mov_b32 v105, s10 :: v_dual_add_nc_u32 v104, -1, v104
	s_add_co_i32 s10, s10, 8
	s_wait_xcnt 0x0
	s_add_co_i32 s8, s8, 8
	ds_load_b64 v[108:109], v105
	v_cmp_eq_u32_e32 vcc_lo, 0, v104
	s_or_b32 s0, vcc_lo, s0
	s_wait_loadcnt_dscnt 0x0
	v_pk_mul_f32 v[110:111], v[108:109], v[106:107] op_sel:[1,1] op_sel_hi:[0,1]
	s_delay_alu instid0(VALU_DEP_1) | instskip(SKIP_1) | instid1(VALU_DEP_2)
	v_pk_fma_f32 v[112:113], v[108:109], v[106:107], v[110:111] op_sel_hi:[1,0,1]
	v_pk_fma_f32 v[106:107], v[108:109], v[106:107], v[110:111] neg_lo:[0,0,1] neg_hi:[0,0,1]
	v_mov_b32_e32 v107, v113
	s_delay_alu instid0(VALU_DEP_1)
	v_pk_add_f32 v[102:103], v[102:103], v[106:107]
	s_and_not1_b32 exec_lo, exec_lo, s0
	s_cbranch_execnz .LBB48_432
; %bb.433:
	s_or_b32 exec_lo, exec_lo, s0
.LBB48_434:
	s_delay_alu instid0(SALU_CYCLE_1) | instskip(SKIP_4) | instid1(VALU_DEP_1)
	s_or_b32 exec_lo, exec_lo, s9
	v_mov_b32_e32 v104, 0
	ds_load_b64 v[104:105], v104 offset:40
	s_wait_dscnt 0x0
	v_pk_mul_f32 v[106:107], v[102:103], v[104:105] op_sel:[1,1] op_sel_hi:[0,1]
	v_pk_fma_f32 v[108:109], v[102:103], v[104:105], v[106:107] op_sel_hi:[1,0,1]
	v_pk_fma_f32 v[102:103], v[102:103], v[104:105], v[106:107] neg_lo:[0,0,1] neg_hi:[0,0,1]
	s_delay_alu instid0(VALU_DEP_2)
	v_mov_b32_e32 v103, v109
	scratch_store_b64 off, v[102:103], off offset:40
.LBB48_435:
	s_wait_xcnt 0x0
	s_or_b32 exec_lo, exec_lo, s2
	scratch_load_b64 v[102:103], off, off offset:32
	v_cmp_lt_u32_e64 s0, 4, v0
	s_wait_loadcnt 0x0
	ds_store_b64 v1, v[102:103]
	s_wait_storecnt_dscnt 0x0
	s_barrier_signal -1
	s_barrier_wait -1
	s_wait_xcnt 0x0
	s_and_saveexec_b32 s2, s0
	s_cbranch_execz .LBB48_445
; %bb.436:
	s_and_not1_b32 vcc_lo, exec_lo, s3
	s_cbranch_vccnz .LBB48_438
; %bb.437:
	scratch_load_b64 v[102:103], v43, off
	ds_load_b64 v[104:105], v1
	s_wait_loadcnt_dscnt 0x0
	v_pk_mul_f32 v[106:107], v[104:105], v[102:103] op_sel:[1,1] op_sel_hi:[0,1]
	s_delay_alu instid0(VALU_DEP_1) | instskip(SKIP_1) | instid1(VALU_DEP_2)
	v_pk_fma_f32 v[108:109], v[104:105], v[102:103], v[106:107] op_sel_hi:[1,0,1]
	v_pk_fma_f32 v[102:103], v[104:105], v[102:103], v[106:107] neg_lo:[0,0,1] neg_hi:[0,0,1]
	v_mov_b32_e32 v103, v109
	s_cbranch_execz .LBB48_439
	s_branch .LBB48_440
.LBB48_438:
                                        ; implicit-def: $vgpr102_vgpr103
.LBB48_439:
	ds_load_b64 v[102:103], v1
.LBB48_440:
	s_and_saveexec_b32 s8, s1
	s_cbranch_execz .LBB48_444
; %bb.441:
	v_add_nc_u32_e32 v104, -5, v0
	s_mov_b32 s1, 40
	s_movk_i32 s10, 0x1b8
	s_mov_b32 s9, 0
.LBB48_442:                             ; =>This Inner Loop Header: Depth=1
	scratch_load_b64 v[106:107], off, s1
	v_dual_mov_b32 v105, s10 :: v_dual_add_nc_u32 v104, -1, v104
	s_add_co_i32 s10, s10, 8
	s_wait_xcnt 0x0
	s_add_co_i32 s1, s1, 8
	ds_load_b64 v[108:109], v105
	v_cmp_eq_u32_e32 vcc_lo, 0, v104
	s_or_b32 s9, vcc_lo, s9
	s_wait_loadcnt_dscnt 0x0
	v_pk_mul_f32 v[110:111], v[108:109], v[106:107] op_sel:[1,1] op_sel_hi:[0,1]
	s_delay_alu instid0(VALU_DEP_1) | instskip(SKIP_1) | instid1(VALU_DEP_2)
	v_pk_fma_f32 v[112:113], v[108:109], v[106:107], v[110:111] op_sel_hi:[1,0,1]
	v_pk_fma_f32 v[106:107], v[108:109], v[106:107], v[110:111] neg_lo:[0,0,1] neg_hi:[0,0,1]
	v_mov_b32_e32 v107, v113
	s_delay_alu instid0(VALU_DEP_1)
	v_pk_add_f32 v[102:103], v[102:103], v[106:107]
	s_and_not1_b32 exec_lo, exec_lo, s9
	s_cbranch_execnz .LBB48_442
; %bb.443:
	s_or_b32 exec_lo, exec_lo, s9
.LBB48_444:
	s_delay_alu instid0(SALU_CYCLE_1) | instskip(SKIP_4) | instid1(VALU_DEP_1)
	s_or_b32 exec_lo, exec_lo, s8
	v_mov_b32_e32 v104, 0
	ds_load_b64 v[104:105], v104 offset:32
	s_wait_dscnt 0x0
	v_pk_mul_f32 v[106:107], v[102:103], v[104:105] op_sel:[1,1] op_sel_hi:[0,1]
	v_pk_fma_f32 v[108:109], v[102:103], v[104:105], v[106:107] op_sel_hi:[1,0,1]
	v_pk_fma_f32 v[102:103], v[102:103], v[104:105], v[106:107] neg_lo:[0,0,1] neg_hi:[0,0,1]
	s_delay_alu instid0(VALU_DEP_2)
	v_mov_b32_e32 v103, v109
	scratch_store_b64 off, v[102:103], off offset:32
.LBB48_445:
	s_wait_xcnt 0x0
	s_or_b32 exec_lo, exec_lo, s2
	scratch_load_b64 v[102:103], off, off offset:24
	v_cmp_lt_u32_e64 s2, 3, v0
	s_wait_loadcnt 0x0
	ds_store_b64 v1, v[102:103]
	s_wait_storecnt_dscnt 0x0
	s_barrier_signal -1
	s_barrier_wait -1
	s_wait_xcnt 0x0
	s_and_saveexec_b32 s1, s2
	s_cbranch_execz .LBB48_455
; %bb.446:
	s_and_not1_b32 vcc_lo, exec_lo, s3
	s_cbranch_vccnz .LBB48_448
; %bb.447:
	scratch_load_b64 v[102:103], v43, off
	ds_load_b64 v[104:105], v1
	s_wait_loadcnt_dscnt 0x0
	v_pk_mul_f32 v[106:107], v[104:105], v[102:103] op_sel:[1,1] op_sel_hi:[0,1]
	s_delay_alu instid0(VALU_DEP_1) | instskip(SKIP_1) | instid1(VALU_DEP_2)
	v_pk_fma_f32 v[108:109], v[104:105], v[102:103], v[106:107] op_sel_hi:[1,0,1]
	v_pk_fma_f32 v[102:103], v[104:105], v[102:103], v[106:107] neg_lo:[0,0,1] neg_hi:[0,0,1]
	v_mov_b32_e32 v103, v109
	s_cbranch_execz .LBB48_449
	s_branch .LBB48_450
.LBB48_448:
                                        ; implicit-def: $vgpr102_vgpr103
.LBB48_449:
	ds_load_b64 v[102:103], v1
.LBB48_450:
	s_and_saveexec_b32 s8, s0
	s_cbranch_execz .LBB48_454
; %bb.451:
	v_add_nc_u32_e32 v104, -4, v0
	s_movk_i32 s9, 0x1b0
	s_mov_b32 s0, 0
.LBB48_452:                             ; =>This Inner Loop Header: Depth=1
	scratch_load_b64 v[106:107], off, s5
	v_dual_mov_b32 v105, s9 :: v_dual_add_nc_u32 v104, -1, v104
	s_add_co_i32 s9, s9, 8
	s_wait_xcnt 0x0
	s_add_co_i32 s5, s5, 8
	ds_load_b64 v[108:109], v105
	v_cmp_eq_u32_e32 vcc_lo, 0, v104
	s_or_b32 s0, vcc_lo, s0
	s_wait_loadcnt_dscnt 0x0
	v_pk_mul_f32 v[110:111], v[108:109], v[106:107] op_sel:[1,1] op_sel_hi:[0,1]
	s_delay_alu instid0(VALU_DEP_1) | instskip(SKIP_1) | instid1(VALU_DEP_2)
	v_pk_fma_f32 v[112:113], v[108:109], v[106:107], v[110:111] op_sel_hi:[1,0,1]
	v_pk_fma_f32 v[106:107], v[108:109], v[106:107], v[110:111] neg_lo:[0,0,1] neg_hi:[0,0,1]
	v_mov_b32_e32 v107, v113
	s_delay_alu instid0(VALU_DEP_1)
	v_pk_add_f32 v[102:103], v[102:103], v[106:107]
	s_and_not1_b32 exec_lo, exec_lo, s0
	s_cbranch_execnz .LBB48_452
; %bb.453:
	s_or_b32 exec_lo, exec_lo, s0
.LBB48_454:
	s_delay_alu instid0(SALU_CYCLE_1) | instskip(SKIP_4) | instid1(VALU_DEP_1)
	s_or_b32 exec_lo, exec_lo, s8
	v_mov_b32_e32 v104, 0
	ds_load_b64 v[104:105], v104 offset:24
	s_wait_dscnt 0x0
	v_pk_mul_f32 v[106:107], v[102:103], v[104:105] op_sel:[1,1] op_sel_hi:[0,1]
	v_pk_fma_f32 v[108:109], v[102:103], v[104:105], v[106:107] op_sel_hi:[1,0,1]
	v_pk_fma_f32 v[102:103], v[102:103], v[104:105], v[106:107] neg_lo:[0,0,1] neg_hi:[0,0,1]
	s_delay_alu instid0(VALU_DEP_2)
	v_mov_b32_e32 v103, v109
	scratch_store_b64 off, v[102:103], off offset:24
.LBB48_455:
	s_wait_xcnt 0x0
	s_or_b32 exec_lo, exec_lo, s1
	scratch_load_b64 v[102:103], off, off offset:16
	v_cmp_lt_u32_e64 s1, 2, v0
	s_wait_loadcnt 0x0
	ds_store_b64 v1, v[102:103]
	s_wait_storecnt_dscnt 0x0
	s_barrier_signal -1
	s_barrier_wait -1
	s_wait_xcnt 0x0
	s_and_saveexec_b32 s0, s1
	s_cbranch_execz .LBB48_465
; %bb.456:
	s_and_not1_b32 vcc_lo, exec_lo, s3
	s_cbranch_vccnz .LBB48_458
; %bb.457:
	scratch_load_b64 v[102:103], v43, off
	ds_load_b64 v[104:105], v1
	s_wait_loadcnt_dscnt 0x0
	v_pk_mul_f32 v[106:107], v[104:105], v[102:103] op_sel:[1,1] op_sel_hi:[0,1]
	s_delay_alu instid0(VALU_DEP_1) | instskip(SKIP_1) | instid1(VALU_DEP_2)
	v_pk_fma_f32 v[108:109], v[104:105], v[102:103], v[106:107] op_sel_hi:[1,0,1]
	v_pk_fma_f32 v[102:103], v[104:105], v[102:103], v[106:107] neg_lo:[0,0,1] neg_hi:[0,0,1]
	v_mov_b32_e32 v103, v109
	s_cbranch_execz .LBB48_459
	s_branch .LBB48_460
.LBB48_458:
                                        ; implicit-def: $vgpr102_vgpr103
.LBB48_459:
	ds_load_b64 v[102:103], v1
.LBB48_460:
	s_and_saveexec_b32 s5, s2
	s_cbranch_execz .LBB48_464
; %bb.461:
	v_add_nc_u32_e32 v104, -3, v0
	s_mov_b32 s2, 24
	s_movk_i32 s9, 0x1a8
	s_mov_b32 s8, 0
.LBB48_462:                             ; =>This Inner Loop Header: Depth=1
	scratch_load_b64 v[106:107], off, s2
	v_dual_mov_b32 v105, s9 :: v_dual_add_nc_u32 v104, -1, v104
	s_add_co_i32 s9, s9, 8
	s_wait_xcnt 0x0
	s_add_co_i32 s2, s2, 8
	ds_load_b64 v[108:109], v105
	v_cmp_eq_u32_e32 vcc_lo, 0, v104
	s_or_b32 s8, vcc_lo, s8
	s_wait_loadcnt_dscnt 0x0
	v_pk_mul_f32 v[110:111], v[108:109], v[106:107] op_sel:[1,1] op_sel_hi:[0,1]
	s_delay_alu instid0(VALU_DEP_1) | instskip(SKIP_1) | instid1(VALU_DEP_2)
	v_pk_fma_f32 v[112:113], v[108:109], v[106:107], v[110:111] op_sel_hi:[1,0,1]
	v_pk_fma_f32 v[106:107], v[108:109], v[106:107], v[110:111] neg_lo:[0,0,1] neg_hi:[0,0,1]
	v_mov_b32_e32 v107, v113
	s_delay_alu instid0(VALU_DEP_1)
	v_pk_add_f32 v[102:103], v[102:103], v[106:107]
	s_and_not1_b32 exec_lo, exec_lo, s8
	s_cbranch_execnz .LBB48_462
; %bb.463:
	s_or_b32 exec_lo, exec_lo, s8
.LBB48_464:
	s_delay_alu instid0(SALU_CYCLE_1) | instskip(SKIP_4) | instid1(VALU_DEP_1)
	s_or_b32 exec_lo, exec_lo, s5
	v_mov_b32_e32 v104, 0
	ds_load_b64 v[104:105], v104 offset:16
	s_wait_dscnt 0x0
	v_pk_mul_f32 v[106:107], v[102:103], v[104:105] op_sel:[1,1] op_sel_hi:[0,1]
	v_pk_fma_f32 v[108:109], v[102:103], v[104:105], v[106:107] op_sel_hi:[1,0,1]
	v_pk_fma_f32 v[102:103], v[102:103], v[104:105], v[106:107] neg_lo:[0,0,1] neg_hi:[0,0,1]
	s_delay_alu instid0(VALU_DEP_2)
	v_mov_b32_e32 v103, v109
	scratch_store_b64 off, v[102:103], off offset:16
.LBB48_465:
	s_wait_xcnt 0x0
	s_or_b32 exec_lo, exec_lo, s0
	scratch_load_b64 v[102:103], off, off offset:8
	v_cmp_lt_u32_e64 s0, 1, v0
	s_wait_loadcnt 0x0
	ds_store_b64 v1, v[102:103]
	s_wait_storecnt_dscnt 0x0
	s_barrier_signal -1
	s_barrier_wait -1
	s_wait_xcnt 0x0
	s_and_saveexec_b32 s2, s0
	s_cbranch_execz .LBB48_475
; %bb.466:
	s_and_not1_b32 vcc_lo, exec_lo, s3
	s_cbranch_vccnz .LBB48_468
; %bb.467:
	scratch_load_b64 v[102:103], v43, off
	ds_load_b64 v[104:105], v1
	s_wait_loadcnt_dscnt 0x0
	v_pk_mul_f32 v[106:107], v[104:105], v[102:103] op_sel:[1,1] op_sel_hi:[0,1]
	s_delay_alu instid0(VALU_DEP_1) | instskip(SKIP_1) | instid1(VALU_DEP_2)
	v_pk_fma_f32 v[108:109], v[104:105], v[102:103], v[106:107] op_sel_hi:[1,0,1]
	v_pk_fma_f32 v[102:103], v[104:105], v[102:103], v[106:107] neg_lo:[0,0,1] neg_hi:[0,0,1]
	v_mov_b32_e32 v103, v109
	s_cbranch_execz .LBB48_469
	s_branch .LBB48_470
.LBB48_468:
                                        ; implicit-def: $vgpr102_vgpr103
.LBB48_469:
	ds_load_b64 v[102:103], v1
.LBB48_470:
	s_and_saveexec_b32 s5, s1
	s_cbranch_execz .LBB48_474
; %bb.471:
	v_add_nc_u32_e32 v104, -2, v0
	s_movk_i32 s8, 0x1a0
	s_mov_b32 s1, 0
.LBB48_472:                             ; =>This Inner Loop Header: Depth=1
	scratch_load_b64 v[106:107], off, s4
	v_dual_mov_b32 v105, s8 :: v_dual_add_nc_u32 v104, -1, v104
	s_add_co_i32 s8, s8, 8
	s_wait_xcnt 0x0
	s_add_co_i32 s4, s4, 8
	ds_load_b64 v[108:109], v105
	v_cmp_eq_u32_e32 vcc_lo, 0, v104
	s_or_b32 s1, vcc_lo, s1
	s_wait_loadcnt_dscnt 0x0
	v_pk_mul_f32 v[110:111], v[108:109], v[106:107] op_sel:[1,1] op_sel_hi:[0,1]
	s_delay_alu instid0(VALU_DEP_1) | instskip(SKIP_1) | instid1(VALU_DEP_2)
	v_pk_fma_f32 v[112:113], v[108:109], v[106:107], v[110:111] op_sel_hi:[1,0,1]
	v_pk_fma_f32 v[106:107], v[108:109], v[106:107], v[110:111] neg_lo:[0,0,1] neg_hi:[0,0,1]
	v_mov_b32_e32 v107, v113
	s_delay_alu instid0(VALU_DEP_1)
	v_pk_add_f32 v[102:103], v[102:103], v[106:107]
	s_and_not1_b32 exec_lo, exec_lo, s1
	s_cbranch_execnz .LBB48_472
; %bb.473:
	s_or_b32 exec_lo, exec_lo, s1
.LBB48_474:
	s_delay_alu instid0(SALU_CYCLE_1) | instskip(SKIP_4) | instid1(VALU_DEP_1)
	s_or_b32 exec_lo, exec_lo, s5
	v_mov_b32_e32 v104, 0
	ds_load_b64 v[104:105], v104 offset:8
	s_wait_dscnt 0x0
	v_pk_mul_f32 v[106:107], v[102:103], v[104:105] op_sel:[1,1] op_sel_hi:[0,1]
	v_pk_fma_f32 v[108:109], v[102:103], v[104:105], v[106:107] op_sel_hi:[1,0,1]
	v_pk_fma_f32 v[102:103], v[102:103], v[104:105], v[106:107] neg_lo:[0,0,1] neg_hi:[0,0,1]
	s_delay_alu instid0(VALU_DEP_2)
	v_mov_b32_e32 v103, v109
	scratch_store_b64 off, v[102:103], off offset:8
.LBB48_475:
	s_wait_xcnt 0x0
	s_or_b32 exec_lo, exec_lo, s2
	scratch_load_b64 v[102:103], off, off
	s_mov_b32 s2, 0
	s_mov_b32 s1, 0
	s_mov_b32 s5, exec_lo
                                        ; implicit-def: $vgpr134
                                        ; implicit-def: $sgpr4
	s_wait_loadcnt 0x0
	ds_store_b64 v1, v[102:103]
	s_wait_storecnt_dscnt 0x0
	s_barrier_signal -1
	s_barrier_wait -1
	s_wait_xcnt 0x0
	v_cmpx_ne_u32_e32 0, v0
	s_cbranch_execz .LBB48_485
; %bb.476:
	s_and_not1_b32 vcc_lo, exec_lo, s3
	s_cbranch_vccnz .LBB48_478
; %bb.477:
	scratch_load_b64 v[104:105], v43, off
	ds_load_b64 v[106:107], v1
	s_wait_loadcnt_dscnt 0x0
	v_dual_mul_f32 v102, v107, v105 :: v_dual_mul_f32 v103, v106, v105
	s_delay_alu instid0(VALU_DEP_1)
	v_dual_fma_f32 v102, v106, v104, -v102 :: v_dual_fmac_f32 v103, v107, v104
	s_and_not1_b32 vcc_lo, exec_lo, s1
	s_cbranch_vccz .LBB48_479
	s_branch .LBB48_480
.LBB48_478:
                                        ; implicit-def: $vgpr102
.LBB48_479:
	ds_load_b64 v[102:103], v1
.LBB48_480:
	s_and_saveexec_b32 s1, s0
	s_cbranch_execz .LBB48_484
; %bb.481:
	v_add_nc_u32_e32 v104, -1, v0
	s_or_b32 s0, 0, 8
	s_movk_i32 s8, 0x198
	s_mov_b32 s4, 0
.LBB48_482:                             ; =>This Inner Loop Header: Depth=1
	scratch_load_b64 v[106:107], off, s0
	v_mov_b32_e32 v105, s8
	s_add_co_i32 s8, s8, 8
	s_wait_xcnt 0x0
	s_add_co_i32 s0, s0, 8
	v_add_nc_u32_e32 v104, -1, v104
	ds_load_b64 v[108:109], v105
	v_cmp_eq_u32_e32 vcc_lo, 0, v104
	s_or_b32 s4, vcc_lo, s4
	s_wait_loadcnt_dscnt 0x0
	v_dual_mul_f32 v105, v109, v107 :: v_dual_mul_f32 v107, v108, v107
	s_delay_alu instid0(VALU_DEP_1) | instskip(NEXT) | instid1(VALU_DEP_1)
	v_dual_fma_f32 v105, v108, v106, -v105 :: v_dual_fmac_f32 v107, v109, v106
	v_dual_add_f32 v102, v102, v105 :: v_dual_add_f32 v103, v103, v107
	s_and_not1_b32 exec_lo, exec_lo, s4
	s_cbranch_execnz .LBB48_482
; %bb.483:
	s_or_b32 exec_lo, exec_lo, s4
.LBB48_484:
	s_delay_alu instid0(SALU_CYCLE_1)
	s_or_b32 exec_lo, exec_lo, s1
	v_mov_b32_e32 v104, 0
	s_mov_b32 s1, exec_lo
	s_or_b32 s4, 0, 4
	ds_load_b64 v[104:105], v104
	s_wait_dscnt 0x0
	v_dual_mul_f32 v106, v103, v105 :: v_dual_mul_f32 v134, v102, v105
	s_delay_alu instid0(VALU_DEP_1) | instskip(NEXT) | instid1(VALU_DEP_2)
	v_fma_f32 v102, v102, v104, -v106
	v_fmac_f32_e32 v134, v103, v104
	scratch_store_b32 off, v102, off
.LBB48_485:
	s_wait_xcnt 0x0
	s_or_b32 exec_lo, exec_lo, s5
	s_delay_alu instid0(SALU_CYCLE_1)
	s_and_b32 vcc_lo, exec_lo, s2
	s_cbranch_vccz .LBB48_961
.LBB48_486:
	scratch_load_b64 v[102:103], off, off offset:8
	v_cmp_eq_u32_e64 s0, 0, v0
	s_wait_loadcnt 0x0
	ds_store_b64 v1, v[102:103]
	s_wait_storecnt_dscnt 0x0
	s_barrier_signal -1
	s_barrier_wait -1
	s_wait_xcnt 0x0
	s_and_saveexec_b32 s2, s0
	s_cbranch_execz .LBB48_492
; %bb.487:
	s_and_b32 vcc_lo, exec_lo, s3
	s_cbranch_vccz .LBB48_489
; %bb.488:
	scratch_load_b64 v[102:103], v43, off
	ds_load_b64 v[104:105], v1
	s_wait_loadcnt_dscnt 0x0
	v_pk_mul_f32 v[106:107], v[104:105], v[102:103] op_sel:[1,1] op_sel_hi:[0,1]
	v_pk_mul_f32 v[108:109], v[104:105], v[102:103] op_sel_hi:[1,0]
	s_delay_alu instid0(VALU_DEP_2) | instskip(NEXT) | instid1(VALU_DEP_2)
	v_pk_fma_f32 v[102:103], v[104:105], v[102:103], v[106:107] op_sel_hi:[1,0,1]
	v_sub_f32_e32 v102, v108, v106
	s_cbranch_execz .LBB48_490
	s_branch .LBB48_491
.LBB48_489:
                                        ; implicit-def: $vgpr103
.LBB48_490:
	ds_load_b64 v[102:103], v1
.LBB48_491:
	s_wait_dscnt 0x0
	v_dual_mov_b32 v104, 0 :: v_dual_mov_b32 v106, v103
	v_mov_b32_e32 v107, v102
	ds_load_b64 v[104:105], v104 offset:8
	s_wait_dscnt 0x0
	v_pk_mul_f32 v[106:107], v[106:107], v[104:105] op_sel:[0,1]
	s_delay_alu instid0(VALU_DEP_1) | instskip(SKIP_1) | instid1(VALU_DEP_2)
	v_pk_fma_f32 v[108:109], v[102:103], v[104:105], v[106:107] op_sel_hi:[1,0,1]
	v_pk_fma_f32 v[102:103], v[102:103], v[104:105], v[106:107] neg_lo:[0,0,1] neg_hi:[0,0,1]
	v_mov_b32_e32 v103, v109
	scratch_store_b64 off, v[102:103], off offset:8
.LBB48_492:
	s_wait_xcnt 0x0
	s_or_b32 exec_lo, exec_lo, s2
	scratch_load_b64 v[102:103], off, off offset:16
	v_cndmask_b32_e64 v104, 0, 1, s3
	s_mov_b32 s2, exec_lo
	s_wait_loadcnt 0x0
	ds_store_b64 v1, v[102:103]
	s_wait_storecnt_dscnt 0x0
	s_barrier_signal -1
	s_barrier_wait -1
	s_wait_xcnt 0x0
	v_cmpx_gt_u32_e32 2, v0
	s_cbranch_execz .LBB48_500
; %bb.493:
	s_and_not1_b32 vcc_lo, exec_lo, s3
	s_cbranch_vccnz .LBB48_495
; %bb.494:
	scratch_load_b64 v[102:103], v43, off
	ds_load_b64 v[106:107], v1
	s_wait_loadcnt_dscnt 0x0
	v_pk_mul_f32 v[108:109], v[106:107], v[102:103] op_sel:[1,1] op_sel_hi:[0,1]
	s_delay_alu instid0(VALU_DEP_1) | instskip(SKIP_1) | instid1(VALU_DEP_2)
	v_pk_fma_f32 v[110:111], v[106:107], v[102:103], v[108:109] op_sel_hi:[1,0,1]
	v_pk_fma_f32 v[102:103], v[106:107], v[102:103], v[108:109] neg_lo:[0,0,1] neg_hi:[0,0,1]
	v_mov_b32_e32 v103, v111
	s_cbranch_execz .LBB48_496
	s_branch .LBB48_497
.LBB48_495:
                                        ; implicit-def: $vgpr102_vgpr103
.LBB48_496:
	ds_load_b64 v[102:103], v1
.LBB48_497:
	s_and_saveexec_b32 s3, s0
	s_cbranch_execz .LBB48_499
; %bb.498:
	scratch_load_b64 v[106:107], off, off offset:8
	v_mov_b32_e32 v105, 0
	ds_load_b64 v[108:109], v105 offset:408
	s_wait_loadcnt_dscnt 0x0
	v_pk_mul_f32 v[110:111], v[108:109], v[106:107] op_sel:[1,1] op_sel_hi:[0,1]
	s_delay_alu instid0(VALU_DEP_1) | instskip(SKIP_1) | instid1(VALU_DEP_2)
	v_pk_fma_f32 v[112:113], v[108:109], v[106:107], v[110:111] op_sel_hi:[1,0,1]
	v_pk_fma_f32 v[106:107], v[108:109], v[106:107], v[110:111] neg_lo:[0,0,1] neg_hi:[0,0,1]
	v_mov_b32_e32 v107, v113
	s_delay_alu instid0(VALU_DEP_1)
	v_pk_add_f32 v[102:103], v[102:103], v[106:107]
.LBB48_499:
	s_or_b32 exec_lo, exec_lo, s3
	v_mov_b32_e32 v105, 0
	ds_load_b64 v[106:107], v105 offset:16
	s_wait_dscnt 0x0
	v_pk_mul_f32 v[108:109], v[102:103], v[106:107] op_sel:[1,1] op_sel_hi:[0,1]
	s_delay_alu instid0(VALU_DEP_1) | instskip(SKIP_1) | instid1(VALU_DEP_2)
	v_pk_fma_f32 v[110:111], v[102:103], v[106:107], v[108:109] op_sel_hi:[1,0,1]
	v_pk_fma_f32 v[102:103], v[102:103], v[106:107], v[108:109] neg_lo:[0,0,1] neg_hi:[0,0,1]
	v_mov_b32_e32 v103, v111
	scratch_store_b64 off, v[102:103], off offset:16
.LBB48_500:
	s_wait_xcnt 0x0
	s_or_b32 exec_lo, exec_lo, s2
	scratch_load_b64 v[102:103], off, off offset:24
	s_mov_b32 s2, exec_lo
	s_wait_loadcnt 0x0
	ds_store_b64 v1, v[102:103]
	s_wait_storecnt_dscnt 0x0
	s_barrier_signal -1
	s_barrier_wait -1
	s_wait_xcnt 0x0
	v_cmpx_gt_u32_e32 3, v0
	s_cbranch_execz .LBB48_510
; %bb.501:
	v_cmp_ne_u32_e32 vcc_lo, 1, v104
	s_cbranch_vccnz .LBB48_503
; %bb.502:
	scratch_load_b64 v[102:103], v43, off
	ds_load_b64 v[106:107], v1
	s_wait_loadcnt_dscnt 0x0
	v_pk_mul_f32 v[108:109], v[106:107], v[102:103] op_sel:[1,1] op_sel_hi:[0,1]
	s_delay_alu instid0(VALU_DEP_1) | instskip(SKIP_1) | instid1(VALU_DEP_2)
	v_pk_fma_f32 v[110:111], v[106:107], v[102:103], v[108:109] op_sel_hi:[1,0,1]
	v_pk_fma_f32 v[102:103], v[106:107], v[102:103], v[108:109] neg_lo:[0,0,1] neg_hi:[0,0,1]
	v_mov_b32_e32 v103, v111
	s_cbranch_execz .LBB48_504
	s_branch .LBB48_505
.LBB48_503:
                                        ; implicit-def: $vgpr102_vgpr103
.LBB48_504:
	ds_load_b64 v[102:103], v1
.LBB48_505:
	s_mov_b32 s3, exec_lo
	v_cmpx_ne_u32_e32 2, v0
	s_cbranch_execz .LBB48_509
; %bb.506:
	scratch_load_b64 v[106:107], v43, off offset:8
	ds_load_b64 v[108:109], v1 offset:8
	s_wait_loadcnt_dscnt 0x0
	v_pk_mul_f32 v[110:111], v[108:109], v[106:107] op_sel:[1,1] op_sel_hi:[0,1]
	s_delay_alu instid0(VALU_DEP_1) | instskip(SKIP_1) | instid1(VALU_DEP_2)
	v_pk_fma_f32 v[112:113], v[108:109], v[106:107], v[110:111] op_sel_hi:[1,0,1]
	v_pk_fma_f32 v[106:107], v[108:109], v[106:107], v[110:111] neg_lo:[0,0,1] neg_hi:[0,0,1]
	v_mov_b32_e32 v107, v113
	s_delay_alu instid0(VALU_DEP_1)
	v_pk_add_f32 v[102:103], v[102:103], v[106:107]
	s_and_saveexec_b32 s4, s0
	s_cbranch_execz .LBB48_508
; %bb.507:
	scratch_load_b64 v[106:107], off, off offset:16
	v_mov_b32_e32 v105, 0
	ds_load_b64 v[108:109], v105 offset:416
	s_wait_loadcnt_dscnt 0x0
	v_pk_mul_f32 v[110:111], v[108:109], v[106:107] op_sel:[1,1] op_sel_hi:[0,1]
	s_delay_alu instid0(VALU_DEP_1) | instskip(SKIP_1) | instid1(VALU_DEP_2)
	v_pk_fma_f32 v[112:113], v[108:109], v[106:107], v[110:111] op_sel_hi:[1,0,1]
	v_pk_fma_f32 v[106:107], v[108:109], v[106:107], v[110:111] neg_lo:[0,0,1] neg_hi:[0,0,1]
	v_mov_b32_e32 v107, v113
	s_delay_alu instid0(VALU_DEP_1)
	v_pk_add_f32 v[102:103], v[102:103], v[106:107]
.LBB48_508:
	s_or_b32 exec_lo, exec_lo, s4
.LBB48_509:
	s_delay_alu instid0(SALU_CYCLE_1) | instskip(SKIP_4) | instid1(VALU_DEP_1)
	s_or_b32 exec_lo, exec_lo, s3
	v_mov_b32_e32 v105, 0
	ds_load_b64 v[106:107], v105 offset:24
	s_wait_dscnt 0x0
	v_pk_mul_f32 v[108:109], v[102:103], v[106:107] op_sel:[1,1] op_sel_hi:[0,1]
	v_pk_fma_f32 v[110:111], v[102:103], v[106:107], v[108:109] op_sel_hi:[1,0,1]
	v_pk_fma_f32 v[102:103], v[102:103], v[106:107], v[108:109] neg_lo:[0,0,1] neg_hi:[0,0,1]
	s_delay_alu instid0(VALU_DEP_2)
	v_mov_b32_e32 v103, v111
	scratch_store_b64 off, v[102:103], off offset:24
.LBB48_510:
	s_wait_xcnt 0x0
	s_or_b32 exec_lo, exec_lo, s2
	scratch_load_b64 v[102:103], off, off offset:32
	s_mov_b32 s0, exec_lo
	s_wait_loadcnt 0x0
	ds_store_b64 v1, v[102:103]
	s_wait_storecnt_dscnt 0x0
	s_barrier_signal -1
	s_barrier_wait -1
	s_wait_xcnt 0x0
	v_cmpx_gt_u32_e32 4, v0
	s_cbranch_execz .LBB48_520
; %bb.511:
	v_cmp_ne_u32_e32 vcc_lo, 1, v104
	s_cbranch_vccnz .LBB48_513
; %bb.512:
	scratch_load_b64 v[102:103], v43, off
	ds_load_b64 v[106:107], v1
	s_wait_loadcnt_dscnt 0x0
	v_pk_mul_f32 v[108:109], v[106:107], v[102:103] op_sel:[1,1] op_sel_hi:[0,1]
	s_delay_alu instid0(VALU_DEP_1) | instskip(SKIP_1) | instid1(VALU_DEP_2)
	v_pk_fma_f32 v[110:111], v[106:107], v[102:103], v[108:109] op_sel_hi:[1,0,1]
	v_pk_fma_f32 v[102:103], v[106:107], v[102:103], v[108:109] neg_lo:[0,0,1] neg_hi:[0,0,1]
	v_mov_b32_e32 v103, v111
	s_cbranch_execz .LBB48_514
	s_branch .LBB48_515
.LBB48_513:
                                        ; implicit-def: $vgpr102_vgpr103
.LBB48_514:
	ds_load_b64 v[102:103], v1
.LBB48_515:
	s_mov_b32 s2, exec_lo
	v_cmpx_ne_u32_e32 3, v0
	s_cbranch_execz .LBB48_519
; %bb.516:
	v_add_nc_u32_e32 v105, 0x198, v42
	v_add3_u32 v106, 0, v42, 8
	v_mov_b32_e32 v107, v0
	s_mov_b32 s3, 0
.LBB48_517:                             ; =>This Inner Loop Header: Depth=1
	scratch_load_b64 v[108:109], v106, off
	ds_load_b64 v[110:111], v105
	s_wait_xcnt 0x0
	v_dual_add_nc_u32 v105, 8, v105 :: v_dual_add_nc_u32 v106, 8, v106
	s_wait_loadcnt_dscnt 0x0
	v_pk_mul_f32 v[112:113], v[110:111], v[108:109] op_sel:[1,1] op_sel_hi:[0,1]
	s_delay_alu instid0(VALU_DEP_1) | instskip(SKIP_2) | instid1(VALU_DEP_3)
	v_pk_fma_f32 v[114:115], v[110:111], v[108:109], v[112:113] op_sel_hi:[1,0,1]
	v_add_nc_u32_e32 v107, 1, v107
	v_pk_fma_f32 v[108:109], v[110:111], v[108:109], v[112:113] neg_lo:[0,0,1] neg_hi:[0,0,1]
	v_mov_b32_e32 v109, v115
	s_delay_alu instid0(VALU_DEP_3) | instskip(NEXT) | instid1(VALU_DEP_2)
	v_cmp_lt_u32_e32 vcc_lo, 2, v107
	v_pk_add_f32 v[102:103], v[102:103], v[108:109]
	s_or_b32 s3, vcc_lo, s3
	s_delay_alu instid0(SALU_CYCLE_1)
	s_and_not1_b32 exec_lo, exec_lo, s3
	s_cbranch_execnz .LBB48_517
; %bb.518:
	s_or_b32 exec_lo, exec_lo, s3
.LBB48_519:
	s_delay_alu instid0(SALU_CYCLE_1) | instskip(SKIP_4) | instid1(VALU_DEP_1)
	s_or_b32 exec_lo, exec_lo, s2
	v_mov_b32_e32 v105, 0
	ds_load_b64 v[106:107], v105 offset:32
	s_wait_dscnt 0x0
	v_pk_mul_f32 v[108:109], v[102:103], v[106:107] op_sel:[1,1] op_sel_hi:[0,1]
	v_pk_fma_f32 v[110:111], v[102:103], v[106:107], v[108:109] op_sel_hi:[1,0,1]
	v_pk_fma_f32 v[102:103], v[102:103], v[106:107], v[108:109] neg_lo:[0,0,1] neg_hi:[0,0,1]
	s_delay_alu instid0(VALU_DEP_2)
	v_mov_b32_e32 v103, v111
	scratch_store_b64 off, v[102:103], off offset:32
.LBB48_520:
	s_wait_xcnt 0x0
	s_or_b32 exec_lo, exec_lo, s0
	scratch_load_b64 v[102:103], off, off offset:40
	s_mov_b32 s0, exec_lo
	s_wait_loadcnt 0x0
	ds_store_b64 v1, v[102:103]
	s_wait_storecnt_dscnt 0x0
	s_barrier_signal -1
	s_barrier_wait -1
	s_wait_xcnt 0x0
	v_cmpx_gt_u32_e32 5, v0
	s_cbranch_execz .LBB48_530
; %bb.521:
	v_cmp_ne_u32_e32 vcc_lo, 1, v104
	s_cbranch_vccnz .LBB48_523
; %bb.522:
	scratch_load_b64 v[102:103], v43, off
	ds_load_b64 v[106:107], v1
	s_wait_loadcnt_dscnt 0x0
	v_pk_mul_f32 v[108:109], v[106:107], v[102:103] op_sel:[1,1] op_sel_hi:[0,1]
	s_delay_alu instid0(VALU_DEP_1) | instskip(SKIP_1) | instid1(VALU_DEP_2)
	v_pk_fma_f32 v[110:111], v[106:107], v[102:103], v[108:109] op_sel_hi:[1,0,1]
	v_pk_fma_f32 v[102:103], v[106:107], v[102:103], v[108:109] neg_lo:[0,0,1] neg_hi:[0,0,1]
	v_mov_b32_e32 v103, v111
	s_cbranch_execz .LBB48_524
	s_branch .LBB48_525
.LBB48_523:
                                        ; implicit-def: $vgpr102_vgpr103
.LBB48_524:
	ds_load_b64 v[102:103], v1
.LBB48_525:
	s_mov_b32 s2, exec_lo
	v_cmpx_ne_u32_e32 4, v0
	s_cbranch_execz .LBB48_529
; %bb.526:
	v_add_nc_u32_e32 v105, 0x198, v42
	v_add3_u32 v106, 0, v42, 8
	v_mov_b32_e32 v107, v0
	s_mov_b32 s3, 0
.LBB48_527:                             ; =>This Inner Loop Header: Depth=1
	scratch_load_b64 v[108:109], v106, off
	ds_load_b64 v[110:111], v105
	s_wait_xcnt 0x0
	v_dual_add_nc_u32 v105, 8, v105 :: v_dual_add_nc_u32 v106, 8, v106
	s_wait_loadcnt_dscnt 0x0
	v_pk_mul_f32 v[112:113], v[110:111], v[108:109] op_sel:[1,1] op_sel_hi:[0,1]
	s_delay_alu instid0(VALU_DEP_1) | instskip(SKIP_2) | instid1(VALU_DEP_3)
	v_pk_fma_f32 v[114:115], v[110:111], v[108:109], v[112:113] op_sel_hi:[1,0,1]
	v_add_nc_u32_e32 v107, 1, v107
	v_pk_fma_f32 v[108:109], v[110:111], v[108:109], v[112:113] neg_lo:[0,0,1] neg_hi:[0,0,1]
	v_mov_b32_e32 v109, v115
	s_delay_alu instid0(VALU_DEP_3) | instskip(NEXT) | instid1(VALU_DEP_2)
	v_cmp_lt_u32_e32 vcc_lo, 3, v107
	v_pk_add_f32 v[102:103], v[102:103], v[108:109]
	s_or_b32 s3, vcc_lo, s3
	s_delay_alu instid0(SALU_CYCLE_1)
	s_and_not1_b32 exec_lo, exec_lo, s3
	s_cbranch_execnz .LBB48_527
; %bb.528:
	s_or_b32 exec_lo, exec_lo, s3
.LBB48_529:
	s_delay_alu instid0(SALU_CYCLE_1) | instskip(SKIP_4) | instid1(VALU_DEP_1)
	s_or_b32 exec_lo, exec_lo, s2
	v_mov_b32_e32 v105, 0
	ds_load_b64 v[106:107], v105 offset:40
	s_wait_dscnt 0x0
	v_pk_mul_f32 v[108:109], v[102:103], v[106:107] op_sel:[1,1] op_sel_hi:[0,1]
	v_pk_fma_f32 v[110:111], v[102:103], v[106:107], v[108:109] op_sel_hi:[1,0,1]
	v_pk_fma_f32 v[102:103], v[102:103], v[106:107], v[108:109] neg_lo:[0,0,1] neg_hi:[0,0,1]
	s_delay_alu instid0(VALU_DEP_2)
	v_mov_b32_e32 v103, v111
	scratch_store_b64 off, v[102:103], off offset:40
.LBB48_530:
	s_wait_xcnt 0x0
	s_or_b32 exec_lo, exec_lo, s0
	scratch_load_b64 v[102:103], off, off offset:48
	s_mov_b32 s0, exec_lo
	s_wait_loadcnt 0x0
	ds_store_b64 v1, v[102:103]
	s_wait_storecnt_dscnt 0x0
	s_barrier_signal -1
	s_barrier_wait -1
	s_wait_xcnt 0x0
	v_cmpx_gt_u32_e32 6, v0
	s_cbranch_execz .LBB48_540
; %bb.531:
	v_cmp_ne_u32_e32 vcc_lo, 1, v104
	s_cbranch_vccnz .LBB48_533
; %bb.532:
	scratch_load_b64 v[102:103], v43, off
	ds_load_b64 v[106:107], v1
	s_wait_loadcnt_dscnt 0x0
	v_pk_mul_f32 v[108:109], v[106:107], v[102:103] op_sel:[1,1] op_sel_hi:[0,1]
	s_delay_alu instid0(VALU_DEP_1) | instskip(SKIP_1) | instid1(VALU_DEP_2)
	v_pk_fma_f32 v[110:111], v[106:107], v[102:103], v[108:109] op_sel_hi:[1,0,1]
	v_pk_fma_f32 v[102:103], v[106:107], v[102:103], v[108:109] neg_lo:[0,0,1] neg_hi:[0,0,1]
	v_mov_b32_e32 v103, v111
	s_cbranch_execz .LBB48_534
	s_branch .LBB48_535
.LBB48_533:
                                        ; implicit-def: $vgpr102_vgpr103
.LBB48_534:
	ds_load_b64 v[102:103], v1
.LBB48_535:
	s_mov_b32 s2, exec_lo
	v_cmpx_ne_u32_e32 5, v0
	s_cbranch_execz .LBB48_539
; %bb.536:
	v_add_nc_u32_e32 v105, 0x198, v42
	v_add3_u32 v106, 0, v42, 8
	v_mov_b32_e32 v107, v0
	s_mov_b32 s3, 0
.LBB48_537:                             ; =>This Inner Loop Header: Depth=1
	scratch_load_b64 v[108:109], v106, off
	ds_load_b64 v[110:111], v105
	s_wait_xcnt 0x0
	v_dual_add_nc_u32 v105, 8, v105 :: v_dual_add_nc_u32 v106, 8, v106
	s_wait_loadcnt_dscnt 0x0
	v_pk_mul_f32 v[112:113], v[110:111], v[108:109] op_sel:[1,1] op_sel_hi:[0,1]
	s_delay_alu instid0(VALU_DEP_1) | instskip(SKIP_2) | instid1(VALU_DEP_3)
	v_pk_fma_f32 v[114:115], v[110:111], v[108:109], v[112:113] op_sel_hi:[1,0,1]
	v_add_nc_u32_e32 v107, 1, v107
	v_pk_fma_f32 v[108:109], v[110:111], v[108:109], v[112:113] neg_lo:[0,0,1] neg_hi:[0,0,1]
	v_mov_b32_e32 v109, v115
	s_delay_alu instid0(VALU_DEP_3) | instskip(NEXT) | instid1(VALU_DEP_2)
	v_cmp_lt_u32_e32 vcc_lo, 4, v107
	v_pk_add_f32 v[102:103], v[102:103], v[108:109]
	s_or_b32 s3, vcc_lo, s3
	s_delay_alu instid0(SALU_CYCLE_1)
	s_and_not1_b32 exec_lo, exec_lo, s3
	s_cbranch_execnz .LBB48_537
; %bb.538:
	s_or_b32 exec_lo, exec_lo, s3
.LBB48_539:
	s_delay_alu instid0(SALU_CYCLE_1) | instskip(SKIP_4) | instid1(VALU_DEP_1)
	s_or_b32 exec_lo, exec_lo, s2
	v_mov_b32_e32 v105, 0
	ds_load_b64 v[106:107], v105 offset:48
	s_wait_dscnt 0x0
	v_pk_mul_f32 v[108:109], v[102:103], v[106:107] op_sel:[1,1] op_sel_hi:[0,1]
	v_pk_fma_f32 v[110:111], v[102:103], v[106:107], v[108:109] op_sel_hi:[1,0,1]
	v_pk_fma_f32 v[102:103], v[102:103], v[106:107], v[108:109] neg_lo:[0,0,1] neg_hi:[0,0,1]
	s_delay_alu instid0(VALU_DEP_2)
	v_mov_b32_e32 v103, v111
	scratch_store_b64 off, v[102:103], off offset:48
.LBB48_540:
	s_wait_xcnt 0x0
	s_or_b32 exec_lo, exec_lo, s0
	scratch_load_b64 v[102:103], off, off offset:56
	s_mov_b32 s0, exec_lo
	s_wait_loadcnt 0x0
	ds_store_b64 v1, v[102:103]
	s_wait_storecnt_dscnt 0x0
	s_barrier_signal -1
	s_barrier_wait -1
	s_wait_xcnt 0x0
	v_cmpx_gt_u32_e32 7, v0
	s_cbranch_execz .LBB48_550
; %bb.541:
	v_cmp_ne_u32_e32 vcc_lo, 1, v104
	s_cbranch_vccnz .LBB48_543
; %bb.542:
	scratch_load_b64 v[102:103], v43, off
	ds_load_b64 v[106:107], v1
	s_wait_loadcnt_dscnt 0x0
	v_pk_mul_f32 v[108:109], v[106:107], v[102:103] op_sel:[1,1] op_sel_hi:[0,1]
	s_delay_alu instid0(VALU_DEP_1) | instskip(SKIP_1) | instid1(VALU_DEP_2)
	v_pk_fma_f32 v[110:111], v[106:107], v[102:103], v[108:109] op_sel_hi:[1,0,1]
	v_pk_fma_f32 v[102:103], v[106:107], v[102:103], v[108:109] neg_lo:[0,0,1] neg_hi:[0,0,1]
	v_mov_b32_e32 v103, v111
	s_cbranch_execz .LBB48_544
	s_branch .LBB48_545
.LBB48_543:
                                        ; implicit-def: $vgpr102_vgpr103
.LBB48_544:
	ds_load_b64 v[102:103], v1
.LBB48_545:
	s_mov_b32 s2, exec_lo
	v_cmpx_ne_u32_e32 6, v0
	s_cbranch_execz .LBB48_549
; %bb.546:
	v_add_nc_u32_e32 v105, 0x198, v42
	v_add3_u32 v106, 0, v42, 8
	v_mov_b32_e32 v107, v0
	s_mov_b32 s3, 0
.LBB48_547:                             ; =>This Inner Loop Header: Depth=1
	scratch_load_b64 v[108:109], v106, off
	ds_load_b64 v[110:111], v105
	s_wait_xcnt 0x0
	v_dual_add_nc_u32 v105, 8, v105 :: v_dual_add_nc_u32 v106, 8, v106
	s_wait_loadcnt_dscnt 0x0
	v_pk_mul_f32 v[112:113], v[110:111], v[108:109] op_sel:[1,1] op_sel_hi:[0,1]
	s_delay_alu instid0(VALU_DEP_1) | instskip(SKIP_2) | instid1(VALU_DEP_3)
	v_pk_fma_f32 v[114:115], v[110:111], v[108:109], v[112:113] op_sel_hi:[1,0,1]
	v_add_nc_u32_e32 v107, 1, v107
	v_pk_fma_f32 v[108:109], v[110:111], v[108:109], v[112:113] neg_lo:[0,0,1] neg_hi:[0,0,1]
	v_mov_b32_e32 v109, v115
	s_delay_alu instid0(VALU_DEP_3) | instskip(NEXT) | instid1(VALU_DEP_2)
	v_cmp_lt_u32_e32 vcc_lo, 5, v107
	v_pk_add_f32 v[102:103], v[102:103], v[108:109]
	s_or_b32 s3, vcc_lo, s3
	s_delay_alu instid0(SALU_CYCLE_1)
	s_and_not1_b32 exec_lo, exec_lo, s3
	s_cbranch_execnz .LBB48_547
; %bb.548:
	s_or_b32 exec_lo, exec_lo, s3
.LBB48_549:
	s_delay_alu instid0(SALU_CYCLE_1) | instskip(SKIP_4) | instid1(VALU_DEP_1)
	s_or_b32 exec_lo, exec_lo, s2
	v_mov_b32_e32 v105, 0
	ds_load_b64 v[106:107], v105 offset:56
	s_wait_dscnt 0x0
	v_pk_mul_f32 v[108:109], v[102:103], v[106:107] op_sel:[1,1] op_sel_hi:[0,1]
	v_pk_fma_f32 v[110:111], v[102:103], v[106:107], v[108:109] op_sel_hi:[1,0,1]
	v_pk_fma_f32 v[102:103], v[102:103], v[106:107], v[108:109] neg_lo:[0,0,1] neg_hi:[0,0,1]
	s_delay_alu instid0(VALU_DEP_2)
	v_mov_b32_e32 v103, v111
	scratch_store_b64 off, v[102:103], off offset:56
.LBB48_550:
	s_wait_xcnt 0x0
	s_or_b32 exec_lo, exec_lo, s0
	scratch_load_b64 v[102:103], off, off offset:64
	s_mov_b32 s0, exec_lo
	s_wait_loadcnt 0x0
	ds_store_b64 v1, v[102:103]
	s_wait_storecnt_dscnt 0x0
	s_barrier_signal -1
	s_barrier_wait -1
	s_wait_xcnt 0x0
	v_cmpx_gt_u32_e32 8, v0
	s_cbranch_execz .LBB48_560
; %bb.551:
	v_cmp_ne_u32_e32 vcc_lo, 1, v104
	s_cbranch_vccnz .LBB48_553
; %bb.552:
	scratch_load_b64 v[102:103], v43, off
	ds_load_b64 v[106:107], v1
	s_wait_loadcnt_dscnt 0x0
	v_pk_mul_f32 v[108:109], v[106:107], v[102:103] op_sel:[1,1] op_sel_hi:[0,1]
	s_delay_alu instid0(VALU_DEP_1) | instskip(SKIP_1) | instid1(VALU_DEP_2)
	v_pk_fma_f32 v[110:111], v[106:107], v[102:103], v[108:109] op_sel_hi:[1,0,1]
	v_pk_fma_f32 v[102:103], v[106:107], v[102:103], v[108:109] neg_lo:[0,0,1] neg_hi:[0,0,1]
	v_mov_b32_e32 v103, v111
	s_cbranch_execz .LBB48_554
	s_branch .LBB48_555
.LBB48_553:
                                        ; implicit-def: $vgpr102_vgpr103
.LBB48_554:
	ds_load_b64 v[102:103], v1
.LBB48_555:
	s_mov_b32 s2, exec_lo
	v_cmpx_ne_u32_e32 7, v0
	s_cbranch_execz .LBB48_559
; %bb.556:
	v_add_nc_u32_e32 v105, 0x198, v42
	v_add3_u32 v106, 0, v42, 8
	v_mov_b32_e32 v107, v0
	s_mov_b32 s3, 0
.LBB48_557:                             ; =>This Inner Loop Header: Depth=1
	scratch_load_b64 v[108:109], v106, off
	ds_load_b64 v[110:111], v105
	s_wait_xcnt 0x0
	v_dual_add_nc_u32 v105, 8, v105 :: v_dual_add_nc_u32 v106, 8, v106
	s_wait_loadcnt_dscnt 0x0
	v_pk_mul_f32 v[112:113], v[110:111], v[108:109] op_sel:[1,1] op_sel_hi:[0,1]
	s_delay_alu instid0(VALU_DEP_1) | instskip(SKIP_2) | instid1(VALU_DEP_3)
	v_pk_fma_f32 v[114:115], v[110:111], v[108:109], v[112:113] op_sel_hi:[1,0,1]
	v_add_nc_u32_e32 v107, 1, v107
	v_pk_fma_f32 v[108:109], v[110:111], v[108:109], v[112:113] neg_lo:[0,0,1] neg_hi:[0,0,1]
	v_mov_b32_e32 v109, v115
	s_delay_alu instid0(VALU_DEP_3) | instskip(NEXT) | instid1(VALU_DEP_2)
	v_cmp_lt_u32_e32 vcc_lo, 6, v107
	v_pk_add_f32 v[102:103], v[102:103], v[108:109]
	s_or_b32 s3, vcc_lo, s3
	s_delay_alu instid0(SALU_CYCLE_1)
	s_and_not1_b32 exec_lo, exec_lo, s3
	s_cbranch_execnz .LBB48_557
; %bb.558:
	s_or_b32 exec_lo, exec_lo, s3
.LBB48_559:
	s_delay_alu instid0(SALU_CYCLE_1) | instskip(SKIP_4) | instid1(VALU_DEP_1)
	s_or_b32 exec_lo, exec_lo, s2
	v_mov_b32_e32 v105, 0
	ds_load_b64 v[106:107], v105 offset:64
	s_wait_dscnt 0x0
	v_pk_mul_f32 v[108:109], v[102:103], v[106:107] op_sel:[1,1] op_sel_hi:[0,1]
	v_pk_fma_f32 v[110:111], v[102:103], v[106:107], v[108:109] op_sel_hi:[1,0,1]
	v_pk_fma_f32 v[102:103], v[102:103], v[106:107], v[108:109] neg_lo:[0,0,1] neg_hi:[0,0,1]
	s_delay_alu instid0(VALU_DEP_2)
	v_mov_b32_e32 v103, v111
	scratch_store_b64 off, v[102:103], off offset:64
.LBB48_560:
	s_wait_xcnt 0x0
	s_or_b32 exec_lo, exec_lo, s0
	scratch_load_b64 v[102:103], off, off offset:72
	s_mov_b32 s0, exec_lo
	s_wait_loadcnt 0x0
	ds_store_b64 v1, v[102:103]
	s_wait_storecnt_dscnt 0x0
	s_barrier_signal -1
	s_barrier_wait -1
	s_wait_xcnt 0x0
	v_cmpx_gt_u32_e32 9, v0
	s_cbranch_execz .LBB48_570
; %bb.561:
	v_cmp_ne_u32_e32 vcc_lo, 1, v104
	s_cbranch_vccnz .LBB48_563
; %bb.562:
	scratch_load_b64 v[102:103], v43, off
	ds_load_b64 v[106:107], v1
	s_wait_loadcnt_dscnt 0x0
	v_pk_mul_f32 v[108:109], v[106:107], v[102:103] op_sel:[1,1] op_sel_hi:[0,1]
	s_delay_alu instid0(VALU_DEP_1) | instskip(SKIP_1) | instid1(VALU_DEP_2)
	v_pk_fma_f32 v[110:111], v[106:107], v[102:103], v[108:109] op_sel_hi:[1,0,1]
	v_pk_fma_f32 v[102:103], v[106:107], v[102:103], v[108:109] neg_lo:[0,0,1] neg_hi:[0,0,1]
	v_mov_b32_e32 v103, v111
	s_cbranch_execz .LBB48_564
	s_branch .LBB48_565
.LBB48_563:
                                        ; implicit-def: $vgpr102_vgpr103
.LBB48_564:
	ds_load_b64 v[102:103], v1
.LBB48_565:
	s_mov_b32 s2, exec_lo
	v_cmpx_ne_u32_e32 8, v0
	s_cbranch_execz .LBB48_569
; %bb.566:
	v_add_nc_u32_e32 v105, 0x198, v42
	v_add3_u32 v106, 0, v42, 8
	v_mov_b32_e32 v107, v0
	s_mov_b32 s3, 0
.LBB48_567:                             ; =>This Inner Loop Header: Depth=1
	scratch_load_b64 v[108:109], v106, off
	ds_load_b64 v[110:111], v105
	s_wait_xcnt 0x0
	v_dual_add_nc_u32 v105, 8, v105 :: v_dual_add_nc_u32 v106, 8, v106
	s_wait_loadcnt_dscnt 0x0
	v_pk_mul_f32 v[112:113], v[110:111], v[108:109] op_sel:[1,1] op_sel_hi:[0,1]
	s_delay_alu instid0(VALU_DEP_1) | instskip(SKIP_2) | instid1(VALU_DEP_3)
	v_pk_fma_f32 v[114:115], v[110:111], v[108:109], v[112:113] op_sel_hi:[1,0,1]
	v_add_nc_u32_e32 v107, 1, v107
	v_pk_fma_f32 v[108:109], v[110:111], v[108:109], v[112:113] neg_lo:[0,0,1] neg_hi:[0,0,1]
	v_mov_b32_e32 v109, v115
	s_delay_alu instid0(VALU_DEP_3) | instskip(NEXT) | instid1(VALU_DEP_2)
	v_cmp_lt_u32_e32 vcc_lo, 7, v107
	v_pk_add_f32 v[102:103], v[102:103], v[108:109]
	s_or_b32 s3, vcc_lo, s3
	s_delay_alu instid0(SALU_CYCLE_1)
	s_and_not1_b32 exec_lo, exec_lo, s3
	s_cbranch_execnz .LBB48_567
; %bb.568:
	s_or_b32 exec_lo, exec_lo, s3
.LBB48_569:
	s_delay_alu instid0(SALU_CYCLE_1) | instskip(SKIP_4) | instid1(VALU_DEP_1)
	s_or_b32 exec_lo, exec_lo, s2
	v_mov_b32_e32 v105, 0
	ds_load_b64 v[106:107], v105 offset:72
	s_wait_dscnt 0x0
	v_pk_mul_f32 v[108:109], v[102:103], v[106:107] op_sel:[1,1] op_sel_hi:[0,1]
	v_pk_fma_f32 v[110:111], v[102:103], v[106:107], v[108:109] op_sel_hi:[1,0,1]
	v_pk_fma_f32 v[102:103], v[102:103], v[106:107], v[108:109] neg_lo:[0,0,1] neg_hi:[0,0,1]
	s_delay_alu instid0(VALU_DEP_2)
	v_mov_b32_e32 v103, v111
	scratch_store_b64 off, v[102:103], off offset:72
.LBB48_570:
	s_wait_xcnt 0x0
	s_or_b32 exec_lo, exec_lo, s0
	scratch_load_b64 v[102:103], off, off offset:80
	s_mov_b32 s0, exec_lo
	s_wait_loadcnt 0x0
	ds_store_b64 v1, v[102:103]
	s_wait_storecnt_dscnt 0x0
	s_barrier_signal -1
	s_barrier_wait -1
	s_wait_xcnt 0x0
	v_cmpx_gt_u32_e32 10, v0
	s_cbranch_execz .LBB48_580
; %bb.571:
	v_cmp_ne_u32_e32 vcc_lo, 1, v104
	s_cbranch_vccnz .LBB48_573
; %bb.572:
	scratch_load_b64 v[102:103], v43, off
	ds_load_b64 v[106:107], v1
	s_wait_loadcnt_dscnt 0x0
	v_pk_mul_f32 v[108:109], v[106:107], v[102:103] op_sel:[1,1] op_sel_hi:[0,1]
	s_delay_alu instid0(VALU_DEP_1) | instskip(SKIP_1) | instid1(VALU_DEP_2)
	v_pk_fma_f32 v[110:111], v[106:107], v[102:103], v[108:109] op_sel_hi:[1,0,1]
	v_pk_fma_f32 v[102:103], v[106:107], v[102:103], v[108:109] neg_lo:[0,0,1] neg_hi:[0,0,1]
	v_mov_b32_e32 v103, v111
	s_cbranch_execz .LBB48_574
	s_branch .LBB48_575
.LBB48_573:
                                        ; implicit-def: $vgpr102_vgpr103
.LBB48_574:
	ds_load_b64 v[102:103], v1
.LBB48_575:
	s_mov_b32 s2, exec_lo
	v_cmpx_ne_u32_e32 9, v0
	s_cbranch_execz .LBB48_579
; %bb.576:
	v_add_nc_u32_e32 v105, 0x198, v42
	v_add3_u32 v106, 0, v42, 8
	v_mov_b32_e32 v107, v0
	s_mov_b32 s3, 0
.LBB48_577:                             ; =>This Inner Loop Header: Depth=1
	scratch_load_b64 v[108:109], v106, off
	ds_load_b64 v[110:111], v105
	s_wait_xcnt 0x0
	v_dual_add_nc_u32 v105, 8, v105 :: v_dual_add_nc_u32 v106, 8, v106
	s_wait_loadcnt_dscnt 0x0
	v_pk_mul_f32 v[112:113], v[110:111], v[108:109] op_sel:[1,1] op_sel_hi:[0,1]
	s_delay_alu instid0(VALU_DEP_1) | instskip(SKIP_2) | instid1(VALU_DEP_3)
	v_pk_fma_f32 v[114:115], v[110:111], v[108:109], v[112:113] op_sel_hi:[1,0,1]
	v_add_nc_u32_e32 v107, 1, v107
	v_pk_fma_f32 v[108:109], v[110:111], v[108:109], v[112:113] neg_lo:[0,0,1] neg_hi:[0,0,1]
	v_mov_b32_e32 v109, v115
	s_delay_alu instid0(VALU_DEP_3) | instskip(NEXT) | instid1(VALU_DEP_2)
	v_cmp_lt_u32_e32 vcc_lo, 8, v107
	v_pk_add_f32 v[102:103], v[102:103], v[108:109]
	s_or_b32 s3, vcc_lo, s3
	s_delay_alu instid0(SALU_CYCLE_1)
	s_and_not1_b32 exec_lo, exec_lo, s3
	s_cbranch_execnz .LBB48_577
; %bb.578:
	s_or_b32 exec_lo, exec_lo, s3
.LBB48_579:
	s_delay_alu instid0(SALU_CYCLE_1) | instskip(SKIP_4) | instid1(VALU_DEP_1)
	s_or_b32 exec_lo, exec_lo, s2
	v_mov_b32_e32 v105, 0
	ds_load_b64 v[106:107], v105 offset:80
	s_wait_dscnt 0x0
	v_pk_mul_f32 v[108:109], v[102:103], v[106:107] op_sel:[1,1] op_sel_hi:[0,1]
	v_pk_fma_f32 v[110:111], v[102:103], v[106:107], v[108:109] op_sel_hi:[1,0,1]
	v_pk_fma_f32 v[102:103], v[102:103], v[106:107], v[108:109] neg_lo:[0,0,1] neg_hi:[0,0,1]
	s_delay_alu instid0(VALU_DEP_2)
	v_mov_b32_e32 v103, v111
	scratch_store_b64 off, v[102:103], off offset:80
.LBB48_580:
	s_wait_xcnt 0x0
	s_or_b32 exec_lo, exec_lo, s0
	scratch_load_b64 v[102:103], off, off offset:88
	s_mov_b32 s0, exec_lo
	s_wait_loadcnt 0x0
	ds_store_b64 v1, v[102:103]
	s_wait_storecnt_dscnt 0x0
	s_barrier_signal -1
	s_barrier_wait -1
	s_wait_xcnt 0x0
	v_cmpx_gt_u32_e32 11, v0
	s_cbranch_execz .LBB48_590
; %bb.581:
	v_cmp_ne_u32_e32 vcc_lo, 1, v104
	s_cbranch_vccnz .LBB48_583
; %bb.582:
	scratch_load_b64 v[102:103], v43, off
	ds_load_b64 v[106:107], v1
	s_wait_loadcnt_dscnt 0x0
	v_pk_mul_f32 v[108:109], v[106:107], v[102:103] op_sel:[1,1] op_sel_hi:[0,1]
	s_delay_alu instid0(VALU_DEP_1) | instskip(SKIP_1) | instid1(VALU_DEP_2)
	v_pk_fma_f32 v[110:111], v[106:107], v[102:103], v[108:109] op_sel_hi:[1,0,1]
	v_pk_fma_f32 v[102:103], v[106:107], v[102:103], v[108:109] neg_lo:[0,0,1] neg_hi:[0,0,1]
	v_mov_b32_e32 v103, v111
	s_cbranch_execz .LBB48_584
	s_branch .LBB48_585
.LBB48_583:
                                        ; implicit-def: $vgpr102_vgpr103
.LBB48_584:
	ds_load_b64 v[102:103], v1
.LBB48_585:
	s_mov_b32 s2, exec_lo
	v_cmpx_ne_u32_e32 10, v0
	s_cbranch_execz .LBB48_589
; %bb.586:
	v_add_nc_u32_e32 v105, 0x198, v42
	v_add3_u32 v106, 0, v42, 8
	v_mov_b32_e32 v107, v0
	s_mov_b32 s3, 0
.LBB48_587:                             ; =>This Inner Loop Header: Depth=1
	scratch_load_b64 v[108:109], v106, off
	ds_load_b64 v[110:111], v105
	s_wait_xcnt 0x0
	v_dual_add_nc_u32 v105, 8, v105 :: v_dual_add_nc_u32 v106, 8, v106
	s_wait_loadcnt_dscnt 0x0
	v_pk_mul_f32 v[112:113], v[110:111], v[108:109] op_sel:[1,1] op_sel_hi:[0,1]
	s_delay_alu instid0(VALU_DEP_1) | instskip(SKIP_2) | instid1(VALU_DEP_3)
	v_pk_fma_f32 v[114:115], v[110:111], v[108:109], v[112:113] op_sel_hi:[1,0,1]
	v_add_nc_u32_e32 v107, 1, v107
	v_pk_fma_f32 v[108:109], v[110:111], v[108:109], v[112:113] neg_lo:[0,0,1] neg_hi:[0,0,1]
	v_mov_b32_e32 v109, v115
	s_delay_alu instid0(VALU_DEP_3) | instskip(NEXT) | instid1(VALU_DEP_2)
	v_cmp_lt_u32_e32 vcc_lo, 9, v107
	v_pk_add_f32 v[102:103], v[102:103], v[108:109]
	s_or_b32 s3, vcc_lo, s3
	s_delay_alu instid0(SALU_CYCLE_1)
	s_and_not1_b32 exec_lo, exec_lo, s3
	s_cbranch_execnz .LBB48_587
; %bb.588:
	s_or_b32 exec_lo, exec_lo, s3
.LBB48_589:
	s_delay_alu instid0(SALU_CYCLE_1) | instskip(SKIP_4) | instid1(VALU_DEP_1)
	s_or_b32 exec_lo, exec_lo, s2
	v_mov_b32_e32 v105, 0
	ds_load_b64 v[106:107], v105 offset:88
	s_wait_dscnt 0x0
	v_pk_mul_f32 v[108:109], v[102:103], v[106:107] op_sel:[1,1] op_sel_hi:[0,1]
	v_pk_fma_f32 v[110:111], v[102:103], v[106:107], v[108:109] op_sel_hi:[1,0,1]
	v_pk_fma_f32 v[102:103], v[102:103], v[106:107], v[108:109] neg_lo:[0,0,1] neg_hi:[0,0,1]
	s_delay_alu instid0(VALU_DEP_2)
	v_mov_b32_e32 v103, v111
	scratch_store_b64 off, v[102:103], off offset:88
.LBB48_590:
	s_wait_xcnt 0x0
	s_or_b32 exec_lo, exec_lo, s0
	scratch_load_b64 v[102:103], off, off offset:96
	s_mov_b32 s0, exec_lo
	s_wait_loadcnt 0x0
	ds_store_b64 v1, v[102:103]
	s_wait_storecnt_dscnt 0x0
	s_barrier_signal -1
	s_barrier_wait -1
	s_wait_xcnt 0x0
	v_cmpx_gt_u32_e32 12, v0
	s_cbranch_execz .LBB48_600
; %bb.591:
	v_cmp_ne_u32_e32 vcc_lo, 1, v104
	s_cbranch_vccnz .LBB48_593
; %bb.592:
	scratch_load_b64 v[102:103], v43, off
	ds_load_b64 v[106:107], v1
	s_wait_loadcnt_dscnt 0x0
	v_pk_mul_f32 v[108:109], v[106:107], v[102:103] op_sel:[1,1] op_sel_hi:[0,1]
	s_delay_alu instid0(VALU_DEP_1) | instskip(SKIP_1) | instid1(VALU_DEP_2)
	v_pk_fma_f32 v[110:111], v[106:107], v[102:103], v[108:109] op_sel_hi:[1,0,1]
	v_pk_fma_f32 v[102:103], v[106:107], v[102:103], v[108:109] neg_lo:[0,0,1] neg_hi:[0,0,1]
	v_mov_b32_e32 v103, v111
	s_cbranch_execz .LBB48_594
	s_branch .LBB48_595
.LBB48_593:
                                        ; implicit-def: $vgpr102_vgpr103
.LBB48_594:
	ds_load_b64 v[102:103], v1
.LBB48_595:
	s_mov_b32 s2, exec_lo
	v_cmpx_ne_u32_e32 11, v0
	s_cbranch_execz .LBB48_599
; %bb.596:
	v_add_nc_u32_e32 v105, 0x198, v42
	v_add3_u32 v106, 0, v42, 8
	v_mov_b32_e32 v107, v0
	s_mov_b32 s3, 0
.LBB48_597:                             ; =>This Inner Loop Header: Depth=1
	scratch_load_b64 v[108:109], v106, off
	ds_load_b64 v[110:111], v105
	s_wait_xcnt 0x0
	v_dual_add_nc_u32 v105, 8, v105 :: v_dual_add_nc_u32 v106, 8, v106
	s_wait_loadcnt_dscnt 0x0
	v_pk_mul_f32 v[112:113], v[110:111], v[108:109] op_sel:[1,1] op_sel_hi:[0,1]
	s_delay_alu instid0(VALU_DEP_1) | instskip(SKIP_2) | instid1(VALU_DEP_3)
	v_pk_fma_f32 v[114:115], v[110:111], v[108:109], v[112:113] op_sel_hi:[1,0,1]
	v_add_nc_u32_e32 v107, 1, v107
	v_pk_fma_f32 v[108:109], v[110:111], v[108:109], v[112:113] neg_lo:[0,0,1] neg_hi:[0,0,1]
	v_mov_b32_e32 v109, v115
	s_delay_alu instid0(VALU_DEP_3) | instskip(NEXT) | instid1(VALU_DEP_2)
	v_cmp_lt_u32_e32 vcc_lo, 10, v107
	v_pk_add_f32 v[102:103], v[102:103], v[108:109]
	s_or_b32 s3, vcc_lo, s3
	s_delay_alu instid0(SALU_CYCLE_1)
	s_and_not1_b32 exec_lo, exec_lo, s3
	s_cbranch_execnz .LBB48_597
; %bb.598:
	s_or_b32 exec_lo, exec_lo, s3
.LBB48_599:
	s_delay_alu instid0(SALU_CYCLE_1) | instskip(SKIP_4) | instid1(VALU_DEP_1)
	s_or_b32 exec_lo, exec_lo, s2
	v_mov_b32_e32 v105, 0
	ds_load_b64 v[106:107], v105 offset:96
	s_wait_dscnt 0x0
	v_pk_mul_f32 v[108:109], v[102:103], v[106:107] op_sel:[1,1] op_sel_hi:[0,1]
	v_pk_fma_f32 v[110:111], v[102:103], v[106:107], v[108:109] op_sel_hi:[1,0,1]
	v_pk_fma_f32 v[102:103], v[102:103], v[106:107], v[108:109] neg_lo:[0,0,1] neg_hi:[0,0,1]
	s_delay_alu instid0(VALU_DEP_2)
	v_mov_b32_e32 v103, v111
	scratch_store_b64 off, v[102:103], off offset:96
.LBB48_600:
	s_wait_xcnt 0x0
	s_or_b32 exec_lo, exec_lo, s0
	scratch_load_b64 v[102:103], off, off offset:104
	s_mov_b32 s0, exec_lo
	s_wait_loadcnt 0x0
	ds_store_b64 v1, v[102:103]
	s_wait_storecnt_dscnt 0x0
	s_barrier_signal -1
	s_barrier_wait -1
	s_wait_xcnt 0x0
	v_cmpx_gt_u32_e32 13, v0
	s_cbranch_execz .LBB48_610
; %bb.601:
	v_cmp_ne_u32_e32 vcc_lo, 1, v104
	s_cbranch_vccnz .LBB48_603
; %bb.602:
	scratch_load_b64 v[102:103], v43, off
	ds_load_b64 v[106:107], v1
	s_wait_loadcnt_dscnt 0x0
	v_pk_mul_f32 v[108:109], v[106:107], v[102:103] op_sel:[1,1] op_sel_hi:[0,1]
	s_delay_alu instid0(VALU_DEP_1) | instskip(SKIP_1) | instid1(VALU_DEP_2)
	v_pk_fma_f32 v[110:111], v[106:107], v[102:103], v[108:109] op_sel_hi:[1,0,1]
	v_pk_fma_f32 v[102:103], v[106:107], v[102:103], v[108:109] neg_lo:[0,0,1] neg_hi:[0,0,1]
	v_mov_b32_e32 v103, v111
	s_cbranch_execz .LBB48_604
	s_branch .LBB48_605
.LBB48_603:
                                        ; implicit-def: $vgpr102_vgpr103
.LBB48_604:
	ds_load_b64 v[102:103], v1
.LBB48_605:
	s_mov_b32 s2, exec_lo
	v_cmpx_ne_u32_e32 12, v0
	s_cbranch_execz .LBB48_609
; %bb.606:
	v_add_nc_u32_e32 v105, 0x198, v42
	v_add3_u32 v106, 0, v42, 8
	v_mov_b32_e32 v107, v0
	s_mov_b32 s3, 0
.LBB48_607:                             ; =>This Inner Loop Header: Depth=1
	scratch_load_b64 v[108:109], v106, off
	ds_load_b64 v[110:111], v105
	s_wait_xcnt 0x0
	v_dual_add_nc_u32 v105, 8, v105 :: v_dual_add_nc_u32 v106, 8, v106
	s_wait_loadcnt_dscnt 0x0
	v_pk_mul_f32 v[112:113], v[110:111], v[108:109] op_sel:[1,1] op_sel_hi:[0,1]
	s_delay_alu instid0(VALU_DEP_1) | instskip(SKIP_2) | instid1(VALU_DEP_3)
	v_pk_fma_f32 v[114:115], v[110:111], v[108:109], v[112:113] op_sel_hi:[1,0,1]
	v_add_nc_u32_e32 v107, 1, v107
	v_pk_fma_f32 v[108:109], v[110:111], v[108:109], v[112:113] neg_lo:[0,0,1] neg_hi:[0,0,1]
	v_mov_b32_e32 v109, v115
	s_delay_alu instid0(VALU_DEP_3) | instskip(NEXT) | instid1(VALU_DEP_2)
	v_cmp_lt_u32_e32 vcc_lo, 11, v107
	v_pk_add_f32 v[102:103], v[102:103], v[108:109]
	s_or_b32 s3, vcc_lo, s3
	s_delay_alu instid0(SALU_CYCLE_1)
	s_and_not1_b32 exec_lo, exec_lo, s3
	s_cbranch_execnz .LBB48_607
; %bb.608:
	s_or_b32 exec_lo, exec_lo, s3
.LBB48_609:
	s_delay_alu instid0(SALU_CYCLE_1) | instskip(SKIP_4) | instid1(VALU_DEP_1)
	s_or_b32 exec_lo, exec_lo, s2
	v_mov_b32_e32 v105, 0
	ds_load_b64 v[106:107], v105 offset:104
	s_wait_dscnt 0x0
	v_pk_mul_f32 v[108:109], v[102:103], v[106:107] op_sel:[1,1] op_sel_hi:[0,1]
	v_pk_fma_f32 v[110:111], v[102:103], v[106:107], v[108:109] op_sel_hi:[1,0,1]
	v_pk_fma_f32 v[102:103], v[102:103], v[106:107], v[108:109] neg_lo:[0,0,1] neg_hi:[0,0,1]
	s_delay_alu instid0(VALU_DEP_2)
	v_mov_b32_e32 v103, v111
	scratch_store_b64 off, v[102:103], off offset:104
.LBB48_610:
	s_wait_xcnt 0x0
	s_or_b32 exec_lo, exec_lo, s0
	scratch_load_b64 v[102:103], off, off offset:112
	s_mov_b32 s0, exec_lo
	s_wait_loadcnt 0x0
	ds_store_b64 v1, v[102:103]
	s_wait_storecnt_dscnt 0x0
	s_barrier_signal -1
	s_barrier_wait -1
	s_wait_xcnt 0x0
	v_cmpx_gt_u32_e32 14, v0
	s_cbranch_execz .LBB48_620
; %bb.611:
	v_cmp_ne_u32_e32 vcc_lo, 1, v104
	s_cbranch_vccnz .LBB48_613
; %bb.612:
	scratch_load_b64 v[102:103], v43, off
	ds_load_b64 v[106:107], v1
	s_wait_loadcnt_dscnt 0x0
	v_pk_mul_f32 v[108:109], v[106:107], v[102:103] op_sel:[1,1] op_sel_hi:[0,1]
	s_delay_alu instid0(VALU_DEP_1) | instskip(SKIP_1) | instid1(VALU_DEP_2)
	v_pk_fma_f32 v[110:111], v[106:107], v[102:103], v[108:109] op_sel_hi:[1,0,1]
	v_pk_fma_f32 v[102:103], v[106:107], v[102:103], v[108:109] neg_lo:[0,0,1] neg_hi:[0,0,1]
	v_mov_b32_e32 v103, v111
	s_cbranch_execz .LBB48_614
	s_branch .LBB48_615
.LBB48_613:
                                        ; implicit-def: $vgpr102_vgpr103
.LBB48_614:
	ds_load_b64 v[102:103], v1
.LBB48_615:
	s_mov_b32 s2, exec_lo
	v_cmpx_ne_u32_e32 13, v0
	s_cbranch_execz .LBB48_619
; %bb.616:
	v_add_nc_u32_e32 v105, 0x198, v42
	v_add3_u32 v106, 0, v42, 8
	v_mov_b32_e32 v107, v0
	s_mov_b32 s3, 0
.LBB48_617:                             ; =>This Inner Loop Header: Depth=1
	scratch_load_b64 v[108:109], v106, off
	ds_load_b64 v[110:111], v105
	s_wait_xcnt 0x0
	v_dual_add_nc_u32 v105, 8, v105 :: v_dual_add_nc_u32 v106, 8, v106
	s_wait_loadcnt_dscnt 0x0
	v_pk_mul_f32 v[112:113], v[110:111], v[108:109] op_sel:[1,1] op_sel_hi:[0,1]
	s_delay_alu instid0(VALU_DEP_1) | instskip(SKIP_2) | instid1(VALU_DEP_3)
	v_pk_fma_f32 v[114:115], v[110:111], v[108:109], v[112:113] op_sel_hi:[1,0,1]
	v_add_nc_u32_e32 v107, 1, v107
	v_pk_fma_f32 v[108:109], v[110:111], v[108:109], v[112:113] neg_lo:[0,0,1] neg_hi:[0,0,1]
	v_mov_b32_e32 v109, v115
	s_delay_alu instid0(VALU_DEP_3) | instskip(NEXT) | instid1(VALU_DEP_2)
	v_cmp_lt_u32_e32 vcc_lo, 12, v107
	v_pk_add_f32 v[102:103], v[102:103], v[108:109]
	s_or_b32 s3, vcc_lo, s3
	s_delay_alu instid0(SALU_CYCLE_1)
	s_and_not1_b32 exec_lo, exec_lo, s3
	s_cbranch_execnz .LBB48_617
; %bb.618:
	s_or_b32 exec_lo, exec_lo, s3
.LBB48_619:
	s_delay_alu instid0(SALU_CYCLE_1) | instskip(SKIP_4) | instid1(VALU_DEP_1)
	s_or_b32 exec_lo, exec_lo, s2
	v_mov_b32_e32 v105, 0
	ds_load_b64 v[106:107], v105 offset:112
	s_wait_dscnt 0x0
	v_pk_mul_f32 v[108:109], v[102:103], v[106:107] op_sel:[1,1] op_sel_hi:[0,1]
	v_pk_fma_f32 v[110:111], v[102:103], v[106:107], v[108:109] op_sel_hi:[1,0,1]
	v_pk_fma_f32 v[102:103], v[102:103], v[106:107], v[108:109] neg_lo:[0,0,1] neg_hi:[0,0,1]
	s_delay_alu instid0(VALU_DEP_2)
	v_mov_b32_e32 v103, v111
	scratch_store_b64 off, v[102:103], off offset:112
.LBB48_620:
	s_wait_xcnt 0x0
	s_or_b32 exec_lo, exec_lo, s0
	scratch_load_b64 v[102:103], off, off offset:120
	s_mov_b32 s0, exec_lo
	s_wait_loadcnt 0x0
	ds_store_b64 v1, v[102:103]
	s_wait_storecnt_dscnt 0x0
	s_barrier_signal -1
	s_barrier_wait -1
	s_wait_xcnt 0x0
	v_cmpx_gt_u32_e32 15, v0
	s_cbranch_execz .LBB48_630
; %bb.621:
	v_cmp_ne_u32_e32 vcc_lo, 1, v104
	s_cbranch_vccnz .LBB48_623
; %bb.622:
	scratch_load_b64 v[102:103], v43, off
	ds_load_b64 v[106:107], v1
	s_wait_loadcnt_dscnt 0x0
	v_pk_mul_f32 v[108:109], v[106:107], v[102:103] op_sel:[1,1] op_sel_hi:[0,1]
	s_delay_alu instid0(VALU_DEP_1) | instskip(SKIP_1) | instid1(VALU_DEP_2)
	v_pk_fma_f32 v[110:111], v[106:107], v[102:103], v[108:109] op_sel_hi:[1,0,1]
	v_pk_fma_f32 v[102:103], v[106:107], v[102:103], v[108:109] neg_lo:[0,0,1] neg_hi:[0,0,1]
	v_mov_b32_e32 v103, v111
	s_cbranch_execz .LBB48_624
	s_branch .LBB48_625
.LBB48_623:
                                        ; implicit-def: $vgpr102_vgpr103
.LBB48_624:
	ds_load_b64 v[102:103], v1
.LBB48_625:
	s_mov_b32 s2, exec_lo
	v_cmpx_ne_u32_e32 14, v0
	s_cbranch_execz .LBB48_629
; %bb.626:
	v_add_nc_u32_e32 v105, 0x198, v42
	v_add3_u32 v106, 0, v42, 8
	v_mov_b32_e32 v107, v0
	s_mov_b32 s3, 0
.LBB48_627:                             ; =>This Inner Loop Header: Depth=1
	scratch_load_b64 v[108:109], v106, off
	ds_load_b64 v[110:111], v105
	s_wait_xcnt 0x0
	v_dual_add_nc_u32 v105, 8, v105 :: v_dual_add_nc_u32 v106, 8, v106
	s_wait_loadcnt_dscnt 0x0
	v_pk_mul_f32 v[112:113], v[110:111], v[108:109] op_sel:[1,1] op_sel_hi:[0,1]
	s_delay_alu instid0(VALU_DEP_1) | instskip(SKIP_2) | instid1(VALU_DEP_3)
	v_pk_fma_f32 v[114:115], v[110:111], v[108:109], v[112:113] op_sel_hi:[1,0,1]
	v_add_nc_u32_e32 v107, 1, v107
	v_pk_fma_f32 v[108:109], v[110:111], v[108:109], v[112:113] neg_lo:[0,0,1] neg_hi:[0,0,1]
	v_mov_b32_e32 v109, v115
	s_delay_alu instid0(VALU_DEP_3) | instskip(NEXT) | instid1(VALU_DEP_2)
	v_cmp_lt_u32_e32 vcc_lo, 13, v107
	v_pk_add_f32 v[102:103], v[102:103], v[108:109]
	s_or_b32 s3, vcc_lo, s3
	s_delay_alu instid0(SALU_CYCLE_1)
	s_and_not1_b32 exec_lo, exec_lo, s3
	s_cbranch_execnz .LBB48_627
; %bb.628:
	s_or_b32 exec_lo, exec_lo, s3
.LBB48_629:
	s_delay_alu instid0(SALU_CYCLE_1) | instskip(SKIP_4) | instid1(VALU_DEP_1)
	s_or_b32 exec_lo, exec_lo, s2
	v_mov_b32_e32 v105, 0
	ds_load_b64 v[106:107], v105 offset:120
	s_wait_dscnt 0x0
	v_pk_mul_f32 v[108:109], v[102:103], v[106:107] op_sel:[1,1] op_sel_hi:[0,1]
	v_pk_fma_f32 v[110:111], v[102:103], v[106:107], v[108:109] op_sel_hi:[1,0,1]
	v_pk_fma_f32 v[102:103], v[102:103], v[106:107], v[108:109] neg_lo:[0,0,1] neg_hi:[0,0,1]
	s_delay_alu instid0(VALU_DEP_2)
	v_mov_b32_e32 v103, v111
	scratch_store_b64 off, v[102:103], off offset:120
.LBB48_630:
	s_wait_xcnt 0x0
	s_or_b32 exec_lo, exec_lo, s0
	scratch_load_b64 v[102:103], off, off offset:128
	s_mov_b32 s0, exec_lo
	s_wait_loadcnt 0x0
	ds_store_b64 v1, v[102:103]
	s_wait_storecnt_dscnt 0x0
	s_barrier_signal -1
	s_barrier_wait -1
	s_wait_xcnt 0x0
	v_cmpx_gt_u32_e32 16, v0
	s_cbranch_execz .LBB48_640
; %bb.631:
	v_cmp_ne_u32_e32 vcc_lo, 1, v104
	s_cbranch_vccnz .LBB48_633
; %bb.632:
	scratch_load_b64 v[102:103], v43, off
	ds_load_b64 v[106:107], v1
	s_wait_loadcnt_dscnt 0x0
	v_pk_mul_f32 v[108:109], v[106:107], v[102:103] op_sel:[1,1] op_sel_hi:[0,1]
	s_delay_alu instid0(VALU_DEP_1) | instskip(SKIP_1) | instid1(VALU_DEP_2)
	v_pk_fma_f32 v[110:111], v[106:107], v[102:103], v[108:109] op_sel_hi:[1,0,1]
	v_pk_fma_f32 v[102:103], v[106:107], v[102:103], v[108:109] neg_lo:[0,0,1] neg_hi:[0,0,1]
	v_mov_b32_e32 v103, v111
	s_cbranch_execz .LBB48_634
	s_branch .LBB48_635
.LBB48_633:
                                        ; implicit-def: $vgpr102_vgpr103
.LBB48_634:
	ds_load_b64 v[102:103], v1
.LBB48_635:
	s_mov_b32 s2, exec_lo
	v_cmpx_ne_u32_e32 15, v0
	s_cbranch_execz .LBB48_639
; %bb.636:
	v_add_nc_u32_e32 v105, 0x198, v42
	v_add3_u32 v106, 0, v42, 8
	v_mov_b32_e32 v107, v0
	s_mov_b32 s3, 0
.LBB48_637:                             ; =>This Inner Loop Header: Depth=1
	scratch_load_b64 v[108:109], v106, off
	ds_load_b64 v[110:111], v105
	s_wait_xcnt 0x0
	v_dual_add_nc_u32 v105, 8, v105 :: v_dual_add_nc_u32 v106, 8, v106
	s_wait_loadcnt_dscnt 0x0
	v_pk_mul_f32 v[112:113], v[110:111], v[108:109] op_sel:[1,1] op_sel_hi:[0,1]
	s_delay_alu instid0(VALU_DEP_1) | instskip(SKIP_2) | instid1(VALU_DEP_3)
	v_pk_fma_f32 v[114:115], v[110:111], v[108:109], v[112:113] op_sel_hi:[1,0,1]
	v_add_nc_u32_e32 v107, 1, v107
	v_pk_fma_f32 v[108:109], v[110:111], v[108:109], v[112:113] neg_lo:[0,0,1] neg_hi:[0,0,1]
	v_mov_b32_e32 v109, v115
	s_delay_alu instid0(VALU_DEP_3) | instskip(NEXT) | instid1(VALU_DEP_2)
	v_cmp_lt_u32_e32 vcc_lo, 14, v107
	v_pk_add_f32 v[102:103], v[102:103], v[108:109]
	s_or_b32 s3, vcc_lo, s3
	s_delay_alu instid0(SALU_CYCLE_1)
	s_and_not1_b32 exec_lo, exec_lo, s3
	s_cbranch_execnz .LBB48_637
; %bb.638:
	s_or_b32 exec_lo, exec_lo, s3
.LBB48_639:
	s_delay_alu instid0(SALU_CYCLE_1) | instskip(SKIP_4) | instid1(VALU_DEP_1)
	s_or_b32 exec_lo, exec_lo, s2
	v_mov_b32_e32 v105, 0
	ds_load_b64 v[106:107], v105 offset:128
	s_wait_dscnt 0x0
	v_pk_mul_f32 v[108:109], v[102:103], v[106:107] op_sel:[1,1] op_sel_hi:[0,1]
	v_pk_fma_f32 v[110:111], v[102:103], v[106:107], v[108:109] op_sel_hi:[1,0,1]
	v_pk_fma_f32 v[102:103], v[102:103], v[106:107], v[108:109] neg_lo:[0,0,1] neg_hi:[0,0,1]
	s_delay_alu instid0(VALU_DEP_2)
	v_mov_b32_e32 v103, v111
	scratch_store_b64 off, v[102:103], off offset:128
.LBB48_640:
	s_wait_xcnt 0x0
	s_or_b32 exec_lo, exec_lo, s0
	scratch_load_b64 v[102:103], off, off offset:136
	s_mov_b32 s0, exec_lo
	s_wait_loadcnt 0x0
	ds_store_b64 v1, v[102:103]
	s_wait_storecnt_dscnt 0x0
	s_barrier_signal -1
	s_barrier_wait -1
	s_wait_xcnt 0x0
	v_cmpx_gt_u32_e32 17, v0
	s_cbranch_execz .LBB48_650
; %bb.641:
	v_cmp_ne_u32_e32 vcc_lo, 1, v104
	s_cbranch_vccnz .LBB48_643
; %bb.642:
	scratch_load_b64 v[102:103], v43, off
	ds_load_b64 v[106:107], v1
	s_wait_loadcnt_dscnt 0x0
	v_pk_mul_f32 v[108:109], v[106:107], v[102:103] op_sel:[1,1] op_sel_hi:[0,1]
	s_delay_alu instid0(VALU_DEP_1) | instskip(SKIP_1) | instid1(VALU_DEP_2)
	v_pk_fma_f32 v[110:111], v[106:107], v[102:103], v[108:109] op_sel_hi:[1,0,1]
	v_pk_fma_f32 v[102:103], v[106:107], v[102:103], v[108:109] neg_lo:[0,0,1] neg_hi:[0,0,1]
	v_mov_b32_e32 v103, v111
	s_cbranch_execz .LBB48_644
	s_branch .LBB48_645
.LBB48_643:
                                        ; implicit-def: $vgpr102_vgpr103
.LBB48_644:
	ds_load_b64 v[102:103], v1
.LBB48_645:
	s_mov_b32 s2, exec_lo
	v_cmpx_ne_u32_e32 16, v0
	s_cbranch_execz .LBB48_649
; %bb.646:
	v_add_nc_u32_e32 v105, 0x198, v42
	v_add3_u32 v106, 0, v42, 8
	v_mov_b32_e32 v107, v0
	s_mov_b32 s3, 0
.LBB48_647:                             ; =>This Inner Loop Header: Depth=1
	scratch_load_b64 v[108:109], v106, off
	ds_load_b64 v[110:111], v105
	s_wait_xcnt 0x0
	v_dual_add_nc_u32 v105, 8, v105 :: v_dual_add_nc_u32 v106, 8, v106
	s_wait_loadcnt_dscnt 0x0
	v_pk_mul_f32 v[112:113], v[110:111], v[108:109] op_sel:[1,1] op_sel_hi:[0,1]
	s_delay_alu instid0(VALU_DEP_1) | instskip(SKIP_2) | instid1(VALU_DEP_3)
	v_pk_fma_f32 v[114:115], v[110:111], v[108:109], v[112:113] op_sel_hi:[1,0,1]
	v_add_nc_u32_e32 v107, 1, v107
	v_pk_fma_f32 v[108:109], v[110:111], v[108:109], v[112:113] neg_lo:[0,0,1] neg_hi:[0,0,1]
	v_mov_b32_e32 v109, v115
	s_delay_alu instid0(VALU_DEP_3) | instskip(NEXT) | instid1(VALU_DEP_2)
	v_cmp_lt_u32_e32 vcc_lo, 15, v107
	v_pk_add_f32 v[102:103], v[102:103], v[108:109]
	s_or_b32 s3, vcc_lo, s3
	s_delay_alu instid0(SALU_CYCLE_1)
	s_and_not1_b32 exec_lo, exec_lo, s3
	s_cbranch_execnz .LBB48_647
; %bb.648:
	s_or_b32 exec_lo, exec_lo, s3
.LBB48_649:
	s_delay_alu instid0(SALU_CYCLE_1) | instskip(SKIP_4) | instid1(VALU_DEP_1)
	s_or_b32 exec_lo, exec_lo, s2
	v_mov_b32_e32 v105, 0
	ds_load_b64 v[106:107], v105 offset:136
	s_wait_dscnt 0x0
	v_pk_mul_f32 v[108:109], v[102:103], v[106:107] op_sel:[1,1] op_sel_hi:[0,1]
	v_pk_fma_f32 v[110:111], v[102:103], v[106:107], v[108:109] op_sel_hi:[1,0,1]
	v_pk_fma_f32 v[102:103], v[102:103], v[106:107], v[108:109] neg_lo:[0,0,1] neg_hi:[0,0,1]
	s_delay_alu instid0(VALU_DEP_2)
	v_mov_b32_e32 v103, v111
	scratch_store_b64 off, v[102:103], off offset:136
.LBB48_650:
	s_wait_xcnt 0x0
	s_or_b32 exec_lo, exec_lo, s0
	scratch_load_b64 v[102:103], off, off offset:144
	s_mov_b32 s0, exec_lo
	s_wait_loadcnt 0x0
	ds_store_b64 v1, v[102:103]
	s_wait_storecnt_dscnt 0x0
	s_barrier_signal -1
	s_barrier_wait -1
	s_wait_xcnt 0x0
	v_cmpx_gt_u32_e32 18, v0
	s_cbranch_execz .LBB48_660
; %bb.651:
	v_cmp_ne_u32_e32 vcc_lo, 1, v104
	s_cbranch_vccnz .LBB48_653
; %bb.652:
	scratch_load_b64 v[102:103], v43, off
	ds_load_b64 v[106:107], v1
	s_wait_loadcnt_dscnt 0x0
	v_pk_mul_f32 v[108:109], v[106:107], v[102:103] op_sel:[1,1] op_sel_hi:[0,1]
	s_delay_alu instid0(VALU_DEP_1) | instskip(SKIP_1) | instid1(VALU_DEP_2)
	v_pk_fma_f32 v[110:111], v[106:107], v[102:103], v[108:109] op_sel_hi:[1,0,1]
	v_pk_fma_f32 v[102:103], v[106:107], v[102:103], v[108:109] neg_lo:[0,0,1] neg_hi:[0,0,1]
	v_mov_b32_e32 v103, v111
	s_cbranch_execz .LBB48_654
	s_branch .LBB48_655
.LBB48_653:
                                        ; implicit-def: $vgpr102_vgpr103
.LBB48_654:
	ds_load_b64 v[102:103], v1
.LBB48_655:
	s_mov_b32 s2, exec_lo
	v_cmpx_ne_u32_e32 17, v0
	s_cbranch_execz .LBB48_659
; %bb.656:
	v_add_nc_u32_e32 v105, 0x198, v42
	v_add3_u32 v106, 0, v42, 8
	v_mov_b32_e32 v107, v0
	s_mov_b32 s3, 0
.LBB48_657:                             ; =>This Inner Loop Header: Depth=1
	scratch_load_b64 v[108:109], v106, off
	ds_load_b64 v[110:111], v105
	s_wait_xcnt 0x0
	v_dual_add_nc_u32 v105, 8, v105 :: v_dual_add_nc_u32 v106, 8, v106
	s_wait_loadcnt_dscnt 0x0
	v_pk_mul_f32 v[112:113], v[110:111], v[108:109] op_sel:[1,1] op_sel_hi:[0,1]
	s_delay_alu instid0(VALU_DEP_1) | instskip(SKIP_2) | instid1(VALU_DEP_3)
	v_pk_fma_f32 v[114:115], v[110:111], v[108:109], v[112:113] op_sel_hi:[1,0,1]
	v_add_nc_u32_e32 v107, 1, v107
	v_pk_fma_f32 v[108:109], v[110:111], v[108:109], v[112:113] neg_lo:[0,0,1] neg_hi:[0,0,1]
	v_mov_b32_e32 v109, v115
	s_delay_alu instid0(VALU_DEP_3) | instskip(NEXT) | instid1(VALU_DEP_2)
	v_cmp_lt_u32_e32 vcc_lo, 16, v107
	v_pk_add_f32 v[102:103], v[102:103], v[108:109]
	s_or_b32 s3, vcc_lo, s3
	s_delay_alu instid0(SALU_CYCLE_1)
	s_and_not1_b32 exec_lo, exec_lo, s3
	s_cbranch_execnz .LBB48_657
; %bb.658:
	s_or_b32 exec_lo, exec_lo, s3
.LBB48_659:
	s_delay_alu instid0(SALU_CYCLE_1) | instskip(SKIP_4) | instid1(VALU_DEP_1)
	s_or_b32 exec_lo, exec_lo, s2
	v_mov_b32_e32 v105, 0
	ds_load_b64 v[106:107], v105 offset:144
	s_wait_dscnt 0x0
	v_pk_mul_f32 v[108:109], v[102:103], v[106:107] op_sel:[1,1] op_sel_hi:[0,1]
	v_pk_fma_f32 v[110:111], v[102:103], v[106:107], v[108:109] op_sel_hi:[1,0,1]
	v_pk_fma_f32 v[102:103], v[102:103], v[106:107], v[108:109] neg_lo:[0,0,1] neg_hi:[0,0,1]
	s_delay_alu instid0(VALU_DEP_2)
	v_mov_b32_e32 v103, v111
	scratch_store_b64 off, v[102:103], off offset:144
.LBB48_660:
	s_wait_xcnt 0x0
	s_or_b32 exec_lo, exec_lo, s0
	scratch_load_b64 v[102:103], off, off offset:152
	s_mov_b32 s0, exec_lo
	s_wait_loadcnt 0x0
	ds_store_b64 v1, v[102:103]
	s_wait_storecnt_dscnt 0x0
	s_barrier_signal -1
	s_barrier_wait -1
	s_wait_xcnt 0x0
	v_cmpx_gt_u32_e32 19, v0
	s_cbranch_execz .LBB48_670
; %bb.661:
	v_cmp_ne_u32_e32 vcc_lo, 1, v104
	s_cbranch_vccnz .LBB48_663
; %bb.662:
	scratch_load_b64 v[102:103], v43, off
	ds_load_b64 v[106:107], v1
	s_wait_loadcnt_dscnt 0x0
	v_pk_mul_f32 v[108:109], v[106:107], v[102:103] op_sel:[1,1] op_sel_hi:[0,1]
	s_delay_alu instid0(VALU_DEP_1) | instskip(SKIP_1) | instid1(VALU_DEP_2)
	v_pk_fma_f32 v[110:111], v[106:107], v[102:103], v[108:109] op_sel_hi:[1,0,1]
	v_pk_fma_f32 v[102:103], v[106:107], v[102:103], v[108:109] neg_lo:[0,0,1] neg_hi:[0,0,1]
	v_mov_b32_e32 v103, v111
	s_cbranch_execz .LBB48_664
	s_branch .LBB48_665
.LBB48_663:
                                        ; implicit-def: $vgpr102_vgpr103
.LBB48_664:
	ds_load_b64 v[102:103], v1
.LBB48_665:
	s_mov_b32 s2, exec_lo
	v_cmpx_ne_u32_e32 18, v0
	s_cbranch_execz .LBB48_669
; %bb.666:
	v_add_nc_u32_e32 v105, 0x198, v42
	v_add3_u32 v106, 0, v42, 8
	v_mov_b32_e32 v107, v0
	s_mov_b32 s3, 0
.LBB48_667:                             ; =>This Inner Loop Header: Depth=1
	scratch_load_b64 v[108:109], v106, off
	ds_load_b64 v[110:111], v105
	s_wait_xcnt 0x0
	v_dual_add_nc_u32 v105, 8, v105 :: v_dual_add_nc_u32 v106, 8, v106
	s_wait_loadcnt_dscnt 0x0
	v_pk_mul_f32 v[112:113], v[110:111], v[108:109] op_sel:[1,1] op_sel_hi:[0,1]
	s_delay_alu instid0(VALU_DEP_1) | instskip(SKIP_2) | instid1(VALU_DEP_3)
	v_pk_fma_f32 v[114:115], v[110:111], v[108:109], v[112:113] op_sel_hi:[1,0,1]
	v_add_nc_u32_e32 v107, 1, v107
	v_pk_fma_f32 v[108:109], v[110:111], v[108:109], v[112:113] neg_lo:[0,0,1] neg_hi:[0,0,1]
	v_mov_b32_e32 v109, v115
	s_delay_alu instid0(VALU_DEP_3) | instskip(NEXT) | instid1(VALU_DEP_2)
	v_cmp_lt_u32_e32 vcc_lo, 17, v107
	v_pk_add_f32 v[102:103], v[102:103], v[108:109]
	s_or_b32 s3, vcc_lo, s3
	s_delay_alu instid0(SALU_CYCLE_1)
	s_and_not1_b32 exec_lo, exec_lo, s3
	s_cbranch_execnz .LBB48_667
; %bb.668:
	s_or_b32 exec_lo, exec_lo, s3
.LBB48_669:
	s_delay_alu instid0(SALU_CYCLE_1) | instskip(SKIP_4) | instid1(VALU_DEP_1)
	s_or_b32 exec_lo, exec_lo, s2
	v_mov_b32_e32 v105, 0
	ds_load_b64 v[106:107], v105 offset:152
	s_wait_dscnt 0x0
	v_pk_mul_f32 v[108:109], v[102:103], v[106:107] op_sel:[1,1] op_sel_hi:[0,1]
	v_pk_fma_f32 v[110:111], v[102:103], v[106:107], v[108:109] op_sel_hi:[1,0,1]
	v_pk_fma_f32 v[102:103], v[102:103], v[106:107], v[108:109] neg_lo:[0,0,1] neg_hi:[0,0,1]
	s_delay_alu instid0(VALU_DEP_2)
	v_mov_b32_e32 v103, v111
	scratch_store_b64 off, v[102:103], off offset:152
.LBB48_670:
	s_wait_xcnt 0x0
	s_or_b32 exec_lo, exec_lo, s0
	scratch_load_b64 v[102:103], off, off offset:160
	s_mov_b32 s0, exec_lo
	s_wait_loadcnt 0x0
	ds_store_b64 v1, v[102:103]
	s_wait_storecnt_dscnt 0x0
	s_barrier_signal -1
	s_barrier_wait -1
	s_wait_xcnt 0x0
	v_cmpx_gt_u32_e32 20, v0
	s_cbranch_execz .LBB48_680
; %bb.671:
	v_cmp_ne_u32_e32 vcc_lo, 1, v104
	s_cbranch_vccnz .LBB48_673
; %bb.672:
	scratch_load_b64 v[102:103], v43, off
	ds_load_b64 v[106:107], v1
	s_wait_loadcnt_dscnt 0x0
	v_pk_mul_f32 v[108:109], v[106:107], v[102:103] op_sel:[1,1] op_sel_hi:[0,1]
	s_delay_alu instid0(VALU_DEP_1) | instskip(SKIP_1) | instid1(VALU_DEP_2)
	v_pk_fma_f32 v[110:111], v[106:107], v[102:103], v[108:109] op_sel_hi:[1,0,1]
	v_pk_fma_f32 v[102:103], v[106:107], v[102:103], v[108:109] neg_lo:[0,0,1] neg_hi:[0,0,1]
	v_mov_b32_e32 v103, v111
	s_cbranch_execz .LBB48_674
	s_branch .LBB48_675
.LBB48_673:
                                        ; implicit-def: $vgpr102_vgpr103
.LBB48_674:
	ds_load_b64 v[102:103], v1
.LBB48_675:
	s_mov_b32 s2, exec_lo
	v_cmpx_ne_u32_e32 19, v0
	s_cbranch_execz .LBB48_679
; %bb.676:
	v_add_nc_u32_e32 v105, 0x198, v42
	v_add3_u32 v106, 0, v42, 8
	v_mov_b32_e32 v107, v0
	s_mov_b32 s3, 0
.LBB48_677:                             ; =>This Inner Loop Header: Depth=1
	scratch_load_b64 v[108:109], v106, off
	ds_load_b64 v[110:111], v105
	s_wait_xcnt 0x0
	v_dual_add_nc_u32 v105, 8, v105 :: v_dual_add_nc_u32 v106, 8, v106
	s_wait_loadcnt_dscnt 0x0
	v_pk_mul_f32 v[112:113], v[110:111], v[108:109] op_sel:[1,1] op_sel_hi:[0,1]
	s_delay_alu instid0(VALU_DEP_1) | instskip(SKIP_2) | instid1(VALU_DEP_3)
	v_pk_fma_f32 v[114:115], v[110:111], v[108:109], v[112:113] op_sel_hi:[1,0,1]
	v_add_nc_u32_e32 v107, 1, v107
	v_pk_fma_f32 v[108:109], v[110:111], v[108:109], v[112:113] neg_lo:[0,0,1] neg_hi:[0,0,1]
	v_mov_b32_e32 v109, v115
	s_delay_alu instid0(VALU_DEP_3) | instskip(NEXT) | instid1(VALU_DEP_2)
	v_cmp_lt_u32_e32 vcc_lo, 18, v107
	v_pk_add_f32 v[102:103], v[102:103], v[108:109]
	s_or_b32 s3, vcc_lo, s3
	s_delay_alu instid0(SALU_CYCLE_1)
	s_and_not1_b32 exec_lo, exec_lo, s3
	s_cbranch_execnz .LBB48_677
; %bb.678:
	s_or_b32 exec_lo, exec_lo, s3
.LBB48_679:
	s_delay_alu instid0(SALU_CYCLE_1) | instskip(SKIP_4) | instid1(VALU_DEP_1)
	s_or_b32 exec_lo, exec_lo, s2
	v_mov_b32_e32 v105, 0
	ds_load_b64 v[106:107], v105 offset:160
	s_wait_dscnt 0x0
	v_pk_mul_f32 v[108:109], v[102:103], v[106:107] op_sel:[1,1] op_sel_hi:[0,1]
	v_pk_fma_f32 v[110:111], v[102:103], v[106:107], v[108:109] op_sel_hi:[1,0,1]
	v_pk_fma_f32 v[102:103], v[102:103], v[106:107], v[108:109] neg_lo:[0,0,1] neg_hi:[0,0,1]
	s_delay_alu instid0(VALU_DEP_2)
	v_mov_b32_e32 v103, v111
	scratch_store_b64 off, v[102:103], off offset:160
.LBB48_680:
	s_wait_xcnt 0x0
	s_or_b32 exec_lo, exec_lo, s0
	scratch_load_b64 v[102:103], off, off offset:168
	s_mov_b32 s0, exec_lo
	s_wait_loadcnt 0x0
	ds_store_b64 v1, v[102:103]
	s_wait_storecnt_dscnt 0x0
	s_barrier_signal -1
	s_barrier_wait -1
	s_wait_xcnt 0x0
	v_cmpx_gt_u32_e32 21, v0
	s_cbranch_execz .LBB48_690
; %bb.681:
	v_cmp_ne_u32_e32 vcc_lo, 1, v104
	s_cbranch_vccnz .LBB48_683
; %bb.682:
	scratch_load_b64 v[102:103], v43, off
	ds_load_b64 v[106:107], v1
	s_wait_loadcnt_dscnt 0x0
	v_pk_mul_f32 v[108:109], v[106:107], v[102:103] op_sel:[1,1] op_sel_hi:[0,1]
	s_delay_alu instid0(VALU_DEP_1) | instskip(SKIP_1) | instid1(VALU_DEP_2)
	v_pk_fma_f32 v[110:111], v[106:107], v[102:103], v[108:109] op_sel_hi:[1,0,1]
	v_pk_fma_f32 v[102:103], v[106:107], v[102:103], v[108:109] neg_lo:[0,0,1] neg_hi:[0,0,1]
	v_mov_b32_e32 v103, v111
	s_cbranch_execz .LBB48_684
	s_branch .LBB48_685
.LBB48_683:
                                        ; implicit-def: $vgpr102_vgpr103
.LBB48_684:
	ds_load_b64 v[102:103], v1
.LBB48_685:
	s_mov_b32 s2, exec_lo
	v_cmpx_ne_u32_e32 20, v0
	s_cbranch_execz .LBB48_689
; %bb.686:
	v_add_nc_u32_e32 v105, 0x198, v42
	v_add3_u32 v106, 0, v42, 8
	v_mov_b32_e32 v107, v0
	s_mov_b32 s3, 0
.LBB48_687:                             ; =>This Inner Loop Header: Depth=1
	scratch_load_b64 v[108:109], v106, off
	ds_load_b64 v[110:111], v105
	s_wait_xcnt 0x0
	v_dual_add_nc_u32 v105, 8, v105 :: v_dual_add_nc_u32 v106, 8, v106
	s_wait_loadcnt_dscnt 0x0
	v_pk_mul_f32 v[112:113], v[110:111], v[108:109] op_sel:[1,1] op_sel_hi:[0,1]
	s_delay_alu instid0(VALU_DEP_1) | instskip(SKIP_2) | instid1(VALU_DEP_3)
	v_pk_fma_f32 v[114:115], v[110:111], v[108:109], v[112:113] op_sel_hi:[1,0,1]
	v_add_nc_u32_e32 v107, 1, v107
	v_pk_fma_f32 v[108:109], v[110:111], v[108:109], v[112:113] neg_lo:[0,0,1] neg_hi:[0,0,1]
	v_mov_b32_e32 v109, v115
	s_delay_alu instid0(VALU_DEP_3) | instskip(NEXT) | instid1(VALU_DEP_2)
	v_cmp_lt_u32_e32 vcc_lo, 19, v107
	v_pk_add_f32 v[102:103], v[102:103], v[108:109]
	s_or_b32 s3, vcc_lo, s3
	s_delay_alu instid0(SALU_CYCLE_1)
	s_and_not1_b32 exec_lo, exec_lo, s3
	s_cbranch_execnz .LBB48_687
; %bb.688:
	s_or_b32 exec_lo, exec_lo, s3
.LBB48_689:
	s_delay_alu instid0(SALU_CYCLE_1) | instskip(SKIP_4) | instid1(VALU_DEP_1)
	s_or_b32 exec_lo, exec_lo, s2
	v_mov_b32_e32 v105, 0
	ds_load_b64 v[106:107], v105 offset:168
	s_wait_dscnt 0x0
	v_pk_mul_f32 v[108:109], v[102:103], v[106:107] op_sel:[1,1] op_sel_hi:[0,1]
	v_pk_fma_f32 v[110:111], v[102:103], v[106:107], v[108:109] op_sel_hi:[1,0,1]
	v_pk_fma_f32 v[102:103], v[102:103], v[106:107], v[108:109] neg_lo:[0,0,1] neg_hi:[0,0,1]
	s_delay_alu instid0(VALU_DEP_2)
	v_mov_b32_e32 v103, v111
	scratch_store_b64 off, v[102:103], off offset:168
.LBB48_690:
	s_wait_xcnt 0x0
	s_or_b32 exec_lo, exec_lo, s0
	scratch_load_b64 v[102:103], off, off offset:176
	s_mov_b32 s0, exec_lo
	s_wait_loadcnt 0x0
	ds_store_b64 v1, v[102:103]
	s_wait_storecnt_dscnt 0x0
	s_barrier_signal -1
	s_barrier_wait -1
	s_wait_xcnt 0x0
	v_cmpx_gt_u32_e32 22, v0
	s_cbranch_execz .LBB48_700
; %bb.691:
	v_cmp_ne_u32_e32 vcc_lo, 1, v104
	s_cbranch_vccnz .LBB48_693
; %bb.692:
	scratch_load_b64 v[102:103], v43, off
	ds_load_b64 v[106:107], v1
	s_wait_loadcnt_dscnt 0x0
	v_pk_mul_f32 v[108:109], v[106:107], v[102:103] op_sel:[1,1] op_sel_hi:[0,1]
	s_delay_alu instid0(VALU_DEP_1) | instskip(SKIP_1) | instid1(VALU_DEP_2)
	v_pk_fma_f32 v[110:111], v[106:107], v[102:103], v[108:109] op_sel_hi:[1,0,1]
	v_pk_fma_f32 v[102:103], v[106:107], v[102:103], v[108:109] neg_lo:[0,0,1] neg_hi:[0,0,1]
	v_mov_b32_e32 v103, v111
	s_cbranch_execz .LBB48_694
	s_branch .LBB48_695
.LBB48_693:
                                        ; implicit-def: $vgpr102_vgpr103
.LBB48_694:
	ds_load_b64 v[102:103], v1
.LBB48_695:
	s_mov_b32 s2, exec_lo
	v_cmpx_ne_u32_e32 21, v0
	s_cbranch_execz .LBB48_699
; %bb.696:
	v_add_nc_u32_e32 v105, 0x198, v42
	v_add3_u32 v106, 0, v42, 8
	v_mov_b32_e32 v107, v0
	s_mov_b32 s3, 0
.LBB48_697:                             ; =>This Inner Loop Header: Depth=1
	scratch_load_b64 v[108:109], v106, off
	ds_load_b64 v[110:111], v105
	s_wait_xcnt 0x0
	v_dual_add_nc_u32 v105, 8, v105 :: v_dual_add_nc_u32 v106, 8, v106
	s_wait_loadcnt_dscnt 0x0
	v_pk_mul_f32 v[112:113], v[110:111], v[108:109] op_sel:[1,1] op_sel_hi:[0,1]
	s_delay_alu instid0(VALU_DEP_1) | instskip(SKIP_2) | instid1(VALU_DEP_3)
	v_pk_fma_f32 v[114:115], v[110:111], v[108:109], v[112:113] op_sel_hi:[1,0,1]
	v_add_nc_u32_e32 v107, 1, v107
	v_pk_fma_f32 v[108:109], v[110:111], v[108:109], v[112:113] neg_lo:[0,0,1] neg_hi:[0,0,1]
	v_mov_b32_e32 v109, v115
	s_delay_alu instid0(VALU_DEP_3) | instskip(NEXT) | instid1(VALU_DEP_2)
	v_cmp_lt_u32_e32 vcc_lo, 20, v107
	v_pk_add_f32 v[102:103], v[102:103], v[108:109]
	s_or_b32 s3, vcc_lo, s3
	s_delay_alu instid0(SALU_CYCLE_1)
	s_and_not1_b32 exec_lo, exec_lo, s3
	s_cbranch_execnz .LBB48_697
; %bb.698:
	s_or_b32 exec_lo, exec_lo, s3
.LBB48_699:
	s_delay_alu instid0(SALU_CYCLE_1) | instskip(SKIP_4) | instid1(VALU_DEP_1)
	s_or_b32 exec_lo, exec_lo, s2
	v_mov_b32_e32 v105, 0
	ds_load_b64 v[106:107], v105 offset:176
	s_wait_dscnt 0x0
	v_pk_mul_f32 v[108:109], v[102:103], v[106:107] op_sel:[1,1] op_sel_hi:[0,1]
	v_pk_fma_f32 v[110:111], v[102:103], v[106:107], v[108:109] op_sel_hi:[1,0,1]
	v_pk_fma_f32 v[102:103], v[102:103], v[106:107], v[108:109] neg_lo:[0,0,1] neg_hi:[0,0,1]
	s_delay_alu instid0(VALU_DEP_2)
	v_mov_b32_e32 v103, v111
	scratch_store_b64 off, v[102:103], off offset:176
.LBB48_700:
	s_wait_xcnt 0x0
	s_or_b32 exec_lo, exec_lo, s0
	scratch_load_b64 v[102:103], off, off offset:184
	s_mov_b32 s0, exec_lo
	s_wait_loadcnt 0x0
	ds_store_b64 v1, v[102:103]
	s_wait_storecnt_dscnt 0x0
	s_barrier_signal -1
	s_barrier_wait -1
	s_wait_xcnt 0x0
	v_cmpx_gt_u32_e32 23, v0
	s_cbranch_execz .LBB48_710
; %bb.701:
	v_cmp_ne_u32_e32 vcc_lo, 1, v104
	s_cbranch_vccnz .LBB48_703
; %bb.702:
	scratch_load_b64 v[102:103], v43, off
	ds_load_b64 v[106:107], v1
	s_wait_loadcnt_dscnt 0x0
	v_pk_mul_f32 v[108:109], v[106:107], v[102:103] op_sel:[1,1] op_sel_hi:[0,1]
	s_delay_alu instid0(VALU_DEP_1) | instskip(SKIP_1) | instid1(VALU_DEP_2)
	v_pk_fma_f32 v[110:111], v[106:107], v[102:103], v[108:109] op_sel_hi:[1,0,1]
	v_pk_fma_f32 v[102:103], v[106:107], v[102:103], v[108:109] neg_lo:[0,0,1] neg_hi:[0,0,1]
	v_mov_b32_e32 v103, v111
	s_cbranch_execz .LBB48_704
	s_branch .LBB48_705
.LBB48_703:
                                        ; implicit-def: $vgpr102_vgpr103
.LBB48_704:
	ds_load_b64 v[102:103], v1
.LBB48_705:
	s_mov_b32 s2, exec_lo
	v_cmpx_ne_u32_e32 22, v0
	s_cbranch_execz .LBB48_709
; %bb.706:
	v_add_nc_u32_e32 v105, 0x198, v42
	v_add3_u32 v106, 0, v42, 8
	v_mov_b32_e32 v107, v0
	s_mov_b32 s3, 0
.LBB48_707:                             ; =>This Inner Loop Header: Depth=1
	scratch_load_b64 v[108:109], v106, off
	ds_load_b64 v[110:111], v105
	s_wait_xcnt 0x0
	v_dual_add_nc_u32 v105, 8, v105 :: v_dual_add_nc_u32 v106, 8, v106
	s_wait_loadcnt_dscnt 0x0
	v_pk_mul_f32 v[112:113], v[110:111], v[108:109] op_sel:[1,1] op_sel_hi:[0,1]
	s_delay_alu instid0(VALU_DEP_1) | instskip(SKIP_2) | instid1(VALU_DEP_3)
	v_pk_fma_f32 v[114:115], v[110:111], v[108:109], v[112:113] op_sel_hi:[1,0,1]
	v_add_nc_u32_e32 v107, 1, v107
	v_pk_fma_f32 v[108:109], v[110:111], v[108:109], v[112:113] neg_lo:[0,0,1] neg_hi:[0,0,1]
	v_mov_b32_e32 v109, v115
	s_delay_alu instid0(VALU_DEP_3) | instskip(NEXT) | instid1(VALU_DEP_2)
	v_cmp_lt_u32_e32 vcc_lo, 21, v107
	v_pk_add_f32 v[102:103], v[102:103], v[108:109]
	s_or_b32 s3, vcc_lo, s3
	s_delay_alu instid0(SALU_CYCLE_1)
	s_and_not1_b32 exec_lo, exec_lo, s3
	s_cbranch_execnz .LBB48_707
; %bb.708:
	s_or_b32 exec_lo, exec_lo, s3
.LBB48_709:
	s_delay_alu instid0(SALU_CYCLE_1) | instskip(SKIP_4) | instid1(VALU_DEP_1)
	s_or_b32 exec_lo, exec_lo, s2
	v_mov_b32_e32 v105, 0
	ds_load_b64 v[106:107], v105 offset:184
	s_wait_dscnt 0x0
	v_pk_mul_f32 v[108:109], v[102:103], v[106:107] op_sel:[1,1] op_sel_hi:[0,1]
	v_pk_fma_f32 v[110:111], v[102:103], v[106:107], v[108:109] op_sel_hi:[1,0,1]
	v_pk_fma_f32 v[102:103], v[102:103], v[106:107], v[108:109] neg_lo:[0,0,1] neg_hi:[0,0,1]
	s_delay_alu instid0(VALU_DEP_2)
	v_mov_b32_e32 v103, v111
	scratch_store_b64 off, v[102:103], off offset:184
.LBB48_710:
	s_wait_xcnt 0x0
	s_or_b32 exec_lo, exec_lo, s0
	scratch_load_b64 v[102:103], off, off offset:192
	s_mov_b32 s0, exec_lo
	s_wait_loadcnt 0x0
	ds_store_b64 v1, v[102:103]
	s_wait_storecnt_dscnt 0x0
	s_barrier_signal -1
	s_barrier_wait -1
	s_wait_xcnt 0x0
	v_cmpx_gt_u32_e32 24, v0
	s_cbranch_execz .LBB48_720
; %bb.711:
	v_cmp_ne_u32_e32 vcc_lo, 1, v104
	s_cbranch_vccnz .LBB48_713
; %bb.712:
	scratch_load_b64 v[102:103], v43, off
	ds_load_b64 v[106:107], v1
	s_wait_loadcnt_dscnt 0x0
	v_pk_mul_f32 v[108:109], v[106:107], v[102:103] op_sel:[1,1] op_sel_hi:[0,1]
	s_delay_alu instid0(VALU_DEP_1) | instskip(SKIP_1) | instid1(VALU_DEP_2)
	v_pk_fma_f32 v[110:111], v[106:107], v[102:103], v[108:109] op_sel_hi:[1,0,1]
	v_pk_fma_f32 v[102:103], v[106:107], v[102:103], v[108:109] neg_lo:[0,0,1] neg_hi:[0,0,1]
	v_mov_b32_e32 v103, v111
	s_cbranch_execz .LBB48_714
	s_branch .LBB48_715
.LBB48_713:
                                        ; implicit-def: $vgpr102_vgpr103
.LBB48_714:
	ds_load_b64 v[102:103], v1
.LBB48_715:
	s_mov_b32 s2, exec_lo
	v_cmpx_ne_u32_e32 23, v0
	s_cbranch_execz .LBB48_719
; %bb.716:
	v_add_nc_u32_e32 v105, 0x198, v42
	v_add3_u32 v106, 0, v42, 8
	v_mov_b32_e32 v107, v0
	s_mov_b32 s3, 0
.LBB48_717:                             ; =>This Inner Loop Header: Depth=1
	scratch_load_b64 v[108:109], v106, off
	ds_load_b64 v[110:111], v105
	s_wait_xcnt 0x0
	v_dual_add_nc_u32 v105, 8, v105 :: v_dual_add_nc_u32 v106, 8, v106
	s_wait_loadcnt_dscnt 0x0
	v_pk_mul_f32 v[112:113], v[110:111], v[108:109] op_sel:[1,1] op_sel_hi:[0,1]
	s_delay_alu instid0(VALU_DEP_1) | instskip(SKIP_2) | instid1(VALU_DEP_3)
	v_pk_fma_f32 v[114:115], v[110:111], v[108:109], v[112:113] op_sel_hi:[1,0,1]
	v_add_nc_u32_e32 v107, 1, v107
	v_pk_fma_f32 v[108:109], v[110:111], v[108:109], v[112:113] neg_lo:[0,0,1] neg_hi:[0,0,1]
	v_mov_b32_e32 v109, v115
	s_delay_alu instid0(VALU_DEP_3) | instskip(NEXT) | instid1(VALU_DEP_2)
	v_cmp_lt_u32_e32 vcc_lo, 22, v107
	v_pk_add_f32 v[102:103], v[102:103], v[108:109]
	s_or_b32 s3, vcc_lo, s3
	s_delay_alu instid0(SALU_CYCLE_1)
	s_and_not1_b32 exec_lo, exec_lo, s3
	s_cbranch_execnz .LBB48_717
; %bb.718:
	s_or_b32 exec_lo, exec_lo, s3
.LBB48_719:
	s_delay_alu instid0(SALU_CYCLE_1) | instskip(SKIP_4) | instid1(VALU_DEP_1)
	s_or_b32 exec_lo, exec_lo, s2
	v_mov_b32_e32 v105, 0
	ds_load_b64 v[106:107], v105 offset:192
	s_wait_dscnt 0x0
	v_pk_mul_f32 v[108:109], v[102:103], v[106:107] op_sel:[1,1] op_sel_hi:[0,1]
	v_pk_fma_f32 v[110:111], v[102:103], v[106:107], v[108:109] op_sel_hi:[1,0,1]
	v_pk_fma_f32 v[102:103], v[102:103], v[106:107], v[108:109] neg_lo:[0,0,1] neg_hi:[0,0,1]
	s_delay_alu instid0(VALU_DEP_2)
	v_mov_b32_e32 v103, v111
	scratch_store_b64 off, v[102:103], off offset:192
.LBB48_720:
	s_wait_xcnt 0x0
	s_or_b32 exec_lo, exec_lo, s0
	scratch_load_b64 v[102:103], off, off offset:200
	s_mov_b32 s0, exec_lo
	s_wait_loadcnt 0x0
	ds_store_b64 v1, v[102:103]
	s_wait_storecnt_dscnt 0x0
	s_barrier_signal -1
	s_barrier_wait -1
	s_wait_xcnt 0x0
	v_cmpx_gt_u32_e32 25, v0
	s_cbranch_execz .LBB48_730
; %bb.721:
	v_cmp_ne_u32_e32 vcc_lo, 1, v104
	s_cbranch_vccnz .LBB48_723
; %bb.722:
	scratch_load_b64 v[102:103], v43, off
	ds_load_b64 v[106:107], v1
	s_wait_loadcnt_dscnt 0x0
	v_pk_mul_f32 v[108:109], v[106:107], v[102:103] op_sel:[1,1] op_sel_hi:[0,1]
	s_delay_alu instid0(VALU_DEP_1) | instskip(SKIP_1) | instid1(VALU_DEP_2)
	v_pk_fma_f32 v[110:111], v[106:107], v[102:103], v[108:109] op_sel_hi:[1,0,1]
	v_pk_fma_f32 v[102:103], v[106:107], v[102:103], v[108:109] neg_lo:[0,0,1] neg_hi:[0,0,1]
	v_mov_b32_e32 v103, v111
	s_cbranch_execz .LBB48_724
	s_branch .LBB48_725
.LBB48_723:
                                        ; implicit-def: $vgpr102_vgpr103
.LBB48_724:
	ds_load_b64 v[102:103], v1
.LBB48_725:
	s_mov_b32 s2, exec_lo
	v_cmpx_ne_u32_e32 24, v0
	s_cbranch_execz .LBB48_729
; %bb.726:
	v_add_nc_u32_e32 v105, 0x198, v42
	v_add3_u32 v106, 0, v42, 8
	v_mov_b32_e32 v107, v0
	s_mov_b32 s3, 0
.LBB48_727:                             ; =>This Inner Loop Header: Depth=1
	scratch_load_b64 v[108:109], v106, off
	ds_load_b64 v[110:111], v105
	s_wait_xcnt 0x0
	v_dual_add_nc_u32 v105, 8, v105 :: v_dual_add_nc_u32 v106, 8, v106
	s_wait_loadcnt_dscnt 0x0
	v_pk_mul_f32 v[112:113], v[110:111], v[108:109] op_sel:[1,1] op_sel_hi:[0,1]
	s_delay_alu instid0(VALU_DEP_1) | instskip(SKIP_2) | instid1(VALU_DEP_3)
	v_pk_fma_f32 v[114:115], v[110:111], v[108:109], v[112:113] op_sel_hi:[1,0,1]
	v_add_nc_u32_e32 v107, 1, v107
	v_pk_fma_f32 v[108:109], v[110:111], v[108:109], v[112:113] neg_lo:[0,0,1] neg_hi:[0,0,1]
	v_mov_b32_e32 v109, v115
	s_delay_alu instid0(VALU_DEP_3) | instskip(NEXT) | instid1(VALU_DEP_2)
	v_cmp_lt_u32_e32 vcc_lo, 23, v107
	v_pk_add_f32 v[102:103], v[102:103], v[108:109]
	s_or_b32 s3, vcc_lo, s3
	s_delay_alu instid0(SALU_CYCLE_1)
	s_and_not1_b32 exec_lo, exec_lo, s3
	s_cbranch_execnz .LBB48_727
; %bb.728:
	s_or_b32 exec_lo, exec_lo, s3
.LBB48_729:
	s_delay_alu instid0(SALU_CYCLE_1) | instskip(SKIP_4) | instid1(VALU_DEP_1)
	s_or_b32 exec_lo, exec_lo, s2
	v_mov_b32_e32 v105, 0
	ds_load_b64 v[106:107], v105 offset:200
	s_wait_dscnt 0x0
	v_pk_mul_f32 v[108:109], v[102:103], v[106:107] op_sel:[1,1] op_sel_hi:[0,1]
	v_pk_fma_f32 v[110:111], v[102:103], v[106:107], v[108:109] op_sel_hi:[1,0,1]
	v_pk_fma_f32 v[102:103], v[102:103], v[106:107], v[108:109] neg_lo:[0,0,1] neg_hi:[0,0,1]
	s_delay_alu instid0(VALU_DEP_2)
	v_mov_b32_e32 v103, v111
	scratch_store_b64 off, v[102:103], off offset:200
.LBB48_730:
	s_wait_xcnt 0x0
	s_or_b32 exec_lo, exec_lo, s0
	scratch_load_b64 v[102:103], off, off offset:208
	s_mov_b32 s0, exec_lo
	s_wait_loadcnt 0x0
	ds_store_b64 v1, v[102:103]
	s_wait_storecnt_dscnt 0x0
	s_barrier_signal -1
	s_barrier_wait -1
	s_wait_xcnt 0x0
	v_cmpx_gt_u32_e32 26, v0
	s_cbranch_execz .LBB48_740
; %bb.731:
	v_cmp_ne_u32_e32 vcc_lo, 1, v104
	s_cbranch_vccnz .LBB48_733
; %bb.732:
	scratch_load_b64 v[102:103], v43, off
	ds_load_b64 v[106:107], v1
	s_wait_loadcnt_dscnt 0x0
	v_pk_mul_f32 v[108:109], v[106:107], v[102:103] op_sel:[1,1] op_sel_hi:[0,1]
	s_delay_alu instid0(VALU_DEP_1) | instskip(SKIP_1) | instid1(VALU_DEP_2)
	v_pk_fma_f32 v[110:111], v[106:107], v[102:103], v[108:109] op_sel_hi:[1,0,1]
	v_pk_fma_f32 v[102:103], v[106:107], v[102:103], v[108:109] neg_lo:[0,0,1] neg_hi:[0,0,1]
	v_mov_b32_e32 v103, v111
	s_cbranch_execz .LBB48_734
	s_branch .LBB48_735
.LBB48_733:
                                        ; implicit-def: $vgpr102_vgpr103
.LBB48_734:
	ds_load_b64 v[102:103], v1
.LBB48_735:
	s_mov_b32 s2, exec_lo
	v_cmpx_ne_u32_e32 25, v0
	s_cbranch_execz .LBB48_739
; %bb.736:
	v_add_nc_u32_e32 v105, 0x198, v42
	v_add3_u32 v106, 0, v42, 8
	v_mov_b32_e32 v107, v0
	s_mov_b32 s3, 0
.LBB48_737:                             ; =>This Inner Loop Header: Depth=1
	scratch_load_b64 v[108:109], v106, off
	ds_load_b64 v[110:111], v105
	s_wait_xcnt 0x0
	v_dual_add_nc_u32 v105, 8, v105 :: v_dual_add_nc_u32 v106, 8, v106
	s_wait_loadcnt_dscnt 0x0
	v_pk_mul_f32 v[112:113], v[110:111], v[108:109] op_sel:[1,1] op_sel_hi:[0,1]
	s_delay_alu instid0(VALU_DEP_1) | instskip(SKIP_2) | instid1(VALU_DEP_3)
	v_pk_fma_f32 v[114:115], v[110:111], v[108:109], v[112:113] op_sel_hi:[1,0,1]
	v_add_nc_u32_e32 v107, 1, v107
	v_pk_fma_f32 v[108:109], v[110:111], v[108:109], v[112:113] neg_lo:[0,0,1] neg_hi:[0,0,1]
	v_mov_b32_e32 v109, v115
	s_delay_alu instid0(VALU_DEP_3) | instskip(NEXT) | instid1(VALU_DEP_2)
	v_cmp_lt_u32_e32 vcc_lo, 24, v107
	v_pk_add_f32 v[102:103], v[102:103], v[108:109]
	s_or_b32 s3, vcc_lo, s3
	s_delay_alu instid0(SALU_CYCLE_1)
	s_and_not1_b32 exec_lo, exec_lo, s3
	s_cbranch_execnz .LBB48_737
; %bb.738:
	s_or_b32 exec_lo, exec_lo, s3
.LBB48_739:
	s_delay_alu instid0(SALU_CYCLE_1) | instskip(SKIP_4) | instid1(VALU_DEP_1)
	s_or_b32 exec_lo, exec_lo, s2
	v_mov_b32_e32 v105, 0
	ds_load_b64 v[106:107], v105 offset:208
	s_wait_dscnt 0x0
	v_pk_mul_f32 v[108:109], v[102:103], v[106:107] op_sel:[1,1] op_sel_hi:[0,1]
	v_pk_fma_f32 v[110:111], v[102:103], v[106:107], v[108:109] op_sel_hi:[1,0,1]
	v_pk_fma_f32 v[102:103], v[102:103], v[106:107], v[108:109] neg_lo:[0,0,1] neg_hi:[0,0,1]
	s_delay_alu instid0(VALU_DEP_2)
	v_mov_b32_e32 v103, v111
	scratch_store_b64 off, v[102:103], off offset:208
.LBB48_740:
	s_wait_xcnt 0x0
	s_or_b32 exec_lo, exec_lo, s0
	scratch_load_b64 v[102:103], off, off offset:216
	s_mov_b32 s0, exec_lo
	s_wait_loadcnt 0x0
	ds_store_b64 v1, v[102:103]
	s_wait_storecnt_dscnt 0x0
	s_barrier_signal -1
	s_barrier_wait -1
	s_wait_xcnt 0x0
	v_cmpx_gt_u32_e32 27, v0
	s_cbranch_execz .LBB48_750
; %bb.741:
	v_cmp_ne_u32_e32 vcc_lo, 1, v104
	s_cbranch_vccnz .LBB48_743
; %bb.742:
	scratch_load_b64 v[102:103], v43, off
	ds_load_b64 v[106:107], v1
	s_wait_loadcnt_dscnt 0x0
	v_pk_mul_f32 v[108:109], v[106:107], v[102:103] op_sel:[1,1] op_sel_hi:[0,1]
	s_delay_alu instid0(VALU_DEP_1) | instskip(SKIP_1) | instid1(VALU_DEP_2)
	v_pk_fma_f32 v[110:111], v[106:107], v[102:103], v[108:109] op_sel_hi:[1,0,1]
	v_pk_fma_f32 v[102:103], v[106:107], v[102:103], v[108:109] neg_lo:[0,0,1] neg_hi:[0,0,1]
	v_mov_b32_e32 v103, v111
	s_cbranch_execz .LBB48_744
	s_branch .LBB48_745
.LBB48_743:
                                        ; implicit-def: $vgpr102_vgpr103
.LBB48_744:
	ds_load_b64 v[102:103], v1
.LBB48_745:
	s_mov_b32 s2, exec_lo
	v_cmpx_ne_u32_e32 26, v0
	s_cbranch_execz .LBB48_749
; %bb.746:
	v_add_nc_u32_e32 v105, 0x198, v42
	v_add3_u32 v106, 0, v42, 8
	v_mov_b32_e32 v107, v0
	s_mov_b32 s3, 0
.LBB48_747:                             ; =>This Inner Loop Header: Depth=1
	scratch_load_b64 v[108:109], v106, off
	ds_load_b64 v[110:111], v105
	s_wait_xcnt 0x0
	v_dual_add_nc_u32 v105, 8, v105 :: v_dual_add_nc_u32 v106, 8, v106
	s_wait_loadcnt_dscnt 0x0
	v_pk_mul_f32 v[112:113], v[110:111], v[108:109] op_sel:[1,1] op_sel_hi:[0,1]
	s_delay_alu instid0(VALU_DEP_1) | instskip(SKIP_2) | instid1(VALU_DEP_3)
	v_pk_fma_f32 v[114:115], v[110:111], v[108:109], v[112:113] op_sel_hi:[1,0,1]
	v_add_nc_u32_e32 v107, 1, v107
	v_pk_fma_f32 v[108:109], v[110:111], v[108:109], v[112:113] neg_lo:[0,0,1] neg_hi:[0,0,1]
	v_mov_b32_e32 v109, v115
	s_delay_alu instid0(VALU_DEP_3) | instskip(NEXT) | instid1(VALU_DEP_2)
	v_cmp_lt_u32_e32 vcc_lo, 25, v107
	v_pk_add_f32 v[102:103], v[102:103], v[108:109]
	s_or_b32 s3, vcc_lo, s3
	s_delay_alu instid0(SALU_CYCLE_1)
	s_and_not1_b32 exec_lo, exec_lo, s3
	s_cbranch_execnz .LBB48_747
; %bb.748:
	s_or_b32 exec_lo, exec_lo, s3
.LBB48_749:
	s_delay_alu instid0(SALU_CYCLE_1) | instskip(SKIP_4) | instid1(VALU_DEP_1)
	s_or_b32 exec_lo, exec_lo, s2
	v_mov_b32_e32 v105, 0
	ds_load_b64 v[106:107], v105 offset:216
	s_wait_dscnt 0x0
	v_pk_mul_f32 v[108:109], v[102:103], v[106:107] op_sel:[1,1] op_sel_hi:[0,1]
	v_pk_fma_f32 v[110:111], v[102:103], v[106:107], v[108:109] op_sel_hi:[1,0,1]
	v_pk_fma_f32 v[102:103], v[102:103], v[106:107], v[108:109] neg_lo:[0,0,1] neg_hi:[0,0,1]
	s_delay_alu instid0(VALU_DEP_2)
	v_mov_b32_e32 v103, v111
	scratch_store_b64 off, v[102:103], off offset:216
.LBB48_750:
	s_wait_xcnt 0x0
	s_or_b32 exec_lo, exec_lo, s0
	scratch_load_b64 v[102:103], off, off offset:224
	s_mov_b32 s0, exec_lo
	s_wait_loadcnt 0x0
	ds_store_b64 v1, v[102:103]
	s_wait_storecnt_dscnt 0x0
	s_barrier_signal -1
	s_barrier_wait -1
	s_wait_xcnt 0x0
	v_cmpx_gt_u32_e32 28, v0
	s_cbranch_execz .LBB48_760
; %bb.751:
	v_cmp_ne_u32_e32 vcc_lo, 1, v104
	s_cbranch_vccnz .LBB48_753
; %bb.752:
	scratch_load_b64 v[102:103], v43, off
	ds_load_b64 v[106:107], v1
	s_wait_loadcnt_dscnt 0x0
	v_pk_mul_f32 v[108:109], v[106:107], v[102:103] op_sel:[1,1] op_sel_hi:[0,1]
	s_delay_alu instid0(VALU_DEP_1) | instskip(SKIP_1) | instid1(VALU_DEP_2)
	v_pk_fma_f32 v[110:111], v[106:107], v[102:103], v[108:109] op_sel_hi:[1,0,1]
	v_pk_fma_f32 v[102:103], v[106:107], v[102:103], v[108:109] neg_lo:[0,0,1] neg_hi:[0,0,1]
	v_mov_b32_e32 v103, v111
	s_cbranch_execz .LBB48_754
	s_branch .LBB48_755
.LBB48_753:
                                        ; implicit-def: $vgpr102_vgpr103
.LBB48_754:
	ds_load_b64 v[102:103], v1
.LBB48_755:
	s_mov_b32 s2, exec_lo
	v_cmpx_ne_u32_e32 27, v0
	s_cbranch_execz .LBB48_759
; %bb.756:
	v_add_nc_u32_e32 v105, 0x198, v42
	v_add3_u32 v106, 0, v42, 8
	v_mov_b32_e32 v107, v0
	s_mov_b32 s3, 0
.LBB48_757:                             ; =>This Inner Loop Header: Depth=1
	scratch_load_b64 v[108:109], v106, off
	ds_load_b64 v[110:111], v105
	s_wait_xcnt 0x0
	v_dual_add_nc_u32 v105, 8, v105 :: v_dual_add_nc_u32 v106, 8, v106
	s_wait_loadcnt_dscnt 0x0
	v_pk_mul_f32 v[112:113], v[110:111], v[108:109] op_sel:[1,1] op_sel_hi:[0,1]
	s_delay_alu instid0(VALU_DEP_1) | instskip(SKIP_2) | instid1(VALU_DEP_3)
	v_pk_fma_f32 v[114:115], v[110:111], v[108:109], v[112:113] op_sel_hi:[1,0,1]
	v_add_nc_u32_e32 v107, 1, v107
	v_pk_fma_f32 v[108:109], v[110:111], v[108:109], v[112:113] neg_lo:[0,0,1] neg_hi:[0,0,1]
	v_mov_b32_e32 v109, v115
	s_delay_alu instid0(VALU_DEP_3) | instskip(NEXT) | instid1(VALU_DEP_2)
	v_cmp_lt_u32_e32 vcc_lo, 26, v107
	v_pk_add_f32 v[102:103], v[102:103], v[108:109]
	s_or_b32 s3, vcc_lo, s3
	s_delay_alu instid0(SALU_CYCLE_1)
	s_and_not1_b32 exec_lo, exec_lo, s3
	s_cbranch_execnz .LBB48_757
; %bb.758:
	s_or_b32 exec_lo, exec_lo, s3
.LBB48_759:
	s_delay_alu instid0(SALU_CYCLE_1) | instskip(SKIP_4) | instid1(VALU_DEP_1)
	s_or_b32 exec_lo, exec_lo, s2
	v_mov_b32_e32 v105, 0
	ds_load_b64 v[106:107], v105 offset:224
	s_wait_dscnt 0x0
	v_pk_mul_f32 v[108:109], v[102:103], v[106:107] op_sel:[1,1] op_sel_hi:[0,1]
	v_pk_fma_f32 v[110:111], v[102:103], v[106:107], v[108:109] op_sel_hi:[1,0,1]
	v_pk_fma_f32 v[102:103], v[102:103], v[106:107], v[108:109] neg_lo:[0,0,1] neg_hi:[0,0,1]
	s_delay_alu instid0(VALU_DEP_2)
	v_mov_b32_e32 v103, v111
	scratch_store_b64 off, v[102:103], off offset:224
.LBB48_760:
	s_wait_xcnt 0x0
	s_or_b32 exec_lo, exec_lo, s0
	scratch_load_b64 v[102:103], off, off offset:232
	s_mov_b32 s0, exec_lo
	s_wait_loadcnt 0x0
	ds_store_b64 v1, v[102:103]
	s_wait_storecnt_dscnt 0x0
	s_barrier_signal -1
	s_barrier_wait -1
	s_wait_xcnt 0x0
	v_cmpx_gt_u32_e32 29, v0
	s_cbranch_execz .LBB48_770
; %bb.761:
	v_cmp_ne_u32_e32 vcc_lo, 1, v104
	s_cbranch_vccnz .LBB48_763
; %bb.762:
	scratch_load_b64 v[102:103], v43, off
	ds_load_b64 v[106:107], v1
	s_wait_loadcnt_dscnt 0x0
	v_pk_mul_f32 v[108:109], v[106:107], v[102:103] op_sel:[1,1] op_sel_hi:[0,1]
	s_delay_alu instid0(VALU_DEP_1) | instskip(SKIP_1) | instid1(VALU_DEP_2)
	v_pk_fma_f32 v[110:111], v[106:107], v[102:103], v[108:109] op_sel_hi:[1,0,1]
	v_pk_fma_f32 v[102:103], v[106:107], v[102:103], v[108:109] neg_lo:[0,0,1] neg_hi:[0,0,1]
	v_mov_b32_e32 v103, v111
	s_cbranch_execz .LBB48_764
	s_branch .LBB48_765
.LBB48_763:
                                        ; implicit-def: $vgpr102_vgpr103
.LBB48_764:
	ds_load_b64 v[102:103], v1
.LBB48_765:
	s_mov_b32 s2, exec_lo
	v_cmpx_ne_u32_e32 28, v0
	s_cbranch_execz .LBB48_769
; %bb.766:
	v_add_nc_u32_e32 v105, 0x198, v42
	v_add3_u32 v106, 0, v42, 8
	v_mov_b32_e32 v107, v0
	s_mov_b32 s3, 0
.LBB48_767:                             ; =>This Inner Loop Header: Depth=1
	scratch_load_b64 v[108:109], v106, off
	ds_load_b64 v[110:111], v105
	s_wait_xcnt 0x0
	v_dual_add_nc_u32 v105, 8, v105 :: v_dual_add_nc_u32 v106, 8, v106
	s_wait_loadcnt_dscnt 0x0
	v_pk_mul_f32 v[112:113], v[110:111], v[108:109] op_sel:[1,1] op_sel_hi:[0,1]
	s_delay_alu instid0(VALU_DEP_1) | instskip(SKIP_2) | instid1(VALU_DEP_3)
	v_pk_fma_f32 v[114:115], v[110:111], v[108:109], v[112:113] op_sel_hi:[1,0,1]
	v_add_nc_u32_e32 v107, 1, v107
	v_pk_fma_f32 v[108:109], v[110:111], v[108:109], v[112:113] neg_lo:[0,0,1] neg_hi:[0,0,1]
	v_mov_b32_e32 v109, v115
	s_delay_alu instid0(VALU_DEP_3) | instskip(NEXT) | instid1(VALU_DEP_2)
	v_cmp_lt_u32_e32 vcc_lo, 27, v107
	v_pk_add_f32 v[102:103], v[102:103], v[108:109]
	s_or_b32 s3, vcc_lo, s3
	s_delay_alu instid0(SALU_CYCLE_1)
	s_and_not1_b32 exec_lo, exec_lo, s3
	s_cbranch_execnz .LBB48_767
; %bb.768:
	s_or_b32 exec_lo, exec_lo, s3
.LBB48_769:
	s_delay_alu instid0(SALU_CYCLE_1) | instskip(SKIP_4) | instid1(VALU_DEP_1)
	s_or_b32 exec_lo, exec_lo, s2
	v_mov_b32_e32 v105, 0
	ds_load_b64 v[106:107], v105 offset:232
	s_wait_dscnt 0x0
	v_pk_mul_f32 v[108:109], v[102:103], v[106:107] op_sel:[1,1] op_sel_hi:[0,1]
	v_pk_fma_f32 v[110:111], v[102:103], v[106:107], v[108:109] op_sel_hi:[1,0,1]
	v_pk_fma_f32 v[102:103], v[102:103], v[106:107], v[108:109] neg_lo:[0,0,1] neg_hi:[0,0,1]
	s_delay_alu instid0(VALU_DEP_2)
	v_mov_b32_e32 v103, v111
	scratch_store_b64 off, v[102:103], off offset:232
.LBB48_770:
	s_wait_xcnt 0x0
	s_or_b32 exec_lo, exec_lo, s0
	scratch_load_b64 v[102:103], off, off offset:240
	s_mov_b32 s0, exec_lo
	s_wait_loadcnt 0x0
	ds_store_b64 v1, v[102:103]
	s_wait_storecnt_dscnt 0x0
	s_barrier_signal -1
	s_barrier_wait -1
	s_wait_xcnt 0x0
	v_cmpx_gt_u32_e32 30, v0
	s_cbranch_execz .LBB48_780
; %bb.771:
	v_cmp_ne_u32_e32 vcc_lo, 1, v104
	s_cbranch_vccnz .LBB48_773
; %bb.772:
	scratch_load_b64 v[102:103], v43, off
	ds_load_b64 v[106:107], v1
	s_wait_loadcnt_dscnt 0x0
	v_pk_mul_f32 v[108:109], v[106:107], v[102:103] op_sel:[1,1] op_sel_hi:[0,1]
	s_delay_alu instid0(VALU_DEP_1) | instskip(SKIP_1) | instid1(VALU_DEP_2)
	v_pk_fma_f32 v[110:111], v[106:107], v[102:103], v[108:109] op_sel_hi:[1,0,1]
	v_pk_fma_f32 v[102:103], v[106:107], v[102:103], v[108:109] neg_lo:[0,0,1] neg_hi:[0,0,1]
	v_mov_b32_e32 v103, v111
	s_cbranch_execz .LBB48_774
	s_branch .LBB48_775
.LBB48_773:
                                        ; implicit-def: $vgpr102_vgpr103
.LBB48_774:
	ds_load_b64 v[102:103], v1
.LBB48_775:
	s_mov_b32 s2, exec_lo
	v_cmpx_ne_u32_e32 29, v0
	s_cbranch_execz .LBB48_779
; %bb.776:
	v_add_nc_u32_e32 v105, 0x198, v42
	v_add3_u32 v106, 0, v42, 8
	v_mov_b32_e32 v107, v0
	s_mov_b32 s3, 0
.LBB48_777:                             ; =>This Inner Loop Header: Depth=1
	scratch_load_b64 v[108:109], v106, off
	ds_load_b64 v[110:111], v105
	s_wait_xcnt 0x0
	v_dual_add_nc_u32 v105, 8, v105 :: v_dual_add_nc_u32 v106, 8, v106
	s_wait_loadcnt_dscnt 0x0
	v_pk_mul_f32 v[112:113], v[110:111], v[108:109] op_sel:[1,1] op_sel_hi:[0,1]
	s_delay_alu instid0(VALU_DEP_1) | instskip(SKIP_2) | instid1(VALU_DEP_3)
	v_pk_fma_f32 v[114:115], v[110:111], v[108:109], v[112:113] op_sel_hi:[1,0,1]
	v_add_nc_u32_e32 v107, 1, v107
	v_pk_fma_f32 v[108:109], v[110:111], v[108:109], v[112:113] neg_lo:[0,0,1] neg_hi:[0,0,1]
	v_mov_b32_e32 v109, v115
	s_delay_alu instid0(VALU_DEP_3) | instskip(NEXT) | instid1(VALU_DEP_2)
	v_cmp_lt_u32_e32 vcc_lo, 28, v107
	v_pk_add_f32 v[102:103], v[102:103], v[108:109]
	s_or_b32 s3, vcc_lo, s3
	s_delay_alu instid0(SALU_CYCLE_1)
	s_and_not1_b32 exec_lo, exec_lo, s3
	s_cbranch_execnz .LBB48_777
; %bb.778:
	s_or_b32 exec_lo, exec_lo, s3
.LBB48_779:
	s_delay_alu instid0(SALU_CYCLE_1) | instskip(SKIP_4) | instid1(VALU_DEP_1)
	s_or_b32 exec_lo, exec_lo, s2
	v_mov_b32_e32 v105, 0
	ds_load_b64 v[106:107], v105 offset:240
	s_wait_dscnt 0x0
	v_pk_mul_f32 v[108:109], v[102:103], v[106:107] op_sel:[1,1] op_sel_hi:[0,1]
	v_pk_fma_f32 v[110:111], v[102:103], v[106:107], v[108:109] op_sel_hi:[1,0,1]
	v_pk_fma_f32 v[102:103], v[102:103], v[106:107], v[108:109] neg_lo:[0,0,1] neg_hi:[0,0,1]
	s_delay_alu instid0(VALU_DEP_2)
	v_mov_b32_e32 v103, v111
	scratch_store_b64 off, v[102:103], off offset:240
.LBB48_780:
	s_wait_xcnt 0x0
	s_or_b32 exec_lo, exec_lo, s0
	scratch_load_b64 v[102:103], off, off offset:248
	s_mov_b32 s0, exec_lo
	s_wait_loadcnt 0x0
	ds_store_b64 v1, v[102:103]
	s_wait_storecnt_dscnt 0x0
	s_barrier_signal -1
	s_barrier_wait -1
	s_wait_xcnt 0x0
	v_cmpx_gt_u32_e32 31, v0
	s_cbranch_execz .LBB48_790
; %bb.781:
	v_cmp_ne_u32_e32 vcc_lo, 1, v104
	s_cbranch_vccnz .LBB48_783
; %bb.782:
	scratch_load_b64 v[102:103], v43, off
	ds_load_b64 v[106:107], v1
	s_wait_loadcnt_dscnt 0x0
	v_pk_mul_f32 v[108:109], v[106:107], v[102:103] op_sel:[1,1] op_sel_hi:[0,1]
	s_delay_alu instid0(VALU_DEP_1) | instskip(SKIP_1) | instid1(VALU_DEP_2)
	v_pk_fma_f32 v[110:111], v[106:107], v[102:103], v[108:109] op_sel_hi:[1,0,1]
	v_pk_fma_f32 v[102:103], v[106:107], v[102:103], v[108:109] neg_lo:[0,0,1] neg_hi:[0,0,1]
	v_mov_b32_e32 v103, v111
	s_cbranch_execz .LBB48_784
	s_branch .LBB48_785
.LBB48_783:
                                        ; implicit-def: $vgpr102_vgpr103
.LBB48_784:
	ds_load_b64 v[102:103], v1
.LBB48_785:
	s_mov_b32 s2, exec_lo
	v_cmpx_ne_u32_e32 30, v0
	s_cbranch_execz .LBB48_789
; %bb.786:
	v_add_nc_u32_e32 v105, 0x198, v42
	v_add3_u32 v106, 0, v42, 8
	v_mov_b32_e32 v107, v0
	s_mov_b32 s3, 0
.LBB48_787:                             ; =>This Inner Loop Header: Depth=1
	scratch_load_b64 v[108:109], v106, off
	ds_load_b64 v[110:111], v105
	s_wait_xcnt 0x0
	v_dual_add_nc_u32 v105, 8, v105 :: v_dual_add_nc_u32 v106, 8, v106
	s_wait_loadcnt_dscnt 0x0
	v_pk_mul_f32 v[112:113], v[110:111], v[108:109] op_sel:[1,1] op_sel_hi:[0,1]
	s_delay_alu instid0(VALU_DEP_1) | instskip(SKIP_2) | instid1(VALU_DEP_3)
	v_pk_fma_f32 v[114:115], v[110:111], v[108:109], v[112:113] op_sel_hi:[1,0,1]
	v_add_nc_u32_e32 v107, 1, v107
	v_pk_fma_f32 v[108:109], v[110:111], v[108:109], v[112:113] neg_lo:[0,0,1] neg_hi:[0,0,1]
	v_mov_b32_e32 v109, v115
	s_delay_alu instid0(VALU_DEP_3) | instskip(NEXT) | instid1(VALU_DEP_2)
	v_cmp_lt_u32_e32 vcc_lo, 29, v107
	v_pk_add_f32 v[102:103], v[102:103], v[108:109]
	s_or_b32 s3, vcc_lo, s3
	s_delay_alu instid0(SALU_CYCLE_1)
	s_and_not1_b32 exec_lo, exec_lo, s3
	s_cbranch_execnz .LBB48_787
; %bb.788:
	s_or_b32 exec_lo, exec_lo, s3
.LBB48_789:
	s_delay_alu instid0(SALU_CYCLE_1) | instskip(SKIP_4) | instid1(VALU_DEP_1)
	s_or_b32 exec_lo, exec_lo, s2
	v_mov_b32_e32 v105, 0
	ds_load_b64 v[106:107], v105 offset:248
	s_wait_dscnt 0x0
	v_pk_mul_f32 v[108:109], v[102:103], v[106:107] op_sel:[1,1] op_sel_hi:[0,1]
	v_pk_fma_f32 v[110:111], v[102:103], v[106:107], v[108:109] op_sel_hi:[1,0,1]
	v_pk_fma_f32 v[102:103], v[102:103], v[106:107], v[108:109] neg_lo:[0,0,1] neg_hi:[0,0,1]
	s_delay_alu instid0(VALU_DEP_2)
	v_mov_b32_e32 v103, v111
	scratch_store_b64 off, v[102:103], off offset:248
.LBB48_790:
	s_wait_xcnt 0x0
	s_or_b32 exec_lo, exec_lo, s0
	scratch_load_b64 v[102:103], off, off offset:256
	s_mov_b32 s0, exec_lo
	s_wait_loadcnt 0x0
	ds_store_b64 v1, v[102:103]
	s_wait_storecnt_dscnt 0x0
	s_barrier_signal -1
	s_barrier_wait -1
	s_wait_xcnt 0x0
	v_cmpx_gt_u32_e32 32, v0
	s_cbranch_execz .LBB48_800
; %bb.791:
	v_cmp_ne_u32_e32 vcc_lo, 1, v104
	s_cbranch_vccnz .LBB48_793
; %bb.792:
	scratch_load_b64 v[102:103], v43, off
	ds_load_b64 v[106:107], v1
	s_wait_loadcnt_dscnt 0x0
	v_pk_mul_f32 v[108:109], v[106:107], v[102:103] op_sel:[1,1] op_sel_hi:[0,1]
	s_delay_alu instid0(VALU_DEP_1) | instskip(SKIP_1) | instid1(VALU_DEP_2)
	v_pk_fma_f32 v[110:111], v[106:107], v[102:103], v[108:109] op_sel_hi:[1,0,1]
	v_pk_fma_f32 v[102:103], v[106:107], v[102:103], v[108:109] neg_lo:[0,0,1] neg_hi:[0,0,1]
	v_mov_b32_e32 v103, v111
	s_cbranch_execz .LBB48_794
	s_branch .LBB48_795
.LBB48_793:
                                        ; implicit-def: $vgpr102_vgpr103
.LBB48_794:
	ds_load_b64 v[102:103], v1
.LBB48_795:
	s_mov_b32 s2, exec_lo
	v_cmpx_ne_u32_e32 31, v0
	s_cbranch_execz .LBB48_799
; %bb.796:
	v_add_nc_u32_e32 v105, 0x198, v42
	v_add3_u32 v106, 0, v42, 8
	v_mov_b32_e32 v107, v0
	s_mov_b32 s3, 0
.LBB48_797:                             ; =>This Inner Loop Header: Depth=1
	scratch_load_b64 v[108:109], v106, off
	ds_load_b64 v[110:111], v105
	s_wait_xcnt 0x0
	v_dual_add_nc_u32 v105, 8, v105 :: v_dual_add_nc_u32 v106, 8, v106
	s_wait_loadcnt_dscnt 0x0
	v_pk_mul_f32 v[112:113], v[110:111], v[108:109] op_sel:[1,1] op_sel_hi:[0,1]
	s_delay_alu instid0(VALU_DEP_1) | instskip(SKIP_2) | instid1(VALU_DEP_3)
	v_pk_fma_f32 v[114:115], v[110:111], v[108:109], v[112:113] op_sel_hi:[1,0,1]
	v_add_nc_u32_e32 v107, 1, v107
	v_pk_fma_f32 v[108:109], v[110:111], v[108:109], v[112:113] neg_lo:[0,0,1] neg_hi:[0,0,1]
	v_mov_b32_e32 v109, v115
	s_delay_alu instid0(VALU_DEP_3) | instskip(NEXT) | instid1(VALU_DEP_2)
	v_cmp_lt_u32_e32 vcc_lo, 30, v107
	v_pk_add_f32 v[102:103], v[102:103], v[108:109]
	s_or_b32 s3, vcc_lo, s3
	s_delay_alu instid0(SALU_CYCLE_1)
	s_and_not1_b32 exec_lo, exec_lo, s3
	s_cbranch_execnz .LBB48_797
; %bb.798:
	s_or_b32 exec_lo, exec_lo, s3
.LBB48_799:
	s_delay_alu instid0(SALU_CYCLE_1) | instskip(SKIP_4) | instid1(VALU_DEP_1)
	s_or_b32 exec_lo, exec_lo, s2
	v_mov_b32_e32 v105, 0
	ds_load_b64 v[106:107], v105 offset:256
	s_wait_dscnt 0x0
	v_pk_mul_f32 v[108:109], v[102:103], v[106:107] op_sel:[1,1] op_sel_hi:[0,1]
	v_pk_fma_f32 v[110:111], v[102:103], v[106:107], v[108:109] op_sel_hi:[1,0,1]
	v_pk_fma_f32 v[102:103], v[102:103], v[106:107], v[108:109] neg_lo:[0,0,1] neg_hi:[0,0,1]
	s_delay_alu instid0(VALU_DEP_2)
	v_mov_b32_e32 v103, v111
	scratch_store_b64 off, v[102:103], off offset:256
.LBB48_800:
	s_wait_xcnt 0x0
	s_or_b32 exec_lo, exec_lo, s0
	scratch_load_b64 v[102:103], off, off offset:264
	s_mov_b32 s0, exec_lo
	s_wait_loadcnt 0x0
	ds_store_b64 v1, v[102:103]
	s_wait_storecnt_dscnt 0x0
	s_barrier_signal -1
	s_barrier_wait -1
	s_wait_xcnt 0x0
	v_cmpx_gt_u32_e32 33, v0
	s_cbranch_execz .LBB48_810
; %bb.801:
	v_cmp_ne_u32_e32 vcc_lo, 1, v104
	s_cbranch_vccnz .LBB48_803
; %bb.802:
	scratch_load_b64 v[102:103], v43, off
	ds_load_b64 v[106:107], v1
	s_wait_loadcnt_dscnt 0x0
	v_pk_mul_f32 v[108:109], v[106:107], v[102:103] op_sel:[1,1] op_sel_hi:[0,1]
	s_delay_alu instid0(VALU_DEP_1) | instskip(SKIP_1) | instid1(VALU_DEP_2)
	v_pk_fma_f32 v[110:111], v[106:107], v[102:103], v[108:109] op_sel_hi:[1,0,1]
	v_pk_fma_f32 v[102:103], v[106:107], v[102:103], v[108:109] neg_lo:[0,0,1] neg_hi:[0,0,1]
	v_mov_b32_e32 v103, v111
	s_cbranch_execz .LBB48_804
	s_branch .LBB48_805
.LBB48_803:
                                        ; implicit-def: $vgpr102_vgpr103
.LBB48_804:
	ds_load_b64 v[102:103], v1
.LBB48_805:
	s_mov_b32 s2, exec_lo
	v_cmpx_ne_u32_e32 32, v0
	s_cbranch_execz .LBB48_809
; %bb.806:
	v_add_nc_u32_e32 v105, 0x198, v42
	v_add3_u32 v106, 0, v42, 8
	v_mov_b32_e32 v107, v0
	s_mov_b32 s3, 0
.LBB48_807:                             ; =>This Inner Loop Header: Depth=1
	scratch_load_b64 v[108:109], v106, off
	ds_load_b64 v[110:111], v105
	s_wait_xcnt 0x0
	v_dual_add_nc_u32 v105, 8, v105 :: v_dual_add_nc_u32 v106, 8, v106
	s_wait_loadcnt_dscnt 0x0
	v_pk_mul_f32 v[112:113], v[110:111], v[108:109] op_sel:[1,1] op_sel_hi:[0,1]
	s_delay_alu instid0(VALU_DEP_1) | instskip(SKIP_2) | instid1(VALU_DEP_3)
	v_pk_fma_f32 v[114:115], v[110:111], v[108:109], v[112:113] op_sel_hi:[1,0,1]
	v_add_nc_u32_e32 v107, 1, v107
	v_pk_fma_f32 v[108:109], v[110:111], v[108:109], v[112:113] neg_lo:[0,0,1] neg_hi:[0,0,1]
	v_mov_b32_e32 v109, v115
	s_delay_alu instid0(VALU_DEP_3) | instskip(NEXT) | instid1(VALU_DEP_2)
	v_cmp_lt_u32_e32 vcc_lo, 31, v107
	v_pk_add_f32 v[102:103], v[102:103], v[108:109]
	s_or_b32 s3, vcc_lo, s3
	s_delay_alu instid0(SALU_CYCLE_1)
	s_and_not1_b32 exec_lo, exec_lo, s3
	s_cbranch_execnz .LBB48_807
; %bb.808:
	s_or_b32 exec_lo, exec_lo, s3
.LBB48_809:
	s_delay_alu instid0(SALU_CYCLE_1) | instskip(SKIP_4) | instid1(VALU_DEP_1)
	s_or_b32 exec_lo, exec_lo, s2
	v_mov_b32_e32 v105, 0
	ds_load_b64 v[106:107], v105 offset:264
	s_wait_dscnt 0x0
	v_pk_mul_f32 v[108:109], v[102:103], v[106:107] op_sel:[1,1] op_sel_hi:[0,1]
	v_pk_fma_f32 v[110:111], v[102:103], v[106:107], v[108:109] op_sel_hi:[1,0,1]
	v_pk_fma_f32 v[102:103], v[102:103], v[106:107], v[108:109] neg_lo:[0,0,1] neg_hi:[0,0,1]
	s_delay_alu instid0(VALU_DEP_2)
	v_mov_b32_e32 v103, v111
	scratch_store_b64 off, v[102:103], off offset:264
.LBB48_810:
	s_wait_xcnt 0x0
	s_or_b32 exec_lo, exec_lo, s0
	scratch_load_b64 v[102:103], off, off offset:272
	s_mov_b32 s0, exec_lo
	s_wait_loadcnt 0x0
	ds_store_b64 v1, v[102:103]
	s_wait_storecnt_dscnt 0x0
	s_barrier_signal -1
	s_barrier_wait -1
	s_wait_xcnt 0x0
	v_cmpx_gt_u32_e32 34, v0
	s_cbranch_execz .LBB48_820
; %bb.811:
	v_cmp_ne_u32_e32 vcc_lo, 1, v104
	s_cbranch_vccnz .LBB48_813
; %bb.812:
	scratch_load_b64 v[102:103], v43, off
	ds_load_b64 v[106:107], v1
	s_wait_loadcnt_dscnt 0x0
	v_pk_mul_f32 v[108:109], v[106:107], v[102:103] op_sel:[1,1] op_sel_hi:[0,1]
	s_delay_alu instid0(VALU_DEP_1) | instskip(SKIP_1) | instid1(VALU_DEP_2)
	v_pk_fma_f32 v[110:111], v[106:107], v[102:103], v[108:109] op_sel_hi:[1,0,1]
	v_pk_fma_f32 v[102:103], v[106:107], v[102:103], v[108:109] neg_lo:[0,0,1] neg_hi:[0,0,1]
	v_mov_b32_e32 v103, v111
	s_cbranch_execz .LBB48_814
	s_branch .LBB48_815
.LBB48_813:
                                        ; implicit-def: $vgpr102_vgpr103
.LBB48_814:
	ds_load_b64 v[102:103], v1
.LBB48_815:
	s_mov_b32 s2, exec_lo
	v_cmpx_ne_u32_e32 33, v0
	s_cbranch_execz .LBB48_819
; %bb.816:
	v_add_nc_u32_e32 v105, 0x198, v42
	v_add3_u32 v106, 0, v42, 8
	v_mov_b32_e32 v107, v0
	s_mov_b32 s3, 0
.LBB48_817:                             ; =>This Inner Loop Header: Depth=1
	scratch_load_b64 v[108:109], v106, off
	ds_load_b64 v[110:111], v105
	s_wait_xcnt 0x0
	v_dual_add_nc_u32 v105, 8, v105 :: v_dual_add_nc_u32 v106, 8, v106
	s_wait_loadcnt_dscnt 0x0
	v_pk_mul_f32 v[112:113], v[110:111], v[108:109] op_sel:[1,1] op_sel_hi:[0,1]
	s_delay_alu instid0(VALU_DEP_1) | instskip(SKIP_2) | instid1(VALU_DEP_3)
	v_pk_fma_f32 v[114:115], v[110:111], v[108:109], v[112:113] op_sel_hi:[1,0,1]
	v_add_nc_u32_e32 v107, 1, v107
	v_pk_fma_f32 v[108:109], v[110:111], v[108:109], v[112:113] neg_lo:[0,0,1] neg_hi:[0,0,1]
	v_mov_b32_e32 v109, v115
	s_delay_alu instid0(VALU_DEP_3) | instskip(NEXT) | instid1(VALU_DEP_2)
	v_cmp_lt_u32_e32 vcc_lo, 32, v107
	v_pk_add_f32 v[102:103], v[102:103], v[108:109]
	s_or_b32 s3, vcc_lo, s3
	s_delay_alu instid0(SALU_CYCLE_1)
	s_and_not1_b32 exec_lo, exec_lo, s3
	s_cbranch_execnz .LBB48_817
; %bb.818:
	s_or_b32 exec_lo, exec_lo, s3
.LBB48_819:
	s_delay_alu instid0(SALU_CYCLE_1) | instskip(SKIP_4) | instid1(VALU_DEP_1)
	s_or_b32 exec_lo, exec_lo, s2
	v_mov_b32_e32 v105, 0
	ds_load_b64 v[106:107], v105 offset:272
	s_wait_dscnt 0x0
	v_pk_mul_f32 v[108:109], v[102:103], v[106:107] op_sel:[1,1] op_sel_hi:[0,1]
	v_pk_fma_f32 v[110:111], v[102:103], v[106:107], v[108:109] op_sel_hi:[1,0,1]
	v_pk_fma_f32 v[102:103], v[102:103], v[106:107], v[108:109] neg_lo:[0,0,1] neg_hi:[0,0,1]
	s_delay_alu instid0(VALU_DEP_2)
	v_mov_b32_e32 v103, v111
	scratch_store_b64 off, v[102:103], off offset:272
.LBB48_820:
	s_wait_xcnt 0x0
	s_or_b32 exec_lo, exec_lo, s0
	scratch_load_b64 v[102:103], off, off offset:280
	s_mov_b32 s0, exec_lo
	s_wait_loadcnt 0x0
	ds_store_b64 v1, v[102:103]
	s_wait_storecnt_dscnt 0x0
	s_barrier_signal -1
	s_barrier_wait -1
	s_wait_xcnt 0x0
	v_cmpx_gt_u32_e32 35, v0
	s_cbranch_execz .LBB48_830
; %bb.821:
	v_cmp_ne_u32_e32 vcc_lo, 1, v104
	s_cbranch_vccnz .LBB48_823
; %bb.822:
	scratch_load_b64 v[102:103], v43, off
	ds_load_b64 v[106:107], v1
	s_wait_loadcnt_dscnt 0x0
	v_pk_mul_f32 v[108:109], v[106:107], v[102:103] op_sel:[1,1] op_sel_hi:[0,1]
	s_delay_alu instid0(VALU_DEP_1) | instskip(SKIP_1) | instid1(VALU_DEP_2)
	v_pk_fma_f32 v[110:111], v[106:107], v[102:103], v[108:109] op_sel_hi:[1,0,1]
	v_pk_fma_f32 v[102:103], v[106:107], v[102:103], v[108:109] neg_lo:[0,0,1] neg_hi:[0,0,1]
	v_mov_b32_e32 v103, v111
	s_cbranch_execz .LBB48_824
	s_branch .LBB48_825
.LBB48_823:
                                        ; implicit-def: $vgpr102_vgpr103
.LBB48_824:
	ds_load_b64 v[102:103], v1
.LBB48_825:
	s_mov_b32 s2, exec_lo
	v_cmpx_ne_u32_e32 34, v0
	s_cbranch_execz .LBB48_829
; %bb.826:
	v_add_nc_u32_e32 v105, 0x198, v42
	v_add3_u32 v106, 0, v42, 8
	v_mov_b32_e32 v107, v0
	s_mov_b32 s3, 0
.LBB48_827:                             ; =>This Inner Loop Header: Depth=1
	scratch_load_b64 v[108:109], v106, off
	ds_load_b64 v[110:111], v105
	s_wait_xcnt 0x0
	v_dual_add_nc_u32 v105, 8, v105 :: v_dual_add_nc_u32 v106, 8, v106
	s_wait_loadcnt_dscnt 0x0
	v_pk_mul_f32 v[112:113], v[110:111], v[108:109] op_sel:[1,1] op_sel_hi:[0,1]
	s_delay_alu instid0(VALU_DEP_1) | instskip(SKIP_2) | instid1(VALU_DEP_3)
	v_pk_fma_f32 v[114:115], v[110:111], v[108:109], v[112:113] op_sel_hi:[1,0,1]
	v_add_nc_u32_e32 v107, 1, v107
	v_pk_fma_f32 v[108:109], v[110:111], v[108:109], v[112:113] neg_lo:[0,0,1] neg_hi:[0,0,1]
	v_mov_b32_e32 v109, v115
	s_delay_alu instid0(VALU_DEP_3) | instskip(NEXT) | instid1(VALU_DEP_2)
	v_cmp_lt_u32_e32 vcc_lo, 33, v107
	v_pk_add_f32 v[102:103], v[102:103], v[108:109]
	s_or_b32 s3, vcc_lo, s3
	s_delay_alu instid0(SALU_CYCLE_1)
	s_and_not1_b32 exec_lo, exec_lo, s3
	s_cbranch_execnz .LBB48_827
; %bb.828:
	s_or_b32 exec_lo, exec_lo, s3
.LBB48_829:
	s_delay_alu instid0(SALU_CYCLE_1) | instskip(SKIP_4) | instid1(VALU_DEP_1)
	s_or_b32 exec_lo, exec_lo, s2
	v_mov_b32_e32 v105, 0
	ds_load_b64 v[106:107], v105 offset:280
	s_wait_dscnt 0x0
	v_pk_mul_f32 v[108:109], v[102:103], v[106:107] op_sel:[1,1] op_sel_hi:[0,1]
	v_pk_fma_f32 v[110:111], v[102:103], v[106:107], v[108:109] op_sel_hi:[1,0,1]
	v_pk_fma_f32 v[102:103], v[102:103], v[106:107], v[108:109] neg_lo:[0,0,1] neg_hi:[0,0,1]
	s_delay_alu instid0(VALU_DEP_2)
	v_mov_b32_e32 v103, v111
	scratch_store_b64 off, v[102:103], off offset:280
.LBB48_830:
	s_wait_xcnt 0x0
	s_or_b32 exec_lo, exec_lo, s0
	scratch_load_b64 v[102:103], off, off offset:288
	s_mov_b32 s0, exec_lo
	s_wait_loadcnt 0x0
	ds_store_b64 v1, v[102:103]
	s_wait_storecnt_dscnt 0x0
	s_barrier_signal -1
	s_barrier_wait -1
	s_wait_xcnt 0x0
	v_cmpx_gt_u32_e32 36, v0
	s_cbranch_execz .LBB48_840
; %bb.831:
	v_cmp_ne_u32_e32 vcc_lo, 1, v104
	s_cbranch_vccnz .LBB48_833
; %bb.832:
	scratch_load_b64 v[102:103], v43, off
	ds_load_b64 v[106:107], v1
	s_wait_loadcnt_dscnt 0x0
	v_pk_mul_f32 v[108:109], v[106:107], v[102:103] op_sel:[1,1] op_sel_hi:[0,1]
	s_delay_alu instid0(VALU_DEP_1) | instskip(SKIP_1) | instid1(VALU_DEP_2)
	v_pk_fma_f32 v[110:111], v[106:107], v[102:103], v[108:109] op_sel_hi:[1,0,1]
	v_pk_fma_f32 v[102:103], v[106:107], v[102:103], v[108:109] neg_lo:[0,0,1] neg_hi:[0,0,1]
	v_mov_b32_e32 v103, v111
	s_cbranch_execz .LBB48_834
	s_branch .LBB48_835
.LBB48_833:
                                        ; implicit-def: $vgpr102_vgpr103
.LBB48_834:
	ds_load_b64 v[102:103], v1
.LBB48_835:
	s_mov_b32 s2, exec_lo
	v_cmpx_ne_u32_e32 35, v0
	s_cbranch_execz .LBB48_839
; %bb.836:
	v_add_nc_u32_e32 v105, 0x198, v42
	v_add3_u32 v106, 0, v42, 8
	v_mov_b32_e32 v107, v0
	s_mov_b32 s3, 0
.LBB48_837:                             ; =>This Inner Loop Header: Depth=1
	scratch_load_b64 v[108:109], v106, off
	ds_load_b64 v[110:111], v105
	s_wait_xcnt 0x0
	v_dual_add_nc_u32 v105, 8, v105 :: v_dual_add_nc_u32 v106, 8, v106
	s_wait_loadcnt_dscnt 0x0
	v_pk_mul_f32 v[112:113], v[110:111], v[108:109] op_sel:[1,1] op_sel_hi:[0,1]
	s_delay_alu instid0(VALU_DEP_1) | instskip(SKIP_2) | instid1(VALU_DEP_3)
	v_pk_fma_f32 v[114:115], v[110:111], v[108:109], v[112:113] op_sel_hi:[1,0,1]
	v_add_nc_u32_e32 v107, 1, v107
	v_pk_fma_f32 v[108:109], v[110:111], v[108:109], v[112:113] neg_lo:[0,0,1] neg_hi:[0,0,1]
	v_mov_b32_e32 v109, v115
	s_delay_alu instid0(VALU_DEP_3) | instskip(NEXT) | instid1(VALU_DEP_2)
	v_cmp_lt_u32_e32 vcc_lo, 34, v107
	v_pk_add_f32 v[102:103], v[102:103], v[108:109]
	s_or_b32 s3, vcc_lo, s3
	s_delay_alu instid0(SALU_CYCLE_1)
	s_and_not1_b32 exec_lo, exec_lo, s3
	s_cbranch_execnz .LBB48_837
; %bb.838:
	s_or_b32 exec_lo, exec_lo, s3
.LBB48_839:
	s_delay_alu instid0(SALU_CYCLE_1) | instskip(SKIP_4) | instid1(VALU_DEP_1)
	s_or_b32 exec_lo, exec_lo, s2
	v_mov_b32_e32 v105, 0
	ds_load_b64 v[106:107], v105 offset:288
	s_wait_dscnt 0x0
	v_pk_mul_f32 v[108:109], v[102:103], v[106:107] op_sel:[1,1] op_sel_hi:[0,1]
	v_pk_fma_f32 v[110:111], v[102:103], v[106:107], v[108:109] op_sel_hi:[1,0,1]
	v_pk_fma_f32 v[102:103], v[102:103], v[106:107], v[108:109] neg_lo:[0,0,1] neg_hi:[0,0,1]
	s_delay_alu instid0(VALU_DEP_2)
	v_mov_b32_e32 v103, v111
	scratch_store_b64 off, v[102:103], off offset:288
.LBB48_840:
	s_wait_xcnt 0x0
	s_or_b32 exec_lo, exec_lo, s0
	scratch_load_b64 v[102:103], off, off offset:296
	s_mov_b32 s0, exec_lo
	s_wait_loadcnt 0x0
	ds_store_b64 v1, v[102:103]
	s_wait_storecnt_dscnt 0x0
	s_barrier_signal -1
	s_barrier_wait -1
	s_wait_xcnt 0x0
	v_cmpx_gt_u32_e32 37, v0
	s_cbranch_execz .LBB48_850
; %bb.841:
	v_cmp_ne_u32_e32 vcc_lo, 1, v104
	s_cbranch_vccnz .LBB48_843
; %bb.842:
	scratch_load_b64 v[102:103], v43, off
	ds_load_b64 v[106:107], v1
	s_wait_loadcnt_dscnt 0x0
	v_pk_mul_f32 v[108:109], v[106:107], v[102:103] op_sel:[1,1] op_sel_hi:[0,1]
	s_delay_alu instid0(VALU_DEP_1) | instskip(SKIP_1) | instid1(VALU_DEP_2)
	v_pk_fma_f32 v[110:111], v[106:107], v[102:103], v[108:109] op_sel_hi:[1,0,1]
	v_pk_fma_f32 v[102:103], v[106:107], v[102:103], v[108:109] neg_lo:[0,0,1] neg_hi:[0,0,1]
	v_mov_b32_e32 v103, v111
	s_cbranch_execz .LBB48_844
	s_branch .LBB48_845
.LBB48_843:
                                        ; implicit-def: $vgpr102_vgpr103
.LBB48_844:
	ds_load_b64 v[102:103], v1
.LBB48_845:
	s_mov_b32 s2, exec_lo
	v_cmpx_ne_u32_e32 36, v0
	s_cbranch_execz .LBB48_849
; %bb.846:
	v_add_nc_u32_e32 v105, 0x198, v42
	v_add3_u32 v106, 0, v42, 8
	v_mov_b32_e32 v107, v0
	s_mov_b32 s3, 0
.LBB48_847:                             ; =>This Inner Loop Header: Depth=1
	scratch_load_b64 v[108:109], v106, off
	ds_load_b64 v[110:111], v105
	s_wait_xcnt 0x0
	v_dual_add_nc_u32 v105, 8, v105 :: v_dual_add_nc_u32 v106, 8, v106
	s_wait_loadcnt_dscnt 0x0
	v_pk_mul_f32 v[112:113], v[110:111], v[108:109] op_sel:[1,1] op_sel_hi:[0,1]
	s_delay_alu instid0(VALU_DEP_1) | instskip(SKIP_2) | instid1(VALU_DEP_3)
	v_pk_fma_f32 v[114:115], v[110:111], v[108:109], v[112:113] op_sel_hi:[1,0,1]
	v_add_nc_u32_e32 v107, 1, v107
	v_pk_fma_f32 v[108:109], v[110:111], v[108:109], v[112:113] neg_lo:[0,0,1] neg_hi:[0,0,1]
	v_mov_b32_e32 v109, v115
	s_delay_alu instid0(VALU_DEP_3) | instskip(NEXT) | instid1(VALU_DEP_2)
	v_cmp_lt_u32_e32 vcc_lo, 35, v107
	v_pk_add_f32 v[102:103], v[102:103], v[108:109]
	s_or_b32 s3, vcc_lo, s3
	s_delay_alu instid0(SALU_CYCLE_1)
	s_and_not1_b32 exec_lo, exec_lo, s3
	s_cbranch_execnz .LBB48_847
; %bb.848:
	s_or_b32 exec_lo, exec_lo, s3
.LBB48_849:
	s_delay_alu instid0(SALU_CYCLE_1) | instskip(SKIP_4) | instid1(VALU_DEP_1)
	s_or_b32 exec_lo, exec_lo, s2
	v_mov_b32_e32 v105, 0
	ds_load_b64 v[106:107], v105 offset:296
	s_wait_dscnt 0x0
	v_pk_mul_f32 v[108:109], v[102:103], v[106:107] op_sel:[1,1] op_sel_hi:[0,1]
	v_pk_fma_f32 v[110:111], v[102:103], v[106:107], v[108:109] op_sel_hi:[1,0,1]
	v_pk_fma_f32 v[102:103], v[102:103], v[106:107], v[108:109] neg_lo:[0,0,1] neg_hi:[0,0,1]
	s_delay_alu instid0(VALU_DEP_2)
	v_mov_b32_e32 v103, v111
	scratch_store_b64 off, v[102:103], off offset:296
.LBB48_850:
	s_wait_xcnt 0x0
	s_or_b32 exec_lo, exec_lo, s0
	scratch_load_b64 v[102:103], off, off offset:304
	s_mov_b32 s0, exec_lo
	s_wait_loadcnt 0x0
	ds_store_b64 v1, v[102:103]
	s_wait_storecnt_dscnt 0x0
	s_barrier_signal -1
	s_barrier_wait -1
	s_wait_xcnt 0x0
	v_cmpx_gt_u32_e32 38, v0
	s_cbranch_execz .LBB48_860
; %bb.851:
	v_cmp_ne_u32_e32 vcc_lo, 1, v104
	s_cbranch_vccnz .LBB48_853
; %bb.852:
	scratch_load_b64 v[102:103], v43, off
	ds_load_b64 v[106:107], v1
	s_wait_loadcnt_dscnt 0x0
	v_pk_mul_f32 v[108:109], v[106:107], v[102:103] op_sel:[1,1] op_sel_hi:[0,1]
	s_delay_alu instid0(VALU_DEP_1) | instskip(SKIP_1) | instid1(VALU_DEP_2)
	v_pk_fma_f32 v[110:111], v[106:107], v[102:103], v[108:109] op_sel_hi:[1,0,1]
	v_pk_fma_f32 v[102:103], v[106:107], v[102:103], v[108:109] neg_lo:[0,0,1] neg_hi:[0,0,1]
	v_mov_b32_e32 v103, v111
	s_cbranch_execz .LBB48_854
	s_branch .LBB48_855
.LBB48_853:
                                        ; implicit-def: $vgpr102_vgpr103
.LBB48_854:
	ds_load_b64 v[102:103], v1
.LBB48_855:
	s_mov_b32 s2, exec_lo
	v_cmpx_ne_u32_e32 37, v0
	s_cbranch_execz .LBB48_859
; %bb.856:
	v_add_nc_u32_e32 v105, 0x198, v42
	v_add3_u32 v106, 0, v42, 8
	v_mov_b32_e32 v107, v0
	s_mov_b32 s3, 0
.LBB48_857:                             ; =>This Inner Loop Header: Depth=1
	scratch_load_b64 v[108:109], v106, off
	ds_load_b64 v[110:111], v105
	s_wait_xcnt 0x0
	v_dual_add_nc_u32 v105, 8, v105 :: v_dual_add_nc_u32 v106, 8, v106
	s_wait_loadcnt_dscnt 0x0
	v_pk_mul_f32 v[112:113], v[110:111], v[108:109] op_sel:[1,1] op_sel_hi:[0,1]
	s_delay_alu instid0(VALU_DEP_1) | instskip(SKIP_2) | instid1(VALU_DEP_3)
	v_pk_fma_f32 v[114:115], v[110:111], v[108:109], v[112:113] op_sel_hi:[1,0,1]
	v_add_nc_u32_e32 v107, 1, v107
	v_pk_fma_f32 v[108:109], v[110:111], v[108:109], v[112:113] neg_lo:[0,0,1] neg_hi:[0,0,1]
	v_mov_b32_e32 v109, v115
	s_delay_alu instid0(VALU_DEP_3) | instskip(NEXT) | instid1(VALU_DEP_2)
	v_cmp_lt_u32_e32 vcc_lo, 36, v107
	v_pk_add_f32 v[102:103], v[102:103], v[108:109]
	s_or_b32 s3, vcc_lo, s3
	s_delay_alu instid0(SALU_CYCLE_1)
	s_and_not1_b32 exec_lo, exec_lo, s3
	s_cbranch_execnz .LBB48_857
; %bb.858:
	s_or_b32 exec_lo, exec_lo, s3
.LBB48_859:
	s_delay_alu instid0(SALU_CYCLE_1) | instskip(SKIP_4) | instid1(VALU_DEP_1)
	s_or_b32 exec_lo, exec_lo, s2
	v_mov_b32_e32 v105, 0
	ds_load_b64 v[106:107], v105 offset:304
	s_wait_dscnt 0x0
	v_pk_mul_f32 v[108:109], v[102:103], v[106:107] op_sel:[1,1] op_sel_hi:[0,1]
	v_pk_fma_f32 v[110:111], v[102:103], v[106:107], v[108:109] op_sel_hi:[1,0,1]
	v_pk_fma_f32 v[102:103], v[102:103], v[106:107], v[108:109] neg_lo:[0,0,1] neg_hi:[0,0,1]
	s_delay_alu instid0(VALU_DEP_2)
	v_mov_b32_e32 v103, v111
	scratch_store_b64 off, v[102:103], off offset:304
.LBB48_860:
	s_wait_xcnt 0x0
	s_or_b32 exec_lo, exec_lo, s0
	scratch_load_b64 v[102:103], off, off offset:312
	s_mov_b32 s0, exec_lo
	s_wait_loadcnt 0x0
	ds_store_b64 v1, v[102:103]
	s_wait_storecnt_dscnt 0x0
	s_barrier_signal -1
	s_barrier_wait -1
	s_wait_xcnt 0x0
	v_cmpx_gt_u32_e32 39, v0
	s_cbranch_execz .LBB48_870
; %bb.861:
	v_cmp_ne_u32_e32 vcc_lo, 1, v104
	s_cbranch_vccnz .LBB48_863
; %bb.862:
	scratch_load_b64 v[102:103], v43, off
	ds_load_b64 v[106:107], v1
	s_wait_loadcnt_dscnt 0x0
	v_pk_mul_f32 v[108:109], v[106:107], v[102:103] op_sel:[1,1] op_sel_hi:[0,1]
	s_delay_alu instid0(VALU_DEP_1) | instskip(SKIP_1) | instid1(VALU_DEP_2)
	v_pk_fma_f32 v[110:111], v[106:107], v[102:103], v[108:109] op_sel_hi:[1,0,1]
	v_pk_fma_f32 v[102:103], v[106:107], v[102:103], v[108:109] neg_lo:[0,0,1] neg_hi:[0,0,1]
	v_mov_b32_e32 v103, v111
	s_cbranch_execz .LBB48_864
	s_branch .LBB48_865
.LBB48_863:
                                        ; implicit-def: $vgpr102_vgpr103
.LBB48_864:
	ds_load_b64 v[102:103], v1
.LBB48_865:
	s_mov_b32 s2, exec_lo
	v_cmpx_ne_u32_e32 38, v0
	s_cbranch_execz .LBB48_869
; %bb.866:
	v_add_nc_u32_e32 v105, 0x198, v42
	v_add3_u32 v106, 0, v42, 8
	v_mov_b32_e32 v107, v0
	s_mov_b32 s3, 0
.LBB48_867:                             ; =>This Inner Loop Header: Depth=1
	scratch_load_b64 v[108:109], v106, off
	ds_load_b64 v[110:111], v105
	s_wait_xcnt 0x0
	v_dual_add_nc_u32 v105, 8, v105 :: v_dual_add_nc_u32 v106, 8, v106
	s_wait_loadcnt_dscnt 0x0
	v_pk_mul_f32 v[112:113], v[110:111], v[108:109] op_sel:[1,1] op_sel_hi:[0,1]
	s_delay_alu instid0(VALU_DEP_1) | instskip(SKIP_2) | instid1(VALU_DEP_3)
	v_pk_fma_f32 v[114:115], v[110:111], v[108:109], v[112:113] op_sel_hi:[1,0,1]
	v_add_nc_u32_e32 v107, 1, v107
	v_pk_fma_f32 v[108:109], v[110:111], v[108:109], v[112:113] neg_lo:[0,0,1] neg_hi:[0,0,1]
	v_mov_b32_e32 v109, v115
	s_delay_alu instid0(VALU_DEP_3) | instskip(NEXT) | instid1(VALU_DEP_2)
	v_cmp_lt_u32_e32 vcc_lo, 37, v107
	v_pk_add_f32 v[102:103], v[102:103], v[108:109]
	s_or_b32 s3, vcc_lo, s3
	s_delay_alu instid0(SALU_CYCLE_1)
	s_and_not1_b32 exec_lo, exec_lo, s3
	s_cbranch_execnz .LBB48_867
; %bb.868:
	s_or_b32 exec_lo, exec_lo, s3
.LBB48_869:
	s_delay_alu instid0(SALU_CYCLE_1) | instskip(SKIP_4) | instid1(VALU_DEP_1)
	s_or_b32 exec_lo, exec_lo, s2
	v_mov_b32_e32 v105, 0
	ds_load_b64 v[106:107], v105 offset:312
	s_wait_dscnt 0x0
	v_pk_mul_f32 v[108:109], v[102:103], v[106:107] op_sel:[1,1] op_sel_hi:[0,1]
	v_pk_fma_f32 v[110:111], v[102:103], v[106:107], v[108:109] op_sel_hi:[1,0,1]
	v_pk_fma_f32 v[102:103], v[102:103], v[106:107], v[108:109] neg_lo:[0,0,1] neg_hi:[0,0,1]
	s_delay_alu instid0(VALU_DEP_2)
	v_mov_b32_e32 v103, v111
	scratch_store_b64 off, v[102:103], off offset:312
.LBB48_870:
	s_wait_xcnt 0x0
	s_or_b32 exec_lo, exec_lo, s0
	scratch_load_b64 v[102:103], off, off offset:320
	s_mov_b32 s0, exec_lo
	s_wait_loadcnt 0x0
	ds_store_b64 v1, v[102:103]
	s_wait_storecnt_dscnt 0x0
	s_barrier_signal -1
	s_barrier_wait -1
	s_wait_xcnt 0x0
	v_cmpx_gt_u32_e32 40, v0
	s_cbranch_execz .LBB48_880
; %bb.871:
	v_cmp_ne_u32_e32 vcc_lo, 1, v104
	s_cbranch_vccnz .LBB48_873
; %bb.872:
	scratch_load_b64 v[102:103], v43, off
	ds_load_b64 v[106:107], v1
	s_wait_loadcnt_dscnt 0x0
	v_pk_mul_f32 v[108:109], v[106:107], v[102:103] op_sel:[1,1] op_sel_hi:[0,1]
	s_delay_alu instid0(VALU_DEP_1) | instskip(SKIP_1) | instid1(VALU_DEP_2)
	v_pk_fma_f32 v[110:111], v[106:107], v[102:103], v[108:109] op_sel_hi:[1,0,1]
	v_pk_fma_f32 v[102:103], v[106:107], v[102:103], v[108:109] neg_lo:[0,0,1] neg_hi:[0,0,1]
	v_mov_b32_e32 v103, v111
	s_cbranch_execz .LBB48_874
	s_branch .LBB48_875
.LBB48_873:
                                        ; implicit-def: $vgpr102_vgpr103
.LBB48_874:
	ds_load_b64 v[102:103], v1
.LBB48_875:
	s_mov_b32 s2, exec_lo
	v_cmpx_ne_u32_e32 39, v0
	s_cbranch_execz .LBB48_879
; %bb.876:
	v_add_nc_u32_e32 v105, 0x198, v42
	v_add3_u32 v106, 0, v42, 8
	v_mov_b32_e32 v107, v0
	s_mov_b32 s3, 0
.LBB48_877:                             ; =>This Inner Loop Header: Depth=1
	scratch_load_b64 v[108:109], v106, off
	ds_load_b64 v[110:111], v105
	s_wait_xcnt 0x0
	v_dual_add_nc_u32 v105, 8, v105 :: v_dual_add_nc_u32 v106, 8, v106
	s_wait_loadcnt_dscnt 0x0
	v_pk_mul_f32 v[112:113], v[110:111], v[108:109] op_sel:[1,1] op_sel_hi:[0,1]
	s_delay_alu instid0(VALU_DEP_1) | instskip(SKIP_2) | instid1(VALU_DEP_3)
	v_pk_fma_f32 v[114:115], v[110:111], v[108:109], v[112:113] op_sel_hi:[1,0,1]
	v_add_nc_u32_e32 v107, 1, v107
	v_pk_fma_f32 v[108:109], v[110:111], v[108:109], v[112:113] neg_lo:[0,0,1] neg_hi:[0,0,1]
	v_mov_b32_e32 v109, v115
	s_delay_alu instid0(VALU_DEP_3) | instskip(NEXT) | instid1(VALU_DEP_2)
	v_cmp_lt_u32_e32 vcc_lo, 38, v107
	v_pk_add_f32 v[102:103], v[102:103], v[108:109]
	s_or_b32 s3, vcc_lo, s3
	s_delay_alu instid0(SALU_CYCLE_1)
	s_and_not1_b32 exec_lo, exec_lo, s3
	s_cbranch_execnz .LBB48_877
; %bb.878:
	s_or_b32 exec_lo, exec_lo, s3
.LBB48_879:
	s_delay_alu instid0(SALU_CYCLE_1) | instskip(SKIP_4) | instid1(VALU_DEP_1)
	s_or_b32 exec_lo, exec_lo, s2
	v_mov_b32_e32 v105, 0
	ds_load_b64 v[106:107], v105 offset:320
	s_wait_dscnt 0x0
	v_pk_mul_f32 v[108:109], v[102:103], v[106:107] op_sel:[1,1] op_sel_hi:[0,1]
	v_pk_fma_f32 v[110:111], v[102:103], v[106:107], v[108:109] op_sel_hi:[1,0,1]
	v_pk_fma_f32 v[102:103], v[102:103], v[106:107], v[108:109] neg_lo:[0,0,1] neg_hi:[0,0,1]
	s_delay_alu instid0(VALU_DEP_2)
	v_mov_b32_e32 v103, v111
	scratch_store_b64 off, v[102:103], off offset:320
.LBB48_880:
	s_wait_xcnt 0x0
	s_or_b32 exec_lo, exec_lo, s0
	scratch_load_b64 v[102:103], off, off offset:328
	s_mov_b32 s0, exec_lo
	s_wait_loadcnt 0x0
	ds_store_b64 v1, v[102:103]
	s_wait_storecnt_dscnt 0x0
	s_barrier_signal -1
	s_barrier_wait -1
	s_wait_xcnt 0x0
	v_cmpx_gt_u32_e32 41, v0
	s_cbranch_execz .LBB48_890
; %bb.881:
	v_cmp_ne_u32_e32 vcc_lo, 1, v104
	s_cbranch_vccnz .LBB48_883
; %bb.882:
	scratch_load_b64 v[102:103], v43, off
	ds_load_b64 v[106:107], v1
	s_wait_loadcnt_dscnt 0x0
	v_pk_mul_f32 v[108:109], v[106:107], v[102:103] op_sel:[1,1] op_sel_hi:[0,1]
	s_delay_alu instid0(VALU_DEP_1) | instskip(SKIP_1) | instid1(VALU_DEP_2)
	v_pk_fma_f32 v[110:111], v[106:107], v[102:103], v[108:109] op_sel_hi:[1,0,1]
	v_pk_fma_f32 v[102:103], v[106:107], v[102:103], v[108:109] neg_lo:[0,0,1] neg_hi:[0,0,1]
	v_mov_b32_e32 v103, v111
	s_cbranch_execz .LBB48_884
	s_branch .LBB48_885
.LBB48_883:
                                        ; implicit-def: $vgpr102_vgpr103
.LBB48_884:
	ds_load_b64 v[102:103], v1
.LBB48_885:
	s_mov_b32 s2, exec_lo
	v_cmpx_ne_u32_e32 40, v0
	s_cbranch_execz .LBB48_889
; %bb.886:
	v_add_nc_u32_e32 v105, 0x198, v42
	v_add3_u32 v106, 0, v42, 8
	v_mov_b32_e32 v107, v0
	s_mov_b32 s3, 0
.LBB48_887:                             ; =>This Inner Loop Header: Depth=1
	scratch_load_b64 v[108:109], v106, off
	ds_load_b64 v[110:111], v105
	s_wait_xcnt 0x0
	v_dual_add_nc_u32 v105, 8, v105 :: v_dual_add_nc_u32 v106, 8, v106
	s_wait_loadcnt_dscnt 0x0
	v_pk_mul_f32 v[112:113], v[110:111], v[108:109] op_sel:[1,1] op_sel_hi:[0,1]
	s_delay_alu instid0(VALU_DEP_1) | instskip(SKIP_2) | instid1(VALU_DEP_3)
	v_pk_fma_f32 v[114:115], v[110:111], v[108:109], v[112:113] op_sel_hi:[1,0,1]
	v_add_nc_u32_e32 v107, 1, v107
	v_pk_fma_f32 v[108:109], v[110:111], v[108:109], v[112:113] neg_lo:[0,0,1] neg_hi:[0,0,1]
	v_mov_b32_e32 v109, v115
	s_delay_alu instid0(VALU_DEP_3) | instskip(NEXT) | instid1(VALU_DEP_2)
	v_cmp_lt_u32_e32 vcc_lo, 39, v107
	v_pk_add_f32 v[102:103], v[102:103], v[108:109]
	s_or_b32 s3, vcc_lo, s3
	s_delay_alu instid0(SALU_CYCLE_1)
	s_and_not1_b32 exec_lo, exec_lo, s3
	s_cbranch_execnz .LBB48_887
; %bb.888:
	s_or_b32 exec_lo, exec_lo, s3
.LBB48_889:
	s_delay_alu instid0(SALU_CYCLE_1) | instskip(SKIP_4) | instid1(VALU_DEP_1)
	s_or_b32 exec_lo, exec_lo, s2
	v_mov_b32_e32 v105, 0
	ds_load_b64 v[106:107], v105 offset:328
	s_wait_dscnt 0x0
	v_pk_mul_f32 v[108:109], v[102:103], v[106:107] op_sel:[1,1] op_sel_hi:[0,1]
	v_pk_fma_f32 v[110:111], v[102:103], v[106:107], v[108:109] op_sel_hi:[1,0,1]
	v_pk_fma_f32 v[102:103], v[102:103], v[106:107], v[108:109] neg_lo:[0,0,1] neg_hi:[0,0,1]
	s_delay_alu instid0(VALU_DEP_2)
	v_mov_b32_e32 v103, v111
	scratch_store_b64 off, v[102:103], off offset:328
.LBB48_890:
	s_wait_xcnt 0x0
	s_or_b32 exec_lo, exec_lo, s0
	scratch_load_b64 v[102:103], off, off offset:336
	s_mov_b32 s0, exec_lo
	s_wait_loadcnt 0x0
	ds_store_b64 v1, v[102:103]
	s_wait_storecnt_dscnt 0x0
	s_barrier_signal -1
	s_barrier_wait -1
	s_wait_xcnt 0x0
	v_cmpx_gt_u32_e32 42, v0
	s_cbranch_execz .LBB48_900
; %bb.891:
	v_cmp_ne_u32_e32 vcc_lo, 1, v104
	s_cbranch_vccnz .LBB48_893
; %bb.892:
	scratch_load_b64 v[102:103], v43, off
	ds_load_b64 v[106:107], v1
	s_wait_loadcnt_dscnt 0x0
	v_pk_mul_f32 v[108:109], v[106:107], v[102:103] op_sel:[1,1] op_sel_hi:[0,1]
	s_delay_alu instid0(VALU_DEP_1) | instskip(SKIP_1) | instid1(VALU_DEP_2)
	v_pk_fma_f32 v[110:111], v[106:107], v[102:103], v[108:109] op_sel_hi:[1,0,1]
	v_pk_fma_f32 v[102:103], v[106:107], v[102:103], v[108:109] neg_lo:[0,0,1] neg_hi:[0,0,1]
	v_mov_b32_e32 v103, v111
	s_cbranch_execz .LBB48_894
	s_branch .LBB48_895
.LBB48_893:
                                        ; implicit-def: $vgpr102_vgpr103
.LBB48_894:
	ds_load_b64 v[102:103], v1
.LBB48_895:
	s_mov_b32 s2, exec_lo
	v_cmpx_ne_u32_e32 41, v0
	s_cbranch_execz .LBB48_899
; %bb.896:
	v_add_nc_u32_e32 v105, 0x198, v42
	v_add3_u32 v106, 0, v42, 8
	v_mov_b32_e32 v107, v0
	s_mov_b32 s3, 0
.LBB48_897:                             ; =>This Inner Loop Header: Depth=1
	scratch_load_b64 v[108:109], v106, off
	ds_load_b64 v[110:111], v105
	s_wait_xcnt 0x0
	v_dual_add_nc_u32 v105, 8, v105 :: v_dual_add_nc_u32 v106, 8, v106
	s_wait_loadcnt_dscnt 0x0
	v_pk_mul_f32 v[112:113], v[110:111], v[108:109] op_sel:[1,1] op_sel_hi:[0,1]
	s_delay_alu instid0(VALU_DEP_1) | instskip(SKIP_2) | instid1(VALU_DEP_3)
	v_pk_fma_f32 v[114:115], v[110:111], v[108:109], v[112:113] op_sel_hi:[1,0,1]
	v_add_nc_u32_e32 v107, 1, v107
	v_pk_fma_f32 v[108:109], v[110:111], v[108:109], v[112:113] neg_lo:[0,0,1] neg_hi:[0,0,1]
	v_mov_b32_e32 v109, v115
	s_delay_alu instid0(VALU_DEP_3) | instskip(NEXT) | instid1(VALU_DEP_2)
	v_cmp_lt_u32_e32 vcc_lo, 40, v107
	v_pk_add_f32 v[102:103], v[102:103], v[108:109]
	s_or_b32 s3, vcc_lo, s3
	s_delay_alu instid0(SALU_CYCLE_1)
	s_and_not1_b32 exec_lo, exec_lo, s3
	s_cbranch_execnz .LBB48_897
; %bb.898:
	s_or_b32 exec_lo, exec_lo, s3
.LBB48_899:
	s_delay_alu instid0(SALU_CYCLE_1) | instskip(SKIP_4) | instid1(VALU_DEP_1)
	s_or_b32 exec_lo, exec_lo, s2
	v_mov_b32_e32 v105, 0
	ds_load_b64 v[106:107], v105 offset:336
	s_wait_dscnt 0x0
	v_pk_mul_f32 v[108:109], v[102:103], v[106:107] op_sel:[1,1] op_sel_hi:[0,1]
	v_pk_fma_f32 v[110:111], v[102:103], v[106:107], v[108:109] op_sel_hi:[1,0,1]
	v_pk_fma_f32 v[102:103], v[102:103], v[106:107], v[108:109] neg_lo:[0,0,1] neg_hi:[0,0,1]
	s_delay_alu instid0(VALU_DEP_2)
	v_mov_b32_e32 v103, v111
	scratch_store_b64 off, v[102:103], off offset:336
.LBB48_900:
	s_wait_xcnt 0x0
	s_or_b32 exec_lo, exec_lo, s0
	scratch_load_b64 v[102:103], off, off offset:344
	s_mov_b32 s0, exec_lo
	s_wait_loadcnt 0x0
	ds_store_b64 v1, v[102:103]
	s_wait_storecnt_dscnt 0x0
	s_barrier_signal -1
	s_barrier_wait -1
	s_wait_xcnt 0x0
	v_cmpx_gt_u32_e32 43, v0
	s_cbranch_execz .LBB48_910
; %bb.901:
	v_cmp_ne_u32_e32 vcc_lo, 1, v104
	s_cbranch_vccnz .LBB48_903
; %bb.902:
	scratch_load_b64 v[102:103], v43, off
	ds_load_b64 v[106:107], v1
	s_wait_loadcnt_dscnt 0x0
	v_pk_mul_f32 v[108:109], v[106:107], v[102:103] op_sel:[1,1] op_sel_hi:[0,1]
	s_delay_alu instid0(VALU_DEP_1) | instskip(SKIP_1) | instid1(VALU_DEP_2)
	v_pk_fma_f32 v[110:111], v[106:107], v[102:103], v[108:109] op_sel_hi:[1,0,1]
	v_pk_fma_f32 v[102:103], v[106:107], v[102:103], v[108:109] neg_lo:[0,0,1] neg_hi:[0,0,1]
	v_mov_b32_e32 v103, v111
	s_cbranch_execz .LBB48_904
	s_branch .LBB48_905
.LBB48_903:
                                        ; implicit-def: $vgpr102_vgpr103
.LBB48_904:
	ds_load_b64 v[102:103], v1
.LBB48_905:
	s_mov_b32 s2, exec_lo
	v_cmpx_ne_u32_e32 42, v0
	s_cbranch_execz .LBB48_909
; %bb.906:
	v_add_nc_u32_e32 v105, 0x198, v42
	v_add3_u32 v106, 0, v42, 8
	v_mov_b32_e32 v107, v0
	s_mov_b32 s3, 0
.LBB48_907:                             ; =>This Inner Loop Header: Depth=1
	scratch_load_b64 v[108:109], v106, off
	ds_load_b64 v[110:111], v105
	s_wait_xcnt 0x0
	v_dual_add_nc_u32 v105, 8, v105 :: v_dual_add_nc_u32 v106, 8, v106
	s_wait_loadcnt_dscnt 0x0
	v_pk_mul_f32 v[112:113], v[110:111], v[108:109] op_sel:[1,1] op_sel_hi:[0,1]
	s_delay_alu instid0(VALU_DEP_1) | instskip(SKIP_2) | instid1(VALU_DEP_3)
	v_pk_fma_f32 v[114:115], v[110:111], v[108:109], v[112:113] op_sel_hi:[1,0,1]
	v_add_nc_u32_e32 v107, 1, v107
	v_pk_fma_f32 v[108:109], v[110:111], v[108:109], v[112:113] neg_lo:[0,0,1] neg_hi:[0,0,1]
	v_mov_b32_e32 v109, v115
	s_delay_alu instid0(VALU_DEP_3) | instskip(NEXT) | instid1(VALU_DEP_2)
	v_cmp_lt_u32_e32 vcc_lo, 41, v107
	v_pk_add_f32 v[102:103], v[102:103], v[108:109]
	s_or_b32 s3, vcc_lo, s3
	s_delay_alu instid0(SALU_CYCLE_1)
	s_and_not1_b32 exec_lo, exec_lo, s3
	s_cbranch_execnz .LBB48_907
; %bb.908:
	s_or_b32 exec_lo, exec_lo, s3
.LBB48_909:
	s_delay_alu instid0(SALU_CYCLE_1) | instskip(SKIP_4) | instid1(VALU_DEP_1)
	s_or_b32 exec_lo, exec_lo, s2
	v_mov_b32_e32 v105, 0
	ds_load_b64 v[106:107], v105 offset:344
	s_wait_dscnt 0x0
	v_pk_mul_f32 v[108:109], v[102:103], v[106:107] op_sel:[1,1] op_sel_hi:[0,1]
	v_pk_fma_f32 v[110:111], v[102:103], v[106:107], v[108:109] op_sel_hi:[1,0,1]
	v_pk_fma_f32 v[102:103], v[102:103], v[106:107], v[108:109] neg_lo:[0,0,1] neg_hi:[0,0,1]
	s_delay_alu instid0(VALU_DEP_2)
	v_mov_b32_e32 v103, v111
	scratch_store_b64 off, v[102:103], off offset:344
.LBB48_910:
	s_wait_xcnt 0x0
	s_or_b32 exec_lo, exec_lo, s0
	scratch_load_b64 v[102:103], off, off offset:352
	s_mov_b32 s0, exec_lo
	s_wait_loadcnt 0x0
	ds_store_b64 v1, v[102:103]
	s_wait_storecnt_dscnt 0x0
	s_barrier_signal -1
	s_barrier_wait -1
	s_wait_xcnt 0x0
	v_cmpx_gt_u32_e32 44, v0
	s_cbranch_execz .LBB48_920
; %bb.911:
	v_cmp_ne_u32_e32 vcc_lo, 1, v104
	s_cbranch_vccnz .LBB48_913
; %bb.912:
	scratch_load_b64 v[102:103], v43, off
	ds_load_b64 v[106:107], v1
	s_wait_loadcnt_dscnt 0x0
	v_pk_mul_f32 v[108:109], v[106:107], v[102:103] op_sel:[1,1] op_sel_hi:[0,1]
	s_delay_alu instid0(VALU_DEP_1) | instskip(SKIP_1) | instid1(VALU_DEP_2)
	v_pk_fma_f32 v[110:111], v[106:107], v[102:103], v[108:109] op_sel_hi:[1,0,1]
	v_pk_fma_f32 v[102:103], v[106:107], v[102:103], v[108:109] neg_lo:[0,0,1] neg_hi:[0,0,1]
	v_mov_b32_e32 v103, v111
	s_cbranch_execz .LBB48_914
	s_branch .LBB48_915
.LBB48_913:
                                        ; implicit-def: $vgpr102_vgpr103
.LBB48_914:
	ds_load_b64 v[102:103], v1
.LBB48_915:
	s_mov_b32 s2, exec_lo
	v_cmpx_ne_u32_e32 43, v0
	s_cbranch_execz .LBB48_919
; %bb.916:
	v_add_nc_u32_e32 v105, 0x198, v42
	v_add3_u32 v106, 0, v42, 8
	v_mov_b32_e32 v107, v0
	s_mov_b32 s3, 0
.LBB48_917:                             ; =>This Inner Loop Header: Depth=1
	scratch_load_b64 v[108:109], v106, off
	ds_load_b64 v[110:111], v105
	s_wait_xcnt 0x0
	v_dual_add_nc_u32 v105, 8, v105 :: v_dual_add_nc_u32 v106, 8, v106
	s_wait_loadcnt_dscnt 0x0
	v_pk_mul_f32 v[112:113], v[110:111], v[108:109] op_sel:[1,1] op_sel_hi:[0,1]
	s_delay_alu instid0(VALU_DEP_1) | instskip(SKIP_2) | instid1(VALU_DEP_3)
	v_pk_fma_f32 v[114:115], v[110:111], v[108:109], v[112:113] op_sel_hi:[1,0,1]
	v_add_nc_u32_e32 v107, 1, v107
	v_pk_fma_f32 v[108:109], v[110:111], v[108:109], v[112:113] neg_lo:[0,0,1] neg_hi:[0,0,1]
	v_mov_b32_e32 v109, v115
	s_delay_alu instid0(VALU_DEP_3) | instskip(NEXT) | instid1(VALU_DEP_2)
	v_cmp_lt_u32_e32 vcc_lo, 42, v107
	v_pk_add_f32 v[102:103], v[102:103], v[108:109]
	s_or_b32 s3, vcc_lo, s3
	s_delay_alu instid0(SALU_CYCLE_1)
	s_and_not1_b32 exec_lo, exec_lo, s3
	s_cbranch_execnz .LBB48_917
; %bb.918:
	s_or_b32 exec_lo, exec_lo, s3
.LBB48_919:
	s_delay_alu instid0(SALU_CYCLE_1) | instskip(SKIP_4) | instid1(VALU_DEP_1)
	s_or_b32 exec_lo, exec_lo, s2
	v_mov_b32_e32 v105, 0
	ds_load_b64 v[106:107], v105 offset:352
	s_wait_dscnt 0x0
	v_pk_mul_f32 v[108:109], v[102:103], v[106:107] op_sel:[1,1] op_sel_hi:[0,1]
	v_pk_fma_f32 v[110:111], v[102:103], v[106:107], v[108:109] op_sel_hi:[1,0,1]
	v_pk_fma_f32 v[102:103], v[102:103], v[106:107], v[108:109] neg_lo:[0,0,1] neg_hi:[0,0,1]
	s_delay_alu instid0(VALU_DEP_2)
	v_mov_b32_e32 v103, v111
	scratch_store_b64 off, v[102:103], off offset:352
.LBB48_920:
	s_wait_xcnt 0x0
	s_or_b32 exec_lo, exec_lo, s0
	scratch_load_b64 v[102:103], off, off offset:360
	s_mov_b32 s0, exec_lo
	s_wait_loadcnt 0x0
	ds_store_b64 v1, v[102:103]
	s_wait_storecnt_dscnt 0x0
	s_barrier_signal -1
	s_barrier_wait -1
	s_wait_xcnt 0x0
	v_cmpx_gt_u32_e32 45, v0
	s_cbranch_execz .LBB48_930
; %bb.921:
	v_cmp_ne_u32_e32 vcc_lo, 1, v104
	s_cbranch_vccnz .LBB48_923
; %bb.922:
	scratch_load_b64 v[102:103], v43, off
	ds_load_b64 v[106:107], v1
	s_wait_loadcnt_dscnt 0x0
	v_pk_mul_f32 v[108:109], v[106:107], v[102:103] op_sel:[1,1] op_sel_hi:[0,1]
	s_delay_alu instid0(VALU_DEP_1) | instskip(SKIP_1) | instid1(VALU_DEP_2)
	v_pk_fma_f32 v[110:111], v[106:107], v[102:103], v[108:109] op_sel_hi:[1,0,1]
	v_pk_fma_f32 v[102:103], v[106:107], v[102:103], v[108:109] neg_lo:[0,0,1] neg_hi:[0,0,1]
	v_mov_b32_e32 v103, v111
	s_cbranch_execz .LBB48_924
	s_branch .LBB48_925
.LBB48_923:
                                        ; implicit-def: $vgpr102_vgpr103
.LBB48_924:
	ds_load_b64 v[102:103], v1
.LBB48_925:
	s_mov_b32 s2, exec_lo
	v_cmpx_ne_u32_e32 44, v0
	s_cbranch_execz .LBB48_929
; %bb.926:
	v_add_nc_u32_e32 v105, 0x198, v42
	v_add3_u32 v106, 0, v42, 8
	v_mov_b32_e32 v107, v0
	s_mov_b32 s3, 0
.LBB48_927:                             ; =>This Inner Loop Header: Depth=1
	scratch_load_b64 v[108:109], v106, off
	ds_load_b64 v[110:111], v105
	s_wait_xcnt 0x0
	v_dual_add_nc_u32 v105, 8, v105 :: v_dual_add_nc_u32 v106, 8, v106
	s_wait_loadcnt_dscnt 0x0
	v_pk_mul_f32 v[112:113], v[110:111], v[108:109] op_sel:[1,1] op_sel_hi:[0,1]
	s_delay_alu instid0(VALU_DEP_1) | instskip(SKIP_2) | instid1(VALU_DEP_3)
	v_pk_fma_f32 v[114:115], v[110:111], v[108:109], v[112:113] op_sel_hi:[1,0,1]
	v_add_nc_u32_e32 v107, 1, v107
	v_pk_fma_f32 v[108:109], v[110:111], v[108:109], v[112:113] neg_lo:[0,0,1] neg_hi:[0,0,1]
	v_mov_b32_e32 v109, v115
	s_delay_alu instid0(VALU_DEP_3) | instskip(NEXT) | instid1(VALU_DEP_2)
	v_cmp_lt_u32_e32 vcc_lo, 43, v107
	v_pk_add_f32 v[102:103], v[102:103], v[108:109]
	s_or_b32 s3, vcc_lo, s3
	s_delay_alu instid0(SALU_CYCLE_1)
	s_and_not1_b32 exec_lo, exec_lo, s3
	s_cbranch_execnz .LBB48_927
; %bb.928:
	s_or_b32 exec_lo, exec_lo, s3
.LBB48_929:
	s_delay_alu instid0(SALU_CYCLE_1) | instskip(SKIP_4) | instid1(VALU_DEP_1)
	s_or_b32 exec_lo, exec_lo, s2
	v_mov_b32_e32 v105, 0
	ds_load_b64 v[106:107], v105 offset:360
	s_wait_dscnt 0x0
	v_pk_mul_f32 v[108:109], v[102:103], v[106:107] op_sel:[1,1] op_sel_hi:[0,1]
	v_pk_fma_f32 v[110:111], v[102:103], v[106:107], v[108:109] op_sel_hi:[1,0,1]
	v_pk_fma_f32 v[102:103], v[102:103], v[106:107], v[108:109] neg_lo:[0,0,1] neg_hi:[0,0,1]
	s_delay_alu instid0(VALU_DEP_2)
	v_mov_b32_e32 v103, v111
	scratch_store_b64 off, v[102:103], off offset:360
.LBB48_930:
	s_wait_xcnt 0x0
	s_or_b32 exec_lo, exec_lo, s0
	scratch_load_b64 v[102:103], off, off offset:368
	s_mov_b32 s0, exec_lo
	s_wait_loadcnt 0x0
	ds_store_b64 v1, v[102:103]
	s_wait_storecnt_dscnt 0x0
	s_barrier_signal -1
	s_barrier_wait -1
	s_wait_xcnt 0x0
	v_cmpx_gt_u32_e32 46, v0
	s_cbranch_execz .LBB48_940
; %bb.931:
	v_cmp_ne_u32_e32 vcc_lo, 1, v104
	s_cbranch_vccnz .LBB48_933
; %bb.932:
	scratch_load_b64 v[102:103], v43, off
	ds_load_b64 v[106:107], v1
	s_wait_loadcnt_dscnt 0x0
	v_pk_mul_f32 v[108:109], v[106:107], v[102:103] op_sel:[1,1] op_sel_hi:[0,1]
	s_delay_alu instid0(VALU_DEP_1) | instskip(SKIP_1) | instid1(VALU_DEP_2)
	v_pk_fma_f32 v[110:111], v[106:107], v[102:103], v[108:109] op_sel_hi:[1,0,1]
	v_pk_fma_f32 v[102:103], v[106:107], v[102:103], v[108:109] neg_lo:[0,0,1] neg_hi:[0,0,1]
	v_mov_b32_e32 v103, v111
	s_cbranch_execz .LBB48_934
	s_branch .LBB48_935
.LBB48_933:
                                        ; implicit-def: $vgpr102_vgpr103
.LBB48_934:
	ds_load_b64 v[102:103], v1
.LBB48_935:
	s_mov_b32 s2, exec_lo
	v_cmpx_ne_u32_e32 45, v0
	s_cbranch_execz .LBB48_939
; %bb.936:
	v_add_nc_u32_e32 v105, 0x198, v42
	v_add3_u32 v106, 0, v42, 8
	v_mov_b32_e32 v107, v0
	s_mov_b32 s3, 0
.LBB48_937:                             ; =>This Inner Loop Header: Depth=1
	scratch_load_b64 v[108:109], v106, off
	ds_load_b64 v[110:111], v105
	s_wait_xcnt 0x0
	v_dual_add_nc_u32 v105, 8, v105 :: v_dual_add_nc_u32 v106, 8, v106
	s_wait_loadcnt_dscnt 0x0
	v_pk_mul_f32 v[112:113], v[110:111], v[108:109] op_sel:[1,1] op_sel_hi:[0,1]
	s_delay_alu instid0(VALU_DEP_1) | instskip(SKIP_2) | instid1(VALU_DEP_3)
	v_pk_fma_f32 v[114:115], v[110:111], v[108:109], v[112:113] op_sel_hi:[1,0,1]
	v_add_nc_u32_e32 v107, 1, v107
	v_pk_fma_f32 v[108:109], v[110:111], v[108:109], v[112:113] neg_lo:[0,0,1] neg_hi:[0,0,1]
	v_mov_b32_e32 v109, v115
	s_delay_alu instid0(VALU_DEP_3) | instskip(NEXT) | instid1(VALU_DEP_2)
	v_cmp_lt_u32_e32 vcc_lo, 44, v107
	v_pk_add_f32 v[102:103], v[102:103], v[108:109]
	s_or_b32 s3, vcc_lo, s3
	s_delay_alu instid0(SALU_CYCLE_1)
	s_and_not1_b32 exec_lo, exec_lo, s3
	s_cbranch_execnz .LBB48_937
; %bb.938:
	s_or_b32 exec_lo, exec_lo, s3
.LBB48_939:
	s_delay_alu instid0(SALU_CYCLE_1) | instskip(SKIP_4) | instid1(VALU_DEP_1)
	s_or_b32 exec_lo, exec_lo, s2
	v_mov_b32_e32 v105, 0
	ds_load_b64 v[106:107], v105 offset:368
	s_wait_dscnt 0x0
	v_pk_mul_f32 v[108:109], v[102:103], v[106:107] op_sel:[1,1] op_sel_hi:[0,1]
	v_pk_fma_f32 v[110:111], v[102:103], v[106:107], v[108:109] op_sel_hi:[1,0,1]
	v_pk_fma_f32 v[102:103], v[102:103], v[106:107], v[108:109] neg_lo:[0,0,1] neg_hi:[0,0,1]
	s_delay_alu instid0(VALU_DEP_2)
	v_mov_b32_e32 v103, v111
	scratch_store_b64 off, v[102:103], off offset:368
.LBB48_940:
	s_wait_xcnt 0x0
	s_or_b32 exec_lo, exec_lo, s0
	scratch_load_b64 v[102:103], off, off offset:376
	v_cmp_gt_u32_e64 s0, 47, v0
	s_wait_loadcnt 0x0
	ds_store_b64 v1, v[102:103]
	s_wait_storecnt_dscnt 0x0
	s_barrier_signal -1
	s_barrier_wait -1
	s_wait_xcnt 0x0
	s_and_saveexec_b32 s2, s0
	s_cbranch_execz .LBB48_950
; %bb.941:
	v_cmp_ne_u32_e32 vcc_lo, 1, v104
	s_cbranch_vccnz .LBB48_943
; %bb.942:
	scratch_load_b64 v[102:103], v43, off
	ds_load_b64 v[106:107], v1
	s_wait_loadcnt_dscnt 0x0
	v_pk_mul_f32 v[108:109], v[106:107], v[102:103] op_sel:[1,1] op_sel_hi:[0,1]
	s_delay_alu instid0(VALU_DEP_1) | instskip(SKIP_1) | instid1(VALU_DEP_2)
	v_pk_fma_f32 v[110:111], v[106:107], v[102:103], v[108:109] op_sel_hi:[1,0,1]
	v_pk_fma_f32 v[102:103], v[106:107], v[102:103], v[108:109] neg_lo:[0,0,1] neg_hi:[0,0,1]
	v_mov_b32_e32 v103, v111
	s_cbranch_execz .LBB48_944
	s_branch .LBB48_945
.LBB48_943:
                                        ; implicit-def: $vgpr102_vgpr103
.LBB48_944:
	ds_load_b64 v[102:103], v1
.LBB48_945:
	s_mov_b32 s3, exec_lo
	v_cmpx_ne_u32_e32 46, v0
	s_cbranch_execz .LBB48_949
; %bb.946:
	v_add_nc_u32_e32 v105, 0x198, v42
	v_add3_u32 v106, 0, v42, 8
	v_mov_b32_e32 v107, v0
	s_mov_b32 s4, 0
.LBB48_947:                             ; =>This Inner Loop Header: Depth=1
	scratch_load_b64 v[108:109], v106, off
	ds_load_b64 v[110:111], v105
	s_wait_xcnt 0x0
	v_dual_add_nc_u32 v105, 8, v105 :: v_dual_add_nc_u32 v106, 8, v106
	s_wait_loadcnt_dscnt 0x0
	v_pk_mul_f32 v[112:113], v[110:111], v[108:109] op_sel:[1,1] op_sel_hi:[0,1]
	s_delay_alu instid0(VALU_DEP_1) | instskip(SKIP_2) | instid1(VALU_DEP_3)
	v_pk_fma_f32 v[114:115], v[110:111], v[108:109], v[112:113] op_sel_hi:[1,0,1]
	v_add_nc_u32_e32 v107, 1, v107
	v_pk_fma_f32 v[108:109], v[110:111], v[108:109], v[112:113] neg_lo:[0,0,1] neg_hi:[0,0,1]
	v_mov_b32_e32 v109, v115
	s_delay_alu instid0(VALU_DEP_3) | instskip(NEXT) | instid1(VALU_DEP_2)
	v_cmp_lt_u32_e32 vcc_lo, 45, v107
	v_pk_add_f32 v[102:103], v[102:103], v[108:109]
	s_or_b32 s4, vcc_lo, s4
	s_delay_alu instid0(SALU_CYCLE_1)
	s_and_not1_b32 exec_lo, exec_lo, s4
	s_cbranch_execnz .LBB48_947
; %bb.948:
	s_or_b32 exec_lo, exec_lo, s4
.LBB48_949:
	s_delay_alu instid0(SALU_CYCLE_1) | instskip(SKIP_4) | instid1(VALU_DEP_1)
	s_or_b32 exec_lo, exec_lo, s3
	v_mov_b32_e32 v105, 0
	ds_load_b64 v[106:107], v105 offset:376
	s_wait_dscnt 0x0
	v_pk_mul_f32 v[108:109], v[102:103], v[106:107] op_sel:[1,1] op_sel_hi:[0,1]
	v_pk_fma_f32 v[110:111], v[102:103], v[106:107], v[108:109] op_sel_hi:[1,0,1]
	v_pk_fma_f32 v[102:103], v[102:103], v[106:107], v[108:109] neg_lo:[0,0,1] neg_hi:[0,0,1]
	s_delay_alu instid0(VALU_DEP_2)
	v_mov_b32_e32 v103, v111
	scratch_store_b64 off, v[102:103], off offset:376
.LBB48_950:
	s_wait_xcnt 0x0
	s_or_b32 exec_lo, exec_lo, s2
	scratch_load_b64 v[102:103], off, off offset:384
	s_mov_b32 s2, exec_lo
                                        ; implicit-def: $vgpr134
                                        ; implicit-def: $sgpr4
	s_wait_loadcnt 0x0
	ds_store_b64 v1, v[102:103]
	s_wait_storecnt_dscnt 0x0
	s_barrier_signal -1
	s_barrier_wait -1
	s_wait_xcnt 0x0
	v_cmpx_ne_u32_e32 48, v0
	s_cbranch_execz .LBB48_960
; %bb.951:
	v_cmp_ne_u32_e32 vcc_lo, 1, v104
	s_cbranch_vccnz .LBB48_953
; %bb.952:
	scratch_load_b64 v[104:105], v43, off
	ds_load_b64 v[106:107], v1
	s_wait_loadcnt_dscnt 0x0
	v_dual_mul_f32 v43, v107, v105 :: v_dual_mul_f32 v103, v106, v105
	s_delay_alu instid0(VALU_DEP_1) | instskip(NEXT) | instid1(VALU_DEP_2)
	v_fma_f32 v102, v106, v104, -v43
	v_fmac_f32_e32 v103, v107, v104
	s_cbranch_execz .LBB48_954
	s_branch .LBB48_955
.LBB48_953:
                                        ; implicit-def: $vgpr103
.LBB48_954:
	ds_load_b64 v[102:103], v1
.LBB48_955:
	s_and_saveexec_b32 s3, s0
	s_cbranch_execz .LBB48_959
; %bb.956:
	v_add_nc_u32_e32 v1, 0x198, v42
	v_add3_u32 v42, 0, v42, 8
	s_mov_b32 s0, 0
.LBB48_957:                             ; =>This Inner Loop Header: Depth=1
	scratch_load_b64 v[104:105], v42, off
	ds_load_b64 v[106:107], v1
	v_dual_add_nc_u32 v0, 1, v0 :: v_dual_add_nc_u32 v1, 8, v1
	s_delay_alu instid0(VALU_DEP_1) | instskip(SKIP_3) | instid1(VALU_DEP_1)
	v_cmp_lt_u32_e32 vcc_lo, 46, v0
	s_or_b32 s0, vcc_lo, s0
	s_wait_loadcnt_dscnt 0x0
	v_dual_mul_f32 v43, v107, v105 :: v_dual_mul_f32 v105, v106, v105
	v_dual_fma_f32 v43, v106, v104, -v43 :: v_dual_fmac_f32 v105, v107, v104
	s_delay_alu instid0(VALU_DEP_1) | instskip(NEXT) | instid1(VALU_DEP_2)
	v_dual_add_nc_u32 v42, 8, v42 :: v_dual_add_f32 v102, v102, v43
	v_add_f32_e32 v103, v103, v105
	s_and_not1_b32 exec_lo, exec_lo, s0
	s_cbranch_execnz .LBB48_957
; %bb.958:
	s_or_b32 exec_lo, exec_lo, s0
.LBB48_959:
	s_delay_alu instid0(SALU_CYCLE_1)
	s_or_b32 exec_lo, exec_lo, s3
	v_mov_b32_e32 v0, 0
	s_movk_i32 s4, 0x184
	s_or_b32 s1, s1, exec_lo
	ds_load_b64 v[0:1], v0 offset:384
	s_wait_dscnt 0x0
	v_dual_mul_f32 v42, v103, v1 :: v_dual_mul_f32 v134, v102, v1
	s_delay_alu instid0(VALU_DEP_1) | instskip(NEXT) | instid1(VALU_DEP_2)
	v_fma_f32 v1, v102, v0, -v42
	v_fmac_f32_e32 v134, v103, v0
	scratch_store_b32 off, v1, off offset:384
.LBB48_960:
	s_wait_xcnt 0x0
	s_or_b32 exec_lo, exec_lo, s2
.LBB48_961:
	v_lshl_add_u64 v[132:133], v[6:7], 3, s[6:7]
	v_lshl_add_u64 v[130:131], v[8:9], 3, s[6:7]
	;; [unrolled: 1-line block ×47, first 2 shown]
	s_and_saveexec_b32 s0, s1
	s_cbranch_execz .LBB48_963
; %bb.962:
	scratch_store_b32 off, v134, s4
.LBB48_963:
	s_wait_xcnt 0x0
	s_or_b32 exec_lo, exec_lo, s0
	s_clause 0x8
	scratch_load_b128 v[66:69], off, off
	scratch_load_b128 v[70:73], off, off offset:16
	scratch_load_b128 v[74:77], off, off offset:32
	;; [unrolled: 1-line block ×8, first 2 shown]
	s_wait_loadcnt 0x8
	s_clause 0x1
	global_store_b64 v[4:5], v[66:67], off
	global_store_b64 v[2:3], v[68:69], off
	s_clause 0x1
	scratch_load_b128 v[2:5], off, off offset:112
	scratch_load_b128 v[66:69], off, off offset:128
	s_wait_loadcnt 0x9
	s_clause 0x1
	global_store_b64 v[132:133], v[70:71], off
	global_store_b64 v[130:131], v[72:73], off
	scratch_load_b128 v[70:73], off, off offset:144
	s_wait_loadcnt 0x9
	s_clause 0x1
	global_store_b64 v[128:129], v[74:75], off
	global_store_b64 v[126:127], v[76:77], off
	s_wait_loadcnt 0x8
	s_clause 0x1
	global_store_b64 v[124:125], v[78:79], off
	global_store_b64 v[122:123], v[80:81], off
	;; [unrolled: 4-line block ×5, first 2 shown]
	s_clause 0x7
	scratch_load_b128 v[74:77], off, off offset:176
	scratch_load_b128 v[78:81], off, off offset:208
	scratch_load_b128 v[120:123], off, off offset:224
	scratch_load_b128 v[82:85], off, off offset:240
	scratch_load_b128 v[116:119], off, off offset:256
	scratch_load_b128 v[86:89], off, off offset:272
	scratch_load_b128 v[112:115], off, off offset:288
	scratch_load_b128 v[90:93], off, off offset:304
	s_wait_loadcnt 0xa
	s_clause 0x1
	global_store_b64 v[108:109], v[2:3], off
	global_store_b64 v[106:107], v[4:5], off
	s_wait_loadcnt 0x9
	s_clause 0x1
	global_store_b64 v[104:105], v[66:67], off
	global_store_b64 v[102:103], v[68:69], off
	s_clause 0x4
	scratch_load_b128 v[108:111], off, off offset:320
	scratch_load_b128 v[2:5], off, off offset:336
	;; [unrolled: 1-line block ×4, first 2 shown]
	scratch_load_b64 v[102:103], off, off offset:384
	s_wait_loadcnt 0xd
	s_clause 0x3
	global_store_b64 v[0:1], v[70:71], off
	global_store_b64 v[6:7], v[72:73], off
	;; [unrolled: 1-line block ×4, first 2 shown]
	s_wait_loadcnt 0xc
	s_clause 0x3
	global_store_b64 v[12:13], v[74:75], off
	global_store_b64 v[14:15], v[76:77], off
	global_store_b64 v[16:17], v[98:99], off
	global_store_b64 v[18:19], v[100:101], off
	s_wait_loadcnt 0xb
	s_clause 0x1
	global_store_b64 v[20:21], v[78:79], off
	global_store_b64 v[22:23], v[80:81], off
	s_wait_loadcnt 0xa
	s_clause 0x1
	global_store_b64 v[24:25], v[120:121], off
	global_store_b64 v[26:27], v[122:123], off
	;; [unrolled: 4-line block ×11, first 2 shown]
	s_wait_loadcnt 0x0
	global_store_b64 v[64:65], v[102:103], off
.LBB48_964:
	s_sendmsg sendmsg(MSG_DEALLOC_VGPRS)
	s_endpgm
	.section	.rodata,"a",@progbits
	.p2align	6, 0x0
	.amdhsa_kernel _ZN9rocsolver6v33100L18trti2_kernel_smallILi49E19rocblas_complex_numIfEPS3_EEv13rocblas_fill_17rocblas_diagonal_T1_iil
		.amdhsa_group_segment_fixed_size 792
		.amdhsa_private_segment_fixed_size 400
		.amdhsa_kernarg_size 32
		.amdhsa_user_sgpr_count 2
		.amdhsa_user_sgpr_dispatch_ptr 0
		.amdhsa_user_sgpr_queue_ptr 0
		.amdhsa_user_sgpr_kernarg_segment_ptr 1
		.amdhsa_user_sgpr_dispatch_id 0
		.amdhsa_user_sgpr_kernarg_preload_length 0
		.amdhsa_user_sgpr_kernarg_preload_offset 0
		.amdhsa_user_sgpr_private_segment_size 0
		.amdhsa_wavefront_size32 1
		.amdhsa_uses_dynamic_stack 0
		.amdhsa_enable_private_segment 1
		.amdhsa_system_sgpr_workgroup_id_x 1
		.amdhsa_system_sgpr_workgroup_id_y 0
		.amdhsa_system_sgpr_workgroup_id_z 0
		.amdhsa_system_sgpr_workgroup_info 0
		.amdhsa_system_vgpr_workitem_id 0
		.amdhsa_next_free_vgpr 144
		.amdhsa_next_free_sgpr 31
		.amdhsa_named_barrier_count 0
		.amdhsa_reserve_vcc 1
		.amdhsa_float_round_mode_32 0
		.amdhsa_float_round_mode_16_64 0
		.amdhsa_float_denorm_mode_32 3
		.amdhsa_float_denorm_mode_16_64 3
		.amdhsa_fp16_overflow 0
		.amdhsa_memory_ordered 1
		.amdhsa_forward_progress 1
		.amdhsa_inst_pref_size 255
		.amdhsa_round_robin_scheduling 0
		.amdhsa_exception_fp_ieee_invalid_op 0
		.amdhsa_exception_fp_denorm_src 0
		.amdhsa_exception_fp_ieee_div_zero 0
		.amdhsa_exception_fp_ieee_overflow 0
		.amdhsa_exception_fp_ieee_underflow 0
		.amdhsa_exception_fp_ieee_inexact 0
		.amdhsa_exception_int_div_zero 0
	.end_amdhsa_kernel
	.section	.text._ZN9rocsolver6v33100L18trti2_kernel_smallILi49E19rocblas_complex_numIfEPS3_EEv13rocblas_fill_17rocblas_diagonal_T1_iil,"axG",@progbits,_ZN9rocsolver6v33100L18trti2_kernel_smallILi49E19rocblas_complex_numIfEPS3_EEv13rocblas_fill_17rocblas_diagonal_T1_iil,comdat
.Lfunc_end48:
	.size	_ZN9rocsolver6v33100L18trti2_kernel_smallILi49E19rocblas_complex_numIfEPS3_EEv13rocblas_fill_17rocblas_diagonal_T1_iil, .Lfunc_end48-_ZN9rocsolver6v33100L18trti2_kernel_smallILi49E19rocblas_complex_numIfEPS3_EEv13rocblas_fill_17rocblas_diagonal_T1_iil
                                        ; -- End function
	.set _ZN9rocsolver6v33100L18trti2_kernel_smallILi49E19rocblas_complex_numIfEPS3_EEv13rocblas_fill_17rocblas_diagonal_T1_iil.num_vgpr, 144
	.set _ZN9rocsolver6v33100L18trti2_kernel_smallILi49E19rocblas_complex_numIfEPS3_EEv13rocblas_fill_17rocblas_diagonal_T1_iil.num_agpr, 0
	.set _ZN9rocsolver6v33100L18trti2_kernel_smallILi49E19rocblas_complex_numIfEPS3_EEv13rocblas_fill_17rocblas_diagonal_T1_iil.numbered_sgpr, 31
	.set _ZN9rocsolver6v33100L18trti2_kernel_smallILi49E19rocblas_complex_numIfEPS3_EEv13rocblas_fill_17rocblas_diagonal_T1_iil.num_named_barrier, 0
	.set _ZN9rocsolver6v33100L18trti2_kernel_smallILi49E19rocblas_complex_numIfEPS3_EEv13rocblas_fill_17rocblas_diagonal_T1_iil.private_seg_size, 400
	.set _ZN9rocsolver6v33100L18trti2_kernel_smallILi49E19rocblas_complex_numIfEPS3_EEv13rocblas_fill_17rocblas_diagonal_T1_iil.uses_vcc, 1
	.set _ZN9rocsolver6v33100L18trti2_kernel_smallILi49E19rocblas_complex_numIfEPS3_EEv13rocblas_fill_17rocblas_diagonal_T1_iil.uses_flat_scratch, 1
	.set _ZN9rocsolver6v33100L18trti2_kernel_smallILi49E19rocblas_complex_numIfEPS3_EEv13rocblas_fill_17rocblas_diagonal_T1_iil.has_dyn_sized_stack, 0
	.set _ZN9rocsolver6v33100L18trti2_kernel_smallILi49E19rocblas_complex_numIfEPS3_EEv13rocblas_fill_17rocblas_diagonal_T1_iil.has_recursion, 0
	.set _ZN9rocsolver6v33100L18trti2_kernel_smallILi49E19rocblas_complex_numIfEPS3_EEv13rocblas_fill_17rocblas_diagonal_T1_iil.has_indirect_call, 0
	.section	.AMDGPU.csdata,"",@progbits
; Kernel info:
; codeLenInByte = 37100
; TotalNumSgprs: 33
; NumVgprs: 144
; ScratchSize: 400
; MemoryBound: 0
; FloatMode: 240
; IeeeMode: 1
; LDSByteSize: 792 bytes/workgroup (compile time only)
; SGPRBlocks: 0
; VGPRBlocks: 8
; NumSGPRsForWavesPerEU: 33
; NumVGPRsForWavesPerEU: 144
; NamedBarCnt: 0
; Occupancy: 7
; WaveLimiterHint : 0
; COMPUTE_PGM_RSRC2:SCRATCH_EN: 1
; COMPUTE_PGM_RSRC2:USER_SGPR: 2
; COMPUTE_PGM_RSRC2:TRAP_HANDLER: 0
; COMPUTE_PGM_RSRC2:TGID_X_EN: 1
; COMPUTE_PGM_RSRC2:TGID_Y_EN: 0
; COMPUTE_PGM_RSRC2:TGID_Z_EN: 0
; COMPUTE_PGM_RSRC2:TIDIG_COMP_CNT: 0
	.section	.text._ZN9rocsolver6v33100L18trti2_kernel_smallILi50E19rocblas_complex_numIfEPS3_EEv13rocblas_fill_17rocblas_diagonal_T1_iil,"axG",@progbits,_ZN9rocsolver6v33100L18trti2_kernel_smallILi50E19rocblas_complex_numIfEPS3_EEv13rocblas_fill_17rocblas_diagonal_T1_iil,comdat
	.globl	_ZN9rocsolver6v33100L18trti2_kernel_smallILi50E19rocblas_complex_numIfEPS3_EEv13rocblas_fill_17rocblas_diagonal_T1_iil ; -- Begin function _ZN9rocsolver6v33100L18trti2_kernel_smallILi50E19rocblas_complex_numIfEPS3_EEv13rocblas_fill_17rocblas_diagonal_T1_iil
	.p2align	8
	.type	_ZN9rocsolver6v33100L18trti2_kernel_smallILi50E19rocblas_complex_numIfEPS3_EEv13rocblas_fill_17rocblas_diagonal_T1_iil,@function
_ZN9rocsolver6v33100L18trti2_kernel_smallILi50E19rocblas_complex_numIfEPS3_EEv13rocblas_fill_17rocblas_diagonal_T1_iil: ; @_ZN9rocsolver6v33100L18trti2_kernel_smallILi50E19rocblas_complex_numIfEPS3_EEv13rocblas_fill_17rocblas_diagonal_T1_iil
; %bb.0:
	s_mov_b32 s2, exec_lo
	v_cmpx_gt_u32_e32 50, v0
	s_cbranch_execz .LBB49_984
; %bb.1:
	s_load_b256 s[4:11], s[0:1], 0x0
	s_wait_xcnt 0x0
	s_bfe_u32 s0, ttmp6, 0x4000c
	s_and_b32 s1, ttmp6, 15
	s_add_co_i32 s0, s0, 1
	s_getreg_b32 s2, hwreg(HW_REG_IB_STS2, 6, 4)
	s_mul_i32 s0, ttmp9, s0
	v_lshlrev_b32_e32 v50, 3, v0
	s_add_co_i32 s0, s1, s0
	s_wait_kmcnt 0x0
	v_add3_u32 v4, s9, s9, v0
	s_ashr_i32 s1, s8, 31
	s_cmp_eq_u32 s2, 0
	s_cselect_b32 s2, ttmp9, s0
	s_delay_alu instid0(VALU_DEP_1)
	v_add_nc_u32_e32 v6, s9, v4
	s_ashr_i32 s3, s2, 31
	s_mov_b32 s0, s8
	s_mul_u64 s[2:3], s[10:11], s[2:3]
	s_lshl_b64 s[0:1], s[0:1], 3
	v_add_nc_u32_e32 v10, s9, v6
	s_lshl_b64 s[2:3], s[2:3], 3
	s_delay_alu instid0(SALU_CYCLE_1) | instskip(NEXT) | instid1(VALU_DEP_1)
	s_add_nc_u64 s[2:3], s[6:7], s[2:3]
	v_add_nc_u32_e32 v12, s9, v10
	s_add_nc_u64 s[6:7], s[2:3], s[0:1]
	s_mov_b32 s0, s9
	s_ashr_i32 s1, s9, 31
	s_cmp_lg_u32 s5, 0x84
	v_add_nc_u32_e32 v14, s9, v12
	s_clause 0x1
	global_load_b64 v[72:73], v10, s[6:7] scale_offset
	global_load_b64 v[74:75], v12, s[6:7] scale_offset
	s_cselect_b32 s3, -1, 0
	s_delay_alu instid0(SALU_CYCLE_1) | instskip(SKIP_1) | instid1(VALU_DEP_1)
	s_and_b32 vcc_lo, exec_lo, s3
	v_add_nc_u32_e32 v16, s9, v14
	v_add_nc_u32_e32 v18, s9, v16
	s_delay_alu instid0(VALU_DEP_1) | instskip(NEXT) | instid1(VALU_DEP_1)
	v_add_nc_u32_e32 v20, s9, v18
	v_add_nc_u32_e32 v22, s9, v20
	s_delay_alu instid0(VALU_DEP_1) | instskip(NEXT) | instid1(VALU_DEP_1)
	v_dual_mov_b32 v51, 0 :: v_dual_add_nc_u32 v24, s9, v22
	v_add_nc_u32_e32 v26, s9, v24
	s_delay_alu instid0(VALU_DEP_2) | instskip(NEXT) | instid1(VALU_DEP_2)
	v_add_nc_u64_e32 v[2:3], s[6:7], v[50:51]
	v_add_nc_u32_e32 v28, s9, v26
	s_delay_alu instid0(VALU_DEP_2) | instskip(SKIP_1) | instid1(VALU_DEP_2)
	v_lshl_add_u64 v[8:9], s[0:1], 3, v[2:3]
	s_mov_b32 s0, -1
	v_add_nc_u32_e32 v30, s9, v28
	s_clause 0x9
	global_load_b64 v[76:77], v0, s[6:7] scale_offset
	global_load_b64 v[78:79], v[8:9], off
	global_load_b64 v[80:81], v4, s[6:7] scale_offset
	global_load_b64 v[82:83], v6, s[6:7] scale_offset
	;; [unrolled: 1-line block ×8, first 2 shown]
	v_add_nc_u32_e32 v32, s9, v30
	s_delay_alu instid0(VALU_DEP_1) | instskip(NEXT) | instid1(VALU_DEP_1)
	v_add_nc_u32_e32 v34, s9, v32
	v_add_nc_u32_e32 v36, s9, v34
	s_delay_alu instid0(VALU_DEP_1)
	v_add_nc_u32_e32 v38, s9, v36
	s_clause 0x5
	global_load_b64 v[96:97], v26, s[6:7] scale_offset
	global_load_b64 v[98:99], v28, s[6:7] scale_offset
	;; [unrolled: 1-line block ×6, first 2 shown]
	v_add_nc_u32_e32 v40, s9, v38
	s_delay_alu instid0(VALU_DEP_1) | instskip(NEXT) | instid1(VALU_DEP_1)
	v_add_nc_u32_e32 v42, s9, v40
	v_add_nc_u32_e32 v44, s9, v42
	s_delay_alu instid0(VALU_DEP_1) | instskip(SKIP_4) | instid1(VALU_DEP_1)
	v_add_nc_u32_e32 v46, s9, v44
	s_clause 0x1
	global_load_b64 v[108:109], v38, s[6:7] scale_offset
	global_load_b64 v[110:111], v40, s[6:7] scale_offset
	v_add_nc_u32_e32 v48, s9, v46
	v_add_nc_u32_e32 v52, s9, v48
	s_clause 0x3
	global_load_b64 v[112:113], v42, s[6:7] scale_offset
	global_load_b64 v[114:115], v44, s[6:7] scale_offset
	global_load_b64 v[116:117], v46, s[6:7] scale_offset
	global_load_b64 v[118:119], v48, s[6:7] scale_offset
	v_add_nc_u32_e32 v54, s9, v52
	s_delay_alu instid0(VALU_DEP_1) | instskip(NEXT) | instid1(VALU_DEP_1)
	v_add_nc_u32_e32 v56, s9, v54
	v_add_nc_u32_e32 v58, s9, v56
	s_delay_alu instid0(VALU_DEP_1) | instskip(SKIP_4) | instid1(VALU_DEP_1)
	v_add_nc_u32_e32 v60, s9, v58
	s_clause 0x1
	global_load_b64 v[120:121], v52, s[6:7] scale_offset
	global_load_b64 v[122:123], v54, s[6:7] scale_offset
	v_add_nc_u32_e32 v62, s9, v60
	v_add_nc_u32_e32 v64, s9, v62
	s_delay_alu instid0(VALU_DEP_1) | instskip(NEXT) | instid1(VALU_DEP_1)
	v_add_nc_u32_e32 v66, s9, v64
	v_add_nc_u32_e32 v68, s9, v66
	s_delay_alu instid0(VALU_DEP_1) | instskip(SKIP_4) | instid1(VALU_DEP_1)
	v_add_nc_u32_e32 v70, s9, v68
	s_wait_loadcnt 0x18
	scratch_store_b128 off, v[72:75], off offset:32
	s_wait_xcnt 0x0
	v_add_nc_u32_e32 v72, s9, v70
	v_add_nc_u32_e32 v74, s9, v72
	s_wait_loadcnt 0x16
	scratch_store_b128 off, v[76:79], off
	s_wait_xcnt 0x0
	v_add_nc_u32_e32 v76, s9, v74
	s_clause 0x1
	global_load_b64 v[124:125], v56, s[6:7] scale_offset
	global_load_b64 v[126:127], v58, s[6:7] scale_offset
	s_wait_loadcnt 0x16
	scratch_store_b128 off, v[80:83], off offset:16
	s_wait_loadcnt 0x14
	scratch_store_b128 off, v[84:87], off offset:48
	;; [unrolled: 2-line block ×3, first 2 shown]
	s_clause 0x3
	global_load_b64 v[128:129], v60, s[6:7] scale_offset
	global_load_b64 v[130:131], v62, s[6:7] scale_offset
	;; [unrolled: 1-line block ×4, first 2 shown]
	v_add_nc_u32_e32 v78, s9, v76
	s_wait_loadcnt 0x14
	scratch_store_b128 off, v[92:95], off offset:80
	s_clause 0x1
	global_load_b64 v[136:137], v68, s[6:7] scale_offset
	global_load_b64 v[138:139], v70, s[6:7] scale_offset
	s_wait_xcnt 0x9
	v_add_nc_u32_e32 v80, s9, v78
	s_delay_alu instid0(VALU_DEP_1)
	v_add_nc_u32_e32 v82, s9, v80
	s_wait_loadcnt 0x14
	scratch_store_b128 off, v[96:99], off offset:96
	s_wait_loadcnt 0x12
	scratch_store_b128 off, v[100:103], off offset:112
	s_clause 0x1
	global_load_b64 v[140:141], v72, s[6:7] scale_offset
	global_load_b64 v[142:143], v74, s[6:7] scale_offset
	s_wait_xcnt 0xc
	v_add_nc_u32_e32 v84, s9, v82
	s_wait_loadcnt 0x12
	scratch_store_b128 off, v[104:107], off offset:128
	s_clause 0x1
	global_load_b64 v[104:105], v76, s[6:7] scale_offset
	global_load_b64 v[106:107], v78, s[6:7] scale_offset
	v_add_nc_u32_e32 v86, s9, v84
	s_delay_alu instid0(VALU_DEP_1) | instskip(NEXT) | instid1(VALU_DEP_1)
	v_add_nc_u32_e32 v88, s9, v86
	v_add_nc_u32_e32 v90, s9, v88
	s_delay_alu instid0(VALU_DEP_1)
	v_add_nc_u32_e32 v92, s9, v90
	s_wait_loadcnt 0x12
	scratch_store_b128 off, v[108:111], off offset:144
	s_clause 0x1
	global_load_b64 v[108:109], v80, s[6:7] scale_offset
	global_load_b64 v[110:111], v82, s[6:7] scale_offset
	v_add_nc_u32_e32 v94, s9, v92
	s_delay_alu instid0(VALU_DEP_1)
	v_add_nc_u32_e32 v96, s9, v94
	s_wait_loadcnt 0x12
	scratch_store_b128 off, v[112:115], off offset:160
	s_wait_loadcnt 0x10
	scratch_store_b128 off, v[116:119], off offset:176
	v_add_nc_u32_e32 v98, s9, v96
	s_delay_alu instid0(VALU_DEP_1) | instskip(NEXT) | instid1(VALU_DEP_1)
	v_add_nc_u32_e32 v100, s9, v98
	v_add_nc_u32_e32 v102, s9, v100
	s_wait_loadcnt 0xe
	scratch_store_b128 off, v[120:123], off offset:192
	s_wait_loadcnt 0xc
	scratch_store_b128 off, v[124:127], off offset:208
	;; [unrolled: 2-line block ×5, first 2 shown]
	s_clause 0x3
	global_load_b64 v[112:113], v84, s[6:7] scale_offset
	global_load_b64 v[114:115], v86, s[6:7] scale_offset
	;; [unrolled: 1-line block ×4, first 2 shown]
	s_wait_loadcnt 0x8
	scratch_store_b128 off, v[140:143], off offset:272
	s_wait_loadcnt 0x6
	scratch_store_b128 off, v[104:107], off offset:288
	s_clause 0x3
	global_load_b64 v[104:105], v92, s[6:7] scale_offset
	global_load_b64 v[106:107], v94, s[6:7] scale_offset
	;; [unrolled: 1-line block ×4, first 2 shown]
	s_wait_loadcnt 0x8
	scratch_store_b128 off, v[108:111], off offset:304
	s_clause 0x1
	global_load_b64 v[108:109], v100, s[6:7] scale_offset
	global_load_b64 v[110:111], v102, s[6:7] scale_offset
	s_wait_loadcnt 0x8
	scratch_store_b128 off, v[112:115], off offset:320
	s_wait_loadcnt 0x6
	scratch_store_b128 off, v[116:119], off offset:336
	;; [unrolled: 2-line block ×5, first 2 shown]
	s_cbranch_vccz .LBB49_7
; %bb.2:
	scratch_load_b64 v[104:105], v0, off scale_offset
                                        ; implicit-def: $vgpr109
                                        ; implicit-def: $vgpr106
	s_wait_loadcnt 0x0
	v_cmp_ngt_f32_e64 s0, |v104|, |v105|
	s_wait_xcnt 0x0
	s_and_saveexec_b32 s1, s0
	s_delay_alu instid0(SALU_CYCLE_1)
	s_xor_b32 s0, exec_lo, s1
	s_cbranch_execz .LBB49_4
; %bb.3:
	v_div_scale_f32 v1, null, v105, v105, v104
	v_div_scale_f32 v11, vcc_lo, v104, v105, v104
	s_delay_alu instid0(VALU_DEP_2) | instskip(SKIP_1) | instid1(TRANS32_DEP_1)
	v_rcp_f32_e32 v5, v1
	v_nop
	v_fma_f32 v7, -v1, v5, 1.0
	s_delay_alu instid0(VALU_DEP_1) | instskip(NEXT) | instid1(VALU_DEP_1)
	v_fmac_f32_e32 v5, v7, v5
	v_mul_f32_e32 v7, v11, v5
	s_delay_alu instid0(VALU_DEP_1) | instskip(NEXT) | instid1(VALU_DEP_1)
	v_fma_f32 v13, -v1, v7, v11
	v_fmac_f32_e32 v7, v13, v5
	s_delay_alu instid0(VALU_DEP_1) | instskip(NEXT) | instid1(VALU_DEP_1)
	v_fma_f32 v1, -v1, v7, v11
	v_div_fmas_f32 v1, v1, v5, v7
	s_delay_alu instid0(VALU_DEP_1) | instskip(NEXT) | instid1(VALU_DEP_1)
	v_div_fixup_f32 v1, v1, v105, v104
	v_fmac_f32_e32 v105, v104, v1
	s_delay_alu instid0(VALU_DEP_1) | instskip(NEXT) | instid1(VALU_DEP_1)
	v_div_scale_f32 v5, null, v105, v105, -1.0
	v_rcp_f32_e32 v7, v5
	v_nop
	s_delay_alu instid0(TRANS32_DEP_1) | instskip(NEXT) | instid1(VALU_DEP_1)
	v_fma_f32 v11, -v5, v7, 1.0
	v_fmac_f32_e32 v7, v11, v7
	v_div_scale_f32 v11, vcc_lo, -1.0, v105, -1.0
	s_delay_alu instid0(VALU_DEP_1) | instskip(NEXT) | instid1(VALU_DEP_1)
	v_mul_f32_e32 v13, v11, v7
	v_fma_f32 v15, -v5, v13, v11
	s_delay_alu instid0(VALU_DEP_1) | instskip(NEXT) | instid1(VALU_DEP_1)
	v_fmac_f32_e32 v13, v15, v7
	v_fma_f32 v5, -v5, v13, v11
	s_delay_alu instid0(VALU_DEP_1) | instskip(NEXT) | instid1(VALU_DEP_1)
	v_div_fmas_f32 v5, v5, v7, v13
	v_div_fixup_f32 v109, v5, v105, -1.0
                                        ; implicit-def: $vgpr104_vgpr105
	s_delay_alu instid0(VALU_DEP_1) | instskip(NEXT) | instid1(VALU_DEP_1)
	v_mul_f32_e32 v106, v1, v109
	v_xor_b32_e32 v108, 0x80000000, v106
.LBB49_4:
	s_or_saveexec_b32 s0, s0
	v_lshl_add_u32 v1, v0, 3, 0
	s_xor_b32 exec_lo, exec_lo, s0
	s_cbranch_execz .LBB49_6
; %bb.5:
	v_div_scale_f32 v5, null, v104, v104, v105
	v_div_scale_f32 v13, vcc_lo, v105, v104, v105
	s_delay_alu instid0(VALU_DEP_2) | instskip(SKIP_1) | instid1(TRANS32_DEP_1)
	v_rcp_f32_e32 v7, v5
	v_nop
	v_fma_f32 v11, -v5, v7, 1.0
	s_delay_alu instid0(VALU_DEP_1) | instskip(NEXT) | instid1(VALU_DEP_1)
	v_fmac_f32_e32 v7, v11, v7
	v_mul_f32_e32 v11, v13, v7
	s_delay_alu instid0(VALU_DEP_1) | instskip(NEXT) | instid1(VALU_DEP_1)
	v_fma_f32 v15, -v5, v11, v13
	v_fmac_f32_e32 v11, v15, v7
	s_delay_alu instid0(VALU_DEP_1) | instskip(NEXT) | instid1(VALU_DEP_1)
	v_fma_f32 v5, -v5, v11, v13
	v_div_fmas_f32 v5, v5, v7, v11
	s_delay_alu instid0(VALU_DEP_1) | instskip(NEXT) | instid1(VALU_DEP_1)
	v_div_fixup_f32 v5, v5, v104, v105
	v_fmac_f32_e32 v104, v105, v5
	s_delay_alu instid0(VALU_DEP_1) | instskip(SKIP_1) | instid1(VALU_DEP_2)
	v_div_scale_f32 v7, null, v104, v104, 1.0
	v_div_scale_f32 v15, vcc_lo, 1.0, v104, 1.0
	v_rcp_f32_e32 v11, v7
	v_nop
	s_delay_alu instid0(TRANS32_DEP_1) | instskip(NEXT) | instid1(VALU_DEP_1)
	v_fma_f32 v13, -v7, v11, 1.0
	v_fmac_f32_e32 v11, v13, v11
	s_delay_alu instid0(VALU_DEP_1) | instskip(NEXT) | instid1(VALU_DEP_1)
	v_mul_f32_e32 v13, v15, v11
	v_fma_f32 v17, -v7, v13, v15
	s_delay_alu instid0(VALU_DEP_1) | instskip(NEXT) | instid1(VALU_DEP_1)
	v_fmac_f32_e32 v13, v17, v11
	v_fma_f32 v7, -v7, v13, v15
	s_delay_alu instid0(VALU_DEP_1) | instskip(NEXT) | instid1(VALU_DEP_1)
	v_div_fmas_f32 v7, v7, v11, v13
	v_div_fixup_f32 v108, v7, v104, 1.0
	s_delay_alu instid0(VALU_DEP_1)
	v_xor_b32_e32 v106, 0x80000000, v108
	v_mul_f32_e64 v109, v5, -v108
.LBB49_6:
	s_or_b32 exec_lo, exec_lo, s0
	s_delay_alu instid0(VALU_DEP_1)
	v_xor_b32_e32 v107, 0x80000000, v109
	s_mov_b32 s0, 0
	scratch_store_b64 v1, v[108:109], off
	ds_store_b64 v50, v[106:107]
.LBB49_7:
	s_and_b32 vcc_lo, exec_lo, s0
	s_cbranch_vccz .LBB49_9
; %bb.8:
	s_mov_b64 s[0:1], 0xbf800000
	s_wait_xcnt 0x2
	v_mov_b64_e32 v[104:105], s[0:1]
	ds_store_b64 v50, v[104:105]
.LBB49_9:
	v_dual_ashrrev_i32 v5, 31, v4 :: v_dual_ashrrev_i32 v7, 31, v6
	v_dual_ashrrev_i32 v11, 31, v10 :: v_dual_ashrrev_i32 v13, 31, v12
	;; [unrolled: 1-line block ×24, first 2 shown]
	s_wait_xcnt 0x0
	v_add_nc_u32_e32 v1, 0x190, v50
	v_mov_b32_e32 v51, v50
	s_cmp_eq_u32 s4, 0x79
	s_cbranch_scc1 .LBB49_13
; %bb.10:
	scratch_load_b64 v[104:105], off, off offset:384
	v_cmp_eq_u32_e64 s0, 49, v0
	s_movk_i32 s1, 0x50
	s_movk_i32 s10, 0x60
	;; [unrolled: 1-line block ×19, first 2 shown]
	s_wait_loadcnt 0x0
	ds_store_b64 v1, v[104:105]
	s_wait_storecnt_dscnt 0x0
	s_barrier_signal -1
	s_barrier_wait -1
	s_wait_xcnt 0x0
	s_and_saveexec_b32 s2, s0
	s_cbranch_execz .LBB49_17
; %bb.11:
	s_and_b32 vcc_lo, exec_lo, s3
	s_cbranch_vccz .LBB49_14
; %bb.12:
	scratch_load_b64 v[104:105], v51, off
	ds_load_b64 v[106:107], v1
	s_wait_loadcnt_dscnt 0x0
	v_pk_mul_f32 v[108:109], v[106:107], v[104:105] op_sel:[1,1] op_sel_hi:[0,1]
	v_pk_mul_f32 v[110:111], v[106:107], v[104:105] op_sel_hi:[1,0]
	s_delay_alu instid0(VALU_DEP_2) | instskip(NEXT) | instid1(VALU_DEP_2)
	v_pk_fma_f32 v[104:105], v[106:107], v[104:105], v[108:109] op_sel_hi:[1,0,1]
	v_sub_f32_e32 v104, v110, v108
	s_cbranch_execz .LBB49_15
	s_branch .LBB49_16
.LBB49_13:
	s_mov_b32 s1, 0
                                        ; implicit-def: $vgpr140
                                        ; implicit-def: $sgpr4
	s_cbranch_execnz .LBB49_496
	s_branch .LBB49_981
.LBB49_14:
                                        ; implicit-def: $vgpr105
.LBB49_15:
	ds_load_b64 v[104:105], v1
.LBB49_16:
	s_wait_dscnt 0x0
	v_dual_mov_b32 v106, 0 :: v_dual_mov_b32 v108, v105
	v_mov_b32_e32 v109, v104
	ds_load_b64 v[106:107], v106 offset:384
	s_wait_dscnt 0x0
	v_pk_mul_f32 v[108:109], v[108:109], v[106:107] op_sel:[0,1]
	s_delay_alu instid0(VALU_DEP_1) | instskip(SKIP_1) | instid1(VALU_DEP_2)
	v_pk_fma_f32 v[110:111], v[104:105], v[106:107], v[108:109] op_sel_hi:[1,0,1]
	v_pk_fma_f32 v[104:105], v[104:105], v[106:107], v[108:109] neg_lo:[0,0,1] neg_hi:[0,0,1]
	v_mov_b32_e32 v105, v111
	scratch_store_b64 off, v[104:105], off offset:384
.LBB49_17:
	s_wait_xcnt 0x0
	s_or_b32 exec_lo, exec_lo, s2
	scratch_load_b64 v[104:105], off, off offset:376
	s_mov_b32 s9, s1
	v_cmp_lt_u32_e64 s1, 47, v0
	s_mov_b32 s4, 16
	s_mov_b32 s5, 32
	;; [unrolled: 1-line block ×4, first 2 shown]
	s_wait_loadcnt 0x0
	ds_store_b64 v1, v[104:105]
	s_wait_storecnt_dscnt 0x0
	s_barrier_signal -1
	s_barrier_wait -1
	s_wait_xcnt 0x0
	s_and_saveexec_b32 s28, s1
	s_cbranch_execz .LBB49_25
; %bb.18:
	s_and_not1_b32 vcc_lo, exec_lo, s3
	s_cbranch_vccnz .LBB49_20
; %bb.19:
	scratch_load_b64 v[104:105], v51, off
	ds_load_b64 v[106:107], v1
	s_wait_loadcnt_dscnt 0x0
	v_pk_mul_f32 v[108:109], v[106:107], v[104:105] op_sel:[1,1] op_sel_hi:[0,1]
	s_delay_alu instid0(VALU_DEP_1) | instskip(SKIP_1) | instid1(VALU_DEP_2)
	v_pk_fma_f32 v[110:111], v[106:107], v[104:105], v[108:109] op_sel_hi:[1,0,1]
	v_pk_fma_f32 v[104:105], v[106:107], v[104:105], v[108:109] neg_lo:[0,0,1] neg_hi:[0,0,1]
	v_mov_b32_e32 v105, v111
	s_cbranch_execz .LBB49_21
	s_branch .LBB49_22
.LBB49_20:
                                        ; implicit-def: $vgpr104_vgpr105
.LBB49_21:
	ds_load_b64 v[104:105], v1
.LBB49_22:
	s_and_saveexec_b32 s29, s0
	s_cbranch_execz .LBB49_24
; %bb.23:
	scratch_load_b64 v[106:107], off, off offset:384
	v_mov_b32_e32 v108, 0
	ds_load_b64 v[108:109], v108 offset:784
	s_wait_loadcnt_dscnt 0x0
	v_pk_mul_f32 v[110:111], v[108:109], v[106:107] op_sel:[1,1] op_sel_hi:[0,1]
	s_delay_alu instid0(VALU_DEP_1) | instskip(SKIP_1) | instid1(VALU_DEP_2)
	v_pk_fma_f32 v[112:113], v[108:109], v[106:107], v[110:111] op_sel_hi:[1,0,1]
	v_pk_fma_f32 v[106:107], v[108:109], v[106:107], v[110:111] neg_lo:[0,0,1] neg_hi:[0,0,1]
	v_mov_b32_e32 v107, v113
	s_delay_alu instid0(VALU_DEP_1)
	v_pk_add_f32 v[104:105], v[104:105], v[106:107]
.LBB49_24:
	s_or_b32 exec_lo, exec_lo, s29
	v_mov_b32_e32 v106, 0
	ds_load_b64 v[106:107], v106 offset:376
	s_wait_dscnt 0x0
	v_pk_mul_f32 v[108:109], v[104:105], v[106:107] op_sel:[1,1] op_sel_hi:[0,1]
	s_delay_alu instid0(VALU_DEP_1) | instskip(SKIP_1) | instid1(VALU_DEP_2)
	v_pk_fma_f32 v[110:111], v[104:105], v[106:107], v[108:109] op_sel_hi:[1,0,1]
	v_pk_fma_f32 v[104:105], v[104:105], v[106:107], v[108:109] neg_lo:[0,0,1] neg_hi:[0,0,1]
	v_mov_b32_e32 v105, v111
	scratch_store_b64 off, v[104:105], off offset:376
.LBB49_25:
	s_wait_xcnt 0x0
	s_or_b32 exec_lo, exec_lo, s28
	scratch_load_b64 v[104:105], off, off offset:368
	v_cmp_lt_u32_e64 s0, 46, v0
	s_wait_loadcnt 0x0
	ds_store_b64 v1, v[104:105]
	s_wait_storecnt_dscnt 0x0
	s_barrier_signal -1
	s_barrier_wait -1
	s_wait_xcnt 0x0
	s_and_saveexec_b32 s28, s0
	s_cbranch_execz .LBB49_35
; %bb.26:
	s_and_not1_b32 vcc_lo, exec_lo, s3
	s_cbranch_vccnz .LBB49_28
; %bb.27:
	scratch_load_b64 v[104:105], v51, off
	ds_load_b64 v[106:107], v1
	s_wait_loadcnt_dscnt 0x0
	v_pk_mul_f32 v[108:109], v[106:107], v[104:105] op_sel:[1,1] op_sel_hi:[0,1]
	s_delay_alu instid0(VALU_DEP_1) | instskip(SKIP_1) | instid1(VALU_DEP_2)
	v_pk_fma_f32 v[110:111], v[106:107], v[104:105], v[108:109] op_sel_hi:[1,0,1]
	v_pk_fma_f32 v[104:105], v[106:107], v[104:105], v[108:109] neg_lo:[0,0,1] neg_hi:[0,0,1]
	v_mov_b32_e32 v105, v111
	s_cbranch_execz .LBB49_29
	s_branch .LBB49_30
.LBB49_28:
                                        ; implicit-def: $vgpr104_vgpr105
.LBB49_29:
	ds_load_b64 v[104:105], v1
.LBB49_30:
	s_and_saveexec_b32 s29, s1
	s_cbranch_execz .LBB49_34
; %bb.31:
	v_subrev_nc_u32_e32 v106, 47, v0
	s_movk_i32 s1, 0x178
	s_movk_i32 s31, 0x308
	s_mov_b32 s30, 0
.LBB49_32:                              ; =>This Inner Loop Header: Depth=1
	scratch_load_b64 v[108:109], off, s1
	v_dual_mov_b32 v107, s31 :: v_dual_add_nc_u32 v106, -1, v106
	s_add_co_i32 s31, s31, 8
	s_wait_xcnt 0x0
	s_add_co_i32 s1, s1, 8
	ds_load_b64 v[110:111], v107
	v_cmp_eq_u32_e32 vcc_lo, 0, v106
	s_or_b32 s30, vcc_lo, s30
	s_wait_loadcnt_dscnt 0x0
	v_pk_mul_f32 v[112:113], v[110:111], v[108:109] op_sel:[1,1] op_sel_hi:[0,1]
	s_delay_alu instid0(VALU_DEP_1) | instskip(SKIP_1) | instid1(VALU_DEP_2)
	v_pk_fma_f32 v[114:115], v[110:111], v[108:109], v[112:113] op_sel_hi:[1,0,1]
	v_pk_fma_f32 v[108:109], v[110:111], v[108:109], v[112:113] neg_lo:[0,0,1] neg_hi:[0,0,1]
	v_mov_b32_e32 v109, v115
	s_delay_alu instid0(VALU_DEP_1)
	v_pk_add_f32 v[104:105], v[104:105], v[108:109]
	s_and_not1_b32 exec_lo, exec_lo, s30
	s_cbranch_execnz .LBB49_32
; %bb.33:
	s_or_b32 exec_lo, exec_lo, s30
.LBB49_34:
	s_delay_alu instid0(SALU_CYCLE_1) | instskip(SKIP_4) | instid1(VALU_DEP_1)
	s_or_b32 exec_lo, exec_lo, s29
	v_mov_b32_e32 v106, 0
	ds_load_b64 v[106:107], v106 offset:368
	s_wait_dscnt 0x0
	v_pk_mul_f32 v[108:109], v[104:105], v[106:107] op_sel:[1,1] op_sel_hi:[0,1]
	v_pk_fma_f32 v[110:111], v[104:105], v[106:107], v[108:109] op_sel_hi:[1,0,1]
	v_pk_fma_f32 v[104:105], v[104:105], v[106:107], v[108:109] neg_lo:[0,0,1] neg_hi:[0,0,1]
	s_delay_alu instid0(VALU_DEP_2)
	v_mov_b32_e32 v105, v111
	scratch_store_b64 off, v[104:105], off offset:368
.LBB49_35:
	s_wait_xcnt 0x0
	s_or_b32 exec_lo, exec_lo, s28
	scratch_load_b64 v[104:105], off, off offset:360
	v_cmp_lt_u32_e64 s1, 45, v0
	s_wait_loadcnt 0x0
	ds_store_b64 v1, v[104:105]
	s_wait_storecnt_dscnt 0x0
	s_barrier_signal -1
	s_barrier_wait -1
	s_wait_xcnt 0x0
	s_and_saveexec_b32 s28, s1
	s_cbranch_execz .LBB49_45
; %bb.36:
	s_and_not1_b32 vcc_lo, exec_lo, s3
	s_cbranch_vccnz .LBB49_38
; %bb.37:
	scratch_load_b64 v[104:105], v51, off
	ds_load_b64 v[106:107], v1
	s_wait_loadcnt_dscnt 0x0
	v_pk_mul_f32 v[108:109], v[106:107], v[104:105] op_sel:[1,1] op_sel_hi:[0,1]
	s_delay_alu instid0(VALU_DEP_1) | instskip(SKIP_1) | instid1(VALU_DEP_2)
	v_pk_fma_f32 v[110:111], v[106:107], v[104:105], v[108:109] op_sel_hi:[1,0,1]
	v_pk_fma_f32 v[104:105], v[106:107], v[104:105], v[108:109] neg_lo:[0,0,1] neg_hi:[0,0,1]
	v_mov_b32_e32 v105, v111
	s_cbranch_execz .LBB49_39
	s_branch .LBB49_40
.LBB49_38:
                                        ; implicit-def: $vgpr104_vgpr105
.LBB49_39:
	ds_load_b64 v[104:105], v1
.LBB49_40:
	s_and_saveexec_b32 s29, s0
	s_cbranch_execz .LBB49_44
; %bb.41:
	v_subrev_nc_u32_e32 v106, 46, v0
	s_movk_i32 s30, 0x300
	s_mov_b32 s0, 0
.LBB49_42:                              ; =>This Inner Loop Header: Depth=1
	scratch_load_b64 v[108:109], off, s27
	v_dual_mov_b32 v107, s30 :: v_dual_add_nc_u32 v106, -1, v106
	s_add_co_i32 s30, s30, 8
	s_wait_xcnt 0x0
	s_add_co_i32 s27, s27, 8
	ds_load_b64 v[110:111], v107
	v_cmp_eq_u32_e32 vcc_lo, 0, v106
	s_or_b32 s0, vcc_lo, s0
	s_wait_loadcnt_dscnt 0x0
	v_pk_mul_f32 v[112:113], v[110:111], v[108:109] op_sel:[1,1] op_sel_hi:[0,1]
	s_delay_alu instid0(VALU_DEP_1) | instskip(SKIP_1) | instid1(VALU_DEP_2)
	v_pk_fma_f32 v[114:115], v[110:111], v[108:109], v[112:113] op_sel_hi:[1,0,1]
	v_pk_fma_f32 v[108:109], v[110:111], v[108:109], v[112:113] neg_lo:[0,0,1] neg_hi:[0,0,1]
	v_mov_b32_e32 v109, v115
	s_delay_alu instid0(VALU_DEP_1)
	v_pk_add_f32 v[104:105], v[104:105], v[108:109]
	s_and_not1_b32 exec_lo, exec_lo, s0
	s_cbranch_execnz .LBB49_42
; %bb.43:
	s_or_b32 exec_lo, exec_lo, s0
.LBB49_44:
	s_delay_alu instid0(SALU_CYCLE_1) | instskip(SKIP_4) | instid1(VALU_DEP_1)
	s_or_b32 exec_lo, exec_lo, s29
	v_mov_b32_e32 v106, 0
	ds_load_b64 v[106:107], v106 offset:360
	s_wait_dscnt 0x0
	v_pk_mul_f32 v[108:109], v[104:105], v[106:107] op_sel:[1,1] op_sel_hi:[0,1]
	v_pk_fma_f32 v[110:111], v[104:105], v[106:107], v[108:109] op_sel_hi:[1,0,1]
	v_pk_fma_f32 v[104:105], v[104:105], v[106:107], v[108:109] neg_lo:[0,0,1] neg_hi:[0,0,1]
	s_delay_alu instid0(VALU_DEP_2)
	v_mov_b32_e32 v105, v111
	scratch_store_b64 off, v[104:105], off offset:360
.LBB49_45:
	s_wait_xcnt 0x0
	s_or_b32 exec_lo, exec_lo, s28
	scratch_load_b64 v[104:105], off, off offset:352
	v_cmp_lt_u32_e64 s0, 44, v0
	s_wait_loadcnt 0x0
	ds_store_b64 v1, v[104:105]
	s_wait_storecnt_dscnt 0x0
	s_barrier_signal -1
	s_barrier_wait -1
	s_wait_xcnt 0x0
	s_and_saveexec_b32 s27, s0
	s_cbranch_execz .LBB49_55
; %bb.46:
	s_and_not1_b32 vcc_lo, exec_lo, s3
	s_cbranch_vccnz .LBB49_48
; %bb.47:
	scratch_load_b64 v[104:105], v51, off
	ds_load_b64 v[106:107], v1
	s_wait_loadcnt_dscnt 0x0
	v_pk_mul_f32 v[108:109], v[106:107], v[104:105] op_sel:[1,1] op_sel_hi:[0,1]
	s_delay_alu instid0(VALU_DEP_1) | instskip(SKIP_1) | instid1(VALU_DEP_2)
	v_pk_fma_f32 v[110:111], v[106:107], v[104:105], v[108:109] op_sel_hi:[1,0,1]
	v_pk_fma_f32 v[104:105], v[106:107], v[104:105], v[108:109] neg_lo:[0,0,1] neg_hi:[0,0,1]
	v_mov_b32_e32 v105, v111
	s_cbranch_execz .LBB49_49
	s_branch .LBB49_50
.LBB49_48:
                                        ; implicit-def: $vgpr104_vgpr105
.LBB49_49:
	ds_load_b64 v[104:105], v1
.LBB49_50:
	s_and_saveexec_b32 s28, s1
	s_cbranch_execz .LBB49_54
; %bb.51:
	v_subrev_nc_u32_e32 v106, 45, v0
	s_movk_i32 s1, 0x168
	s_movk_i32 s30, 0x2f8
	s_mov_b32 s29, 0
.LBB49_52:                              ; =>This Inner Loop Header: Depth=1
	scratch_load_b64 v[108:109], off, s1
	v_dual_mov_b32 v107, s30 :: v_dual_add_nc_u32 v106, -1, v106
	s_add_co_i32 s30, s30, 8
	s_wait_xcnt 0x0
	s_add_co_i32 s1, s1, 8
	ds_load_b64 v[110:111], v107
	v_cmp_eq_u32_e32 vcc_lo, 0, v106
	s_or_b32 s29, vcc_lo, s29
	s_wait_loadcnt_dscnt 0x0
	v_pk_mul_f32 v[112:113], v[110:111], v[108:109] op_sel:[1,1] op_sel_hi:[0,1]
	s_delay_alu instid0(VALU_DEP_1) | instskip(SKIP_1) | instid1(VALU_DEP_2)
	v_pk_fma_f32 v[114:115], v[110:111], v[108:109], v[112:113] op_sel_hi:[1,0,1]
	v_pk_fma_f32 v[108:109], v[110:111], v[108:109], v[112:113] neg_lo:[0,0,1] neg_hi:[0,0,1]
	v_mov_b32_e32 v109, v115
	s_delay_alu instid0(VALU_DEP_1)
	v_pk_add_f32 v[104:105], v[104:105], v[108:109]
	s_and_not1_b32 exec_lo, exec_lo, s29
	s_cbranch_execnz .LBB49_52
; %bb.53:
	s_or_b32 exec_lo, exec_lo, s29
.LBB49_54:
	s_delay_alu instid0(SALU_CYCLE_1) | instskip(SKIP_4) | instid1(VALU_DEP_1)
	s_or_b32 exec_lo, exec_lo, s28
	v_mov_b32_e32 v106, 0
	ds_load_b64 v[106:107], v106 offset:352
	s_wait_dscnt 0x0
	v_pk_mul_f32 v[108:109], v[104:105], v[106:107] op_sel:[1,1] op_sel_hi:[0,1]
	v_pk_fma_f32 v[110:111], v[104:105], v[106:107], v[108:109] op_sel_hi:[1,0,1]
	v_pk_fma_f32 v[104:105], v[104:105], v[106:107], v[108:109] neg_lo:[0,0,1] neg_hi:[0,0,1]
	s_delay_alu instid0(VALU_DEP_2)
	v_mov_b32_e32 v105, v111
	scratch_store_b64 off, v[104:105], off offset:352
.LBB49_55:
	s_wait_xcnt 0x0
	s_or_b32 exec_lo, exec_lo, s27
	scratch_load_b64 v[104:105], off, off offset:344
	v_cmp_lt_u32_e64 s1, 43, v0
	s_wait_loadcnt 0x0
	ds_store_b64 v1, v[104:105]
	s_wait_storecnt_dscnt 0x0
	s_barrier_signal -1
	s_barrier_wait -1
	s_wait_xcnt 0x0
	s_and_saveexec_b32 s27, s1
	s_cbranch_execz .LBB49_65
; %bb.56:
	s_and_not1_b32 vcc_lo, exec_lo, s3
	s_cbranch_vccnz .LBB49_58
; %bb.57:
	scratch_load_b64 v[104:105], v51, off
	ds_load_b64 v[106:107], v1
	s_wait_loadcnt_dscnt 0x0
	v_pk_mul_f32 v[108:109], v[106:107], v[104:105] op_sel:[1,1] op_sel_hi:[0,1]
	s_delay_alu instid0(VALU_DEP_1) | instskip(SKIP_1) | instid1(VALU_DEP_2)
	v_pk_fma_f32 v[110:111], v[106:107], v[104:105], v[108:109] op_sel_hi:[1,0,1]
	v_pk_fma_f32 v[104:105], v[106:107], v[104:105], v[108:109] neg_lo:[0,0,1] neg_hi:[0,0,1]
	v_mov_b32_e32 v105, v111
	s_cbranch_execz .LBB49_59
	s_branch .LBB49_60
.LBB49_58:
                                        ; implicit-def: $vgpr104_vgpr105
.LBB49_59:
	ds_load_b64 v[104:105], v1
.LBB49_60:
	s_and_saveexec_b32 s28, s0
	s_cbranch_execz .LBB49_64
; %bb.61:
	v_subrev_nc_u32_e32 v106, 44, v0
	s_movk_i32 s29, 0x2f0
	s_mov_b32 s0, 0
.LBB49_62:                              ; =>This Inner Loop Header: Depth=1
	scratch_load_b64 v[108:109], off, s26
	v_dual_mov_b32 v107, s29 :: v_dual_add_nc_u32 v106, -1, v106
	s_add_co_i32 s29, s29, 8
	s_wait_xcnt 0x0
	s_add_co_i32 s26, s26, 8
	ds_load_b64 v[110:111], v107
	v_cmp_eq_u32_e32 vcc_lo, 0, v106
	s_or_b32 s0, vcc_lo, s0
	s_wait_loadcnt_dscnt 0x0
	v_pk_mul_f32 v[112:113], v[110:111], v[108:109] op_sel:[1,1] op_sel_hi:[0,1]
	s_delay_alu instid0(VALU_DEP_1) | instskip(SKIP_1) | instid1(VALU_DEP_2)
	v_pk_fma_f32 v[114:115], v[110:111], v[108:109], v[112:113] op_sel_hi:[1,0,1]
	v_pk_fma_f32 v[108:109], v[110:111], v[108:109], v[112:113] neg_lo:[0,0,1] neg_hi:[0,0,1]
	v_mov_b32_e32 v109, v115
	s_delay_alu instid0(VALU_DEP_1)
	v_pk_add_f32 v[104:105], v[104:105], v[108:109]
	s_and_not1_b32 exec_lo, exec_lo, s0
	s_cbranch_execnz .LBB49_62
; %bb.63:
	s_or_b32 exec_lo, exec_lo, s0
.LBB49_64:
	s_delay_alu instid0(SALU_CYCLE_1) | instskip(SKIP_4) | instid1(VALU_DEP_1)
	s_or_b32 exec_lo, exec_lo, s28
	v_mov_b32_e32 v106, 0
	ds_load_b64 v[106:107], v106 offset:344
	s_wait_dscnt 0x0
	v_pk_mul_f32 v[108:109], v[104:105], v[106:107] op_sel:[1,1] op_sel_hi:[0,1]
	v_pk_fma_f32 v[110:111], v[104:105], v[106:107], v[108:109] op_sel_hi:[1,0,1]
	v_pk_fma_f32 v[104:105], v[104:105], v[106:107], v[108:109] neg_lo:[0,0,1] neg_hi:[0,0,1]
	s_delay_alu instid0(VALU_DEP_2)
	v_mov_b32_e32 v105, v111
	scratch_store_b64 off, v[104:105], off offset:344
.LBB49_65:
	s_wait_xcnt 0x0
	s_or_b32 exec_lo, exec_lo, s27
	scratch_load_b64 v[104:105], off, off offset:336
	v_cmp_lt_u32_e64 s0, 42, v0
	s_wait_loadcnt 0x0
	ds_store_b64 v1, v[104:105]
	s_wait_storecnt_dscnt 0x0
	s_barrier_signal -1
	s_barrier_wait -1
	s_wait_xcnt 0x0
	s_and_saveexec_b32 s26, s0
	s_cbranch_execz .LBB49_75
; %bb.66:
	s_and_not1_b32 vcc_lo, exec_lo, s3
	s_cbranch_vccnz .LBB49_68
; %bb.67:
	scratch_load_b64 v[104:105], v51, off
	ds_load_b64 v[106:107], v1
	s_wait_loadcnt_dscnt 0x0
	v_pk_mul_f32 v[108:109], v[106:107], v[104:105] op_sel:[1,1] op_sel_hi:[0,1]
	s_delay_alu instid0(VALU_DEP_1) | instskip(SKIP_1) | instid1(VALU_DEP_2)
	v_pk_fma_f32 v[110:111], v[106:107], v[104:105], v[108:109] op_sel_hi:[1,0,1]
	v_pk_fma_f32 v[104:105], v[106:107], v[104:105], v[108:109] neg_lo:[0,0,1] neg_hi:[0,0,1]
	v_mov_b32_e32 v105, v111
	s_cbranch_execz .LBB49_69
	s_branch .LBB49_70
.LBB49_68:
                                        ; implicit-def: $vgpr104_vgpr105
.LBB49_69:
	ds_load_b64 v[104:105], v1
.LBB49_70:
	s_and_saveexec_b32 s27, s1
	s_cbranch_execz .LBB49_74
; %bb.71:
	v_subrev_nc_u32_e32 v106, 43, v0
	s_movk_i32 s1, 0x158
	s_movk_i32 s29, 0x2e8
	s_mov_b32 s28, 0
.LBB49_72:                              ; =>This Inner Loop Header: Depth=1
	scratch_load_b64 v[108:109], off, s1
	v_dual_mov_b32 v107, s29 :: v_dual_add_nc_u32 v106, -1, v106
	s_add_co_i32 s29, s29, 8
	s_wait_xcnt 0x0
	s_add_co_i32 s1, s1, 8
	ds_load_b64 v[110:111], v107
	v_cmp_eq_u32_e32 vcc_lo, 0, v106
	s_or_b32 s28, vcc_lo, s28
	s_wait_loadcnt_dscnt 0x0
	v_pk_mul_f32 v[112:113], v[110:111], v[108:109] op_sel:[1,1] op_sel_hi:[0,1]
	s_delay_alu instid0(VALU_DEP_1) | instskip(SKIP_1) | instid1(VALU_DEP_2)
	v_pk_fma_f32 v[114:115], v[110:111], v[108:109], v[112:113] op_sel_hi:[1,0,1]
	v_pk_fma_f32 v[108:109], v[110:111], v[108:109], v[112:113] neg_lo:[0,0,1] neg_hi:[0,0,1]
	v_mov_b32_e32 v109, v115
	s_delay_alu instid0(VALU_DEP_1)
	v_pk_add_f32 v[104:105], v[104:105], v[108:109]
	s_and_not1_b32 exec_lo, exec_lo, s28
	s_cbranch_execnz .LBB49_72
; %bb.73:
	s_or_b32 exec_lo, exec_lo, s28
.LBB49_74:
	s_delay_alu instid0(SALU_CYCLE_1) | instskip(SKIP_4) | instid1(VALU_DEP_1)
	s_or_b32 exec_lo, exec_lo, s27
	v_mov_b32_e32 v106, 0
	ds_load_b64 v[106:107], v106 offset:336
	s_wait_dscnt 0x0
	v_pk_mul_f32 v[108:109], v[104:105], v[106:107] op_sel:[1,1] op_sel_hi:[0,1]
	v_pk_fma_f32 v[110:111], v[104:105], v[106:107], v[108:109] op_sel_hi:[1,0,1]
	v_pk_fma_f32 v[104:105], v[104:105], v[106:107], v[108:109] neg_lo:[0,0,1] neg_hi:[0,0,1]
	s_delay_alu instid0(VALU_DEP_2)
	v_mov_b32_e32 v105, v111
	scratch_store_b64 off, v[104:105], off offset:336
.LBB49_75:
	s_wait_xcnt 0x0
	s_or_b32 exec_lo, exec_lo, s26
	scratch_load_b64 v[104:105], off, off offset:328
	v_cmp_lt_u32_e64 s1, 41, v0
	s_wait_loadcnt 0x0
	ds_store_b64 v1, v[104:105]
	s_wait_storecnt_dscnt 0x0
	s_barrier_signal -1
	s_barrier_wait -1
	s_wait_xcnt 0x0
	s_and_saveexec_b32 s26, s1
	s_cbranch_execz .LBB49_85
; %bb.76:
	s_and_not1_b32 vcc_lo, exec_lo, s3
	s_cbranch_vccnz .LBB49_78
; %bb.77:
	scratch_load_b64 v[104:105], v51, off
	ds_load_b64 v[106:107], v1
	s_wait_loadcnt_dscnt 0x0
	v_pk_mul_f32 v[108:109], v[106:107], v[104:105] op_sel:[1,1] op_sel_hi:[0,1]
	s_delay_alu instid0(VALU_DEP_1) | instskip(SKIP_1) | instid1(VALU_DEP_2)
	v_pk_fma_f32 v[110:111], v[106:107], v[104:105], v[108:109] op_sel_hi:[1,0,1]
	v_pk_fma_f32 v[104:105], v[106:107], v[104:105], v[108:109] neg_lo:[0,0,1] neg_hi:[0,0,1]
	v_mov_b32_e32 v105, v111
	s_cbranch_execz .LBB49_79
	s_branch .LBB49_80
.LBB49_78:
                                        ; implicit-def: $vgpr104_vgpr105
.LBB49_79:
	ds_load_b64 v[104:105], v1
.LBB49_80:
	s_and_saveexec_b32 s27, s0
	s_cbranch_execz .LBB49_84
; %bb.81:
	v_subrev_nc_u32_e32 v106, 42, v0
	s_movk_i32 s28, 0x2e0
	s_mov_b32 s0, 0
.LBB49_82:                              ; =>This Inner Loop Header: Depth=1
	scratch_load_b64 v[108:109], off, s25
	v_dual_mov_b32 v107, s28 :: v_dual_add_nc_u32 v106, -1, v106
	s_add_co_i32 s28, s28, 8
	s_wait_xcnt 0x0
	s_add_co_i32 s25, s25, 8
	ds_load_b64 v[110:111], v107
	v_cmp_eq_u32_e32 vcc_lo, 0, v106
	s_or_b32 s0, vcc_lo, s0
	s_wait_loadcnt_dscnt 0x0
	v_pk_mul_f32 v[112:113], v[110:111], v[108:109] op_sel:[1,1] op_sel_hi:[0,1]
	s_delay_alu instid0(VALU_DEP_1) | instskip(SKIP_1) | instid1(VALU_DEP_2)
	v_pk_fma_f32 v[114:115], v[110:111], v[108:109], v[112:113] op_sel_hi:[1,0,1]
	v_pk_fma_f32 v[108:109], v[110:111], v[108:109], v[112:113] neg_lo:[0,0,1] neg_hi:[0,0,1]
	v_mov_b32_e32 v109, v115
	s_delay_alu instid0(VALU_DEP_1)
	v_pk_add_f32 v[104:105], v[104:105], v[108:109]
	s_and_not1_b32 exec_lo, exec_lo, s0
	s_cbranch_execnz .LBB49_82
; %bb.83:
	s_or_b32 exec_lo, exec_lo, s0
.LBB49_84:
	s_delay_alu instid0(SALU_CYCLE_1) | instskip(SKIP_4) | instid1(VALU_DEP_1)
	s_or_b32 exec_lo, exec_lo, s27
	v_mov_b32_e32 v106, 0
	ds_load_b64 v[106:107], v106 offset:328
	s_wait_dscnt 0x0
	v_pk_mul_f32 v[108:109], v[104:105], v[106:107] op_sel:[1,1] op_sel_hi:[0,1]
	v_pk_fma_f32 v[110:111], v[104:105], v[106:107], v[108:109] op_sel_hi:[1,0,1]
	v_pk_fma_f32 v[104:105], v[104:105], v[106:107], v[108:109] neg_lo:[0,0,1] neg_hi:[0,0,1]
	s_delay_alu instid0(VALU_DEP_2)
	v_mov_b32_e32 v105, v111
	scratch_store_b64 off, v[104:105], off offset:328
.LBB49_85:
	s_wait_xcnt 0x0
	s_or_b32 exec_lo, exec_lo, s26
	scratch_load_b64 v[104:105], off, off offset:320
	v_cmp_lt_u32_e64 s0, 40, v0
	s_wait_loadcnt 0x0
	ds_store_b64 v1, v[104:105]
	s_wait_storecnt_dscnt 0x0
	s_barrier_signal -1
	s_barrier_wait -1
	s_wait_xcnt 0x0
	s_and_saveexec_b32 s25, s0
	s_cbranch_execz .LBB49_95
; %bb.86:
	s_and_not1_b32 vcc_lo, exec_lo, s3
	s_cbranch_vccnz .LBB49_88
; %bb.87:
	scratch_load_b64 v[104:105], v51, off
	ds_load_b64 v[106:107], v1
	s_wait_loadcnt_dscnt 0x0
	v_pk_mul_f32 v[108:109], v[106:107], v[104:105] op_sel:[1,1] op_sel_hi:[0,1]
	s_delay_alu instid0(VALU_DEP_1) | instskip(SKIP_1) | instid1(VALU_DEP_2)
	v_pk_fma_f32 v[110:111], v[106:107], v[104:105], v[108:109] op_sel_hi:[1,0,1]
	v_pk_fma_f32 v[104:105], v[106:107], v[104:105], v[108:109] neg_lo:[0,0,1] neg_hi:[0,0,1]
	v_mov_b32_e32 v105, v111
	s_cbranch_execz .LBB49_89
	s_branch .LBB49_90
.LBB49_88:
                                        ; implicit-def: $vgpr104_vgpr105
.LBB49_89:
	ds_load_b64 v[104:105], v1
.LBB49_90:
	s_and_saveexec_b32 s26, s1
	s_cbranch_execz .LBB49_94
; %bb.91:
	v_subrev_nc_u32_e32 v106, 41, v0
	s_movk_i32 s1, 0x148
	s_movk_i32 s28, 0x2d8
	s_mov_b32 s27, 0
.LBB49_92:                              ; =>This Inner Loop Header: Depth=1
	scratch_load_b64 v[108:109], off, s1
	v_dual_mov_b32 v107, s28 :: v_dual_add_nc_u32 v106, -1, v106
	s_add_co_i32 s28, s28, 8
	s_wait_xcnt 0x0
	s_add_co_i32 s1, s1, 8
	ds_load_b64 v[110:111], v107
	v_cmp_eq_u32_e32 vcc_lo, 0, v106
	s_or_b32 s27, vcc_lo, s27
	s_wait_loadcnt_dscnt 0x0
	v_pk_mul_f32 v[112:113], v[110:111], v[108:109] op_sel:[1,1] op_sel_hi:[0,1]
	s_delay_alu instid0(VALU_DEP_1) | instskip(SKIP_1) | instid1(VALU_DEP_2)
	v_pk_fma_f32 v[114:115], v[110:111], v[108:109], v[112:113] op_sel_hi:[1,0,1]
	v_pk_fma_f32 v[108:109], v[110:111], v[108:109], v[112:113] neg_lo:[0,0,1] neg_hi:[0,0,1]
	v_mov_b32_e32 v109, v115
	s_delay_alu instid0(VALU_DEP_1)
	v_pk_add_f32 v[104:105], v[104:105], v[108:109]
	s_and_not1_b32 exec_lo, exec_lo, s27
	s_cbranch_execnz .LBB49_92
; %bb.93:
	s_or_b32 exec_lo, exec_lo, s27
.LBB49_94:
	s_delay_alu instid0(SALU_CYCLE_1) | instskip(SKIP_4) | instid1(VALU_DEP_1)
	s_or_b32 exec_lo, exec_lo, s26
	v_mov_b32_e32 v106, 0
	ds_load_b64 v[106:107], v106 offset:320
	s_wait_dscnt 0x0
	v_pk_mul_f32 v[108:109], v[104:105], v[106:107] op_sel:[1,1] op_sel_hi:[0,1]
	v_pk_fma_f32 v[110:111], v[104:105], v[106:107], v[108:109] op_sel_hi:[1,0,1]
	v_pk_fma_f32 v[104:105], v[104:105], v[106:107], v[108:109] neg_lo:[0,0,1] neg_hi:[0,0,1]
	s_delay_alu instid0(VALU_DEP_2)
	v_mov_b32_e32 v105, v111
	scratch_store_b64 off, v[104:105], off offset:320
.LBB49_95:
	s_wait_xcnt 0x0
	s_or_b32 exec_lo, exec_lo, s25
	scratch_load_b64 v[104:105], off, off offset:312
	v_cmp_lt_u32_e64 s1, 39, v0
	s_wait_loadcnt 0x0
	ds_store_b64 v1, v[104:105]
	s_wait_storecnt_dscnt 0x0
	s_barrier_signal -1
	s_barrier_wait -1
	s_wait_xcnt 0x0
	s_and_saveexec_b32 s25, s1
	s_cbranch_execz .LBB49_105
; %bb.96:
	s_and_not1_b32 vcc_lo, exec_lo, s3
	s_cbranch_vccnz .LBB49_98
; %bb.97:
	scratch_load_b64 v[104:105], v51, off
	ds_load_b64 v[106:107], v1
	s_wait_loadcnt_dscnt 0x0
	v_pk_mul_f32 v[108:109], v[106:107], v[104:105] op_sel:[1,1] op_sel_hi:[0,1]
	s_delay_alu instid0(VALU_DEP_1) | instskip(SKIP_1) | instid1(VALU_DEP_2)
	v_pk_fma_f32 v[110:111], v[106:107], v[104:105], v[108:109] op_sel_hi:[1,0,1]
	v_pk_fma_f32 v[104:105], v[106:107], v[104:105], v[108:109] neg_lo:[0,0,1] neg_hi:[0,0,1]
	v_mov_b32_e32 v105, v111
	s_cbranch_execz .LBB49_99
	s_branch .LBB49_100
.LBB49_98:
                                        ; implicit-def: $vgpr104_vgpr105
.LBB49_99:
	ds_load_b64 v[104:105], v1
.LBB49_100:
	s_and_saveexec_b32 s26, s0
	s_cbranch_execz .LBB49_104
; %bb.101:
	v_subrev_nc_u32_e32 v106, 40, v0
	s_movk_i32 s27, 0x2d0
	s_mov_b32 s0, 0
.LBB49_102:                             ; =>This Inner Loop Header: Depth=1
	scratch_load_b64 v[108:109], off, s24
	v_dual_mov_b32 v107, s27 :: v_dual_add_nc_u32 v106, -1, v106
	s_add_co_i32 s27, s27, 8
	s_wait_xcnt 0x0
	s_add_co_i32 s24, s24, 8
	ds_load_b64 v[110:111], v107
	v_cmp_eq_u32_e32 vcc_lo, 0, v106
	s_or_b32 s0, vcc_lo, s0
	s_wait_loadcnt_dscnt 0x0
	v_pk_mul_f32 v[112:113], v[110:111], v[108:109] op_sel:[1,1] op_sel_hi:[0,1]
	s_delay_alu instid0(VALU_DEP_1) | instskip(SKIP_1) | instid1(VALU_DEP_2)
	v_pk_fma_f32 v[114:115], v[110:111], v[108:109], v[112:113] op_sel_hi:[1,0,1]
	v_pk_fma_f32 v[108:109], v[110:111], v[108:109], v[112:113] neg_lo:[0,0,1] neg_hi:[0,0,1]
	v_mov_b32_e32 v109, v115
	s_delay_alu instid0(VALU_DEP_1)
	v_pk_add_f32 v[104:105], v[104:105], v[108:109]
	s_and_not1_b32 exec_lo, exec_lo, s0
	s_cbranch_execnz .LBB49_102
; %bb.103:
	s_or_b32 exec_lo, exec_lo, s0
.LBB49_104:
	s_delay_alu instid0(SALU_CYCLE_1) | instskip(SKIP_4) | instid1(VALU_DEP_1)
	s_or_b32 exec_lo, exec_lo, s26
	v_mov_b32_e32 v106, 0
	ds_load_b64 v[106:107], v106 offset:312
	s_wait_dscnt 0x0
	v_pk_mul_f32 v[108:109], v[104:105], v[106:107] op_sel:[1,1] op_sel_hi:[0,1]
	v_pk_fma_f32 v[110:111], v[104:105], v[106:107], v[108:109] op_sel_hi:[1,0,1]
	v_pk_fma_f32 v[104:105], v[104:105], v[106:107], v[108:109] neg_lo:[0,0,1] neg_hi:[0,0,1]
	s_delay_alu instid0(VALU_DEP_2)
	v_mov_b32_e32 v105, v111
	scratch_store_b64 off, v[104:105], off offset:312
.LBB49_105:
	s_wait_xcnt 0x0
	s_or_b32 exec_lo, exec_lo, s25
	scratch_load_b64 v[104:105], off, off offset:304
	v_cmp_lt_u32_e64 s0, 38, v0
	s_wait_loadcnt 0x0
	ds_store_b64 v1, v[104:105]
	s_wait_storecnt_dscnt 0x0
	s_barrier_signal -1
	s_barrier_wait -1
	s_wait_xcnt 0x0
	s_and_saveexec_b32 s24, s0
	s_cbranch_execz .LBB49_115
; %bb.106:
	s_and_not1_b32 vcc_lo, exec_lo, s3
	s_cbranch_vccnz .LBB49_108
; %bb.107:
	scratch_load_b64 v[104:105], v51, off
	ds_load_b64 v[106:107], v1
	s_wait_loadcnt_dscnt 0x0
	v_pk_mul_f32 v[108:109], v[106:107], v[104:105] op_sel:[1,1] op_sel_hi:[0,1]
	s_delay_alu instid0(VALU_DEP_1) | instskip(SKIP_1) | instid1(VALU_DEP_2)
	v_pk_fma_f32 v[110:111], v[106:107], v[104:105], v[108:109] op_sel_hi:[1,0,1]
	v_pk_fma_f32 v[104:105], v[106:107], v[104:105], v[108:109] neg_lo:[0,0,1] neg_hi:[0,0,1]
	v_mov_b32_e32 v105, v111
	s_cbranch_execz .LBB49_109
	s_branch .LBB49_110
.LBB49_108:
                                        ; implicit-def: $vgpr104_vgpr105
.LBB49_109:
	ds_load_b64 v[104:105], v1
.LBB49_110:
	s_and_saveexec_b32 s25, s1
	s_cbranch_execz .LBB49_114
; %bb.111:
	v_subrev_nc_u32_e32 v106, 39, v0
	s_movk_i32 s1, 0x138
	s_movk_i32 s27, 0x2c8
	s_mov_b32 s26, 0
.LBB49_112:                             ; =>This Inner Loop Header: Depth=1
	scratch_load_b64 v[108:109], off, s1
	v_dual_mov_b32 v107, s27 :: v_dual_add_nc_u32 v106, -1, v106
	s_add_co_i32 s27, s27, 8
	s_wait_xcnt 0x0
	s_add_co_i32 s1, s1, 8
	ds_load_b64 v[110:111], v107
	v_cmp_eq_u32_e32 vcc_lo, 0, v106
	s_or_b32 s26, vcc_lo, s26
	s_wait_loadcnt_dscnt 0x0
	v_pk_mul_f32 v[112:113], v[110:111], v[108:109] op_sel:[1,1] op_sel_hi:[0,1]
	s_delay_alu instid0(VALU_DEP_1) | instskip(SKIP_1) | instid1(VALU_DEP_2)
	v_pk_fma_f32 v[114:115], v[110:111], v[108:109], v[112:113] op_sel_hi:[1,0,1]
	v_pk_fma_f32 v[108:109], v[110:111], v[108:109], v[112:113] neg_lo:[0,0,1] neg_hi:[0,0,1]
	v_mov_b32_e32 v109, v115
	s_delay_alu instid0(VALU_DEP_1)
	v_pk_add_f32 v[104:105], v[104:105], v[108:109]
	s_and_not1_b32 exec_lo, exec_lo, s26
	s_cbranch_execnz .LBB49_112
; %bb.113:
	s_or_b32 exec_lo, exec_lo, s26
.LBB49_114:
	s_delay_alu instid0(SALU_CYCLE_1) | instskip(SKIP_4) | instid1(VALU_DEP_1)
	s_or_b32 exec_lo, exec_lo, s25
	v_mov_b32_e32 v106, 0
	ds_load_b64 v[106:107], v106 offset:304
	s_wait_dscnt 0x0
	v_pk_mul_f32 v[108:109], v[104:105], v[106:107] op_sel:[1,1] op_sel_hi:[0,1]
	v_pk_fma_f32 v[110:111], v[104:105], v[106:107], v[108:109] op_sel_hi:[1,0,1]
	v_pk_fma_f32 v[104:105], v[104:105], v[106:107], v[108:109] neg_lo:[0,0,1] neg_hi:[0,0,1]
	s_delay_alu instid0(VALU_DEP_2)
	v_mov_b32_e32 v105, v111
	scratch_store_b64 off, v[104:105], off offset:304
.LBB49_115:
	s_wait_xcnt 0x0
	s_or_b32 exec_lo, exec_lo, s24
	scratch_load_b64 v[104:105], off, off offset:296
	v_cmp_lt_u32_e64 s1, 37, v0
	s_wait_loadcnt 0x0
	ds_store_b64 v1, v[104:105]
	s_wait_storecnt_dscnt 0x0
	s_barrier_signal -1
	s_barrier_wait -1
	s_wait_xcnt 0x0
	s_and_saveexec_b32 s24, s1
	s_cbranch_execz .LBB49_125
; %bb.116:
	s_and_not1_b32 vcc_lo, exec_lo, s3
	s_cbranch_vccnz .LBB49_118
; %bb.117:
	scratch_load_b64 v[104:105], v51, off
	ds_load_b64 v[106:107], v1
	s_wait_loadcnt_dscnt 0x0
	v_pk_mul_f32 v[108:109], v[106:107], v[104:105] op_sel:[1,1] op_sel_hi:[0,1]
	s_delay_alu instid0(VALU_DEP_1) | instskip(SKIP_1) | instid1(VALU_DEP_2)
	v_pk_fma_f32 v[110:111], v[106:107], v[104:105], v[108:109] op_sel_hi:[1,0,1]
	v_pk_fma_f32 v[104:105], v[106:107], v[104:105], v[108:109] neg_lo:[0,0,1] neg_hi:[0,0,1]
	v_mov_b32_e32 v105, v111
	s_cbranch_execz .LBB49_119
	s_branch .LBB49_120
.LBB49_118:
                                        ; implicit-def: $vgpr104_vgpr105
.LBB49_119:
	ds_load_b64 v[104:105], v1
.LBB49_120:
	s_and_saveexec_b32 s25, s0
	s_cbranch_execz .LBB49_124
; %bb.121:
	v_subrev_nc_u32_e32 v106, 38, v0
	s_movk_i32 s26, 0x2c0
	s_mov_b32 s0, 0
.LBB49_122:                             ; =>This Inner Loop Header: Depth=1
	scratch_load_b64 v[108:109], off, s23
	v_dual_mov_b32 v107, s26 :: v_dual_add_nc_u32 v106, -1, v106
	s_add_co_i32 s26, s26, 8
	s_wait_xcnt 0x0
	s_add_co_i32 s23, s23, 8
	ds_load_b64 v[110:111], v107
	v_cmp_eq_u32_e32 vcc_lo, 0, v106
	s_or_b32 s0, vcc_lo, s0
	s_wait_loadcnt_dscnt 0x0
	v_pk_mul_f32 v[112:113], v[110:111], v[108:109] op_sel:[1,1] op_sel_hi:[0,1]
	s_delay_alu instid0(VALU_DEP_1) | instskip(SKIP_1) | instid1(VALU_DEP_2)
	v_pk_fma_f32 v[114:115], v[110:111], v[108:109], v[112:113] op_sel_hi:[1,0,1]
	v_pk_fma_f32 v[108:109], v[110:111], v[108:109], v[112:113] neg_lo:[0,0,1] neg_hi:[0,0,1]
	v_mov_b32_e32 v109, v115
	s_delay_alu instid0(VALU_DEP_1)
	v_pk_add_f32 v[104:105], v[104:105], v[108:109]
	s_and_not1_b32 exec_lo, exec_lo, s0
	s_cbranch_execnz .LBB49_122
; %bb.123:
	s_or_b32 exec_lo, exec_lo, s0
.LBB49_124:
	s_delay_alu instid0(SALU_CYCLE_1) | instskip(SKIP_4) | instid1(VALU_DEP_1)
	s_or_b32 exec_lo, exec_lo, s25
	v_mov_b32_e32 v106, 0
	ds_load_b64 v[106:107], v106 offset:296
	s_wait_dscnt 0x0
	v_pk_mul_f32 v[108:109], v[104:105], v[106:107] op_sel:[1,1] op_sel_hi:[0,1]
	v_pk_fma_f32 v[110:111], v[104:105], v[106:107], v[108:109] op_sel_hi:[1,0,1]
	v_pk_fma_f32 v[104:105], v[104:105], v[106:107], v[108:109] neg_lo:[0,0,1] neg_hi:[0,0,1]
	s_delay_alu instid0(VALU_DEP_2)
	v_mov_b32_e32 v105, v111
	scratch_store_b64 off, v[104:105], off offset:296
.LBB49_125:
	s_wait_xcnt 0x0
	s_or_b32 exec_lo, exec_lo, s24
	scratch_load_b64 v[104:105], off, off offset:288
	v_cmp_lt_u32_e64 s0, 36, v0
	s_wait_loadcnt 0x0
	ds_store_b64 v1, v[104:105]
	s_wait_storecnt_dscnt 0x0
	s_barrier_signal -1
	s_barrier_wait -1
	s_wait_xcnt 0x0
	s_and_saveexec_b32 s23, s0
	s_cbranch_execz .LBB49_135
; %bb.126:
	s_and_not1_b32 vcc_lo, exec_lo, s3
	s_cbranch_vccnz .LBB49_128
; %bb.127:
	scratch_load_b64 v[104:105], v51, off
	ds_load_b64 v[106:107], v1
	s_wait_loadcnt_dscnt 0x0
	v_pk_mul_f32 v[108:109], v[106:107], v[104:105] op_sel:[1,1] op_sel_hi:[0,1]
	s_delay_alu instid0(VALU_DEP_1) | instskip(SKIP_1) | instid1(VALU_DEP_2)
	v_pk_fma_f32 v[110:111], v[106:107], v[104:105], v[108:109] op_sel_hi:[1,0,1]
	v_pk_fma_f32 v[104:105], v[106:107], v[104:105], v[108:109] neg_lo:[0,0,1] neg_hi:[0,0,1]
	v_mov_b32_e32 v105, v111
	s_cbranch_execz .LBB49_129
	s_branch .LBB49_130
.LBB49_128:
                                        ; implicit-def: $vgpr104_vgpr105
.LBB49_129:
	ds_load_b64 v[104:105], v1
.LBB49_130:
	s_and_saveexec_b32 s24, s1
	s_cbranch_execz .LBB49_134
; %bb.131:
	v_subrev_nc_u32_e32 v106, 37, v0
	s_movk_i32 s1, 0x128
	s_movk_i32 s26, 0x2b8
	s_mov_b32 s25, 0
.LBB49_132:                             ; =>This Inner Loop Header: Depth=1
	scratch_load_b64 v[108:109], off, s1
	v_dual_mov_b32 v107, s26 :: v_dual_add_nc_u32 v106, -1, v106
	s_add_co_i32 s26, s26, 8
	s_wait_xcnt 0x0
	s_add_co_i32 s1, s1, 8
	ds_load_b64 v[110:111], v107
	v_cmp_eq_u32_e32 vcc_lo, 0, v106
	s_or_b32 s25, vcc_lo, s25
	s_wait_loadcnt_dscnt 0x0
	v_pk_mul_f32 v[112:113], v[110:111], v[108:109] op_sel:[1,1] op_sel_hi:[0,1]
	s_delay_alu instid0(VALU_DEP_1) | instskip(SKIP_1) | instid1(VALU_DEP_2)
	v_pk_fma_f32 v[114:115], v[110:111], v[108:109], v[112:113] op_sel_hi:[1,0,1]
	v_pk_fma_f32 v[108:109], v[110:111], v[108:109], v[112:113] neg_lo:[0,0,1] neg_hi:[0,0,1]
	v_mov_b32_e32 v109, v115
	s_delay_alu instid0(VALU_DEP_1)
	v_pk_add_f32 v[104:105], v[104:105], v[108:109]
	s_and_not1_b32 exec_lo, exec_lo, s25
	s_cbranch_execnz .LBB49_132
; %bb.133:
	s_or_b32 exec_lo, exec_lo, s25
.LBB49_134:
	s_delay_alu instid0(SALU_CYCLE_1) | instskip(SKIP_4) | instid1(VALU_DEP_1)
	s_or_b32 exec_lo, exec_lo, s24
	v_mov_b32_e32 v106, 0
	ds_load_b64 v[106:107], v106 offset:288
	s_wait_dscnt 0x0
	v_pk_mul_f32 v[108:109], v[104:105], v[106:107] op_sel:[1,1] op_sel_hi:[0,1]
	v_pk_fma_f32 v[110:111], v[104:105], v[106:107], v[108:109] op_sel_hi:[1,0,1]
	v_pk_fma_f32 v[104:105], v[104:105], v[106:107], v[108:109] neg_lo:[0,0,1] neg_hi:[0,0,1]
	s_delay_alu instid0(VALU_DEP_2)
	v_mov_b32_e32 v105, v111
	scratch_store_b64 off, v[104:105], off offset:288
.LBB49_135:
	s_wait_xcnt 0x0
	s_or_b32 exec_lo, exec_lo, s23
	scratch_load_b64 v[104:105], off, off offset:280
	v_cmp_lt_u32_e64 s1, 35, v0
	s_wait_loadcnt 0x0
	ds_store_b64 v1, v[104:105]
	s_wait_storecnt_dscnt 0x0
	s_barrier_signal -1
	s_barrier_wait -1
	s_wait_xcnt 0x0
	s_and_saveexec_b32 s23, s1
	s_cbranch_execz .LBB49_145
; %bb.136:
	s_and_not1_b32 vcc_lo, exec_lo, s3
	s_cbranch_vccnz .LBB49_138
; %bb.137:
	scratch_load_b64 v[104:105], v51, off
	ds_load_b64 v[106:107], v1
	s_wait_loadcnt_dscnt 0x0
	v_pk_mul_f32 v[108:109], v[106:107], v[104:105] op_sel:[1,1] op_sel_hi:[0,1]
	s_delay_alu instid0(VALU_DEP_1) | instskip(SKIP_1) | instid1(VALU_DEP_2)
	v_pk_fma_f32 v[110:111], v[106:107], v[104:105], v[108:109] op_sel_hi:[1,0,1]
	v_pk_fma_f32 v[104:105], v[106:107], v[104:105], v[108:109] neg_lo:[0,0,1] neg_hi:[0,0,1]
	v_mov_b32_e32 v105, v111
	s_cbranch_execz .LBB49_139
	s_branch .LBB49_140
.LBB49_138:
                                        ; implicit-def: $vgpr104_vgpr105
.LBB49_139:
	ds_load_b64 v[104:105], v1
.LBB49_140:
	s_and_saveexec_b32 s24, s0
	s_cbranch_execz .LBB49_144
; %bb.141:
	v_subrev_nc_u32_e32 v106, 36, v0
	s_movk_i32 s25, 0x2b0
	s_mov_b32 s0, 0
.LBB49_142:                             ; =>This Inner Loop Header: Depth=1
	scratch_load_b64 v[108:109], off, s22
	v_dual_mov_b32 v107, s25 :: v_dual_add_nc_u32 v106, -1, v106
	s_add_co_i32 s25, s25, 8
	s_wait_xcnt 0x0
	s_add_co_i32 s22, s22, 8
	ds_load_b64 v[110:111], v107
	v_cmp_eq_u32_e32 vcc_lo, 0, v106
	s_or_b32 s0, vcc_lo, s0
	s_wait_loadcnt_dscnt 0x0
	v_pk_mul_f32 v[112:113], v[110:111], v[108:109] op_sel:[1,1] op_sel_hi:[0,1]
	s_delay_alu instid0(VALU_DEP_1) | instskip(SKIP_1) | instid1(VALU_DEP_2)
	v_pk_fma_f32 v[114:115], v[110:111], v[108:109], v[112:113] op_sel_hi:[1,0,1]
	v_pk_fma_f32 v[108:109], v[110:111], v[108:109], v[112:113] neg_lo:[0,0,1] neg_hi:[0,0,1]
	v_mov_b32_e32 v109, v115
	s_delay_alu instid0(VALU_DEP_1)
	v_pk_add_f32 v[104:105], v[104:105], v[108:109]
	s_and_not1_b32 exec_lo, exec_lo, s0
	s_cbranch_execnz .LBB49_142
; %bb.143:
	s_or_b32 exec_lo, exec_lo, s0
.LBB49_144:
	s_delay_alu instid0(SALU_CYCLE_1) | instskip(SKIP_4) | instid1(VALU_DEP_1)
	s_or_b32 exec_lo, exec_lo, s24
	v_mov_b32_e32 v106, 0
	ds_load_b64 v[106:107], v106 offset:280
	s_wait_dscnt 0x0
	v_pk_mul_f32 v[108:109], v[104:105], v[106:107] op_sel:[1,1] op_sel_hi:[0,1]
	v_pk_fma_f32 v[110:111], v[104:105], v[106:107], v[108:109] op_sel_hi:[1,0,1]
	v_pk_fma_f32 v[104:105], v[104:105], v[106:107], v[108:109] neg_lo:[0,0,1] neg_hi:[0,0,1]
	s_delay_alu instid0(VALU_DEP_2)
	v_mov_b32_e32 v105, v111
	scratch_store_b64 off, v[104:105], off offset:280
.LBB49_145:
	s_wait_xcnt 0x0
	s_or_b32 exec_lo, exec_lo, s23
	scratch_load_b64 v[104:105], off, off offset:272
	v_cmp_lt_u32_e64 s0, 34, v0
	s_wait_loadcnt 0x0
	ds_store_b64 v1, v[104:105]
	s_wait_storecnt_dscnt 0x0
	s_barrier_signal -1
	s_barrier_wait -1
	s_wait_xcnt 0x0
	s_and_saveexec_b32 s22, s0
	s_cbranch_execz .LBB49_155
; %bb.146:
	s_and_not1_b32 vcc_lo, exec_lo, s3
	s_cbranch_vccnz .LBB49_148
; %bb.147:
	scratch_load_b64 v[104:105], v51, off
	ds_load_b64 v[106:107], v1
	s_wait_loadcnt_dscnt 0x0
	v_pk_mul_f32 v[108:109], v[106:107], v[104:105] op_sel:[1,1] op_sel_hi:[0,1]
	s_delay_alu instid0(VALU_DEP_1) | instskip(SKIP_1) | instid1(VALU_DEP_2)
	v_pk_fma_f32 v[110:111], v[106:107], v[104:105], v[108:109] op_sel_hi:[1,0,1]
	v_pk_fma_f32 v[104:105], v[106:107], v[104:105], v[108:109] neg_lo:[0,0,1] neg_hi:[0,0,1]
	v_mov_b32_e32 v105, v111
	s_cbranch_execz .LBB49_149
	s_branch .LBB49_150
.LBB49_148:
                                        ; implicit-def: $vgpr104_vgpr105
.LBB49_149:
	ds_load_b64 v[104:105], v1
.LBB49_150:
	s_and_saveexec_b32 s23, s1
	s_cbranch_execz .LBB49_154
; %bb.151:
	v_subrev_nc_u32_e32 v106, 35, v0
	s_movk_i32 s1, 0x118
	s_movk_i32 s25, 0x2a8
	s_mov_b32 s24, 0
.LBB49_152:                             ; =>This Inner Loop Header: Depth=1
	scratch_load_b64 v[108:109], off, s1
	v_dual_mov_b32 v107, s25 :: v_dual_add_nc_u32 v106, -1, v106
	s_add_co_i32 s25, s25, 8
	s_wait_xcnt 0x0
	s_add_co_i32 s1, s1, 8
	ds_load_b64 v[110:111], v107
	v_cmp_eq_u32_e32 vcc_lo, 0, v106
	s_or_b32 s24, vcc_lo, s24
	s_wait_loadcnt_dscnt 0x0
	v_pk_mul_f32 v[112:113], v[110:111], v[108:109] op_sel:[1,1] op_sel_hi:[0,1]
	s_delay_alu instid0(VALU_DEP_1) | instskip(SKIP_1) | instid1(VALU_DEP_2)
	v_pk_fma_f32 v[114:115], v[110:111], v[108:109], v[112:113] op_sel_hi:[1,0,1]
	v_pk_fma_f32 v[108:109], v[110:111], v[108:109], v[112:113] neg_lo:[0,0,1] neg_hi:[0,0,1]
	v_mov_b32_e32 v109, v115
	s_delay_alu instid0(VALU_DEP_1)
	v_pk_add_f32 v[104:105], v[104:105], v[108:109]
	s_and_not1_b32 exec_lo, exec_lo, s24
	s_cbranch_execnz .LBB49_152
; %bb.153:
	s_or_b32 exec_lo, exec_lo, s24
.LBB49_154:
	s_delay_alu instid0(SALU_CYCLE_1) | instskip(SKIP_4) | instid1(VALU_DEP_1)
	s_or_b32 exec_lo, exec_lo, s23
	v_mov_b32_e32 v106, 0
	ds_load_b64 v[106:107], v106 offset:272
	s_wait_dscnt 0x0
	v_pk_mul_f32 v[108:109], v[104:105], v[106:107] op_sel:[1,1] op_sel_hi:[0,1]
	v_pk_fma_f32 v[110:111], v[104:105], v[106:107], v[108:109] op_sel_hi:[1,0,1]
	v_pk_fma_f32 v[104:105], v[104:105], v[106:107], v[108:109] neg_lo:[0,0,1] neg_hi:[0,0,1]
	s_delay_alu instid0(VALU_DEP_2)
	v_mov_b32_e32 v105, v111
	scratch_store_b64 off, v[104:105], off offset:272
.LBB49_155:
	s_wait_xcnt 0x0
	s_or_b32 exec_lo, exec_lo, s22
	scratch_load_b64 v[104:105], off, off offset:264
	v_cmp_lt_u32_e64 s1, 33, v0
	s_wait_loadcnt 0x0
	ds_store_b64 v1, v[104:105]
	s_wait_storecnt_dscnt 0x0
	s_barrier_signal -1
	s_barrier_wait -1
	s_wait_xcnt 0x0
	s_and_saveexec_b32 s22, s1
	s_cbranch_execz .LBB49_165
; %bb.156:
	s_and_not1_b32 vcc_lo, exec_lo, s3
	s_cbranch_vccnz .LBB49_158
; %bb.157:
	scratch_load_b64 v[104:105], v51, off
	ds_load_b64 v[106:107], v1
	s_wait_loadcnt_dscnt 0x0
	v_pk_mul_f32 v[108:109], v[106:107], v[104:105] op_sel:[1,1] op_sel_hi:[0,1]
	s_delay_alu instid0(VALU_DEP_1) | instskip(SKIP_1) | instid1(VALU_DEP_2)
	v_pk_fma_f32 v[110:111], v[106:107], v[104:105], v[108:109] op_sel_hi:[1,0,1]
	v_pk_fma_f32 v[104:105], v[106:107], v[104:105], v[108:109] neg_lo:[0,0,1] neg_hi:[0,0,1]
	v_mov_b32_e32 v105, v111
	s_cbranch_execz .LBB49_159
	s_branch .LBB49_160
.LBB49_158:
                                        ; implicit-def: $vgpr104_vgpr105
.LBB49_159:
	ds_load_b64 v[104:105], v1
.LBB49_160:
	s_and_saveexec_b32 s23, s0
	s_cbranch_execz .LBB49_164
; %bb.161:
	v_subrev_nc_u32_e32 v106, 34, v0
	s_movk_i32 s24, 0x2a0
	s_mov_b32 s0, 0
.LBB49_162:                             ; =>This Inner Loop Header: Depth=1
	scratch_load_b64 v[108:109], off, s21
	v_dual_mov_b32 v107, s24 :: v_dual_add_nc_u32 v106, -1, v106
	s_add_co_i32 s24, s24, 8
	s_wait_xcnt 0x0
	s_add_co_i32 s21, s21, 8
	ds_load_b64 v[110:111], v107
	v_cmp_eq_u32_e32 vcc_lo, 0, v106
	s_or_b32 s0, vcc_lo, s0
	s_wait_loadcnt_dscnt 0x0
	v_pk_mul_f32 v[112:113], v[110:111], v[108:109] op_sel:[1,1] op_sel_hi:[0,1]
	s_delay_alu instid0(VALU_DEP_1) | instskip(SKIP_1) | instid1(VALU_DEP_2)
	v_pk_fma_f32 v[114:115], v[110:111], v[108:109], v[112:113] op_sel_hi:[1,0,1]
	v_pk_fma_f32 v[108:109], v[110:111], v[108:109], v[112:113] neg_lo:[0,0,1] neg_hi:[0,0,1]
	v_mov_b32_e32 v109, v115
	s_delay_alu instid0(VALU_DEP_1)
	v_pk_add_f32 v[104:105], v[104:105], v[108:109]
	s_and_not1_b32 exec_lo, exec_lo, s0
	s_cbranch_execnz .LBB49_162
; %bb.163:
	s_or_b32 exec_lo, exec_lo, s0
.LBB49_164:
	s_delay_alu instid0(SALU_CYCLE_1) | instskip(SKIP_4) | instid1(VALU_DEP_1)
	s_or_b32 exec_lo, exec_lo, s23
	v_mov_b32_e32 v106, 0
	ds_load_b64 v[106:107], v106 offset:264
	s_wait_dscnt 0x0
	v_pk_mul_f32 v[108:109], v[104:105], v[106:107] op_sel:[1,1] op_sel_hi:[0,1]
	v_pk_fma_f32 v[110:111], v[104:105], v[106:107], v[108:109] op_sel_hi:[1,0,1]
	v_pk_fma_f32 v[104:105], v[104:105], v[106:107], v[108:109] neg_lo:[0,0,1] neg_hi:[0,0,1]
	s_delay_alu instid0(VALU_DEP_2)
	v_mov_b32_e32 v105, v111
	scratch_store_b64 off, v[104:105], off offset:264
.LBB49_165:
	s_wait_xcnt 0x0
	s_or_b32 exec_lo, exec_lo, s22
	scratch_load_b64 v[104:105], off, off offset:256
	v_cmp_lt_u32_e64 s0, 32, v0
	s_wait_loadcnt 0x0
	ds_store_b64 v1, v[104:105]
	s_wait_storecnt_dscnt 0x0
	s_barrier_signal -1
	s_barrier_wait -1
	s_wait_xcnt 0x0
	s_and_saveexec_b32 s21, s0
	s_cbranch_execz .LBB49_175
; %bb.166:
	s_and_not1_b32 vcc_lo, exec_lo, s3
	s_cbranch_vccnz .LBB49_168
; %bb.167:
	scratch_load_b64 v[104:105], v51, off
	ds_load_b64 v[106:107], v1
	s_wait_loadcnt_dscnt 0x0
	v_pk_mul_f32 v[108:109], v[106:107], v[104:105] op_sel:[1,1] op_sel_hi:[0,1]
	s_delay_alu instid0(VALU_DEP_1) | instskip(SKIP_1) | instid1(VALU_DEP_2)
	v_pk_fma_f32 v[110:111], v[106:107], v[104:105], v[108:109] op_sel_hi:[1,0,1]
	v_pk_fma_f32 v[104:105], v[106:107], v[104:105], v[108:109] neg_lo:[0,0,1] neg_hi:[0,0,1]
	v_mov_b32_e32 v105, v111
	s_cbranch_execz .LBB49_169
	s_branch .LBB49_170
.LBB49_168:
                                        ; implicit-def: $vgpr104_vgpr105
.LBB49_169:
	ds_load_b64 v[104:105], v1
.LBB49_170:
	s_and_saveexec_b32 s22, s1
	s_cbranch_execz .LBB49_174
; %bb.171:
	v_subrev_nc_u32_e32 v106, 33, v0
	s_movk_i32 s1, 0x108
	s_movk_i32 s24, 0x298
	s_mov_b32 s23, 0
.LBB49_172:                             ; =>This Inner Loop Header: Depth=1
	scratch_load_b64 v[108:109], off, s1
	v_dual_mov_b32 v107, s24 :: v_dual_add_nc_u32 v106, -1, v106
	s_add_co_i32 s24, s24, 8
	s_wait_xcnt 0x0
	s_add_co_i32 s1, s1, 8
	ds_load_b64 v[110:111], v107
	v_cmp_eq_u32_e32 vcc_lo, 0, v106
	s_or_b32 s23, vcc_lo, s23
	s_wait_loadcnt_dscnt 0x0
	v_pk_mul_f32 v[112:113], v[110:111], v[108:109] op_sel:[1,1] op_sel_hi:[0,1]
	s_delay_alu instid0(VALU_DEP_1) | instskip(SKIP_1) | instid1(VALU_DEP_2)
	v_pk_fma_f32 v[114:115], v[110:111], v[108:109], v[112:113] op_sel_hi:[1,0,1]
	v_pk_fma_f32 v[108:109], v[110:111], v[108:109], v[112:113] neg_lo:[0,0,1] neg_hi:[0,0,1]
	v_mov_b32_e32 v109, v115
	s_delay_alu instid0(VALU_DEP_1)
	v_pk_add_f32 v[104:105], v[104:105], v[108:109]
	s_and_not1_b32 exec_lo, exec_lo, s23
	s_cbranch_execnz .LBB49_172
; %bb.173:
	s_or_b32 exec_lo, exec_lo, s23
.LBB49_174:
	s_delay_alu instid0(SALU_CYCLE_1) | instskip(SKIP_4) | instid1(VALU_DEP_1)
	s_or_b32 exec_lo, exec_lo, s22
	v_mov_b32_e32 v106, 0
	ds_load_b64 v[106:107], v106 offset:256
	s_wait_dscnt 0x0
	v_pk_mul_f32 v[108:109], v[104:105], v[106:107] op_sel:[1,1] op_sel_hi:[0,1]
	v_pk_fma_f32 v[110:111], v[104:105], v[106:107], v[108:109] op_sel_hi:[1,0,1]
	v_pk_fma_f32 v[104:105], v[104:105], v[106:107], v[108:109] neg_lo:[0,0,1] neg_hi:[0,0,1]
	s_delay_alu instid0(VALU_DEP_2)
	v_mov_b32_e32 v105, v111
	scratch_store_b64 off, v[104:105], off offset:256
.LBB49_175:
	s_wait_xcnt 0x0
	s_or_b32 exec_lo, exec_lo, s21
	scratch_load_b64 v[104:105], off, off offset:248
	v_cmp_lt_u32_e64 s1, 31, v0
	s_wait_loadcnt 0x0
	ds_store_b64 v1, v[104:105]
	s_wait_storecnt_dscnt 0x0
	s_barrier_signal -1
	s_barrier_wait -1
	s_wait_xcnt 0x0
	s_and_saveexec_b32 s21, s1
	s_cbranch_execz .LBB49_185
; %bb.176:
	s_and_not1_b32 vcc_lo, exec_lo, s3
	s_cbranch_vccnz .LBB49_178
; %bb.177:
	scratch_load_b64 v[104:105], v51, off
	ds_load_b64 v[106:107], v1
	s_wait_loadcnt_dscnt 0x0
	v_pk_mul_f32 v[108:109], v[106:107], v[104:105] op_sel:[1,1] op_sel_hi:[0,1]
	s_delay_alu instid0(VALU_DEP_1) | instskip(SKIP_1) | instid1(VALU_DEP_2)
	v_pk_fma_f32 v[110:111], v[106:107], v[104:105], v[108:109] op_sel_hi:[1,0,1]
	v_pk_fma_f32 v[104:105], v[106:107], v[104:105], v[108:109] neg_lo:[0,0,1] neg_hi:[0,0,1]
	v_mov_b32_e32 v105, v111
	s_cbranch_execz .LBB49_179
	s_branch .LBB49_180
.LBB49_178:
                                        ; implicit-def: $vgpr104_vgpr105
.LBB49_179:
	ds_load_b64 v[104:105], v1
.LBB49_180:
	s_and_saveexec_b32 s22, s0
	s_cbranch_execz .LBB49_184
; %bb.181:
	v_subrev_nc_u32_e32 v106, 32, v0
	s_movk_i32 s23, 0x290
	s_mov_b32 s0, 0
.LBB49_182:                             ; =>This Inner Loop Header: Depth=1
	scratch_load_b64 v[108:109], off, s20
	v_dual_mov_b32 v107, s23 :: v_dual_add_nc_u32 v106, -1, v106
	s_add_co_i32 s23, s23, 8
	s_wait_xcnt 0x0
	s_add_co_i32 s20, s20, 8
	ds_load_b64 v[110:111], v107
	v_cmp_eq_u32_e32 vcc_lo, 0, v106
	s_or_b32 s0, vcc_lo, s0
	s_wait_loadcnt_dscnt 0x0
	v_pk_mul_f32 v[112:113], v[110:111], v[108:109] op_sel:[1,1] op_sel_hi:[0,1]
	s_delay_alu instid0(VALU_DEP_1) | instskip(SKIP_1) | instid1(VALU_DEP_2)
	v_pk_fma_f32 v[114:115], v[110:111], v[108:109], v[112:113] op_sel_hi:[1,0,1]
	v_pk_fma_f32 v[108:109], v[110:111], v[108:109], v[112:113] neg_lo:[0,0,1] neg_hi:[0,0,1]
	v_mov_b32_e32 v109, v115
	s_delay_alu instid0(VALU_DEP_1)
	v_pk_add_f32 v[104:105], v[104:105], v[108:109]
	s_and_not1_b32 exec_lo, exec_lo, s0
	s_cbranch_execnz .LBB49_182
; %bb.183:
	s_or_b32 exec_lo, exec_lo, s0
.LBB49_184:
	s_delay_alu instid0(SALU_CYCLE_1) | instskip(SKIP_4) | instid1(VALU_DEP_1)
	s_or_b32 exec_lo, exec_lo, s22
	v_mov_b32_e32 v106, 0
	ds_load_b64 v[106:107], v106 offset:248
	s_wait_dscnt 0x0
	v_pk_mul_f32 v[108:109], v[104:105], v[106:107] op_sel:[1,1] op_sel_hi:[0,1]
	v_pk_fma_f32 v[110:111], v[104:105], v[106:107], v[108:109] op_sel_hi:[1,0,1]
	v_pk_fma_f32 v[104:105], v[104:105], v[106:107], v[108:109] neg_lo:[0,0,1] neg_hi:[0,0,1]
	s_delay_alu instid0(VALU_DEP_2)
	v_mov_b32_e32 v105, v111
	scratch_store_b64 off, v[104:105], off offset:248
.LBB49_185:
	s_wait_xcnt 0x0
	s_or_b32 exec_lo, exec_lo, s21
	scratch_load_b64 v[104:105], off, off offset:240
	v_cmp_lt_u32_e64 s0, 30, v0
	s_wait_loadcnt 0x0
	ds_store_b64 v1, v[104:105]
	s_wait_storecnt_dscnt 0x0
	s_barrier_signal -1
	s_barrier_wait -1
	s_wait_xcnt 0x0
	s_and_saveexec_b32 s20, s0
	s_cbranch_execz .LBB49_195
; %bb.186:
	s_and_not1_b32 vcc_lo, exec_lo, s3
	s_cbranch_vccnz .LBB49_188
; %bb.187:
	scratch_load_b64 v[104:105], v51, off
	ds_load_b64 v[106:107], v1
	s_wait_loadcnt_dscnt 0x0
	v_pk_mul_f32 v[108:109], v[106:107], v[104:105] op_sel:[1,1] op_sel_hi:[0,1]
	s_delay_alu instid0(VALU_DEP_1) | instskip(SKIP_1) | instid1(VALU_DEP_2)
	v_pk_fma_f32 v[110:111], v[106:107], v[104:105], v[108:109] op_sel_hi:[1,0,1]
	v_pk_fma_f32 v[104:105], v[106:107], v[104:105], v[108:109] neg_lo:[0,0,1] neg_hi:[0,0,1]
	v_mov_b32_e32 v105, v111
	s_cbranch_execz .LBB49_189
	s_branch .LBB49_190
.LBB49_188:
                                        ; implicit-def: $vgpr104_vgpr105
.LBB49_189:
	ds_load_b64 v[104:105], v1
.LBB49_190:
	s_and_saveexec_b32 s21, s1
	s_cbranch_execz .LBB49_194
; %bb.191:
	v_subrev_nc_u32_e32 v106, 31, v0
	s_movk_i32 s1, 0xf8
	s_movk_i32 s23, 0x288
	s_mov_b32 s22, 0
.LBB49_192:                             ; =>This Inner Loop Header: Depth=1
	scratch_load_b64 v[108:109], off, s1
	v_dual_mov_b32 v107, s23 :: v_dual_add_nc_u32 v106, -1, v106
	s_add_co_i32 s23, s23, 8
	s_wait_xcnt 0x0
	s_add_co_i32 s1, s1, 8
	ds_load_b64 v[110:111], v107
	v_cmp_eq_u32_e32 vcc_lo, 0, v106
	s_or_b32 s22, vcc_lo, s22
	s_wait_loadcnt_dscnt 0x0
	v_pk_mul_f32 v[112:113], v[110:111], v[108:109] op_sel:[1,1] op_sel_hi:[0,1]
	s_delay_alu instid0(VALU_DEP_1) | instskip(SKIP_1) | instid1(VALU_DEP_2)
	v_pk_fma_f32 v[114:115], v[110:111], v[108:109], v[112:113] op_sel_hi:[1,0,1]
	v_pk_fma_f32 v[108:109], v[110:111], v[108:109], v[112:113] neg_lo:[0,0,1] neg_hi:[0,0,1]
	v_mov_b32_e32 v109, v115
	s_delay_alu instid0(VALU_DEP_1)
	v_pk_add_f32 v[104:105], v[104:105], v[108:109]
	s_and_not1_b32 exec_lo, exec_lo, s22
	s_cbranch_execnz .LBB49_192
; %bb.193:
	s_or_b32 exec_lo, exec_lo, s22
.LBB49_194:
	s_delay_alu instid0(SALU_CYCLE_1) | instskip(SKIP_4) | instid1(VALU_DEP_1)
	s_or_b32 exec_lo, exec_lo, s21
	v_mov_b32_e32 v106, 0
	ds_load_b64 v[106:107], v106 offset:240
	s_wait_dscnt 0x0
	v_pk_mul_f32 v[108:109], v[104:105], v[106:107] op_sel:[1,1] op_sel_hi:[0,1]
	v_pk_fma_f32 v[110:111], v[104:105], v[106:107], v[108:109] op_sel_hi:[1,0,1]
	v_pk_fma_f32 v[104:105], v[104:105], v[106:107], v[108:109] neg_lo:[0,0,1] neg_hi:[0,0,1]
	s_delay_alu instid0(VALU_DEP_2)
	v_mov_b32_e32 v105, v111
	scratch_store_b64 off, v[104:105], off offset:240
.LBB49_195:
	s_wait_xcnt 0x0
	s_or_b32 exec_lo, exec_lo, s20
	scratch_load_b64 v[104:105], off, off offset:232
	v_cmp_lt_u32_e64 s1, 29, v0
	s_wait_loadcnt 0x0
	ds_store_b64 v1, v[104:105]
	s_wait_storecnt_dscnt 0x0
	s_barrier_signal -1
	s_barrier_wait -1
	s_wait_xcnt 0x0
	s_and_saveexec_b32 s20, s1
	s_cbranch_execz .LBB49_205
; %bb.196:
	s_and_not1_b32 vcc_lo, exec_lo, s3
	s_cbranch_vccnz .LBB49_198
; %bb.197:
	scratch_load_b64 v[104:105], v51, off
	ds_load_b64 v[106:107], v1
	s_wait_loadcnt_dscnt 0x0
	v_pk_mul_f32 v[108:109], v[106:107], v[104:105] op_sel:[1,1] op_sel_hi:[0,1]
	s_delay_alu instid0(VALU_DEP_1) | instskip(SKIP_1) | instid1(VALU_DEP_2)
	v_pk_fma_f32 v[110:111], v[106:107], v[104:105], v[108:109] op_sel_hi:[1,0,1]
	v_pk_fma_f32 v[104:105], v[106:107], v[104:105], v[108:109] neg_lo:[0,0,1] neg_hi:[0,0,1]
	v_mov_b32_e32 v105, v111
	s_cbranch_execz .LBB49_199
	s_branch .LBB49_200
.LBB49_198:
                                        ; implicit-def: $vgpr104_vgpr105
.LBB49_199:
	ds_load_b64 v[104:105], v1
.LBB49_200:
	s_and_saveexec_b32 s21, s0
	s_cbranch_execz .LBB49_204
; %bb.201:
	v_subrev_nc_u32_e32 v106, 30, v0
	s_movk_i32 s22, 0x280
	s_mov_b32 s0, 0
.LBB49_202:                             ; =>This Inner Loop Header: Depth=1
	scratch_load_b64 v[108:109], off, s19
	v_dual_mov_b32 v107, s22 :: v_dual_add_nc_u32 v106, -1, v106
	s_add_co_i32 s22, s22, 8
	s_wait_xcnt 0x0
	s_add_co_i32 s19, s19, 8
	ds_load_b64 v[110:111], v107
	v_cmp_eq_u32_e32 vcc_lo, 0, v106
	s_or_b32 s0, vcc_lo, s0
	s_wait_loadcnt_dscnt 0x0
	v_pk_mul_f32 v[112:113], v[110:111], v[108:109] op_sel:[1,1] op_sel_hi:[0,1]
	s_delay_alu instid0(VALU_DEP_1) | instskip(SKIP_1) | instid1(VALU_DEP_2)
	v_pk_fma_f32 v[114:115], v[110:111], v[108:109], v[112:113] op_sel_hi:[1,0,1]
	v_pk_fma_f32 v[108:109], v[110:111], v[108:109], v[112:113] neg_lo:[0,0,1] neg_hi:[0,0,1]
	v_mov_b32_e32 v109, v115
	s_delay_alu instid0(VALU_DEP_1)
	v_pk_add_f32 v[104:105], v[104:105], v[108:109]
	s_and_not1_b32 exec_lo, exec_lo, s0
	s_cbranch_execnz .LBB49_202
; %bb.203:
	s_or_b32 exec_lo, exec_lo, s0
.LBB49_204:
	s_delay_alu instid0(SALU_CYCLE_1) | instskip(SKIP_4) | instid1(VALU_DEP_1)
	s_or_b32 exec_lo, exec_lo, s21
	v_mov_b32_e32 v106, 0
	ds_load_b64 v[106:107], v106 offset:232
	s_wait_dscnt 0x0
	v_pk_mul_f32 v[108:109], v[104:105], v[106:107] op_sel:[1,1] op_sel_hi:[0,1]
	v_pk_fma_f32 v[110:111], v[104:105], v[106:107], v[108:109] op_sel_hi:[1,0,1]
	v_pk_fma_f32 v[104:105], v[104:105], v[106:107], v[108:109] neg_lo:[0,0,1] neg_hi:[0,0,1]
	s_delay_alu instid0(VALU_DEP_2)
	v_mov_b32_e32 v105, v111
	scratch_store_b64 off, v[104:105], off offset:232
.LBB49_205:
	s_wait_xcnt 0x0
	s_or_b32 exec_lo, exec_lo, s20
	scratch_load_b64 v[104:105], off, off offset:224
	v_cmp_lt_u32_e64 s0, 28, v0
	s_wait_loadcnt 0x0
	ds_store_b64 v1, v[104:105]
	s_wait_storecnt_dscnt 0x0
	s_barrier_signal -1
	s_barrier_wait -1
	s_wait_xcnt 0x0
	s_and_saveexec_b32 s19, s0
	s_cbranch_execz .LBB49_215
; %bb.206:
	s_and_not1_b32 vcc_lo, exec_lo, s3
	s_cbranch_vccnz .LBB49_208
; %bb.207:
	scratch_load_b64 v[104:105], v51, off
	ds_load_b64 v[106:107], v1
	s_wait_loadcnt_dscnt 0x0
	v_pk_mul_f32 v[108:109], v[106:107], v[104:105] op_sel:[1,1] op_sel_hi:[0,1]
	s_delay_alu instid0(VALU_DEP_1) | instskip(SKIP_1) | instid1(VALU_DEP_2)
	v_pk_fma_f32 v[110:111], v[106:107], v[104:105], v[108:109] op_sel_hi:[1,0,1]
	v_pk_fma_f32 v[104:105], v[106:107], v[104:105], v[108:109] neg_lo:[0,0,1] neg_hi:[0,0,1]
	v_mov_b32_e32 v105, v111
	s_cbranch_execz .LBB49_209
	s_branch .LBB49_210
.LBB49_208:
                                        ; implicit-def: $vgpr104_vgpr105
.LBB49_209:
	ds_load_b64 v[104:105], v1
.LBB49_210:
	s_and_saveexec_b32 s20, s1
	s_cbranch_execz .LBB49_214
; %bb.211:
	v_subrev_nc_u32_e32 v106, 29, v0
	s_movk_i32 s1, 0xe8
	s_movk_i32 s22, 0x278
	s_mov_b32 s21, 0
.LBB49_212:                             ; =>This Inner Loop Header: Depth=1
	scratch_load_b64 v[108:109], off, s1
	v_dual_mov_b32 v107, s22 :: v_dual_add_nc_u32 v106, -1, v106
	s_add_co_i32 s22, s22, 8
	s_wait_xcnt 0x0
	s_add_co_i32 s1, s1, 8
	ds_load_b64 v[110:111], v107
	v_cmp_eq_u32_e32 vcc_lo, 0, v106
	s_or_b32 s21, vcc_lo, s21
	s_wait_loadcnt_dscnt 0x0
	v_pk_mul_f32 v[112:113], v[110:111], v[108:109] op_sel:[1,1] op_sel_hi:[0,1]
	s_delay_alu instid0(VALU_DEP_1) | instskip(SKIP_1) | instid1(VALU_DEP_2)
	v_pk_fma_f32 v[114:115], v[110:111], v[108:109], v[112:113] op_sel_hi:[1,0,1]
	v_pk_fma_f32 v[108:109], v[110:111], v[108:109], v[112:113] neg_lo:[0,0,1] neg_hi:[0,0,1]
	v_mov_b32_e32 v109, v115
	s_delay_alu instid0(VALU_DEP_1)
	v_pk_add_f32 v[104:105], v[104:105], v[108:109]
	s_and_not1_b32 exec_lo, exec_lo, s21
	s_cbranch_execnz .LBB49_212
; %bb.213:
	s_or_b32 exec_lo, exec_lo, s21
.LBB49_214:
	s_delay_alu instid0(SALU_CYCLE_1) | instskip(SKIP_4) | instid1(VALU_DEP_1)
	s_or_b32 exec_lo, exec_lo, s20
	v_mov_b32_e32 v106, 0
	ds_load_b64 v[106:107], v106 offset:224
	s_wait_dscnt 0x0
	v_pk_mul_f32 v[108:109], v[104:105], v[106:107] op_sel:[1,1] op_sel_hi:[0,1]
	v_pk_fma_f32 v[110:111], v[104:105], v[106:107], v[108:109] op_sel_hi:[1,0,1]
	v_pk_fma_f32 v[104:105], v[104:105], v[106:107], v[108:109] neg_lo:[0,0,1] neg_hi:[0,0,1]
	s_delay_alu instid0(VALU_DEP_2)
	v_mov_b32_e32 v105, v111
	scratch_store_b64 off, v[104:105], off offset:224
.LBB49_215:
	s_wait_xcnt 0x0
	s_or_b32 exec_lo, exec_lo, s19
	scratch_load_b64 v[104:105], off, off offset:216
	v_cmp_lt_u32_e64 s1, 27, v0
	s_wait_loadcnt 0x0
	ds_store_b64 v1, v[104:105]
	s_wait_storecnt_dscnt 0x0
	s_barrier_signal -1
	s_barrier_wait -1
	s_wait_xcnt 0x0
	s_and_saveexec_b32 s19, s1
	s_cbranch_execz .LBB49_225
; %bb.216:
	s_and_not1_b32 vcc_lo, exec_lo, s3
	s_cbranch_vccnz .LBB49_218
; %bb.217:
	scratch_load_b64 v[104:105], v51, off
	ds_load_b64 v[106:107], v1
	s_wait_loadcnt_dscnt 0x0
	v_pk_mul_f32 v[108:109], v[106:107], v[104:105] op_sel:[1,1] op_sel_hi:[0,1]
	s_delay_alu instid0(VALU_DEP_1) | instskip(SKIP_1) | instid1(VALU_DEP_2)
	v_pk_fma_f32 v[110:111], v[106:107], v[104:105], v[108:109] op_sel_hi:[1,0,1]
	v_pk_fma_f32 v[104:105], v[106:107], v[104:105], v[108:109] neg_lo:[0,0,1] neg_hi:[0,0,1]
	v_mov_b32_e32 v105, v111
	s_cbranch_execz .LBB49_219
	s_branch .LBB49_220
.LBB49_218:
                                        ; implicit-def: $vgpr104_vgpr105
.LBB49_219:
	ds_load_b64 v[104:105], v1
.LBB49_220:
	s_and_saveexec_b32 s20, s0
	s_cbranch_execz .LBB49_224
; %bb.221:
	v_subrev_nc_u32_e32 v106, 28, v0
	s_movk_i32 s21, 0x270
	s_mov_b32 s0, 0
.LBB49_222:                             ; =>This Inner Loop Header: Depth=1
	scratch_load_b64 v[108:109], off, s18
	v_dual_mov_b32 v107, s21 :: v_dual_add_nc_u32 v106, -1, v106
	s_add_co_i32 s21, s21, 8
	s_wait_xcnt 0x0
	s_add_co_i32 s18, s18, 8
	ds_load_b64 v[110:111], v107
	v_cmp_eq_u32_e32 vcc_lo, 0, v106
	s_or_b32 s0, vcc_lo, s0
	s_wait_loadcnt_dscnt 0x0
	v_pk_mul_f32 v[112:113], v[110:111], v[108:109] op_sel:[1,1] op_sel_hi:[0,1]
	s_delay_alu instid0(VALU_DEP_1) | instskip(SKIP_1) | instid1(VALU_DEP_2)
	v_pk_fma_f32 v[114:115], v[110:111], v[108:109], v[112:113] op_sel_hi:[1,0,1]
	v_pk_fma_f32 v[108:109], v[110:111], v[108:109], v[112:113] neg_lo:[0,0,1] neg_hi:[0,0,1]
	v_mov_b32_e32 v109, v115
	s_delay_alu instid0(VALU_DEP_1)
	v_pk_add_f32 v[104:105], v[104:105], v[108:109]
	s_and_not1_b32 exec_lo, exec_lo, s0
	s_cbranch_execnz .LBB49_222
; %bb.223:
	s_or_b32 exec_lo, exec_lo, s0
.LBB49_224:
	s_delay_alu instid0(SALU_CYCLE_1) | instskip(SKIP_4) | instid1(VALU_DEP_1)
	s_or_b32 exec_lo, exec_lo, s20
	v_mov_b32_e32 v106, 0
	ds_load_b64 v[106:107], v106 offset:216
	s_wait_dscnt 0x0
	v_pk_mul_f32 v[108:109], v[104:105], v[106:107] op_sel:[1,1] op_sel_hi:[0,1]
	v_pk_fma_f32 v[110:111], v[104:105], v[106:107], v[108:109] op_sel_hi:[1,0,1]
	v_pk_fma_f32 v[104:105], v[104:105], v[106:107], v[108:109] neg_lo:[0,0,1] neg_hi:[0,0,1]
	s_delay_alu instid0(VALU_DEP_2)
	v_mov_b32_e32 v105, v111
	scratch_store_b64 off, v[104:105], off offset:216
.LBB49_225:
	s_wait_xcnt 0x0
	s_or_b32 exec_lo, exec_lo, s19
	scratch_load_b64 v[104:105], off, off offset:208
	v_cmp_lt_u32_e64 s0, 26, v0
	s_wait_loadcnt 0x0
	ds_store_b64 v1, v[104:105]
	s_wait_storecnt_dscnt 0x0
	s_barrier_signal -1
	s_barrier_wait -1
	s_wait_xcnt 0x0
	s_and_saveexec_b32 s18, s0
	s_cbranch_execz .LBB49_235
; %bb.226:
	s_and_not1_b32 vcc_lo, exec_lo, s3
	s_cbranch_vccnz .LBB49_228
; %bb.227:
	scratch_load_b64 v[104:105], v51, off
	ds_load_b64 v[106:107], v1
	s_wait_loadcnt_dscnt 0x0
	v_pk_mul_f32 v[108:109], v[106:107], v[104:105] op_sel:[1,1] op_sel_hi:[0,1]
	s_delay_alu instid0(VALU_DEP_1) | instskip(SKIP_1) | instid1(VALU_DEP_2)
	v_pk_fma_f32 v[110:111], v[106:107], v[104:105], v[108:109] op_sel_hi:[1,0,1]
	v_pk_fma_f32 v[104:105], v[106:107], v[104:105], v[108:109] neg_lo:[0,0,1] neg_hi:[0,0,1]
	v_mov_b32_e32 v105, v111
	s_cbranch_execz .LBB49_229
	s_branch .LBB49_230
.LBB49_228:
                                        ; implicit-def: $vgpr104_vgpr105
.LBB49_229:
	ds_load_b64 v[104:105], v1
.LBB49_230:
	s_and_saveexec_b32 s19, s1
	s_cbranch_execz .LBB49_234
; %bb.231:
	v_subrev_nc_u32_e32 v106, 27, v0
	s_movk_i32 s1, 0xd8
	s_movk_i32 s21, 0x268
	s_mov_b32 s20, 0
.LBB49_232:                             ; =>This Inner Loop Header: Depth=1
	scratch_load_b64 v[108:109], off, s1
	v_dual_mov_b32 v107, s21 :: v_dual_add_nc_u32 v106, -1, v106
	s_add_co_i32 s21, s21, 8
	s_wait_xcnt 0x0
	s_add_co_i32 s1, s1, 8
	ds_load_b64 v[110:111], v107
	v_cmp_eq_u32_e32 vcc_lo, 0, v106
	s_or_b32 s20, vcc_lo, s20
	s_wait_loadcnt_dscnt 0x0
	v_pk_mul_f32 v[112:113], v[110:111], v[108:109] op_sel:[1,1] op_sel_hi:[0,1]
	s_delay_alu instid0(VALU_DEP_1) | instskip(SKIP_1) | instid1(VALU_DEP_2)
	v_pk_fma_f32 v[114:115], v[110:111], v[108:109], v[112:113] op_sel_hi:[1,0,1]
	v_pk_fma_f32 v[108:109], v[110:111], v[108:109], v[112:113] neg_lo:[0,0,1] neg_hi:[0,0,1]
	v_mov_b32_e32 v109, v115
	s_delay_alu instid0(VALU_DEP_1)
	v_pk_add_f32 v[104:105], v[104:105], v[108:109]
	s_and_not1_b32 exec_lo, exec_lo, s20
	s_cbranch_execnz .LBB49_232
; %bb.233:
	s_or_b32 exec_lo, exec_lo, s20
.LBB49_234:
	s_delay_alu instid0(SALU_CYCLE_1) | instskip(SKIP_4) | instid1(VALU_DEP_1)
	s_or_b32 exec_lo, exec_lo, s19
	v_mov_b32_e32 v106, 0
	ds_load_b64 v[106:107], v106 offset:208
	s_wait_dscnt 0x0
	v_pk_mul_f32 v[108:109], v[104:105], v[106:107] op_sel:[1,1] op_sel_hi:[0,1]
	v_pk_fma_f32 v[110:111], v[104:105], v[106:107], v[108:109] op_sel_hi:[1,0,1]
	v_pk_fma_f32 v[104:105], v[104:105], v[106:107], v[108:109] neg_lo:[0,0,1] neg_hi:[0,0,1]
	s_delay_alu instid0(VALU_DEP_2)
	v_mov_b32_e32 v105, v111
	scratch_store_b64 off, v[104:105], off offset:208
.LBB49_235:
	s_wait_xcnt 0x0
	s_or_b32 exec_lo, exec_lo, s18
	scratch_load_b64 v[104:105], off, off offset:200
	v_cmp_lt_u32_e64 s1, 25, v0
	s_wait_loadcnt 0x0
	ds_store_b64 v1, v[104:105]
	s_wait_storecnt_dscnt 0x0
	s_barrier_signal -1
	s_barrier_wait -1
	s_wait_xcnt 0x0
	s_and_saveexec_b32 s18, s1
	s_cbranch_execz .LBB49_245
; %bb.236:
	s_and_not1_b32 vcc_lo, exec_lo, s3
	s_cbranch_vccnz .LBB49_238
; %bb.237:
	scratch_load_b64 v[104:105], v51, off
	ds_load_b64 v[106:107], v1
	s_wait_loadcnt_dscnt 0x0
	v_pk_mul_f32 v[108:109], v[106:107], v[104:105] op_sel:[1,1] op_sel_hi:[0,1]
	s_delay_alu instid0(VALU_DEP_1) | instskip(SKIP_1) | instid1(VALU_DEP_2)
	v_pk_fma_f32 v[110:111], v[106:107], v[104:105], v[108:109] op_sel_hi:[1,0,1]
	v_pk_fma_f32 v[104:105], v[106:107], v[104:105], v[108:109] neg_lo:[0,0,1] neg_hi:[0,0,1]
	v_mov_b32_e32 v105, v111
	s_cbranch_execz .LBB49_239
	s_branch .LBB49_240
.LBB49_238:
                                        ; implicit-def: $vgpr104_vgpr105
.LBB49_239:
	ds_load_b64 v[104:105], v1
.LBB49_240:
	s_and_saveexec_b32 s19, s0
	s_cbranch_execz .LBB49_244
; %bb.241:
	v_subrev_nc_u32_e32 v106, 26, v0
	s_movk_i32 s20, 0x260
	s_mov_b32 s0, 0
.LBB49_242:                             ; =>This Inner Loop Header: Depth=1
	scratch_load_b64 v[108:109], off, s17
	v_dual_mov_b32 v107, s20 :: v_dual_add_nc_u32 v106, -1, v106
	s_add_co_i32 s20, s20, 8
	s_wait_xcnt 0x0
	s_add_co_i32 s17, s17, 8
	ds_load_b64 v[110:111], v107
	v_cmp_eq_u32_e32 vcc_lo, 0, v106
	s_or_b32 s0, vcc_lo, s0
	s_wait_loadcnt_dscnt 0x0
	v_pk_mul_f32 v[112:113], v[110:111], v[108:109] op_sel:[1,1] op_sel_hi:[0,1]
	s_delay_alu instid0(VALU_DEP_1) | instskip(SKIP_1) | instid1(VALU_DEP_2)
	v_pk_fma_f32 v[114:115], v[110:111], v[108:109], v[112:113] op_sel_hi:[1,0,1]
	v_pk_fma_f32 v[108:109], v[110:111], v[108:109], v[112:113] neg_lo:[0,0,1] neg_hi:[0,0,1]
	v_mov_b32_e32 v109, v115
	s_delay_alu instid0(VALU_DEP_1)
	v_pk_add_f32 v[104:105], v[104:105], v[108:109]
	s_and_not1_b32 exec_lo, exec_lo, s0
	s_cbranch_execnz .LBB49_242
; %bb.243:
	s_or_b32 exec_lo, exec_lo, s0
.LBB49_244:
	s_delay_alu instid0(SALU_CYCLE_1) | instskip(SKIP_4) | instid1(VALU_DEP_1)
	s_or_b32 exec_lo, exec_lo, s19
	v_mov_b32_e32 v106, 0
	ds_load_b64 v[106:107], v106 offset:200
	s_wait_dscnt 0x0
	v_pk_mul_f32 v[108:109], v[104:105], v[106:107] op_sel:[1,1] op_sel_hi:[0,1]
	v_pk_fma_f32 v[110:111], v[104:105], v[106:107], v[108:109] op_sel_hi:[1,0,1]
	v_pk_fma_f32 v[104:105], v[104:105], v[106:107], v[108:109] neg_lo:[0,0,1] neg_hi:[0,0,1]
	s_delay_alu instid0(VALU_DEP_2)
	v_mov_b32_e32 v105, v111
	scratch_store_b64 off, v[104:105], off offset:200
.LBB49_245:
	s_wait_xcnt 0x0
	s_or_b32 exec_lo, exec_lo, s18
	scratch_load_b64 v[104:105], off, off offset:192
	v_cmp_lt_u32_e64 s0, 24, v0
	s_wait_loadcnt 0x0
	ds_store_b64 v1, v[104:105]
	s_wait_storecnt_dscnt 0x0
	s_barrier_signal -1
	s_barrier_wait -1
	s_wait_xcnt 0x0
	s_and_saveexec_b32 s17, s0
	s_cbranch_execz .LBB49_255
; %bb.246:
	s_and_not1_b32 vcc_lo, exec_lo, s3
	s_cbranch_vccnz .LBB49_248
; %bb.247:
	scratch_load_b64 v[104:105], v51, off
	ds_load_b64 v[106:107], v1
	s_wait_loadcnt_dscnt 0x0
	v_pk_mul_f32 v[108:109], v[106:107], v[104:105] op_sel:[1,1] op_sel_hi:[0,1]
	s_delay_alu instid0(VALU_DEP_1) | instskip(SKIP_1) | instid1(VALU_DEP_2)
	v_pk_fma_f32 v[110:111], v[106:107], v[104:105], v[108:109] op_sel_hi:[1,0,1]
	v_pk_fma_f32 v[104:105], v[106:107], v[104:105], v[108:109] neg_lo:[0,0,1] neg_hi:[0,0,1]
	v_mov_b32_e32 v105, v111
	s_cbranch_execz .LBB49_249
	s_branch .LBB49_250
.LBB49_248:
                                        ; implicit-def: $vgpr104_vgpr105
.LBB49_249:
	ds_load_b64 v[104:105], v1
.LBB49_250:
	s_and_saveexec_b32 s18, s1
	s_cbranch_execz .LBB49_254
; %bb.251:
	v_subrev_nc_u32_e32 v106, 25, v0
	s_movk_i32 s1, 0xc8
	s_movk_i32 s20, 0x258
	s_mov_b32 s19, 0
.LBB49_252:                             ; =>This Inner Loop Header: Depth=1
	scratch_load_b64 v[108:109], off, s1
	v_dual_mov_b32 v107, s20 :: v_dual_add_nc_u32 v106, -1, v106
	s_add_co_i32 s20, s20, 8
	s_wait_xcnt 0x0
	s_add_co_i32 s1, s1, 8
	ds_load_b64 v[110:111], v107
	v_cmp_eq_u32_e32 vcc_lo, 0, v106
	s_or_b32 s19, vcc_lo, s19
	s_wait_loadcnt_dscnt 0x0
	v_pk_mul_f32 v[112:113], v[110:111], v[108:109] op_sel:[1,1] op_sel_hi:[0,1]
	s_delay_alu instid0(VALU_DEP_1) | instskip(SKIP_1) | instid1(VALU_DEP_2)
	v_pk_fma_f32 v[114:115], v[110:111], v[108:109], v[112:113] op_sel_hi:[1,0,1]
	v_pk_fma_f32 v[108:109], v[110:111], v[108:109], v[112:113] neg_lo:[0,0,1] neg_hi:[0,0,1]
	v_mov_b32_e32 v109, v115
	s_delay_alu instid0(VALU_DEP_1)
	v_pk_add_f32 v[104:105], v[104:105], v[108:109]
	s_and_not1_b32 exec_lo, exec_lo, s19
	s_cbranch_execnz .LBB49_252
; %bb.253:
	s_or_b32 exec_lo, exec_lo, s19
.LBB49_254:
	s_delay_alu instid0(SALU_CYCLE_1) | instskip(SKIP_4) | instid1(VALU_DEP_1)
	s_or_b32 exec_lo, exec_lo, s18
	v_mov_b32_e32 v106, 0
	ds_load_b64 v[106:107], v106 offset:192
	s_wait_dscnt 0x0
	v_pk_mul_f32 v[108:109], v[104:105], v[106:107] op_sel:[1,1] op_sel_hi:[0,1]
	v_pk_fma_f32 v[110:111], v[104:105], v[106:107], v[108:109] op_sel_hi:[1,0,1]
	v_pk_fma_f32 v[104:105], v[104:105], v[106:107], v[108:109] neg_lo:[0,0,1] neg_hi:[0,0,1]
	s_delay_alu instid0(VALU_DEP_2)
	v_mov_b32_e32 v105, v111
	scratch_store_b64 off, v[104:105], off offset:192
.LBB49_255:
	s_wait_xcnt 0x0
	s_or_b32 exec_lo, exec_lo, s17
	scratch_load_b64 v[104:105], off, off offset:184
	v_cmp_lt_u32_e64 s1, 23, v0
	s_wait_loadcnt 0x0
	ds_store_b64 v1, v[104:105]
	s_wait_storecnt_dscnt 0x0
	s_barrier_signal -1
	s_barrier_wait -1
	s_wait_xcnt 0x0
	s_and_saveexec_b32 s17, s1
	s_cbranch_execz .LBB49_265
; %bb.256:
	s_and_not1_b32 vcc_lo, exec_lo, s3
	s_cbranch_vccnz .LBB49_258
; %bb.257:
	scratch_load_b64 v[104:105], v51, off
	ds_load_b64 v[106:107], v1
	s_wait_loadcnt_dscnt 0x0
	v_pk_mul_f32 v[108:109], v[106:107], v[104:105] op_sel:[1,1] op_sel_hi:[0,1]
	s_delay_alu instid0(VALU_DEP_1) | instskip(SKIP_1) | instid1(VALU_DEP_2)
	v_pk_fma_f32 v[110:111], v[106:107], v[104:105], v[108:109] op_sel_hi:[1,0,1]
	v_pk_fma_f32 v[104:105], v[106:107], v[104:105], v[108:109] neg_lo:[0,0,1] neg_hi:[0,0,1]
	v_mov_b32_e32 v105, v111
	s_cbranch_execz .LBB49_259
	s_branch .LBB49_260
.LBB49_258:
                                        ; implicit-def: $vgpr104_vgpr105
.LBB49_259:
	ds_load_b64 v[104:105], v1
.LBB49_260:
	s_and_saveexec_b32 s18, s0
	s_cbranch_execz .LBB49_264
; %bb.261:
	v_subrev_nc_u32_e32 v106, 24, v0
	s_movk_i32 s19, 0x250
	s_mov_b32 s0, 0
.LBB49_262:                             ; =>This Inner Loop Header: Depth=1
	scratch_load_b64 v[108:109], off, s16
	v_dual_mov_b32 v107, s19 :: v_dual_add_nc_u32 v106, -1, v106
	s_add_co_i32 s19, s19, 8
	s_wait_xcnt 0x0
	s_add_co_i32 s16, s16, 8
	ds_load_b64 v[110:111], v107
	v_cmp_eq_u32_e32 vcc_lo, 0, v106
	s_or_b32 s0, vcc_lo, s0
	s_wait_loadcnt_dscnt 0x0
	v_pk_mul_f32 v[112:113], v[110:111], v[108:109] op_sel:[1,1] op_sel_hi:[0,1]
	s_delay_alu instid0(VALU_DEP_1) | instskip(SKIP_1) | instid1(VALU_DEP_2)
	v_pk_fma_f32 v[114:115], v[110:111], v[108:109], v[112:113] op_sel_hi:[1,0,1]
	v_pk_fma_f32 v[108:109], v[110:111], v[108:109], v[112:113] neg_lo:[0,0,1] neg_hi:[0,0,1]
	v_mov_b32_e32 v109, v115
	s_delay_alu instid0(VALU_DEP_1)
	v_pk_add_f32 v[104:105], v[104:105], v[108:109]
	s_and_not1_b32 exec_lo, exec_lo, s0
	s_cbranch_execnz .LBB49_262
; %bb.263:
	s_or_b32 exec_lo, exec_lo, s0
.LBB49_264:
	s_delay_alu instid0(SALU_CYCLE_1) | instskip(SKIP_4) | instid1(VALU_DEP_1)
	s_or_b32 exec_lo, exec_lo, s18
	v_mov_b32_e32 v106, 0
	ds_load_b64 v[106:107], v106 offset:184
	s_wait_dscnt 0x0
	v_pk_mul_f32 v[108:109], v[104:105], v[106:107] op_sel:[1,1] op_sel_hi:[0,1]
	v_pk_fma_f32 v[110:111], v[104:105], v[106:107], v[108:109] op_sel_hi:[1,0,1]
	v_pk_fma_f32 v[104:105], v[104:105], v[106:107], v[108:109] neg_lo:[0,0,1] neg_hi:[0,0,1]
	s_delay_alu instid0(VALU_DEP_2)
	v_mov_b32_e32 v105, v111
	scratch_store_b64 off, v[104:105], off offset:184
.LBB49_265:
	s_wait_xcnt 0x0
	s_or_b32 exec_lo, exec_lo, s17
	scratch_load_b64 v[104:105], off, off offset:176
	v_cmp_lt_u32_e64 s0, 22, v0
	s_wait_loadcnt 0x0
	ds_store_b64 v1, v[104:105]
	s_wait_storecnt_dscnt 0x0
	s_barrier_signal -1
	s_barrier_wait -1
	s_wait_xcnt 0x0
	s_and_saveexec_b32 s16, s0
	s_cbranch_execz .LBB49_275
; %bb.266:
	s_and_not1_b32 vcc_lo, exec_lo, s3
	s_cbranch_vccnz .LBB49_268
; %bb.267:
	scratch_load_b64 v[104:105], v51, off
	ds_load_b64 v[106:107], v1
	s_wait_loadcnt_dscnt 0x0
	v_pk_mul_f32 v[108:109], v[106:107], v[104:105] op_sel:[1,1] op_sel_hi:[0,1]
	s_delay_alu instid0(VALU_DEP_1) | instskip(SKIP_1) | instid1(VALU_DEP_2)
	v_pk_fma_f32 v[110:111], v[106:107], v[104:105], v[108:109] op_sel_hi:[1,0,1]
	v_pk_fma_f32 v[104:105], v[106:107], v[104:105], v[108:109] neg_lo:[0,0,1] neg_hi:[0,0,1]
	v_mov_b32_e32 v105, v111
	s_cbranch_execz .LBB49_269
	s_branch .LBB49_270
.LBB49_268:
                                        ; implicit-def: $vgpr104_vgpr105
.LBB49_269:
	ds_load_b64 v[104:105], v1
.LBB49_270:
	s_and_saveexec_b32 s17, s1
	s_cbranch_execz .LBB49_274
; %bb.271:
	v_subrev_nc_u32_e32 v106, 23, v0
	s_movk_i32 s1, 0xb8
	s_movk_i32 s19, 0x248
	s_mov_b32 s18, 0
.LBB49_272:                             ; =>This Inner Loop Header: Depth=1
	scratch_load_b64 v[108:109], off, s1
	v_dual_mov_b32 v107, s19 :: v_dual_add_nc_u32 v106, -1, v106
	s_add_co_i32 s19, s19, 8
	s_wait_xcnt 0x0
	s_add_co_i32 s1, s1, 8
	ds_load_b64 v[110:111], v107
	v_cmp_eq_u32_e32 vcc_lo, 0, v106
	s_or_b32 s18, vcc_lo, s18
	s_wait_loadcnt_dscnt 0x0
	v_pk_mul_f32 v[112:113], v[110:111], v[108:109] op_sel:[1,1] op_sel_hi:[0,1]
	s_delay_alu instid0(VALU_DEP_1) | instskip(SKIP_1) | instid1(VALU_DEP_2)
	v_pk_fma_f32 v[114:115], v[110:111], v[108:109], v[112:113] op_sel_hi:[1,0,1]
	v_pk_fma_f32 v[108:109], v[110:111], v[108:109], v[112:113] neg_lo:[0,0,1] neg_hi:[0,0,1]
	v_mov_b32_e32 v109, v115
	s_delay_alu instid0(VALU_DEP_1)
	v_pk_add_f32 v[104:105], v[104:105], v[108:109]
	s_and_not1_b32 exec_lo, exec_lo, s18
	s_cbranch_execnz .LBB49_272
; %bb.273:
	s_or_b32 exec_lo, exec_lo, s18
.LBB49_274:
	s_delay_alu instid0(SALU_CYCLE_1) | instskip(SKIP_4) | instid1(VALU_DEP_1)
	s_or_b32 exec_lo, exec_lo, s17
	v_mov_b32_e32 v106, 0
	ds_load_b64 v[106:107], v106 offset:176
	s_wait_dscnt 0x0
	v_pk_mul_f32 v[108:109], v[104:105], v[106:107] op_sel:[1,1] op_sel_hi:[0,1]
	v_pk_fma_f32 v[110:111], v[104:105], v[106:107], v[108:109] op_sel_hi:[1,0,1]
	v_pk_fma_f32 v[104:105], v[104:105], v[106:107], v[108:109] neg_lo:[0,0,1] neg_hi:[0,0,1]
	s_delay_alu instid0(VALU_DEP_2)
	v_mov_b32_e32 v105, v111
	scratch_store_b64 off, v[104:105], off offset:176
.LBB49_275:
	s_wait_xcnt 0x0
	s_or_b32 exec_lo, exec_lo, s16
	scratch_load_b64 v[104:105], off, off offset:168
	v_cmp_lt_u32_e64 s1, 21, v0
	s_wait_loadcnt 0x0
	ds_store_b64 v1, v[104:105]
	s_wait_storecnt_dscnt 0x0
	s_barrier_signal -1
	s_barrier_wait -1
	s_wait_xcnt 0x0
	s_and_saveexec_b32 s16, s1
	s_cbranch_execz .LBB49_285
; %bb.276:
	s_and_not1_b32 vcc_lo, exec_lo, s3
	s_cbranch_vccnz .LBB49_278
; %bb.277:
	scratch_load_b64 v[104:105], v51, off
	ds_load_b64 v[106:107], v1
	s_wait_loadcnt_dscnt 0x0
	v_pk_mul_f32 v[108:109], v[106:107], v[104:105] op_sel:[1,1] op_sel_hi:[0,1]
	s_delay_alu instid0(VALU_DEP_1) | instskip(SKIP_1) | instid1(VALU_DEP_2)
	v_pk_fma_f32 v[110:111], v[106:107], v[104:105], v[108:109] op_sel_hi:[1,0,1]
	v_pk_fma_f32 v[104:105], v[106:107], v[104:105], v[108:109] neg_lo:[0,0,1] neg_hi:[0,0,1]
	v_mov_b32_e32 v105, v111
	s_cbranch_execz .LBB49_279
	s_branch .LBB49_280
.LBB49_278:
                                        ; implicit-def: $vgpr104_vgpr105
.LBB49_279:
	ds_load_b64 v[104:105], v1
.LBB49_280:
	s_and_saveexec_b32 s17, s0
	s_cbranch_execz .LBB49_284
; %bb.281:
	v_subrev_nc_u32_e32 v106, 22, v0
	s_movk_i32 s18, 0x240
	s_mov_b32 s0, 0
.LBB49_282:                             ; =>This Inner Loop Header: Depth=1
	scratch_load_b64 v[108:109], off, s15
	v_dual_mov_b32 v107, s18 :: v_dual_add_nc_u32 v106, -1, v106
	s_add_co_i32 s18, s18, 8
	s_wait_xcnt 0x0
	s_add_co_i32 s15, s15, 8
	ds_load_b64 v[110:111], v107
	v_cmp_eq_u32_e32 vcc_lo, 0, v106
	s_or_b32 s0, vcc_lo, s0
	s_wait_loadcnt_dscnt 0x0
	v_pk_mul_f32 v[112:113], v[110:111], v[108:109] op_sel:[1,1] op_sel_hi:[0,1]
	s_delay_alu instid0(VALU_DEP_1) | instskip(SKIP_1) | instid1(VALU_DEP_2)
	v_pk_fma_f32 v[114:115], v[110:111], v[108:109], v[112:113] op_sel_hi:[1,0,1]
	v_pk_fma_f32 v[108:109], v[110:111], v[108:109], v[112:113] neg_lo:[0,0,1] neg_hi:[0,0,1]
	v_mov_b32_e32 v109, v115
	s_delay_alu instid0(VALU_DEP_1)
	v_pk_add_f32 v[104:105], v[104:105], v[108:109]
	s_and_not1_b32 exec_lo, exec_lo, s0
	s_cbranch_execnz .LBB49_282
; %bb.283:
	s_or_b32 exec_lo, exec_lo, s0
.LBB49_284:
	s_delay_alu instid0(SALU_CYCLE_1) | instskip(SKIP_4) | instid1(VALU_DEP_1)
	s_or_b32 exec_lo, exec_lo, s17
	v_mov_b32_e32 v106, 0
	ds_load_b64 v[106:107], v106 offset:168
	s_wait_dscnt 0x0
	v_pk_mul_f32 v[108:109], v[104:105], v[106:107] op_sel:[1,1] op_sel_hi:[0,1]
	v_pk_fma_f32 v[110:111], v[104:105], v[106:107], v[108:109] op_sel_hi:[1,0,1]
	v_pk_fma_f32 v[104:105], v[104:105], v[106:107], v[108:109] neg_lo:[0,0,1] neg_hi:[0,0,1]
	s_delay_alu instid0(VALU_DEP_2)
	v_mov_b32_e32 v105, v111
	scratch_store_b64 off, v[104:105], off offset:168
.LBB49_285:
	s_wait_xcnt 0x0
	s_or_b32 exec_lo, exec_lo, s16
	scratch_load_b64 v[104:105], off, off offset:160
	v_cmp_lt_u32_e64 s0, 20, v0
	s_wait_loadcnt 0x0
	ds_store_b64 v1, v[104:105]
	s_wait_storecnt_dscnt 0x0
	s_barrier_signal -1
	s_barrier_wait -1
	s_wait_xcnt 0x0
	s_and_saveexec_b32 s15, s0
	s_cbranch_execz .LBB49_295
; %bb.286:
	s_and_not1_b32 vcc_lo, exec_lo, s3
	s_cbranch_vccnz .LBB49_288
; %bb.287:
	scratch_load_b64 v[104:105], v51, off
	ds_load_b64 v[106:107], v1
	s_wait_loadcnt_dscnt 0x0
	v_pk_mul_f32 v[108:109], v[106:107], v[104:105] op_sel:[1,1] op_sel_hi:[0,1]
	s_delay_alu instid0(VALU_DEP_1) | instskip(SKIP_1) | instid1(VALU_DEP_2)
	v_pk_fma_f32 v[110:111], v[106:107], v[104:105], v[108:109] op_sel_hi:[1,0,1]
	v_pk_fma_f32 v[104:105], v[106:107], v[104:105], v[108:109] neg_lo:[0,0,1] neg_hi:[0,0,1]
	v_mov_b32_e32 v105, v111
	s_cbranch_execz .LBB49_289
	s_branch .LBB49_290
.LBB49_288:
                                        ; implicit-def: $vgpr104_vgpr105
.LBB49_289:
	ds_load_b64 v[104:105], v1
.LBB49_290:
	s_and_saveexec_b32 s16, s1
	s_cbranch_execz .LBB49_294
; %bb.291:
	v_subrev_nc_u32_e32 v106, 21, v0
	s_movk_i32 s1, 0xa8
	s_movk_i32 s18, 0x238
	s_mov_b32 s17, 0
.LBB49_292:                             ; =>This Inner Loop Header: Depth=1
	scratch_load_b64 v[108:109], off, s1
	v_dual_mov_b32 v107, s18 :: v_dual_add_nc_u32 v106, -1, v106
	s_add_co_i32 s18, s18, 8
	s_wait_xcnt 0x0
	s_add_co_i32 s1, s1, 8
	ds_load_b64 v[110:111], v107
	v_cmp_eq_u32_e32 vcc_lo, 0, v106
	s_or_b32 s17, vcc_lo, s17
	s_wait_loadcnt_dscnt 0x0
	v_pk_mul_f32 v[112:113], v[110:111], v[108:109] op_sel:[1,1] op_sel_hi:[0,1]
	s_delay_alu instid0(VALU_DEP_1) | instskip(SKIP_1) | instid1(VALU_DEP_2)
	v_pk_fma_f32 v[114:115], v[110:111], v[108:109], v[112:113] op_sel_hi:[1,0,1]
	v_pk_fma_f32 v[108:109], v[110:111], v[108:109], v[112:113] neg_lo:[0,0,1] neg_hi:[0,0,1]
	v_mov_b32_e32 v109, v115
	s_delay_alu instid0(VALU_DEP_1)
	v_pk_add_f32 v[104:105], v[104:105], v[108:109]
	s_and_not1_b32 exec_lo, exec_lo, s17
	s_cbranch_execnz .LBB49_292
; %bb.293:
	s_or_b32 exec_lo, exec_lo, s17
.LBB49_294:
	s_delay_alu instid0(SALU_CYCLE_1) | instskip(SKIP_4) | instid1(VALU_DEP_1)
	s_or_b32 exec_lo, exec_lo, s16
	v_mov_b32_e32 v106, 0
	ds_load_b64 v[106:107], v106 offset:160
	s_wait_dscnt 0x0
	v_pk_mul_f32 v[108:109], v[104:105], v[106:107] op_sel:[1,1] op_sel_hi:[0,1]
	v_pk_fma_f32 v[110:111], v[104:105], v[106:107], v[108:109] op_sel_hi:[1,0,1]
	v_pk_fma_f32 v[104:105], v[104:105], v[106:107], v[108:109] neg_lo:[0,0,1] neg_hi:[0,0,1]
	s_delay_alu instid0(VALU_DEP_2)
	v_mov_b32_e32 v105, v111
	scratch_store_b64 off, v[104:105], off offset:160
.LBB49_295:
	s_wait_xcnt 0x0
	s_or_b32 exec_lo, exec_lo, s15
	scratch_load_b64 v[104:105], off, off offset:152
	v_cmp_lt_u32_e64 s1, 19, v0
	s_wait_loadcnt 0x0
	ds_store_b64 v1, v[104:105]
	s_wait_storecnt_dscnt 0x0
	s_barrier_signal -1
	s_barrier_wait -1
	s_wait_xcnt 0x0
	s_and_saveexec_b32 s15, s1
	s_cbranch_execz .LBB49_305
; %bb.296:
	s_and_not1_b32 vcc_lo, exec_lo, s3
	s_cbranch_vccnz .LBB49_298
; %bb.297:
	scratch_load_b64 v[104:105], v51, off
	ds_load_b64 v[106:107], v1
	s_wait_loadcnt_dscnt 0x0
	v_pk_mul_f32 v[108:109], v[106:107], v[104:105] op_sel:[1,1] op_sel_hi:[0,1]
	s_delay_alu instid0(VALU_DEP_1) | instskip(SKIP_1) | instid1(VALU_DEP_2)
	v_pk_fma_f32 v[110:111], v[106:107], v[104:105], v[108:109] op_sel_hi:[1,0,1]
	v_pk_fma_f32 v[104:105], v[106:107], v[104:105], v[108:109] neg_lo:[0,0,1] neg_hi:[0,0,1]
	v_mov_b32_e32 v105, v111
	s_cbranch_execz .LBB49_299
	s_branch .LBB49_300
.LBB49_298:
                                        ; implicit-def: $vgpr104_vgpr105
.LBB49_299:
	ds_load_b64 v[104:105], v1
.LBB49_300:
	s_and_saveexec_b32 s16, s0
	s_cbranch_execz .LBB49_304
; %bb.301:
	v_subrev_nc_u32_e32 v106, 20, v0
	s_movk_i32 s17, 0x230
	s_mov_b32 s0, 0
.LBB49_302:                             ; =>This Inner Loop Header: Depth=1
	scratch_load_b64 v[108:109], off, s14
	v_dual_mov_b32 v107, s17 :: v_dual_add_nc_u32 v106, -1, v106
	s_add_co_i32 s17, s17, 8
	s_wait_xcnt 0x0
	s_add_co_i32 s14, s14, 8
	ds_load_b64 v[110:111], v107
	v_cmp_eq_u32_e32 vcc_lo, 0, v106
	s_or_b32 s0, vcc_lo, s0
	s_wait_loadcnt_dscnt 0x0
	v_pk_mul_f32 v[112:113], v[110:111], v[108:109] op_sel:[1,1] op_sel_hi:[0,1]
	s_delay_alu instid0(VALU_DEP_1) | instskip(SKIP_1) | instid1(VALU_DEP_2)
	v_pk_fma_f32 v[114:115], v[110:111], v[108:109], v[112:113] op_sel_hi:[1,0,1]
	v_pk_fma_f32 v[108:109], v[110:111], v[108:109], v[112:113] neg_lo:[0,0,1] neg_hi:[0,0,1]
	v_mov_b32_e32 v109, v115
	s_delay_alu instid0(VALU_DEP_1)
	v_pk_add_f32 v[104:105], v[104:105], v[108:109]
	s_and_not1_b32 exec_lo, exec_lo, s0
	s_cbranch_execnz .LBB49_302
; %bb.303:
	s_or_b32 exec_lo, exec_lo, s0
.LBB49_304:
	s_delay_alu instid0(SALU_CYCLE_1) | instskip(SKIP_4) | instid1(VALU_DEP_1)
	s_or_b32 exec_lo, exec_lo, s16
	v_mov_b32_e32 v106, 0
	ds_load_b64 v[106:107], v106 offset:152
	s_wait_dscnt 0x0
	v_pk_mul_f32 v[108:109], v[104:105], v[106:107] op_sel:[1,1] op_sel_hi:[0,1]
	v_pk_fma_f32 v[110:111], v[104:105], v[106:107], v[108:109] op_sel_hi:[1,0,1]
	v_pk_fma_f32 v[104:105], v[104:105], v[106:107], v[108:109] neg_lo:[0,0,1] neg_hi:[0,0,1]
	s_delay_alu instid0(VALU_DEP_2)
	v_mov_b32_e32 v105, v111
	scratch_store_b64 off, v[104:105], off offset:152
.LBB49_305:
	s_wait_xcnt 0x0
	s_or_b32 exec_lo, exec_lo, s15
	scratch_load_b64 v[104:105], off, off offset:144
	v_cmp_lt_u32_e64 s0, 18, v0
	s_wait_loadcnt 0x0
	ds_store_b64 v1, v[104:105]
	s_wait_storecnt_dscnt 0x0
	s_barrier_signal -1
	s_barrier_wait -1
	s_wait_xcnt 0x0
	s_and_saveexec_b32 s14, s0
	s_cbranch_execz .LBB49_315
; %bb.306:
	s_and_not1_b32 vcc_lo, exec_lo, s3
	s_cbranch_vccnz .LBB49_308
; %bb.307:
	scratch_load_b64 v[104:105], v51, off
	ds_load_b64 v[106:107], v1
	s_wait_loadcnt_dscnt 0x0
	v_pk_mul_f32 v[108:109], v[106:107], v[104:105] op_sel:[1,1] op_sel_hi:[0,1]
	s_delay_alu instid0(VALU_DEP_1) | instskip(SKIP_1) | instid1(VALU_DEP_2)
	v_pk_fma_f32 v[110:111], v[106:107], v[104:105], v[108:109] op_sel_hi:[1,0,1]
	v_pk_fma_f32 v[104:105], v[106:107], v[104:105], v[108:109] neg_lo:[0,0,1] neg_hi:[0,0,1]
	v_mov_b32_e32 v105, v111
	s_cbranch_execz .LBB49_309
	s_branch .LBB49_310
.LBB49_308:
                                        ; implicit-def: $vgpr104_vgpr105
.LBB49_309:
	ds_load_b64 v[104:105], v1
.LBB49_310:
	s_and_saveexec_b32 s15, s1
	s_cbranch_execz .LBB49_314
; %bb.311:
	v_subrev_nc_u32_e32 v106, 19, v0
	s_movk_i32 s1, 0x98
	s_movk_i32 s17, 0x228
	s_mov_b32 s16, 0
.LBB49_312:                             ; =>This Inner Loop Header: Depth=1
	scratch_load_b64 v[108:109], off, s1
	v_dual_mov_b32 v107, s17 :: v_dual_add_nc_u32 v106, -1, v106
	s_add_co_i32 s17, s17, 8
	s_wait_xcnt 0x0
	s_add_co_i32 s1, s1, 8
	ds_load_b64 v[110:111], v107
	v_cmp_eq_u32_e32 vcc_lo, 0, v106
	s_or_b32 s16, vcc_lo, s16
	s_wait_loadcnt_dscnt 0x0
	v_pk_mul_f32 v[112:113], v[110:111], v[108:109] op_sel:[1,1] op_sel_hi:[0,1]
	s_delay_alu instid0(VALU_DEP_1) | instskip(SKIP_1) | instid1(VALU_DEP_2)
	v_pk_fma_f32 v[114:115], v[110:111], v[108:109], v[112:113] op_sel_hi:[1,0,1]
	v_pk_fma_f32 v[108:109], v[110:111], v[108:109], v[112:113] neg_lo:[0,0,1] neg_hi:[0,0,1]
	v_mov_b32_e32 v109, v115
	s_delay_alu instid0(VALU_DEP_1)
	v_pk_add_f32 v[104:105], v[104:105], v[108:109]
	s_and_not1_b32 exec_lo, exec_lo, s16
	s_cbranch_execnz .LBB49_312
; %bb.313:
	s_or_b32 exec_lo, exec_lo, s16
.LBB49_314:
	s_delay_alu instid0(SALU_CYCLE_1) | instskip(SKIP_4) | instid1(VALU_DEP_1)
	s_or_b32 exec_lo, exec_lo, s15
	v_mov_b32_e32 v106, 0
	ds_load_b64 v[106:107], v106 offset:144
	s_wait_dscnt 0x0
	v_pk_mul_f32 v[108:109], v[104:105], v[106:107] op_sel:[1,1] op_sel_hi:[0,1]
	v_pk_fma_f32 v[110:111], v[104:105], v[106:107], v[108:109] op_sel_hi:[1,0,1]
	v_pk_fma_f32 v[104:105], v[104:105], v[106:107], v[108:109] neg_lo:[0,0,1] neg_hi:[0,0,1]
	s_delay_alu instid0(VALU_DEP_2)
	v_mov_b32_e32 v105, v111
	scratch_store_b64 off, v[104:105], off offset:144
.LBB49_315:
	s_wait_xcnt 0x0
	s_or_b32 exec_lo, exec_lo, s14
	scratch_load_b64 v[104:105], off, off offset:136
	v_cmp_lt_u32_e64 s1, 17, v0
	s_wait_loadcnt 0x0
	ds_store_b64 v1, v[104:105]
	s_wait_storecnt_dscnt 0x0
	s_barrier_signal -1
	s_barrier_wait -1
	s_wait_xcnt 0x0
	s_and_saveexec_b32 s14, s1
	s_cbranch_execz .LBB49_325
; %bb.316:
	s_and_not1_b32 vcc_lo, exec_lo, s3
	s_cbranch_vccnz .LBB49_318
; %bb.317:
	scratch_load_b64 v[104:105], v51, off
	ds_load_b64 v[106:107], v1
	s_wait_loadcnt_dscnt 0x0
	v_pk_mul_f32 v[108:109], v[106:107], v[104:105] op_sel:[1,1] op_sel_hi:[0,1]
	s_delay_alu instid0(VALU_DEP_1) | instskip(SKIP_1) | instid1(VALU_DEP_2)
	v_pk_fma_f32 v[110:111], v[106:107], v[104:105], v[108:109] op_sel_hi:[1,0,1]
	v_pk_fma_f32 v[104:105], v[106:107], v[104:105], v[108:109] neg_lo:[0,0,1] neg_hi:[0,0,1]
	v_mov_b32_e32 v105, v111
	s_cbranch_execz .LBB49_319
	s_branch .LBB49_320
.LBB49_318:
                                        ; implicit-def: $vgpr104_vgpr105
.LBB49_319:
	ds_load_b64 v[104:105], v1
.LBB49_320:
	s_and_saveexec_b32 s15, s0
	s_cbranch_execz .LBB49_324
; %bb.321:
	v_subrev_nc_u32_e32 v106, 18, v0
	s_movk_i32 s16, 0x220
	s_mov_b32 s0, 0
.LBB49_322:                             ; =>This Inner Loop Header: Depth=1
	scratch_load_b64 v[108:109], off, s13
	v_dual_mov_b32 v107, s16 :: v_dual_add_nc_u32 v106, -1, v106
	s_add_co_i32 s16, s16, 8
	s_wait_xcnt 0x0
	s_add_co_i32 s13, s13, 8
	ds_load_b64 v[110:111], v107
	v_cmp_eq_u32_e32 vcc_lo, 0, v106
	s_or_b32 s0, vcc_lo, s0
	s_wait_loadcnt_dscnt 0x0
	v_pk_mul_f32 v[112:113], v[110:111], v[108:109] op_sel:[1,1] op_sel_hi:[0,1]
	s_delay_alu instid0(VALU_DEP_1) | instskip(SKIP_1) | instid1(VALU_DEP_2)
	v_pk_fma_f32 v[114:115], v[110:111], v[108:109], v[112:113] op_sel_hi:[1,0,1]
	v_pk_fma_f32 v[108:109], v[110:111], v[108:109], v[112:113] neg_lo:[0,0,1] neg_hi:[0,0,1]
	v_mov_b32_e32 v109, v115
	s_delay_alu instid0(VALU_DEP_1)
	v_pk_add_f32 v[104:105], v[104:105], v[108:109]
	s_and_not1_b32 exec_lo, exec_lo, s0
	s_cbranch_execnz .LBB49_322
; %bb.323:
	s_or_b32 exec_lo, exec_lo, s0
.LBB49_324:
	s_delay_alu instid0(SALU_CYCLE_1) | instskip(SKIP_4) | instid1(VALU_DEP_1)
	s_or_b32 exec_lo, exec_lo, s15
	v_mov_b32_e32 v106, 0
	ds_load_b64 v[106:107], v106 offset:136
	s_wait_dscnt 0x0
	v_pk_mul_f32 v[108:109], v[104:105], v[106:107] op_sel:[1,1] op_sel_hi:[0,1]
	v_pk_fma_f32 v[110:111], v[104:105], v[106:107], v[108:109] op_sel_hi:[1,0,1]
	v_pk_fma_f32 v[104:105], v[104:105], v[106:107], v[108:109] neg_lo:[0,0,1] neg_hi:[0,0,1]
	s_delay_alu instid0(VALU_DEP_2)
	v_mov_b32_e32 v105, v111
	scratch_store_b64 off, v[104:105], off offset:136
.LBB49_325:
	s_wait_xcnt 0x0
	s_or_b32 exec_lo, exec_lo, s14
	scratch_load_b64 v[104:105], off, off offset:128
	v_cmp_lt_u32_e64 s0, 16, v0
	s_wait_loadcnt 0x0
	ds_store_b64 v1, v[104:105]
	s_wait_storecnt_dscnt 0x0
	s_barrier_signal -1
	s_barrier_wait -1
	s_wait_xcnt 0x0
	s_and_saveexec_b32 s13, s0
	s_cbranch_execz .LBB49_335
; %bb.326:
	s_and_not1_b32 vcc_lo, exec_lo, s3
	s_cbranch_vccnz .LBB49_328
; %bb.327:
	scratch_load_b64 v[104:105], v51, off
	ds_load_b64 v[106:107], v1
	s_wait_loadcnt_dscnt 0x0
	v_pk_mul_f32 v[108:109], v[106:107], v[104:105] op_sel:[1,1] op_sel_hi:[0,1]
	s_delay_alu instid0(VALU_DEP_1) | instskip(SKIP_1) | instid1(VALU_DEP_2)
	v_pk_fma_f32 v[110:111], v[106:107], v[104:105], v[108:109] op_sel_hi:[1,0,1]
	v_pk_fma_f32 v[104:105], v[106:107], v[104:105], v[108:109] neg_lo:[0,0,1] neg_hi:[0,0,1]
	v_mov_b32_e32 v105, v111
	s_cbranch_execz .LBB49_329
	s_branch .LBB49_330
.LBB49_328:
                                        ; implicit-def: $vgpr104_vgpr105
.LBB49_329:
	ds_load_b64 v[104:105], v1
.LBB49_330:
	s_and_saveexec_b32 s14, s1
	s_cbranch_execz .LBB49_334
; %bb.331:
	v_subrev_nc_u32_e32 v106, 17, v0
	s_movk_i32 s1, 0x88
	s_movk_i32 s16, 0x218
	s_mov_b32 s15, 0
.LBB49_332:                             ; =>This Inner Loop Header: Depth=1
	scratch_load_b64 v[108:109], off, s1
	v_dual_mov_b32 v107, s16 :: v_dual_add_nc_u32 v106, -1, v106
	s_add_co_i32 s16, s16, 8
	s_wait_xcnt 0x0
	s_add_co_i32 s1, s1, 8
	ds_load_b64 v[110:111], v107
	v_cmp_eq_u32_e32 vcc_lo, 0, v106
	s_or_b32 s15, vcc_lo, s15
	s_wait_loadcnt_dscnt 0x0
	v_pk_mul_f32 v[112:113], v[110:111], v[108:109] op_sel:[1,1] op_sel_hi:[0,1]
	s_delay_alu instid0(VALU_DEP_1) | instskip(SKIP_1) | instid1(VALU_DEP_2)
	v_pk_fma_f32 v[114:115], v[110:111], v[108:109], v[112:113] op_sel_hi:[1,0,1]
	v_pk_fma_f32 v[108:109], v[110:111], v[108:109], v[112:113] neg_lo:[0,0,1] neg_hi:[0,0,1]
	v_mov_b32_e32 v109, v115
	s_delay_alu instid0(VALU_DEP_1)
	v_pk_add_f32 v[104:105], v[104:105], v[108:109]
	s_and_not1_b32 exec_lo, exec_lo, s15
	s_cbranch_execnz .LBB49_332
; %bb.333:
	s_or_b32 exec_lo, exec_lo, s15
.LBB49_334:
	s_delay_alu instid0(SALU_CYCLE_1) | instskip(SKIP_4) | instid1(VALU_DEP_1)
	s_or_b32 exec_lo, exec_lo, s14
	v_mov_b32_e32 v106, 0
	ds_load_b64 v[106:107], v106 offset:128
	s_wait_dscnt 0x0
	v_pk_mul_f32 v[108:109], v[104:105], v[106:107] op_sel:[1,1] op_sel_hi:[0,1]
	v_pk_fma_f32 v[110:111], v[104:105], v[106:107], v[108:109] op_sel_hi:[1,0,1]
	v_pk_fma_f32 v[104:105], v[104:105], v[106:107], v[108:109] neg_lo:[0,0,1] neg_hi:[0,0,1]
	s_delay_alu instid0(VALU_DEP_2)
	v_mov_b32_e32 v105, v111
	scratch_store_b64 off, v[104:105], off offset:128
.LBB49_335:
	s_wait_xcnt 0x0
	s_or_b32 exec_lo, exec_lo, s13
	scratch_load_b64 v[104:105], off, off offset:120
	v_cmp_lt_u32_e64 s1, 15, v0
	s_wait_loadcnt 0x0
	ds_store_b64 v1, v[104:105]
	s_wait_storecnt_dscnt 0x0
	s_barrier_signal -1
	s_barrier_wait -1
	s_wait_xcnt 0x0
	s_and_saveexec_b32 s13, s1
	s_cbranch_execz .LBB49_345
; %bb.336:
	s_and_not1_b32 vcc_lo, exec_lo, s3
	s_cbranch_vccnz .LBB49_338
; %bb.337:
	scratch_load_b64 v[104:105], v51, off
	ds_load_b64 v[106:107], v1
	s_wait_loadcnt_dscnt 0x0
	v_pk_mul_f32 v[108:109], v[106:107], v[104:105] op_sel:[1,1] op_sel_hi:[0,1]
	s_delay_alu instid0(VALU_DEP_1) | instskip(SKIP_1) | instid1(VALU_DEP_2)
	v_pk_fma_f32 v[110:111], v[106:107], v[104:105], v[108:109] op_sel_hi:[1,0,1]
	v_pk_fma_f32 v[104:105], v[106:107], v[104:105], v[108:109] neg_lo:[0,0,1] neg_hi:[0,0,1]
	v_mov_b32_e32 v105, v111
	s_cbranch_execz .LBB49_339
	s_branch .LBB49_340
.LBB49_338:
                                        ; implicit-def: $vgpr104_vgpr105
.LBB49_339:
	ds_load_b64 v[104:105], v1
.LBB49_340:
	s_and_saveexec_b32 s14, s0
	s_cbranch_execz .LBB49_344
; %bb.341:
	v_add_nc_u32_e32 v106, -16, v0
	s_movk_i32 s15, 0x210
	s_mov_b32 s0, 0
.LBB49_342:                             ; =>This Inner Loop Header: Depth=1
	scratch_load_b64 v[108:109], off, s12
	v_dual_mov_b32 v107, s15 :: v_dual_add_nc_u32 v106, -1, v106
	s_add_co_i32 s15, s15, 8
	s_wait_xcnt 0x0
	s_add_co_i32 s12, s12, 8
	ds_load_b64 v[110:111], v107
	v_cmp_eq_u32_e32 vcc_lo, 0, v106
	s_or_b32 s0, vcc_lo, s0
	s_wait_loadcnt_dscnt 0x0
	v_pk_mul_f32 v[112:113], v[110:111], v[108:109] op_sel:[1,1] op_sel_hi:[0,1]
	s_delay_alu instid0(VALU_DEP_1) | instskip(SKIP_1) | instid1(VALU_DEP_2)
	v_pk_fma_f32 v[114:115], v[110:111], v[108:109], v[112:113] op_sel_hi:[1,0,1]
	v_pk_fma_f32 v[108:109], v[110:111], v[108:109], v[112:113] neg_lo:[0,0,1] neg_hi:[0,0,1]
	v_mov_b32_e32 v109, v115
	s_delay_alu instid0(VALU_DEP_1)
	v_pk_add_f32 v[104:105], v[104:105], v[108:109]
	s_and_not1_b32 exec_lo, exec_lo, s0
	s_cbranch_execnz .LBB49_342
; %bb.343:
	s_or_b32 exec_lo, exec_lo, s0
.LBB49_344:
	s_delay_alu instid0(SALU_CYCLE_1) | instskip(SKIP_4) | instid1(VALU_DEP_1)
	s_or_b32 exec_lo, exec_lo, s14
	v_mov_b32_e32 v106, 0
	ds_load_b64 v[106:107], v106 offset:120
	s_wait_dscnt 0x0
	v_pk_mul_f32 v[108:109], v[104:105], v[106:107] op_sel:[1,1] op_sel_hi:[0,1]
	v_pk_fma_f32 v[110:111], v[104:105], v[106:107], v[108:109] op_sel_hi:[1,0,1]
	v_pk_fma_f32 v[104:105], v[104:105], v[106:107], v[108:109] neg_lo:[0,0,1] neg_hi:[0,0,1]
	s_delay_alu instid0(VALU_DEP_2)
	v_mov_b32_e32 v105, v111
	scratch_store_b64 off, v[104:105], off offset:120
.LBB49_345:
	s_wait_xcnt 0x0
	s_or_b32 exec_lo, exec_lo, s13
	scratch_load_b64 v[104:105], off, off offset:112
	v_cmp_lt_u32_e64 s0, 14, v0
	s_wait_loadcnt 0x0
	ds_store_b64 v1, v[104:105]
	s_wait_storecnt_dscnt 0x0
	s_barrier_signal -1
	s_barrier_wait -1
	s_wait_xcnt 0x0
	s_and_saveexec_b32 s12, s0
	s_cbranch_execz .LBB49_355
; %bb.346:
	s_and_not1_b32 vcc_lo, exec_lo, s3
	s_cbranch_vccnz .LBB49_348
; %bb.347:
	scratch_load_b64 v[104:105], v51, off
	ds_load_b64 v[106:107], v1
	s_wait_loadcnt_dscnt 0x0
	v_pk_mul_f32 v[108:109], v[106:107], v[104:105] op_sel:[1,1] op_sel_hi:[0,1]
	s_delay_alu instid0(VALU_DEP_1) | instskip(SKIP_1) | instid1(VALU_DEP_2)
	v_pk_fma_f32 v[110:111], v[106:107], v[104:105], v[108:109] op_sel_hi:[1,0,1]
	v_pk_fma_f32 v[104:105], v[106:107], v[104:105], v[108:109] neg_lo:[0,0,1] neg_hi:[0,0,1]
	v_mov_b32_e32 v105, v111
	s_cbranch_execz .LBB49_349
	s_branch .LBB49_350
.LBB49_348:
                                        ; implicit-def: $vgpr104_vgpr105
.LBB49_349:
	ds_load_b64 v[104:105], v1
.LBB49_350:
	s_and_saveexec_b32 s13, s1
	s_cbranch_execz .LBB49_354
; %bb.351:
	v_add_nc_u32_e32 v106, -15, v0
	s_movk_i32 s1, 0x78
	s_movk_i32 s15, 0x208
	s_mov_b32 s14, 0
.LBB49_352:                             ; =>This Inner Loop Header: Depth=1
	scratch_load_b64 v[108:109], off, s1
	v_dual_mov_b32 v107, s15 :: v_dual_add_nc_u32 v106, -1, v106
	s_add_co_i32 s15, s15, 8
	s_wait_xcnt 0x0
	s_add_co_i32 s1, s1, 8
	ds_load_b64 v[110:111], v107
	v_cmp_eq_u32_e32 vcc_lo, 0, v106
	s_or_b32 s14, vcc_lo, s14
	s_wait_loadcnt_dscnt 0x0
	v_pk_mul_f32 v[112:113], v[110:111], v[108:109] op_sel:[1,1] op_sel_hi:[0,1]
	s_delay_alu instid0(VALU_DEP_1) | instskip(SKIP_1) | instid1(VALU_DEP_2)
	v_pk_fma_f32 v[114:115], v[110:111], v[108:109], v[112:113] op_sel_hi:[1,0,1]
	v_pk_fma_f32 v[108:109], v[110:111], v[108:109], v[112:113] neg_lo:[0,0,1] neg_hi:[0,0,1]
	v_mov_b32_e32 v109, v115
	s_delay_alu instid0(VALU_DEP_1)
	v_pk_add_f32 v[104:105], v[104:105], v[108:109]
	s_and_not1_b32 exec_lo, exec_lo, s14
	s_cbranch_execnz .LBB49_352
; %bb.353:
	s_or_b32 exec_lo, exec_lo, s14
.LBB49_354:
	s_delay_alu instid0(SALU_CYCLE_1) | instskip(SKIP_4) | instid1(VALU_DEP_1)
	s_or_b32 exec_lo, exec_lo, s13
	v_mov_b32_e32 v106, 0
	ds_load_b64 v[106:107], v106 offset:112
	s_wait_dscnt 0x0
	v_pk_mul_f32 v[108:109], v[104:105], v[106:107] op_sel:[1,1] op_sel_hi:[0,1]
	v_pk_fma_f32 v[110:111], v[104:105], v[106:107], v[108:109] op_sel_hi:[1,0,1]
	v_pk_fma_f32 v[104:105], v[104:105], v[106:107], v[108:109] neg_lo:[0,0,1] neg_hi:[0,0,1]
	s_delay_alu instid0(VALU_DEP_2)
	v_mov_b32_e32 v105, v111
	scratch_store_b64 off, v[104:105], off offset:112
.LBB49_355:
	s_wait_xcnt 0x0
	s_or_b32 exec_lo, exec_lo, s12
	scratch_load_b64 v[104:105], off, off offset:104
	v_cmp_lt_u32_e64 s1, 13, v0
	s_wait_loadcnt 0x0
	ds_store_b64 v1, v[104:105]
	s_wait_storecnt_dscnt 0x0
	s_barrier_signal -1
	s_barrier_wait -1
	s_wait_xcnt 0x0
	s_and_saveexec_b32 s12, s1
	s_cbranch_execz .LBB49_365
; %bb.356:
	s_and_not1_b32 vcc_lo, exec_lo, s3
	s_cbranch_vccnz .LBB49_358
; %bb.357:
	scratch_load_b64 v[104:105], v51, off
	ds_load_b64 v[106:107], v1
	s_wait_loadcnt_dscnt 0x0
	v_pk_mul_f32 v[108:109], v[106:107], v[104:105] op_sel:[1,1] op_sel_hi:[0,1]
	s_delay_alu instid0(VALU_DEP_1) | instskip(SKIP_1) | instid1(VALU_DEP_2)
	v_pk_fma_f32 v[110:111], v[106:107], v[104:105], v[108:109] op_sel_hi:[1,0,1]
	v_pk_fma_f32 v[104:105], v[106:107], v[104:105], v[108:109] neg_lo:[0,0,1] neg_hi:[0,0,1]
	v_mov_b32_e32 v105, v111
	s_cbranch_execz .LBB49_359
	s_branch .LBB49_360
.LBB49_358:
                                        ; implicit-def: $vgpr104_vgpr105
.LBB49_359:
	ds_load_b64 v[104:105], v1
.LBB49_360:
	s_and_saveexec_b32 s13, s0
	s_cbranch_execz .LBB49_364
; %bb.361:
	v_add_nc_u32_e32 v106, -14, v0
	s_movk_i32 s14, 0x200
	s_mov_b32 s0, 0
.LBB49_362:                             ; =>This Inner Loop Header: Depth=1
	scratch_load_b64 v[108:109], off, s11
	v_dual_mov_b32 v107, s14 :: v_dual_add_nc_u32 v106, -1, v106
	s_add_co_i32 s14, s14, 8
	s_wait_xcnt 0x0
	s_add_co_i32 s11, s11, 8
	ds_load_b64 v[110:111], v107
	v_cmp_eq_u32_e32 vcc_lo, 0, v106
	s_or_b32 s0, vcc_lo, s0
	s_wait_loadcnt_dscnt 0x0
	v_pk_mul_f32 v[112:113], v[110:111], v[108:109] op_sel:[1,1] op_sel_hi:[0,1]
	s_delay_alu instid0(VALU_DEP_1) | instskip(SKIP_1) | instid1(VALU_DEP_2)
	v_pk_fma_f32 v[114:115], v[110:111], v[108:109], v[112:113] op_sel_hi:[1,0,1]
	v_pk_fma_f32 v[108:109], v[110:111], v[108:109], v[112:113] neg_lo:[0,0,1] neg_hi:[0,0,1]
	v_mov_b32_e32 v109, v115
	s_delay_alu instid0(VALU_DEP_1)
	v_pk_add_f32 v[104:105], v[104:105], v[108:109]
	s_and_not1_b32 exec_lo, exec_lo, s0
	s_cbranch_execnz .LBB49_362
; %bb.363:
	s_or_b32 exec_lo, exec_lo, s0
.LBB49_364:
	s_delay_alu instid0(SALU_CYCLE_1) | instskip(SKIP_4) | instid1(VALU_DEP_1)
	s_or_b32 exec_lo, exec_lo, s13
	v_mov_b32_e32 v106, 0
	ds_load_b64 v[106:107], v106 offset:104
	s_wait_dscnt 0x0
	v_pk_mul_f32 v[108:109], v[104:105], v[106:107] op_sel:[1,1] op_sel_hi:[0,1]
	v_pk_fma_f32 v[110:111], v[104:105], v[106:107], v[108:109] op_sel_hi:[1,0,1]
	v_pk_fma_f32 v[104:105], v[104:105], v[106:107], v[108:109] neg_lo:[0,0,1] neg_hi:[0,0,1]
	s_delay_alu instid0(VALU_DEP_2)
	v_mov_b32_e32 v105, v111
	scratch_store_b64 off, v[104:105], off offset:104
.LBB49_365:
	s_wait_xcnt 0x0
	s_or_b32 exec_lo, exec_lo, s12
	scratch_load_b64 v[104:105], off, off offset:96
	v_cmp_lt_u32_e64 s0, 12, v0
	s_wait_loadcnt 0x0
	ds_store_b64 v1, v[104:105]
	s_wait_storecnt_dscnt 0x0
	s_barrier_signal -1
	s_barrier_wait -1
	s_wait_xcnt 0x0
	s_and_saveexec_b32 s11, s0
	s_cbranch_execz .LBB49_375
; %bb.366:
	s_and_not1_b32 vcc_lo, exec_lo, s3
	s_cbranch_vccnz .LBB49_368
; %bb.367:
	scratch_load_b64 v[104:105], v51, off
	ds_load_b64 v[106:107], v1
	s_wait_loadcnt_dscnt 0x0
	v_pk_mul_f32 v[108:109], v[106:107], v[104:105] op_sel:[1,1] op_sel_hi:[0,1]
	s_delay_alu instid0(VALU_DEP_1) | instskip(SKIP_1) | instid1(VALU_DEP_2)
	v_pk_fma_f32 v[110:111], v[106:107], v[104:105], v[108:109] op_sel_hi:[1,0,1]
	v_pk_fma_f32 v[104:105], v[106:107], v[104:105], v[108:109] neg_lo:[0,0,1] neg_hi:[0,0,1]
	v_mov_b32_e32 v105, v111
	s_cbranch_execz .LBB49_369
	s_branch .LBB49_370
.LBB49_368:
                                        ; implicit-def: $vgpr104_vgpr105
.LBB49_369:
	ds_load_b64 v[104:105], v1
.LBB49_370:
	s_and_saveexec_b32 s12, s1
	s_cbranch_execz .LBB49_374
; %bb.371:
	v_add_nc_u32_e32 v106, -13, v0
	s_movk_i32 s1, 0x68
	s_movk_i32 s14, 0x1f8
	s_mov_b32 s13, 0
.LBB49_372:                             ; =>This Inner Loop Header: Depth=1
	scratch_load_b64 v[108:109], off, s1
	v_dual_mov_b32 v107, s14 :: v_dual_add_nc_u32 v106, -1, v106
	s_add_co_i32 s14, s14, 8
	s_wait_xcnt 0x0
	s_add_co_i32 s1, s1, 8
	ds_load_b64 v[110:111], v107
	v_cmp_eq_u32_e32 vcc_lo, 0, v106
	s_or_b32 s13, vcc_lo, s13
	s_wait_loadcnt_dscnt 0x0
	v_pk_mul_f32 v[112:113], v[110:111], v[108:109] op_sel:[1,1] op_sel_hi:[0,1]
	s_delay_alu instid0(VALU_DEP_1) | instskip(SKIP_1) | instid1(VALU_DEP_2)
	v_pk_fma_f32 v[114:115], v[110:111], v[108:109], v[112:113] op_sel_hi:[1,0,1]
	v_pk_fma_f32 v[108:109], v[110:111], v[108:109], v[112:113] neg_lo:[0,0,1] neg_hi:[0,0,1]
	v_mov_b32_e32 v109, v115
	s_delay_alu instid0(VALU_DEP_1)
	v_pk_add_f32 v[104:105], v[104:105], v[108:109]
	s_and_not1_b32 exec_lo, exec_lo, s13
	s_cbranch_execnz .LBB49_372
; %bb.373:
	s_or_b32 exec_lo, exec_lo, s13
.LBB49_374:
	s_delay_alu instid0(SALU_CYCLE_1) | instskip(SKIP_4) | instid1(VALU_DEP_1)
	s_or_b32 exec_lo, exec_lo, s12
	v_mov_b32_e32 v106, 0
	ds_load_b64 v[106:107], v106 offset:96
	s_wait_dscnt 0x0
	v_pk_mul_f32 v[108:109], v[104:105], v[106:107] op_sel:[1,1] op_sel_hi:[0,1]
	v_pk_fma_f32 v[110:111], v[104:105], v[106:107], v[108:109] op_sel_hi:[1,0,1]
	v_pk_fma_f32 v[104:105], v[104:105], v[106:107], v[108:109] neg_lo:[0,0,1] neg_hi:[0,0,1]
	s_delay_alu instid0(VALU_DEP_2)
	v_mov_b32_e32 v105, v111
	scratch_store_b64 off, v[104:105], off offset:96
.LBB49_375:
	s_wait_xcnt 0x0
	s_or_b32 exec_lo, exec_lo, s11
	scratch_load_b64 v[104:105], off, off offset:88
	v_cmp_lt_u32_e64 s1, 11, v0
	s_wait_loadcnt 0x0
	ds_store_b64 v1, v[104:105]
	s_wait_storecnt_dscnt 0x0
	s_barrier_signal -1
	s_barrier_wait -1
	s_wait_xcnt 0x0
	s_and_saveexec_b32 s11, s1
	s_cbranch_execz .LBB49_385
; %bb.376:
	s_and_not1_b32 vcc_lo, exec_lo, s3
	s_cbranch_vccnz .LBB49_378
; %bb.377:
	scratch_load_b64 v[104:105], v51, off
	ds_load_b64 v[106:107], v1
	s_wait_loadcnt_dscnt 0x0
	v_pk_mul_f32 v[108:109], v[106:107], v[104:105] op_sel:[1,1] op_sel_hi:[0,1]
	s_delay_alu instid0(VALU_DEP_1) | instskip(SKIP_1) | instid1(VALU_DEP_2)
	v_pk_fma_f32 v[110:111], v[106:107], v[104:105], v[108:109] op_sel_hi:[1,0,1]
	v_pk_fma_f32 v[104:105], v[106:107], v[104:105], v[108:109] neg_lo:[0,0,1] neg_hi:[0,0,1]
	v_mov_b32_e32 v105, v111
	s_cbranch_execz .LBB49_379
	s_branch .LBB49_380
.LBB49_378:
                                        ; implicit-def: $vgpr104_vgpr105
.LBB49_379:
	ds_load_b64 v[104:105], v1
.LBB49_380:
	s_and_saveexec_b32 s12, s0
	s_cbranch_execz .LBB49_384
; %bb.381:
	v_add_nc_u32_e32 v106, -12, v0
	s_movk_i32 s13, 0x1f0
	s_mov_b32 s0, 0
.LBB49_382:                             ; =>This Inner Loop Header: Depth=1
	scratch_load_b64 v[108:109], off, s10
	v_dual_mov_b32 v107, s13 :: v_dual_add_nc_u32 v106, -1, v106
	s_add_co_i32 s13, s13, 8
	s_wait_xcnt 0x0
	s_add_co_i32 s10, s10, 8
	ds_load_b64 v[110:111], v107
	v_cmp_eq_u32_e32 vcc_lo, 0, v106
	s_or_b32 s0, vcc_lo, s0
	s_wait_loadcnt_dscnt 0x0
	v_pk_mul_f32 v[112:113], v[110:111], v[108:109] op_sel:[1,1] op_sel_hi:[0,1]
	s_delay_alu instid0(VALU_DEP_1) | instskip(SKIP_1) | instid1(VALU_DEP_2)
	v_pk_fma_f32 v[114:115], v[110:111], v[108:109], v[112:113] op_sel_hi:[1,0,1]
	v_pk_fma_f32 v[108:109], v[110:111], v[108:109], v[112:113] neg_lo:[0,0,1] neg_hi:[0,0,1]
	v_mov_b32_e32 v109, v115
	s_delay_alu instid0(VALU_DEP_1)
	v_pk_add_f32 v[104:105], v[104:105], v[108:109]
	s_and_not1_b32 exec_lo, exec_lo, s0
	s_cbranch_execnz .LBB49_382
; %bb.383:
	s_or_b32 exec_lo, exec_lo, s0
.LBB49_384:
	s_delay_alu instid0(SALU_CYCLE_1) | instskip(SKIP_4) | instid1(VALU_DEP_1)
	s_or_b32 exec_lo, exec_lo, s12
	v_mov_b32_e32 v106, 0
	ds_load_b64 v[106:107], v106 offset:88
	s_wait_dscnt 0x0
	v_pk_mul_f32 v[108:109], v[104:105], v[106:107] op_sel:[1,1] op_sel_hi:[0,1]
	v_pk_fma_f32 v[110:111], v[104:105], v[106:107], v[108:109] op_sel_hi:[1,0,1]
	v_pk_fma_f32 v[104:105], v[104:105], v[106:107], v[108:109] neg_lo:[0,0,1] neg_hi:[0,0,1]
	s_delay_alu instid0(VALU_DEP_2)
	v_mov_b32_e32 v105, v111
	scratch_store_b64 off, v[104:105], off offset:88
.LBB49_385:
	s_wait_xcnt 0x0
	s_or_b32 exec_lo, exec_lo, s11
	scratch_load_b64 v[104:105], off, off offset:80
	v_cmp_lt_u32_e64 s0, 10, v0
	s_wait_loadcnt 0x0
	ds_store_b64 v1, v[104:105]
	s_wait_storecnt_dscnt 0x0
	s_barrier_signal -1
	s_barrier_wait -1
	s_wait_xcnt 0x0
	s_and_saveexec_b32 s10, s0
	s_cbranch_execz .LBB49_395
; %bb.386:
	s_and_not1_b32 vcc_lo, exec_lo, s3
	s_cbranch_vccnz .LBB49_388
; %bb.387:
	scratch_load_b64 v[104:105], v51, off
	ds_load_b64 v[106:107], v1
	s_wait_loadcnt_dscnt 0x0
	v_pk_mul_f32 v[108:109], v[106:107], v[104:105] op_sel:[1,1] op_sel_hi:[0,1]
	s_delay_alu instid0(VALU_DEP_1) | instskip(SKIP_1) | instid1(VALU_DEP_2)
	v_pk_fma_f32 v[110:111], v[106:107], v[104:105], v[108:109] op_sel_hi:[1,0,1]
	v_pk_fma_f32 v[104:105], v[106:107], v[104:105], v[108:109] neg_lo:[0,0,1] neg_hi:[0,0,1]
	v_mov_b32_e32 v105, v111
	s_cbranch_execz .LBB49_389
	s_branch .LBB49_390
.LBB49_388:
                                        ; implicit-def: $vgpr104_vgpr105
.LBB49_389:
	ds_load_b64 v[104:105], v1
.LBB49_390:
	s_and_saveexec_b32 s11, s1
	s_cbranch_execz .LBB49_394
; %bb.391:
	v_add_nc_u32_e32 v106, -11, v0
	s_movk_i32 s1, 0x58
	s_movk_i32 s13, 0x1e8
	s_mov_b32 s12, 0
.LBB49_392:                             ; =>This Inner Loop Header: Depth=1
	scratch_load_b64 v[108:109], off, s1
	v_dual_mov_b32 v107, s13 :: v_dual_add_nc_u32 v106, -1, v106
	s_add_co_i32 s13, s13, 8
	s_wait_xcnt 0x0
	s_add_co_i32 s1, s1, 8
	ds_load_b64 v[110:111], v107
	v_cmp_eq_u32_e32 vcc_lo, 0, v106
	s_or_b32 s12, vcc_lo, s12
	s_wait_loadcnt_dscnt 0x0
	v_pk_mul_f32 v[112:113], v[110:111], v[108:109] op_sel:[1,1] op_sel_hi:[0,1]
	s_delay_alu instid0(VALU_DEP_1) | instskip(SKIP_1) | instid1(VALU_DEP_2)
	v_pk_fma_f32 v[114:115], v[110:111], v[108:109], v[112:113] op_sel_hi:[1,0,1]
	v_pk_fma_f32 v[108:109], v[110:111], v[108:109], v[112:113] neg_lo:[0,0,1] neg_hi:[0,0,1]
	v_mov_b32_e32 v109, v115
	s_delay_alu instid0(VALU_DEP_1)
	v_pk_add_f32 v[104:105], v[104:105], v[108:109]
	s_and_not1_b32 exec_lo, exec_lo, s12
	s_cbranch_execnz .LBB49_392
; %bb.393:
	s_or_b32 exec_lo, exec_lo, s12
.LBB49_394:
	s_delay_alu instid0(SALU_CYCLE_1) | instskip(SKIP_4) | instid1(VALU_DEP_1)
	s_or_b32 exec_lo, exec_lo, s11
	v_mov_b32_e32 v106, 0
	ds_load_b64 v[106:107], v106 offset:80
	s_wait_dscnt 0x0
	v_pk_mul_f32 v[108:109], v[104:105], v[106:107] op_sel:[1,1] op_sel_hi:[0,1]
	v_pk_fma_f32 v[110:111], v[104:105], v[106:107], v[108:109] op_sel_hi:[1,0,1]
	v_pk_fma_f32 v[104:105], v[104:105], v[106:107], v[108:109] neg_lo:[0,0,1] neg_hi:[0,0,1]
	s_delay_alu instid0(VALU_DEP_2)
	v_mov_b32_e32 v105, v111
	scratch_store_b64 off, v[104:105], off offset:80
.LBB49_395:
	s_wait_xcnt 0x0
	s_or_b32 exec_lo, exec_lo, s10
	scratch_load_b64 v[104:105], off, off offset:72
	v_cmp_lt_u32_e64 s1, 9, v0
	s_wait_loadcnt 0x0
	ds_store_b64 v1, v[104:105]
	s_wait_storecnt_dscnt 0x0
	s_barrier_signal -1
	s_barrier_wait -1
	s_wait_xcnt 0x0
	s_and_saveexec_b32 s10, s1
	s_cbranch_execz .LBB49_405
; %bb.396:
	s_and_not1_b32 vcc_lo, exec_lo, s3
	s_cbranch_vccnz .LBB49_398
; %bb.397:
	scratch_load_b64 v[104:105], v51, off
	ds_load_b64 v[106:107], v1
	s_wait_loadcnt_dscnt 0x0
	v_pk_mul_f32 v[108:109], v[106:107], v[104:105] op_sel:[1,1] op_sel_hi:[0,1]
	s_delay_alu instid0(VALU_DEP_1) | instskip(SKIP_1) | instid1(VALU_DEP_2)
	v_pk_fma_f32 v[110:111], v[106:107], v[104:105], v[108:109] op_sel_hi:[1,0,1]
	v_pk_fma_f32 v[104:105], v[106:107], v[104:105], v[108:109] neg_lo:[0,0,1] neg_hi:[0,0,1]
	v_mov_b32_e32 v105, v111
	s_cbranch_execz .LBB49_399
	s_branch .LBB49_400
.LBB49_398:
                                        ; implicit-def: $vgpr104_vgpr105
.LBB49_399:
	ds_load_b64 v[104:105], v1
.LBB49_400:
	s_and_saveexec_b32 s11, s0
	s_cbranch_execz .LBB49_404
; %bb.401:
	v_add_nc_u32_e32 v106, -10, v0
	s_movk_i32 s12, 0x1e0
	s_mov_b32 s0, 0
.LBB49_402:                             ; =>This Inner Loop Header: Depth=1
	scratch_load_b64 v[108:109], off, s9
	v_dual_mov_b32 v107, s12 :: v_dual_add_nc_u32 v106, -1, v106
	s_add_co_i32 s12, s12, 8
	s_wait_xcnt 0x0
	s_add_co_i32 s9, s9, 8
	ds_load_b64 v[110:111], v107
	v_cmp_eq_u32_e32 vcc_lo, 0, v106
	s_or_b32 s0, vcc_lo, s0
	s_wait_loadcnt_dscnt 0x0
	v_pk_mul_f32 v[112:113], v[110:111], v[108:109] op_sel:[1,1] op_sel_hi:[0,1]
	s_delay_alu instid0(VALU_DEP_1) | instskip(SKIP_1) | instid1(VALU_DEP_2)
	v_pk_fma_f32 v[114:115], v[110:111], v[108:109], v[112:113] op_sel_hi:[1,0,1]
	v_pk_fma_f32 v[108:109], v[110:111], v[108:109], v[112:113] neg_lo:[0,0,1] neg_hi:[0,0,1]
	v_mov_b32_e32 v109, v115
	s_delay_alu instid0(VALU_DEP_1)
	v_pk_add_f32 v[104:105], v[104:105], v[108:109]
	s_and_not1_b32 exec_lo, exec_lo, s0
	s_cbranch_execnz .LBB49_402
; %bb.403:
	s_or_b32 exec_lo, exec_lo, s0
.LBB49_404:
	s_delay_alu instid0(SALU_CYCLE_1) | instskip(SKIP_4) | instid1(VALU_DEP_1)
	s_or_b32 exec_lo, exec_lo, s11
	v_mov_b32_e32 v106, 0
	ds_load_b64 v[106:107], v106 offset:72
	s_wait_dscnt 0x0
	v_pk_mul_f32 v[108:109], v[104:105], v[106:107] op_sel:[1,1] op_sel_hi:[0,1]
	v_pk_fma_f32 v[110:111], v[104:105], v[106:107], v[108:109] op_sel_hi:[1,0,1]
	v_pk_fma_f32 v[104:105], v[104:105], v[106:107], v[108:109] neg_lo:[0,0,1] neg_hi:[0,0,1]
	s_delay_alu instid0(VALU_DEP_2)
	v_mov_b32_e32 v105, v111
	scratch_store_b64 off, v[104:105], off offset:72
.LBB49_405:
	s_wait_xcnt 0x0
	s_or_b32 exec_lo, exec_lo, s10
	scratch_load_b64 v[104:105], off, off offset:64
	v_cmp_lt_u32_e64 s0, 8, v0
	s_wait_loadcnt 0x0
	ds_store_b64 v1, v[104:105]
	s_wait_storecnt_dscnt 0x0
	s_barrier_signal -1
	s_barrier_wait -1
	s_wait_xcnt 0x0
	s_and_saveexec_b32 s9, s0
	s_cbranch_execz .LBB49_415
; %bb.406:
	s_and_not1_b32 vcc_lo, exec_lo, s3
	s_cbranch_vccnz .LBB49_408
; %bb.407:
	scratch_load_b64 v[104:105], v51, off
	ds_load_b64 v[106:107], v1
	s_wait_loadcnt_dscnt 0x0
	v_pk_mul_f32 v[108:109], v[106:107], v[104:105] op_sel:[1,1] op_sel_hi:[0,1]
	s_delay_alu instid0(VALU_DEP_1) | instskip(SKIP_1) | instid1(VALU_DEP_2)
	v_pk_fma_f32 v[110:111], v[106:107], v[104:105], v[108:109] op_sel_hi:[1,0,1]
	v_pk_fma_f32 v[104:105], v[106:107], v[104:105], v[108:109] neg_lo:[0,0,1] neg_hi:[0,0,1]
	v_mov_b32_e32 v105, v111
	s_cbranch_execz .LBB49_409
	s_branch .LBB49_410
.LBB49_408:
                                        ; implicit-def: $vgpr104_vgpr105
.LBB49_409:
	ds_load_b64 v[104:105], v1
.LBB49_410:
	s_and_saveexec_b32 s10, s1
	s_cbranch_execz .LBB49_414
; %bb.411:
	v_add_nc_u32_e32 v106, -9, v0
	s_movk_i32 s1, 0x48
	s_movk_i32 s12, 0x1d8
	s_mov_b32 s11, 0
.LBB49_412:                             ; =>This Inner Loop Header: Depth=1
	scratch_load_b64 v[108:109], off, s1
	v_dual_mov_b32 v107, s12 :: v_dual_add_nc_u32 v106, -1, v106
	s_add_co_i32 s12, s12, 8
	s_wait_xcnt 0x0
	s_add_co_i32 s1, s1, 8
	ds_load_b64 v[110:111], v107
	v_cmp_eq_u32_e32 vcc_lo, 0, v106
	s_or_b32 s11, vcc_lo, s11
	s_wait_loadcnt_dscnt 0x0
	v_pk_mul_f32 v[112:113], v[110:111], v[108:109] op_sel:[1,1] op_sel_hi:[0,1]
	s_delay_alu instid0(VALU_DEP_1) | instskip(SKIP_1) | instid1(VALU_DEP_2)
	v_pk_fma_f32 v[114:115], v[110:111], v[108:109], v[112:113] op_sel_hi:[1,0,1]
	v_pk_fma_f32 v[108:109], v[110:111], v[108:109], v[112:113] neg_lo:[0,0,1] neg_hi:[0,0,1]
	v_mov_b32_e32 v109, v115
	s_delay_alu instid0(VALU_DEP_1)
	v_pk_add_f32 v[104:105], v[104:105], v[108:109]
	s_and_not1_b32 exec_lo, exec_lo, s11
	s_cbranch_execnz .LBB49_412
; %bb.413:
	s_or_b32 exec_lo, exec_lo, s11
.LBB49_414:
	s_delay_alu instid0(SALU_CYCLE_1) | instskip(SKIP_4) | instid1(VALU_DEP_1)
	s_or_b32 exec_lo, exec_lo, s10
	v_mov_b32_e32 v106, 0
	ds_load_b64 v[106:107], v106 offset:64
	s_wait_dscnt 0x0
	v_pk_mul_f32 v[108:109], v[104:105], v[106:107] op_sel:[1,1] op_sel_hi:[0,1]
	v_pk_fma_f32 v[110:111], v[104:105], v[106:107], v[108:109] op_sel_hi:[1,0,1]
	v_pk_fma_f32 v[104:105], v[104:105], v[106:107], v[108:109] neg_lo:[0,0,1] neg_hi:[0,0,1]
	s_delay_alu instid0(VALU_DEP_2)
	v_mov_b32_e32 v105, v111
	scratch_store_b64 off, v[104:105], off offset:64
.LBB49_415:
	s_wait_xcnt 0x0
	s_or_b32 exec_lo, exec_lo, s9
	scratch_load_b64 v[104:105], off, off offset:56
	v_cmp_lt_u32_e64 s1, 7, v0
	s_wait_loadcnt 0x0
	ds_store_b64 v1, v[104:105]
	s_wait_storecnt_dscnt 0x0
	s_barrier_signal -1
	s_barrier_wait -1
	s_wait_xcnt 0x0
	s_and_saveexec_b32 s9, s1
	s_cbranch_execz .LBB49_425
; %bb.416:
	s_and_not1_b32 vcc_lo, exec_lo, s3
	s_cbranch_vccnz .LBB49_418
; %bb.417:
	scratch_load_b64 v[104:105], v51, off
	ds_load_b64 v[106:107], v1
	s_wait_loadcnt_dscnt 0x0
	v_pk_mul_f32 v[108:109], v[106:107], v[104:105] op_sel:[1,1] op_sel_hi:[0,1]
	s_delay_alu instid0(VALU_DEP_1) | instskip(SKIP_1) | instid1(VALU_DEP_2)
	v_pk_fma_f32 v[110:111], v[106:107], v[104:105], v[108:109] op_sel_hi:[1,0,1]
	v_pk_fma_f32 v[104:105], v[106:107], v[104:105], v[108:109] neg_lo:[0,0,1] neg_hi:[0,0,1]
	v_mov_b32_e32 v105, v111
	s_cbranch_execz .LBB49_419
	s_branch .LBB49_420
.LBB49_418:
                                        ; implicit-def: $vgpr104_vgpr105
.LBB49_419:
	ds_load_b64 v[104:105], v1
.LBB49_420:
	s_and_saveexec_b32 s10, s0
	s_cbranch_execz .LBB49_424
; %bb.421:
	v_add_nc_u32_e32 v106, -8, v0
	s_movk_i32 s11, 0x1d0
	s_mov_b32 s0, 0
.LBB49_422:                             ; =>This Inner Loop Header: Depth=1
	scratch_load_b64 v[108:109], off, s8
	v_dual_mov_b32 v107, s11 :: v_dual_add_nc_u32 v106, -1, v106
	s_add_co_i32 s11, s11, 8
	s_wait_xcnt 0x0
	s_add_co_i32 s8, s8, 8
	ds_load_b64 v[110:111], v107
	v_cmp_eq_u32_e32 vcc_lo, 0, v106
	s_or_b32 s0, vcc_lo, s0
	s_wait_loadcnt_dscnt 0x0
	v_pk_mul_f32 v[112:113], v[110:111], v[108:109] op_sel:[1,1] op_sel_hi:[0,1]
	s_delay_alu instid0(VALU_DEP_1) | instskip(SKIP_1) | instid1(VALU_DEP_2)
	v_pk_fma_f32 v[114:115], v[110:111], v[108:109], v[112:113] op_sel_hi:[1,0,1]
	v_pk_fma_f32 v[108:109], v[110:111], v[108:109], v[112:113] neg_lo:[0,0,1] neg_hi:[0,0,1]
	v_mov_b32_e32 v109, v115
	s_delay_alu instid0(VALU_DEP_1)
	v_pk_add_f32 v[104:105], v[104:105], v[108:109]
	s_and_not1_b32 exec_lo, exec_lo, s0
	s_cbranch_execnz .LBB49_422
; %bb.423:
	s_or_b32 exec_lo, exec_lo, s0
.LBB49_424:
	s_delay_alu instid0(SALU_CYCLE_1) | instskip(SKIP_4) | instid1(VALU_DEP_1)
	s_or_b32 exec_lo, exec_lo, s10
	v_mov_b32_e32 v106, 0
	ds_load_b64 v[106:107], v106 offset:56
	s_wait_dscnt 0x0
	v_pk_mul_f32 v[108:109], v[104:105], v[106:107] op_sel:[1,1] op_sel_hi:[0,1]
	v_pk_fma_f32 v[110:111], v[104:105], v[106:107], v[108:109] op_sel_hi:[1,0,1]
	v_pk_fma_f32 v[104:105], v[104:105], v[106:107], v[108:109] neg_lo:[0,0,1] neg_hi:[0,0,1]
	s_delay_alu instid0(VALU_DEP_2)
	v_mov_b32_e32 v105, v111
	scratch_store_b64 off, v[104:105], off offset:56
.LBB49_425:
	s_wait_xcnt 0x0
	s_or_b32 exec_lo, exec_lo, s9
	scratch_load_b64 v[104:105], off, off offset:48
	v_cmp_lt_u32_e64 s0, 6, v0
	s_wait_loadcnt 0x0
	ds_store_b64 v1, v[104:105]
	s_wait_storecnt_dscnt 0x0
	s_barrier_signal -1
	s_barrier_wait -1
	s_wait_xcnt 0x0
	s_and_saveexec_b32 s8, s0
	s_cbranch_execz .LBB49_435
; %bb.426:
	s_and_not1_b32 vcc_lo, exec_lo, s3
	s_cbranch_vccnz .LBB49_428
; %bb.427:
	scratch_load_b64 v[104:105], v51, off
	ds_load_b64 v[106:107], v1
	s_wait_loadcnt_dscnt 0x0
	v_pk_mul_f32 v[108:109], v[106:107], v[104:105] op_sel:[1,1] op_sel_hi:[0,1]
	s_delay_alu instid0(VALU_DEP_1) | instskip(SKIP_1) | instid1(VALU_DEP_2)
	v_pk_fma_f32 v[110:111], v[106:107], v[104:105], v[108:109] op_sel_hi:[1,0,1]
	v_pk_fma_f32 v[104:105], v[106:107], v[104:105], v[108:109] neg_lo:[0,0,1] neg_hi:[0,0,1]
	v_mov_b32_e32 v105, v111
	s_cbranch_execz .LBB49_429
	s_branch .LBB49_430
.LBB49_428:
                                        ; implicit-def: $vgpr104_vgpr105
.LBB49_429:
	ds_load_b64 v[104:105], v1
.LBB49_430:
	s_and_saveexec_b32 s9, s1
	s_cbranch_execz .LBB49_434
; %bb.431:
	v_add_nc_u32_e32 v106, -7, v0
	s_mov_b32 s1, 56
	s_movk_i32 s11, 0x1c8
	s_mov_b32 s10, 0
.LBB49_432:                             ; =>This Inner Loop Header: Depth=1
	scratch_load_b64 v[108:109], off, s1
	v_dual_mov_b32 v107, s11 :: v_dual_add_nc_u32 v106, -1, v106
	s_add_co_i32 s11, s11, 8
	s_wait_xcnt 0x0
	s_add_co_i32 s1, s1, 8
	ds_load_b64 v[110:111], v107
	v_cmp_eq_u32_e32 vcc_lo, 0, v106
	s_or_b32 s10, vcc_lo, s10
	s_wait_loadcnt_dscnt 0x0
	v_pk_mul_f32 v[112:113], v[110:111], v[108:109] op_sel:[1,1] op_sel_hi:[0,1]
	s_delay_alu instid0(VALU_DEP_1) | instskip(SKIP_1) | instid1(VALU_DEP_2)
	v_pk_fma_f32 v[114:115], v[110:111], v[108:109], v[112:113] op_sel_hi:[1,0,1]
	v_pk_fma_f32 v[108:109], v[110:111], v[108:109], v[112:113] neg_lo:[0,0,1] neg_hi:[0,0,1]
	v_mov_b32_e32 v109, v115
	s_delay_alu instid0(VALU_DEP_1)
	v_pk_add_f32 v[104:105], v[104:105], v[108:109]
	s_and_not1_b32 exec_lo, exec_lo, s10
	s_cbranch_execnz .LBB49_432
; %bb.433:
	s_or_b32 exec_lo, exec_lo, s10
.LBB49_434:
	s_delay_alu instid0(SALU_CYCLE_1) | instskip(SKIP_4) | instid1(VALU_DEP_1)
	s_or_b32 exec_lo, exec_lo, s9
	v_mov_b32_e32 v106, 0
	ds_load_b64 v[106:107], v106 offset:48
	s_wait_dscnt 0x0
	v_pk_mul_f32 v[108:109], v[104:105], v[106:107] op_sel:[1,1] op_sel_hi:[0,1]
	v_pk_fma_f32 v[110:111], v[104:105], v[106:107], v[108:109] op_sel_hi:[1,0,1]
	v_pk_fma_f32 v[104:105], v[104:105], v[106:107], v[108:109] neg_lo:[0,0,1] neg_hi:[0,0,1]
	s_delay_alu instid0(VALU_DEP_2)
	v_mov_b32_e32 v105, v111
	scratch_store_b64 off, v[104:105], off offset:48
.LBB49_435:
	s_wait_xcnt 0x0
	s_or_b32 exec_lo, exec_lo, s8
	scratch_load_b64 v[104:105], off, off offset:40
	v_cmp_lt_u32_e64 s1, 5, v0
	s_wait_loadcnt 0x0
	ds_store_b64 v1, v[104:105]
	s_wait_storecnt_dscnt 0x0
	s_barrier_signal -1
	s_barrier_wait -1
	s_wait_xcnt 0x0
	s_and_saveexec_b32 s8, s1
	s_cbranch_execz .LBB49_445
; %bb.436:
	s_and_not1_b32 vcc_lo, exec_lo, s3
	s_cbranch_vccnz .LBB49_438
; %bb.437:
	scratch_load_b64 v[104:105], v51, off
	ds_load_b64 v[106:107], v1
	s_wait_loadcnt_dscnt 0x0
	v_pk_mul_f32 v[108:109], v[106:107], v[104:105] op_sel:[1,1] op_sel_hi:[0,1]
	s_delay_alu instid0(VALU_DEP_1) | instskip(SKIP_1) | instid1(VALU_DEP_2)
	v_pk_fma_f32 v[110:111], v[106:107], v[104:105], v[108:109] op_sel_hi:[1,0,1]
	v_pk_fma_f32 v[104:105], v[106:107], v[104:105], v[108:109] neg_lo:[0,0,1] neg_hi:[0,0,1]
	v_mov_b32_e32 v105, v111
	s_cbranch_execz .LBB49_439
	s_branch .LBB49_440
.LBB49_438:
                                        ; implicit-def: $vgpr104_vgpr105
.LBB49_439:
	ds_load_b64 v[104:105], v1
.LBB49_440:
	s_and_saveexec_b32 s9, s0
	s_cbranch_execz .LBB49_444
; %bb.441:
	v_add_nc_u32_e32 v106, -6, v0
	s_movk_i32 s10, 0x1c0
	s_mov_b32 s0, 0
.LBB49_442:                             ; =>This Inner Loop Header: Depth=1
	scratch_load_b64 v[108:109], off, s2
	v_dual_mov_b32 v107, s10 :: v_dual_add_nc_u32 v106, -1, v106
	s_add_co_i32 s10, s10, 8
	s_wait_xcnt 0x0
	s_add_co_i32 s2, s2, 8
	ds_load_b64 v[110:111], v107
	v_cmp_eq_u32_e32 vcc_lo, 0, v106
	s_or_b32 s0, vcc_lo, s0
	s_wait_loadcnt_dscnt 0x0
	v_pk_mul_f32 v[112:113], v[110:111], v[108:109] op_sel:[1,1] op_sel_hi:[0,1]
	s_delay_alu instid0(VALU_DEP_1) | instskip(SKIP_1) | instid1(VALU_DEP_2)
	v_pk_fma_f32 v[114:115], v[110:111], v[108:109], v[112:113] op_sel_hi:[1,0,1]
	v_pk_fma_f32 v[108:109], v[110:111], v[108:109], v[112:113] neg_lo:[0,0,1] neg_hi:[0,0,1]
	v_mov_b32_e32 v109, v115
	s_delay_alu instid0(VALU_DEP_1)
	v_pk_add_f32 v[104:105], v[104:105], v[108:109]
	s_and_not1_b32 exec_lo, exec_lo, s0
	s_cbranch_execnz .LBB49_442
; %bb.443:
	s_or_b32 exec_lo, exec_lo, s0
.LBB49_444:
	s_delay_alu instid0(SALU_CYCLE_1) | instskip(SKIP_4) | instid1(VALU_DEP_1)
	s_or_b32 exec_lo, exec_lo, s9
	v_mov_b32_e32 v106, 0
	ds_load_b64 v[106:107], v106 offset:40
	s_wait_dscnt 0x0
	v_pk_mul_f32 v[108:109], v[104:105], v[106:107] op_sel:[1,1] op_sel_hi:[0,1]
	v_pk_fma_f32 v[110:111], v[104:105], v[106:107], v[108:109] op_sel_hi:[1,0,1]
	v_pk_fma_f32 v[104:105], v[104:105], v[106:107], v[108:109] neg_lo:[0,0,1] neg_hi:[0,0,1]
	s_delay_alu instid0(VALU_DEP_2)
	v_mov_b32_e32 v105, v111
	scratch_store_b64 off, v[104:105], off offset:40
.LBB49_445:
	s_wait_xcnt 0x0
	s_or_b32 exec_lo, exec_lo, s8
	scratch_load_b64 v[104:105], off, off offset:32
	v_cmp_lt_u32_e64 s0, 4, v0
	s_wait_loadcnt 0x0
	ds_store_b64 v1, v[104:105]
	s_wait_storecnt_dscnt 0x0
	s_barrier_signal -1
	s_barrier_wait -1
	s_wait_xcnt 0x0
	s_and_saveexec_b32 s2, s0
	s_cbranch_execz .LBB49_455
; %bb.446:
	s_and_not1_b32 vcc_lo, exec_lo, s3
	s_cbranch_vccnz .LBB49_448
; %bb.447:
	scratch_load_b64 v[104:105], v51, off
	ds_load_b64 v[106:107], v1
	s_wait_loadcnt_dscnt 0x0
	v_pk_mul_f32 v[108:109], v[106:107], v[104:105] op_sel:[1,1] op_sel_hi:[0,1]
	s_delay_alu instid0(VALU_DEP_1) | instskip(SKIP_1) | instid1(VALU_DEP_2)
	v_pk_fma_f32 v[110:111], v[106:107], v[104:105], v[108:109] op_sel_hi:[1,0,1]
	v_pk_fma_f32 v[104:105], v[106:107], v[104:105], v[108:109] neg_lo:[0,0,1] neg_hi:[0,0,1]
	v_mov_b32_e32 v105, v111
	s_cbranch_execz .LBB49_449
	s_branch .LBB49_450
.LBB49_448:
                                        ; implicit-def: $vgpr104_vgpr105
.LBB49_449:
	ds_load_b64 v[104:105], v1
.LBB49_450:
	s_and_saveexec_b32 s8, s1
	s_cbranch_execz .LBB49_454
; %bb.451:
	v_add_nc_u32_e32 v106, -5, v0
	s_mov_b32 s1, 40
	s_movk_i32 s10, 0x1b8
	s_mov_b32 s9, 0
.LBB49_452:                             ; =>This Inner Loop Header: Depth=1
	scratch_load_b64 v[108:109], off, s1
	v_dual_mov_b32 v107, s10 :: v_dual_add_nc_u32 v106, -1, v106
	s_add_co_i32 s10, s10, 8
	s_wait_xcnt 0x0
	s_add_co_i32 s1, s1, 8
	ds_load_b64 v[110:111], v107
	v_cmp_eq_u32_e32 vcc_lo, 0, v106
	s_or_b32 s9, vcc_lo, s9
	s_wait_loadcnt_dscnt 0x0
	v_pk_mul_f32 v[112:113], v[110:111], v[108:109] op_sel:[1,1] op_sel_hi:[0,1]
	s_delay_alu instid0(VALU_DEP_1) | instskip(SKIP_1) | instid1(VALU_DEP_2)
	v_pk_fma_f32 v[114:115], v[110:111], v[108:109], v[112:113] op_sel_hi:[1,0,1]
	v_pk_fma_f32 v[108:109], v[110:111], v[108:109], v[112:113] neg_lo:[0,0,1] neg_hi:[0,0,1]
	v_mov_b32_e32 v109, v115
	s_delay_alu instid0(VALU_DEP_1)
	v_pk_add_f32 v[104:105], v[104:105], v[108:109]
	s_and_not1_b32 exec_lo, exec_lo, s9
	s_cbranch_execnz .LBB49_452
; %bb.453:
	s_or_b32 exec_lo, exec_lo, s9
.LBB49_454:
	s_delay_alu instid0(SALU_CYCLE_1) | instskip(SKIP_4) | instid1(VALU_DEP_1)
	s_or_b32 exec_lo, exec_lo, s8
	v_mov_b32_e32 v106, 0
	ds_load_b64 v[106:107], v106 offset:32
	s_wait_dscnt 0x0
	v_pk_mul_f32 v[108:109], v[104:105], v[106:107] op_sel:[1,1] op_sel_hi:[0,1]
	v_pk_fma_f32 v[110:111], v[104:105], v[106:107], v[108:109] op_sel_hi:[1,0,1]
	v_pk_fma_f32 v[104:105], v[104:105], v[106:107], v[108:109] neg_lo:[0,0,1] neg_hi:[0,0,1]
	s_delay_alu instid0(VALU_DEP_2)
	v_mov_b32_e32 v105, v111
	scratch_store_b64 off, v[104:105], off offset:32
.LBB49_455:
	s_wait_xcnt 0x0
	s_or_b32 exec_lo, exec_lo, s2
	scratch_load_b64 v[104:105], off, off offset:24
	v_cmp_lt_u32_e64 s2, 3, v0
	s_wait_loadcnt 0x0
	ds_store_b64 v1, v[104:105]
	s_wait_storecnt_dscnt 0x0
	s_barrier_signal -1
	s_barrier_wait -1
	s_wait_xcnt 0x0
	s_and_saveexec_b32 s1, s2
	s_cbranch_execz .LBB49_465
; %bb.456:
	s_and_not1_b32 vcc_lo, exec_lo, s3
	s_cbranch_vccnz .LBB49_458
; %bb.457:
	scratch_load_b64 v[104:105], v51, off
	ds_load_b64 v[106:107], v1
	s_wait_loadcnt_dscnt 0x0
	v_pk_mul_f32 v[108:109], v[106:107], v[104:105] op_sel:[1,1] op_sel_hi:[0,1]
	s_delay_alu instid0(VALU_DEP_1) | instskip(SKIP_1) | instid1(VALU_DEP_2)
	v_pk_fma_f32 v[110:111], v[106:107], v[104:105], v[108:109] op_sel_hi:[1,0,1]
	v_pk_fma_f32 v[104:105], v[106:107], v[104:105], v[108:109] neg_lo:[0,0,1] neg_hi:[0,0,1]
	v_mov_b32_e32 v105, v111
	s_cbranch_execz .LBB49_459
	s_branch .LBB49_460
.LBB49_458:
                                        ; implicit-def: $vgpr104_vgpr105
.LBB49_459:
	ds_load_b64 v[104:105], v1
.LBB49_460:
	s_and_saveexec_b32 s8, s0
	s_cbranch_execz .LBB49_464
; %bb.461:
	v_add_nc_u32_e32 v106, -4, v0
	s_movk_i32 s9, 0x1b0
	s_mov_b32 s0, 0
.LBB49_462:                             ; =>This Inner Loop Header: Depth=1
	scratch_load_b64 v[108:109], off, s5
	v_dual_mov_b32 v107, s9 :: v_dual_add_nc_u32 v106, -1, v106
	s_add_co_i32 s9, s9, 8
	s_wait_xcnt 0x0
	s_add_co_i32 s5, s5, 8
	ds_load_b64 v[110:111], v107
	v_cmp_eq_u32_e32 vcc_lo, 0, v106
	s_or_b32 s0, vcc_lo, s0
	s_wait_loadcnt_dscnt 0x0
	v_pk_mul_f32 v[112:113], v[110:111], v[108:109] op_sel:[1,1] op_sel_hi:[0,1]
	s_delay_alu instid0(VALU_DEP_1) | instskip(SKIP_1) | instid1(VALU_DEP_2)
	v_pk_fma_f32 v[114:115], v[110:111], v[108:109], v[112:113] op_sel_hi:[1,0,1]
	v_pk_fma_f32 v[108:109], v[110:111], v[108:109], v[112:113] neg_lo:[0,0,1] neg_hi:[0,0,1]
	v_mov_b32_e32 v109, v115
	s_delay_alu instid0(VALU_DEP_1)
	v_pk_add_f32 v[104:105], v[104:105], v[108:109]
	s_and_not1_b32 exec_lo, exec_lo, s0
	s_cbranch_execnz .LBB49_462
; %bb.463:
	s_or_b32 exec_lo, exec_lo, s0
.LBB49_464:
	s_delay_alu instid0(SALU_CYCLE_1) | instskip(SKIP_4) | instid1(VALU_DEP_1)
	s_or_b32 exec_lo, exec_lo, s8
	v_mov_b32_e32 v106, 0
	ds_load_b64 v[106:107], v106 offset:24
	s_wait_dscnt 0x0
	v_pk_mul_f32 v[108:109], v[104:105], v[106:107] op_sel:[1,1] op_sel_hi:[0,1]
	v_pk_fma_f32 v[110:111], v[104:105], v[106:107], v[108:109] op_sel_hi:[1,0,1]
	v_pk_fma_f32 v[104:105], v[104:105], v[106:107], v[108:109] neg_lo:[0,0,1] neg_hi:[0,0,1]
	s_delay_alu instid0(VALU_DEP_2)
	v_mov_b32_e32 v105, v111
	scratch_store_b64 off, v[104:105], off offset:24
.LBB49_465:
	s_wait_xcnt 0x0
	s_or_b32 exec_lo, exec_lo, s1
	scratch_load_b64 v[104:105], off, off offset:16
	v_cmp_lt_u32_e64 s1, 2, v0
	s_wait_loadcnt 0x0
	ds_store_b64 v1, v[104:105]
	s_wait_storecnt_dscnt 0x0
	s_barrier_signal -1
	s_barrier_wait -1
	s_wait_xcnt 0x0
	s_and_saveexec_b32 s0, s1
	s_cbranch_execz .LBB49_475
; %bb.466:
	s_and_not1_b32 vcc_lo, exec_lo, s3
	s_cbranch_vccnz .LBB49_468
; %bb.467:
	scratch_load_b64 v[104:105], v51, off
	ds_load_b64 v[106:107], v1
	s_wait_loadcnt_dscnt 0x0
	v_pk_mul_f32 v[108:109], v[106:107], v[104:105] op_sel:[1,1] op_sel_hi:[0,1]
	s_delay_alu instid0(VALU_DEP_1) | instskip(SKIP_1) | instid1(VALU_DEP_2)
	v_pk_fma_f32 v[110:111], v[106:107], v[104:105], v[108:109] op_sel_hi:[1,0,1]
	v_pk_fma_f32 v[104:105], v[106:107], v[104:105], v[108:109] neg_lo:[0,0,1] neg_hi:[0,0,1]
	v_mov_b32_e32 v105, v111
	s_cbranch_execz .LBB49_469
	s_branch .LBB49_470
.LBB49_468:
                                        ; implicit-def: $vgpr104_vgpr105
.LBB49_469:
	ds_load_b64 v[104:105], v1
.LBB49_470:
	s_and_saveexec_b32 s5, s2
	s_cbranch_execz .LBB49_474
; %bb.471:
	v_add_nc_u32_e32 v106, -3, v0
	s_mov_b32 s2, 24
	s_movk_i32 s9, 0x1a8
	s_mov_b32 s8, 0
.LBB49_472:                             ; =>This Inner Loop Header: Depth=1
	scratch_load_b64 v[108:109], off, s2
	v_dual_mov_b32 v107, s9 :: v_dual_add_nc_u32 v106, -1, v106
	s_add_co_i32 s9, s9, 8
	s_wait_xcnt 0x0
	s_add_co_i32 s2, s2, 8
	ds_load_b64 v[110:111], v107
	v_cmp_eq_u32_e32 vcc_lo, 0, v106
	s_or_b32 s8, vcc_lo, s8
	s_wait_loadcnt_dscnt 0x0
	v_pk_mul_f32 v[112:113], v[110:111], v[108:109] op_sel:[1,1] op_sel_hi:[0,1]
	s_delay_alu instid0(VALU_DEP_1) | instskip(SKIP_1) | instid1(VALU_DEP_2)
	v_pk_fma_f32 v[114:115], v[110:111], v[108:109], v[112:113] op_sel_hi:[1,0,1]
	v_pk_fma_f32 v[108:109], v[110:111], v[108:109], v[112:113] neg_lo:[0,0,1] neg_hi:[0,0,1]
	v_mov_b32_e32 v109, v115
	s_delay_alu instid0(VALU_DEP_1)
	v_pk_add_f32 v[104:105], v[104:105], v[108:109]
	s_and_not1_b32 exec_lo, exec_lo, s8
	s_cbranch_execnz .LBB49_472
; %bb.473:
	s_or_b32 exec_lo, exec_lo, s8
.LBB49_474:
	s_delay_alu instid0(SALU_CYCLE_1) | instskip(SKIP_4) | instid1(VALU_DEP_1)
	s_or_b32 exec_lo, exec_lo, s5
	v_mov_b32_e32 v106, 0
	ds_load_b64 v[106:107], v106 offset:16
	s_wait_dscnt 0x0
	v_pk_mul_f32 v[108:109], v[104:105], v[106:107] op_sel:[1,1] op_sel_hi:[0,1]
	v_pk_fma_f32 v[110:111], v[104:105], v[106:107], v[108:109] op_sel_hi:[1,0,1]
	v_pk_fma_f32 v[104:105], v[104:105], v[106:107], v[108:109] neg_lo:[0,0,1] neg_hi:[0,0,1]
	s_delay_alu instid0(VALU_DEP_2)
	v_mov_b32_e32 v105, v111
	scratch_store_b64 off, v[104:105], off offset:16
.LBB49_475:
	s_wait_xcnt 0x0
	s_or_b32 exec_lo, exec_lo, s0
	scratch_load_b64 v[104:105], off, off offset:8
	v_cmp_lt_u32_e64 s0, 1, v0
	s_wait_loadcnt 0x0
	ds_store_b64 v1, v[104:105]
	s_wait_storecnt_dscnt 0x0
	s_barrier_signal -1
	s_barrier_wait -1
	s_wait_xcnt 0x0
	s_and_saveexec_b32 s2, s0
	s_cbranch_execz .LBB49_485
; %bb.476:
	s_and_not1_b32 vcc_lo, exec_lo, s3
	s_cbranch_vccnz .LBB49_478
; %bb.477:
	scratch_load_b64 v[104:105], v51, off
	ds_load_b64 v[106:107], v1
	s_wait_loadcnt_dscnt 0x0
	v_pk_mul_f32 v[108:109], v[106:107], v[104:105] op_sel:[1,1] op_sel_hi:[0,1]
	s_delay_alu instid0(VALU_DEP_1) | instskip(SKIP_1) | instid1(VALU_DEP_2)
	v_pk_fma_f32 v[110:111], v[106:107], v[104:105], v[108:109] op_sel_hi:[1,0,1]
	v_pk_fma_f32 v[104:105], v[106:107], v[104:105], v[108:109] neg_lo:[0,0,1] neg_hi:[0,0,1]
	v_mov_b32_e32 v105, v111
	s_cbranch_execz .LBB49_479
	s_branch .LBB49_480
.LBB49_478:
                                        ; implicit-def: $vgpr104_vgpr105
.LBB49_479:
	ds_load_b64 v[104:105], v1
.LBB49_480:
	s_and_saveexec_b32 s5, s1
	s_cbranch_execz .LBB49_484
; %bb.481:
	v_add_nc_u32_e32 v106, -2, v0
	s_movk_i32 s8, 0x1a0
	s_mov_b32 s1, 0
.LBB49_482:                             ; =>This Inner Loop Header: Depth=1
	scratch_load_b64 v[108:109], off, s4
	v_dual_mov_b32 v107, s8 :: v_dual_add_nc_u32 v106, -1, v106
	s_add_co_i32 s8, s8, 8
	s_wait_xcnt 0x0
	s_add_co_i32 s4, s4, 8
	ds_load_b64 v[110:111], v107
	v_cmp_eq_u32_e32 vcc_lo, 0, v106
	s_or_b32 s1, vcc_lo, s1
	s_wait_loadcnt_dscnt 0x0
	v_pk_mul_f32 v[112:113], v[110:111], v[108:109] op_sel:[1,1] op_sel_hi:[0,1]
	s_delay_alu instid0(VALU_DEP_1) | instskip(SKIP_1) | instid1(VALU_DEP_2)
	v_pk_fma_f32 v[114:115], v[110:111], v[108:109], v[112:113] op_sel_hi:[1,0,1]
	v_pk_fma_f32 v[108:109], v[110:111], v[108:109], v[112:113] neg_lo:[0,0,1] neg_hi:[0,0,1]
	v_mov_b32_e32 v109, v115
	s_delay_alu instid0(VALU_DEP_1)
	v_pk_add_f32 v[104:105], v[104:105], v[108:109]
	s_and_not1_b32 exec_lo, exec_lo, s1
	s_cbranch_execnz .LBB49_482
; %bb.483:
	s_or_b32 exec_lo, exec_lo, s1
.LBB49_484:
	s_delay_alu instid0(SALU_CYCLE_1) | instskip(SKIP_4) | instid1(VALU_DEP_1)
	s_or_b32 exec_lo, exec_lo, s5
	v_mov_b32_e32 v106, 0
	ds_load_b64 v[106:107], v106 offset:8
	s_wait_dscnt 0x0
	v_pk_mul_f32 v[108:109], v[104:105], v[106:107] op_sel:[1,1] op_sel_hi:[0,1]
	v_pk_fma_f32 v[110:111], v[104:105], v[106:107], v[108:109] op_sel_hi:[1,0,1]
	v_pk_fma_f32 v[104:105], v[104:105], v[106:107], v[108:109] neg_lo:[0,0,1] neg_hi:[0,0,1]
	s_delay_alu instid0(VALU_DEP_2)
	v_mov_b32_e32 v105, v111
	scratch_store_b64 off, v[104:105], off offset:8
.LBB49_485:
	s_wait_xcnt 0x0
	s_or_b32 exec_lo, exec_lo, s2
	scratch_load_b64 v[104:105], off, off
	s_mov_b32 s2, 0
	s_mov_b32 s1, 0
	s_mov_b32 s5, exec_lo
                                        ; implicit-def: $vgpr140
                                        ; implicit-def: $sgpr4
	s_wait_loadcnt 0x0
	ds_store_b64 v1, v[104:105]
	s_wait_storecnt_dscnt 0x0
	s_barrier_signal -1
	s_barrier_wait -1
	s_wait_xcnt 0x0
	v_cmpx_ne_u32_e32 0, v0
	s_cbranch_execz .LBB49_495
; %bb.486:
	s_and_not1_b32 vcc_lo, exec_lo, s3
	s_cbranch_vccnz .LBB49_488
; %bb.487:
	scratch_load_b64 v[106:107], v51, off
	ds_load_b64 v[108:109], v1
	s_wait_loadcnt_dscnt 0x0
	v_dual_mul_f32 v104, v109, v107 :: v_dual_mul_f32 v105, v108, v107
	s_delay_alu instid0(VALU_DEP_1)
	v_dual_fma_f32 v104, v108, v106, -v104 :: v_dual_fmac_f32 v105, v109, v106
	s_and_not1_b32 vcc_lo, exec_lo, s1
	s_cbranch_vccz .LBB49_489
	s_branch .LBB49_490
.LBB49_488:
                                        ; implicit-def: $vgpr104
.LBB49_489:
	ds_load_b64 v[104:105], v1
.LBB49_490:
	s_and_saveexec_b32 s1, s0
	s_cbranch_execz .LBB49_494
; %bb.491:
	v_add_nc_u32_e32 v106, -1, v0
	s_or_b32 s0, 0, 8
	s_movk_i32 s8, 0x198
	s_mov_b32 s4, 0
.LBB49_492:                             ; =>This Inner Loop Header: Depth=1
	scratch_load_b64 v[108:109], off, s0
	v_mov_b32_e32 v107, s8
	s_add_co_i32 s8, s8, 8
	s_wait_xcnt 0x0
	s_add_co_i32 s0, s0, 8
	v_add_nc_u32_e32 v106, -1, v106
	ds_load_b64 v[110:111], v107
	v_cmp_eq_u32_e32 vcc_lo, 0, v106
	s_or_b32 s4, vcc_lo, s4
	s_wait_loadcnt_dscnt 0x0
	v_dual_mul_f32 v107, v111, v109 :: v_dual_mul_f32 v109, v110, v109
	s_delay_alu instid0(VALU_DEP_1) | instskip(NEXT) | instid1(VALU_DEP_1)
	v_dual_fma_f32 v107, v110, v108, -v107 :: v_dual_fmac_f32 v109, v111, v108
	v_dual_add_f32 v104, v104, v107 :: v_dual_add_f32 v105, v105, v109
	s_and_not1_b32 exec_lo, exec_lo, s4
	s_cbranch_execnz .LBB49_492
; %bb.493:
	s_or_b32 exec_lo, exec_lo, s4
.LBB49_494:
	s_delay_alu instid0(SALU_CYCLE_1)
	s_or_b32 exec_lo, exec_lo, s1
	v_mov_b32_e32 v106, 0
	s_mov_b32 s1, exec_lo
	s_or_b32 s4, 0, 4
	ds_load_b64 v[106:107], v106
	s_wait_dscnt 0x0
	v_dual_mul_f32 v108, v105, v107 :: v_dual_mul_f32 v140, v104, v107
	s_delay_alu instid0(VALU_DEP_1) | instskip(NEXT) | instid1(VALU_DEP_2)
	v_fma_f32 v104, v104, v106, -v108
	v_fmac_f32_e32 v140, v105, v106
	scratch_store_b32 off, v104, off
.LBB49_495:
	s_wait_xcnt 0x0
	s_or_b32 exec_lo, exec_lo, s5
	s_delay_alu instid0(SALU_CYCLE_1)
	s_and_b32 vcc_lo, exec_lo, s2
	s_cbranch_vccz .LBB49_981
.LBB49_496:
	scratch_load_b64 v[104:105], off, off offset:8
	v_cmp_eq_u32_e64 s0, 0, v0
	s_wait_loadcnt 0x0
	ds_store_b64 v1, v[104:105]
	s_wait_storecnt_dscnt 0x0
	s_barrier_signal -1
	s_barrier_wait -1
	s_wait_xcnt 0x0
	s_and_saveexec_b32 s2, s0
	s_cbranch_execz .LBB49_502
; %bb.497:
	s_and_b32 vcc_lo, exec_lo, s3
	s_cbranch_vccz .LBB49_499
; %bb.498:
	scratch_load_b64 v[104:105], v51, off
	ds_load_b64 v[106:107], v1
	s_wait_loadcnt_dscnt 0x0
	v_pk_mul_f32 v[108:109], v[106:107], v[104:105] op_sel:[1,1] op_sel_hi:[0,1]
	v_pk_mul_f32 v[110:111], v[106:107], v[104:105] op_sel_hi:[1,0]
	s_delay_alu instid0(VALU_DEP_2) | instskip(NEXT) | instid1(VALU_DEP_2)
	v_pk_fma_f32 v[104:105], v[106:107], v[104:105], v[108:109] op_sel_hi:[1,0,1]
	v_sub_f32_e32 v104, v110, v108
	s_cbranch_execz .LBB49_500
	s_branch .LBB49_501
.LBB49_499:
                                        ; implicit-def: $vgpr105
.LBB49_500:
	ds_load_b64 v[104:105], v1
.LBB49_501:
	s_wait_dscnt 0x0
	v_dual_mov_b32 v106, 0 :: v_dual_mov_b32 v108, v105
	v_mov_b32_e32 v109, v104
	ds_load_b64 v[106:107], v106 offset:8
	s_wait_dscnt 0x0
	v_pk_mul_f32 v[108:109], v[108:109], v[106:107] op_sel:[0,1]
	s_delay_alu instid0(VALU_DEP_1) | instskip(SKIP_1) | instid1(VALU_DEP_2)
	v_pk_fma_f32 v[110:111], v[104:105], v[106:107], v[108:109] op_sel_hi:[1,0,1]
	v_pk_fma_f32 v[104:105], v[104:105], v[106:107], v[108:109] neg_lo:[0,0,1] neg_hi:[0,0,1]
	v_mov_b32_e32 v105, v111
	scratch_store_b64 off, v[104:105], off offset:8
.LBB49_502:
	s_wait_xcnt 0x0
	s_or_b32 exec_lo, exec_lo, s2
	scratch_load_b64 v[104:105], off, off offset:16
	v_cndmask_b32_e64 v106, 0, 1, s3
	s_mov_b32 s2, exec_lo
	s_wait_loadcnt 0x0
	ds_store_b64 v1, v[104:105]
	s_wait_storecnt_dscnt 0x0
	s_barrier_signal -1
	s_barrier_wait -1
	s_wait_xcnt 0x0
	v_cmpx_gt_u32_e32 2, v0
	s_cbranch_execz .LBB49_510
; %bb.503:
	s_and_not1_b32 vcc_lo, exec_lo, s3
	s_cbranch_vccnz .LBB49_505
; %bb.504:
	scratch_load_b64 v[104:105], v51, off
	ds_load_b64 v[108:109], v1
	s_wait_loadcnt_dscnt 0x0
	v_pk_mul_f32 v[110:111], v[108:109], v[104:105] op_sel:[1,1] op_sel_hi:[0,1]
	s_delay_alu instid0(VALU_DEP_1) | instskip(SKIP_1) | instid1(VALU_DEP_2)
	v_pk_fma_f32 v[112:113], v[108:109], v[104:105], v[110:111] op_sel_hi:[1,0,1]
	v_pk_fma_f32 v[104:105], v[108:109], v[104:105], v[110:111] neg_lo:[0,0,1] neg_hi:[0,0,1]
	v_mov_b32_e32 v105, v113
	s_cbranch_execz .LBB49_506
	s_branch .LBB49_507
.LBB49_505:
                                        ; implicit-def: $vgpr104_vgpr105
.LBB49_506:
	ds_load_b64 v[104:105], v1
.LBB49_507:
	s_and_saveexec_b32 s3, s0
	s_cbranch_execz .LBB49_509
; %bb.508:
	scratch_load_b64 v[108:109], off, off offset:8
	v_mov_b32_e32 v107, 0
	ds_load_b64 v[110:111], v107 offset:408
	s_wait_loadcnt_dscnt 0x0
	v_pk_mul_f32 v[112:113], v[110:111], v[108:109] op_sel:[1,1] op_sel_hi:[0,1]
	s_delay_alu instid0(VALU_DEP_1) | instskip(SKIP_1) | instid1(VALU_DEP_2)
	v_pk_fma_f32 v[114:115], v[110:111], v[108:109], v[112:113] op_sel_hi:[1,0,1]
	v_pk_fma_f32 v[108:109], v[110:111], v[108:109], v[112:113] neg_lo:[0,0,1] neg_hi:[0,0,1]
	v_mov_b32_e32 v109, v115
	s_delay_alu instid0(VALU_DEP_1)
	v_pk_add_f32 v[104:105], v[104:105], v[108:109]
.LBB49_509:
	s_or_b32 exec_lo, exec_lo, s3
	v_mov_b32_e32 v107, 0
	ds_load_b64 v[108:109], v107 offset:16
	s_wait_dscnt 0x0
	v_pk_mul_f32 v[110:111], v[104:105], v[108:109] op_sel:[1,1] op_sel_hi:[0,1]
	s_delay_alu instid0(VALU_DEP_1) | instskip(SKIP_1) | instid1(VALU_DEP_2)
	v_pk_fma_f32 v[112:113], v[104:105], v[108:109], v[110:111] op_sel_hi:[1,0,1]
	v_pk_fma_f32 v[104:105], v[104:105], v[108:109], v[110:111] neg_lo:[0,0,1] neg_hi:[0,0,1]
	v_mov_b32_e32 v105, v113
	scratch_store_b64 off, v[104:105], off offset:16
.LBB49_510:
	s_wait_xcnt 0x0
	s_or_b32 exec_lo, exec_lo, s2
	scratch_load_b64 v[104:105], off, off offset:24
	s_mov_b32 s2, exec_lo
	s_wait_loadcnt 0x0
	ds_store_b64 v1, v[104:105]
	s_wait_storecnt_dscnt 0x0
	s_barrier_signal -1
	s_barrier_wait -1
	s_wait_xcnt 0x0
	v_cmpx_gt_u32_e32 3, v0
	s_cbranch_execz .LBB49_520
; %bb.511:
	v_cmp_ne_u32_e32 vcc_lo, 1, v106
	s_cbranch_vccnz .LBB49_513
; %bb.512:
	scratch_load_b64 v[104:105], v51, off
	ds_load_b64 v[108:109], v1
	s_wait_loadcnt_dscnt 0x0
	v_pk_mul_f32 v[110:111], v[108:109], v[104:105] op_sel:[1,1] op_sel_hi:[0,1]
	s_delay_alu instid0(VALU_DEP_1) | instskip(SKIP_1) | instid1(VALU_DEP_2)
	v_pk_fma_f32 v[112:113], v[108:109], v[104:105], v[110:111] op_sel_hi:[1,0,1]
	v_pk_fma_f32 v[104:105], v[108:109], v[104:105], v[110:111] neg_lo:[0,0,1] neg_hi:[0,0,1]
	v_mov_b32_e32 v105, v113
	s_cbranch_execz .LBB49_514
	s_branch .LBB49_515
.LBB49_513:
                                        ; implicit-def: $vgpr104_vgpr105
.LBB49_514:
	ds_load_b64 v[104:105], v1
.LBB49_515:
	s_mov_b32 s3, exec_lo
	v_cmpx_ne_u32_e32 2, v0
	s_cbranch_execz .LBB49_519
; %bb.516:
	scratch_load_b64 v[108:109], v51, off offset:8
	ds_load_b64 v[110:111], v1 offset:8
	s_wait_loadcnt_dscnt 0x0
	v_pk_mul_f32 v[112:113], v[110:111], v[108:109] op_sel:[1,1] op_sel_hi:[0,1]
	s_delay_alu instid0(VALU_DEP_1) | instskip(SKIP_1) | instid1(VALU_DEP_2)
	v_pk_fma_f32 v[114:115], v[110:111], v[108:109], v[112:113] op_sel_hi:[1,0,1]
	v_pk_fma_f32 v[108:109], v[110:111], v[108:109], v[112:113] neg_lo:[0,0,1] neg_hi:[0,0,1]
	v_mov_b32_e32 v109, v115
	s_delay_alu instid0(VALU_DEP_1)
	v_pk_add_f32 v[104:105], v[104:105], v[108:109]
	s_and_saveexec_b32 s4, s0
	s_cbranch_execz .LBB49_518
; %bb.517:
	scratch_load_b64 v[108:109], off, off offset:16
	v_mov_b32_e32 v107, 0
	ds_load_b64 v[110:111], v107 offset:416
	s_wait_loadcnt_dscnt 0x0
	v_pk_mul_f32 v[112:113], v[110:111], v[108:109] op_sel:[1,1] op_sel_hi:[0,1]
	s_delay_alu instid0(VALU_DEP_1) | instskip(SKIP_1) | instid1(VALU_DEP_2)
	v_pk_fma_f32 v[114:115], v[110:111], v[108:109], v[112:113] op_sel_hi:[1,0,1]
	v_pk_fma_f32 v[108:109], v[110:111], v[108:109], v[112:113] neg_lo:[0,0,1] neg_hi:[0,0,1]
	v_mov_b32_e32 v109, v115
	s_delay_alu instid0(VALU_DEP_1)
	v_pk_add_f32 v[104:105], v[104:105], v[108:109]
.LBB49_518:
	s_or_b32 exec_lo, exec_lo, s4
.LBB49_519:
	s_delay_alu instid0(SALU_CYCLE_1) | instskip(SKIP_4) | instid1(VALU_DEP_1)
	s_or_b32 exec_lo, exec_lo, s3
	v_mov_b32_e32 v107, 0
	ds_load_b64 v[108:109], v107 offset:24
	s_wait_dscnt 0x0
	v_pk_mul_f32 v[110:111], v[104:105], v[108:109] op_sel:[1,1] op_sel_hi:[0,1]
	v_pk_fma_f32 v[112:113], v[104:105], v[108:109], v[110:111] op_sel_hi:[1,0,1]
	v_pk_fma_f32 v[104:105], v[104:105], v[108:109], v[110:111] neg_lo:[0,0,1] neg_hi:[0,0,1]
	s_delay_alu instid0(VALU_DEP_2)
	v_mov_b32_e32 v105, v113
	scratch_store_b64 off, v[104:105], off offset:24
.LBB49_520:
	s_wait_xcnt 0x0
	s_or_b32 exec_lo, exec_lo, s2
	scratch_load_b64 v[104:105], off, off offset:32
	s_mov_b32 s0, exec_lo
	s_wait_loadcnt 0x0
	ds_store_b64 v1, v[104:105]
	s_wait_storecnt_dscnt 0x0
	s_barrier_signal -1
	s_barrier_wait -1
	s_wait_xcnt 0x0
	v_cmpx_gt_u32_e32 4, v0
	s_cbranch_execz .LBB49_530
; %bb.521:
	v_cmp_ne_u32_e32 vcc_lo, 1, v106
	s_cbranch_vccnz .LBB49_523
; %bb.522:
	scratch_load_b64 v[104:105], v51, off
	ds_load_b64 v[108:109], v1
	s_wait_loadcnt_dscnt 0x0
	v_pk_mul_f32 v[110:111], v[108:109], v[104:105] op_sel:[1,1] op_sel_hi:[0,1]
	s_delay_alu instid0(VALU_DEP_1) | instskip(SKIP_1) | instid1(VALU_DEP_2)
	v_pk_fma_f32 v[112:113], v[108:109], v[104:105], v[110:111] op_sel_hi:[1,0,1]
	v_pk_fma_f32 v[104:105], v[108:109], v[104:105], v[110:111] neg_lo:[0,0,1] neg_hi:[0,0,1]
	v_mov_b32_e32 v105, v113
	s_cbranch_execz .LBB49_524
	s_branch .LBB49_525
.LBB49_523:
                                        ; implicit-def: $vgpr104_vgpr105
.LBB49_524:
	ds_load_b64 v[104:105], v1
.LBB49_525:
	s_mov_b32 s2, exec_lo
	v_cmpx_ne_u32_e32 3, v0
	s_cbranch_execz .LBB49_529
; %bb.526:
	v_add_nc_u32_e32 v107, 0x198, v50
	v_add3_u32 v108, 0, v50, 8
	v_mov_b32_e32 v109, v0
	s_mov_b32 s3, 0
.LBB49_527:                             ; =>This Inner Loop Header: Depth=1
	scratch_load_b64 v[110:111], v108, off
	ds_load_b64 v[112:113], v107
	s_wait_xcnt 0x0
	v_dual_add_nc_u32 v107, 8, v107 :: v_dual_add_nc_u32 v108, 8, v108
	s_wait_loadcnt_dscnt 0x0
	v_pk_mul_f32 v[114:115], v[112:113], v[110:111] op_sel:[1,1] op_sel_hi:[0,1]
	s_delay_alu instid0(VALU_DEP_1) | instskip(SKIP_2) | instid1(VALU_DEP_3)
	v_pk_fma_f32 v[116:117], v[112:113], v[110:111], v[114:115] op_sel_hi:[1,0,1]
	v_add_nc_u32_e32 v109, 1, v109
	v_pk_fma_f32 v[110:111], v[112:113], v[110:111], v[114:115] neg_lo:[0,0,1] neg_hi:[0,0,1]
	v_mov_b32_e32 v111, v117
	s_delay_alu instid0(VALU_DEP_3) | instskip(NEXT) | instid1(VALU_DEP_2)
	v_cmp_lt_u32_e32 vcc_lo, 2, v109
	v_pk_add_f32 v[104:105], v[104:105], v[110:111]
	s_or_b32 s3, vcc_lo, s3
	s_delay_alu instid0(SALU_CYCLE_1)
	s_and_not1_b32 exec_lo, exec_lo, s3
	s_cbranch_execnz .LBB49_527
; %bb.528:
	s_or_b32 exec_lo, exec_lo, s3
.LBB49_529:
	s_delay_alu instid0(SALU_CYCLE_1) | instskip(SKIP_4) | instid1(VALU_DEP_1)
	s_or_b32 exec_lo, exec_lo, s2
	v_mov_b32_e32 v107, 0
	ds_load_b64 v[108:109], v107 offset:32
	s_wait_dscnt 0x0
	v_pk_mul_f32 v[110:111], v[104:105], v[108:109] op_sel:[1,1] op_sel_hi:[0,1]
	v_pk_fma_f32 v[112:113], v[104:105], v[108:109], v[110:111] op_sel_hi:[1,0,1]
	v_pk_fma_f32 v[104:105], v[104:105], v[108:109], v[110:111] neg_lo:[0,0,1] neg_hi:[0,0,1]
	s_delay_alu instid0(VALU_DEP_2)
	v_mov_b32_e32 v105, v113
	scratch_store_b64 off, v[104:105], off offset:32
.LBB49_530:
	s_wait_xcnt 0x0
	s_or_b32 exec_lo, exec_lo, s0
	scratch_load_b64 v[104:105], off, off offset:40
	s_mov_b32 s0, exec_lo
	s_wait_loadcnt 0x0
	ds_store_b64 v1, v[104:105]
	s_wait_storecnt_dscnt 0x0
	s_barrier_signal -1
	s_barrier_wait -1
	s_wait_xcnt 0x0
	v_cmpx_gt_u32_e32 5, v0
	s_cbranch_execz .LBB49_540
; %bb.531:
	v_cmp_ne_u32_e32 vcc_lo, 1, v106
	s_cbranch_vccnz .LBB49_533
; %bb.532:
	scratch_load_b64 v[104:105], v51, off
	ds_load_b64 v[108:109], v1
	s_wait_loadcnt_dscnt 0x0
	v_pk_mul_f32 v[110:111], v[108:109], v[104:105] op_sel:[1,1] op_sel_hi:[0,1]
	s_delay_alu instid0(VALU_DEP_1) | instskip(SKIP_1) | instid1(VALU_DEP_2)
	v_pk_fma_f32 v[112:113], v[108:109], v[104:105], v[110:111] op_sel_hi:[1,0,1]
	v_pk_fma_f32 v[104:105], v[108:109], v[104:105], v[110:111] neg_lo:[0,0,1] neg_hi:[0,0,1]
	v_mov_b32_e32 v105, v113
	s_cbranch_execz .LBB49_534
	s_branch .LBB49_535
.LBB49_533:
                                        ; implicit-def: $vgpr104_vgpr105
.LBB49_534:
	ds_load_b64 v[104:105], v1
.LBB49_535:
	s_mov_b32 s2, exec_lo
	v_cmpx_ne_u32_e32 4, v0
	s_cbranch_execz .LBB49_539
; %bb.536:
	v_add_nc_u32_e32 v107, 0x198, v50
	v_add3_u32 v108, 0, v50, 8
	v_mov_b32_e32 v109, v0
	s_mov_b32 s3, 0
.LBB49_537:                             ; =>This Inner Loop Header: Depth=1
	scratch_load_b64 v[110:111], v108, off
	ds_load_b64 v[112:113], v107
	s_wait_xcnt 0x0
	v_dual_add_nc_u32 v107, 8, v107 :: v_dual_add_nc_u32 v108, 8, v108
	s_wait_loadcnt_dscnt 0x0
	v_pk_mul_f32 v[114:115], v[112:113], v[110:111] op_sel:[1,1] op_sel_hi:[0,1]
	s_delay_alu instid0(VALU_DEP_1) | instskip(SKIP_2) | instid1(VALU_DEP_3)
	v_pk_fma_f32 v[116:117], v[112:113], v[110:111], v[114:115] op_sel_hi:[1,0,1]
	v_add_nc_u32_e32 v109, 1, v109
	v_pk_fma_f32 v[110:111], v[112:113], v[110:111], v[114:115] neg_lo:[0,0,1] neg_hi:[0,0,1]
	v_mov_b32_e32 v111, v117
	s_delay_alu instid0(VALU_DEP_3) | instskip(NEXT) | instid1(VALU_DEP_2)
	v_cmp_lt_u32_e32 vcc_lo, 3, v109
	v_pk_add_f32 v[104:105], v[104:105], v[110:111]
	s_or_b32 s3, vcc_lo, s3
	s_delay_alu instid0(SALU_CYCLE_1)
	s_and_not1_b32 exec_lo, exec_lo, s3
	s_cbranch_execnz .LBB49_537
; %bb.538:
	s_or_b32 exec_lo, exec_lo, s3
.LBB49_539:
	s_delay_alu instid0(SALU_CYCLE_1) | instskip(SKIP_4) | instid1(VALU_DEP_1)
	s_or_b32 exec_lo, exec_lo, s2
	v_mov_b32_e32 v107, 0
	ds_load_b64 v[108:109], v107 offset:40
	s_wait_dscnt 0x0
	v_pk_mul_f32 v[110:111], v[104:105], v[108:109] op_sel:[1,1] op_sel_hi:[0,1]
	v_pk_fma_f32 v[112:113], v[104:105], v[108:109], v[110:111] op_sel_hi:[1,0,1]
	v_pk_fma_f32 v[104:105], v[104:105], v[108:109], v[110:111] neg_lo:[0,0,1] neg_hi:[0,0,1]
	s_delay_alu instid0(VALU_DEP_2)
	v_mov_b32_e32 v105, v113
	scratch_store_b64 off, v[104:105], off offset:40
.LBB49_540:
	s_wait_xcnt 0x0
	s_or_b32 exec_lo, exec_lo, s0
	scratch_load_b64 v[104:105], off, off offset:48
	s_mov_b32 s0, exec_lo
	s_wait_loadcnt 0x0
	ds_store_b64 v1, v[104:105]
	s_wait_storecnt_dscnt 0x0
	s_barrier_signal -1
	s_barrier_wait -1
	s_wait_xcnt 0x0
	v_cmpx_gt_u32_e32 6, v0
	s_cbranch_execz .LBB49_550
; %bb.541:
	v_cmp_ne_u32_e32 vcc_lo, 1, v106
	s_cbranch_vccnz .LBB49_543
; %bb.542:
	scratch_load_b64 v[104:105], v51, off
	ds_load_b64 v[108:109], v1
	s_wait_loadcnt_dscnt 0x0
	v_pk_mul_f32 v[110:111], v[108:109], v[104:105] op_sel:[1,1] op_sel_hi:[0,1]
	s_delay_alu instid0(VALU_DEP_1) | instskip(SKIP_1) | instid1(VALU_DEP_2)
	v_pk_fma_f32 v[112:113], v[108:109], v[104:105], v[110:111] op_sel_hi:[1,0,1]
	v_pk_fma_f32 v[104:105], v[108:109], v[104:105], v[110:111] neg_lo:[0,0,1] neg_hi:[0,0,1]
	v_mov_b32_e32 v105, v113
	s_cbranch_execz .LBB49_544
	s_branch .LBB49_545
.LBB49_543:
                                        ; implicit-def: $vgpr104_vgpr105
.LBB49_544:
	ds_load_b64 v[104:105], v1
.LBB49_545:
	s_mov_b32 s2, exec_lo
	v_cmpx_ne_u32_e32 5, v0
	s_cbranch_execz .LBB49_549
; %bb.546:
	v_add_nc_u32_e32 v107, 0x198, v50
	v_add3_u32 v108, 0, v50, 8
	v_mov_b32_e32 v109, v0
	s_mov_b32 s3, 0
.LBB49_547:                             ; =>This Inner Loop Header: Depth=1
	scratch_load_b64 v[110:111], v108, off
	ds_load_b64 v[112:113], v107
	s_wait_xcnt 0x0
	v_dual_add_nc_u32 v107, 8, v107 :: v_dual_add_nc_u32 v108, 8, v108
	s_wait_loadcnt_dscnt 0x0
	v_pk_mul_f32 v[114:115], v[112:113], v[110:111] op_sel:[1,1] op_sel_hi:[0,1]
	s_delay_alu instid0(VALU_DEP_1) | instskip(SKIP_2) | instid1(VALU_DEP_3)
	v_pk_fma_f32 v[116:117], v[112:113], v[110:111], v[114:115] op_sel_hi:[1,0,1]
	v_add_nc_u32_e32 v109, 1, v109
	v_pk_fma_f32 v[110:111], v[112:113], v[110:111], v[114:115] neg_lo:[0,0,1] neg_hi:[0,0,1]
	v_mov_b32_e32 v111, v117
	s_delay_alu instid0(VALU_DEP_3) | instskip(NEXT) | instid1(VALU_DEP_2)
	v_cmp_lt_u32_e32 vcc_lo, 4, v109
	v_pk_add_f32 v[104:105], v[104:105], v[110:111]
	s_or_b32 s3, vcc_lo, s3
	s_delay_alu instid0(SALU_CYCLE_1)
	s_and_not1_b32 exec_lo, exec_lo, s3
	s_cbranch_execnz .LBB49_547
; %bb.548:
	s_or_b32 exec_lo, exec_lo, s3
.LBB49_549:
	s_delay_alu instid0(SALU_CYCLE_1) | instskip(SKIP_4) | instid1(VALU_DEP_1)
	s_or_b32 exec_lo, exec_lo, s2
	v_mov_b32_e32 v107, 0
	ds_load_b64 v[108:109], v107 offset:48
	s_wait_dscnt 0x0
	v_pk_mul_f32 v[110:111], v[104:105], v[108:109] op_sel:[1,1] op_sel_hi:[0,1]
	v_pk_fma_f32 v[112:113], v[104:105], v[108:109], v[110:111] op_sel_hi:[1,0,1]
	v_pk_fma_f32 v[104:105], v[104:105], v[108:109], v[110:111] neg_lo:[0,0,1] neg_hi:[0,0,1]
	s_delay_alu instid0(VALU_DEP_2)
	v_mov_b32_e32 v105, v113
	scratch_store_b64 off, v[104:105], off offset:48
.LBB49_550:
	s_wait_xcnt 0x0
	s_or_b32 exec_lo, exec_lo, s0
	scratch_load_b64 v[104:105], off, off offset:56
	s_mov_b32 s0, exec_lo
	s_wait_loadcnt 0x0
	ds_store_b64 v1, v[104:105]
	s_wait_storecnt_dscnt 0x0
	s_barrier_signal -1
	s_barrier_wait -1
	s_wait_xcnt 0x0
	v_cmpx_gt_u32_e32 7, v0
	s_cbranch_execz .LBB49_560
; %bb.551:
	v_cmp_ne_u32_e32 vcc_lo, 1, v106
	s_cbranch_vccnz .LBB49_553
; %bb.552:
	scratch_load_b64 v[104:105], v51, off
	ds_load_b64 v[108:109], v1
	s_wait_loadcnt_dscnt 0x0
	v_pk_mul_f32 v[110:111], v[108:109], v[104:105] op_sel:[1,1] op_sel_hi:[0,1]
	s_delay_alu instid0(VALU_DEP_1) | instskip(SKIP_1) | instid1(VALU_DEP_2)
	v_pk_fma_f32 v[112:113], v[108:109], v[104:105], v[110:111] op_sel_hi:[1,0,1]
	v_pk_fma_f32 v[104:105], v[108:109], v[104:105], v[110:111] neg_lo:[0,0,1] neg_hi:[0,0,1]
	v_mov_b32_e32 v105, v113
	s_cbranch_execz .LBB49_554
	s_branch .LBB49_555
.LBB49_553:
                                        ; implicit-def: $vgpr104_vgpr105
.LBB49_554:
	ds_load_b64 v[104:105], v1
.LBB49_555:
	s_mov_b32 s2, exec_lo
	v_cmpx_ne_u32_e32 6, v0
	s_cbranch_execz .LBB49_559
; %bb.556:
	v_add_nc_u32_e32 v107, 0x198, v50
	v_add3_u32 v108, 0, v50, 8
	v_mov_b32_e32 v109, v0
	s_mov_b32 s3, 0
.LBB49_557:                             ; =>This Inner Loop Header: Depth=1
	scratch_load_b64 v[110:111], v108, off
	ds_load_b64 v[112:113], v107
	s_wait_xcnt 0x0
	v_dual_add_nc_u32 v107, 8, v107 :: v_dual_add_nc_u32 v108, 8, v108
	s_wait_loadcnt_dscnt 0x0
	v_pk_mul_f32 v[114:115], v[112:113], v[110:111] op_sel:[1,1] op_sel_hi:[0,1]
	s_delay_alu instid0(VALU_DEP_1) | instskip(SKIP_2) | instid1(VALU_DEP_3)
	v_pk_fma_f32 v[116:117], v[112:113], v[110:111], v[114:115] op_sel_hi:[1,0,1]
	v_add_nc_u32_e32 v109, 1, v109
	v_pk_fma_f32 v[110:111], v[112:113], v[110:111], v[114:115] neg_lo:[0,0,1] neg_hi:[0,0,1]
	v_mov_b32_e32 v111, v117
	s_delay_alu instid0(VALU_DEP_3) | instskip(NEXT) | instid1(VALU_DEP_2)
	v_cmp_lt_u32_e32 vcc_lo, 5, v109
	v_pk_add_f32 v[104:105], v[104:105], v[110:111]
	s_or_b32 s3, vcc_lo, s3
	s_delay_alu instid0(SALU_CYCLE_1)
	s_and_not1_b32 exec_lo, exec_lo, s3
	s_cbranch_execnz .LBB49_557
; %bb.558:
	s_or_b32 exec_lo, exec_lo, s3
.LBB49_559:
	s_delay_alu instid0(SALU_CYCLE_1) | instskip(SKIP_4) | instid1(VALU_DEP_1)
	s_or_b32 exec_lo, exec_lo, s2
	v_mov_b32_e32 v107, 0
	ds_load_b64 v[108:109], v107 offset:56
	s_wait_dscnt 0x0
	v_pk_mul_f32 v[110:111], v[104:105], v[108:109] op_sel:[1,1] op_sel_hi:[0,1]
	v_pk_fma_f32 v[112:113], v[104:105], v[108:109], v[110:111] op_sel_hi:[1,0,1]
	v_pk_fma_f32 v[104:105], v[104:105], v[108:109], v[110:111] neg_lo:[0,0,1] neg_hi:[0,0,1]
	s_delay_alu instid0(VALU_DEP_2)
	v_mov_b32_e32 v105, v113
	scratch_store_b64 off, v[104:105], off offset:56
.LBB49_560:
	s_wait_xcnt 0x0
	s_or_b32 exec_lo, exec_lo, s0
	scratch_load_b64 v[104:105], off, off offset:64
	s_mov_b32 s0, exec_lo
	s_wait_loadcnt 0x0
	ds_store_b64 v1, v[104:105]
	s_wait_storecnt_dscnt 0x0
	s_barrier_signal -1
	s_barrier_wait -1
	s_wait_xcnt 0x0
	v_cmpx_gt_u32_e32 8, v0
	s_cbranch_execz .LBB49_570
; %bb.561:
	v_cmp_ne_u32_e32 vcc_lo, 1, v106
	s_cbranch_vccnz .LBB49_563
; %bb.562:
	scratch_load_b64 v[104:105], v51, off
	ds_load_b64 v[108:109], v1
	s_wait_loadcnt_dscnt 0x0
	v_pk_mul_f32 v[110:111], v[108:109], v[104:105] op_sel:[1,1] op_sel_hi:[0,1]
	s_delay_alu instid0(VALU_DEP_1) | instskip(SKIP_1) | instid1(VALU_DEP_2)
	v_pk_fma_f32 v[112:113], v[108:109], v[104:105], v[110:111] op_sel_hi:[1,0,1]
	v_pk_fma_f32 v[104:105], v[108:109], v[104:105], v[110:111] neg_lo:[0,0,1] neg_hi:[0,0,1]
	v_mov_b32_e32 v105, v113
	s_cbranch_execz .LBB49_564
	s_branch .LBB49_565
.LBB49_563:
                                        ; implicit-def: $vgpr104_vgpr105
.LBB49_564:
	ds_load_b64 v[104:105], v1
.LBB49_565:
	s_mov_b32 s2, exec_lo
	v_cmpx_ne_u32_e32 7, v0
	s_cbranch_execz .LBB49_569
; %bb.566:
	v_add_nc_u32_e32 v107, 0x198, v50
	v_add3_u32 v108, 0, v50, 8
	v_mov_b32_e32 v109, v0
	s_mov_b32 s3, 0
.LBB49_567:                             ; =>This Inner Loop Header: Depth=1
	scratch_load_b64 v[110:111], v108, off
	ds_load_b64 v[112:113], v107
	s_wait_xcnt 0x0
	v_dual_add_nc_u32 v107, 8, v107 :: v_dual_add_nc_u32 v108, 8, v108
	s_wait_loadcnt_dscnt 0x0
	v_pk_mul_f32 v[114:115], v[112:113], v[110:111] op_sel:[1,1] op_sel_hi:[0,1]
	s_delay_alu instid0(VALU_DEP_1) | instskip(SKIP_2) | instid1(VALU_DEP_3)
	v_pk_fma_f32 v[116:117], v[112:113], v[110:111], v[114:115] op_sel_hi:[1,0,1]
	v_add_nc_u32_e32 v109, 1, v109
	v_pk_fma_f32 v[110:111], v[112:113], v[110:111], v[114:115] neg_lo:[0,0,1] neg_hi:[0,0,1]
	v_mov_b32_e32 v111, v117
	s_delay_alu instid0(VALU_DEP_3) | instskip(NEXT) | instid1(VALU_DEP_2)
	v_cmp_lt_u32_e32 vcc_lo, 6, v109
	v_pk_add_f32 v[104:105], v[104:105], v[110:111]
	s_or_b32 s3, vcc_lo, s3
	s_delay_alu instid0(SALU_CYCLE_1)
	s_and_not1_b32 exec_lo, exec_lo, s3
	s_cbranch_execnz .LBB49_567
; %bb.568:
	s_or_b32 exec_lo, exec_lo, s3
.LBB49_569:
	s_delay_alu instid0(SALU_CYCLE_1) | instskip(SKIP_4) | instid1(VALU_DEP_1)
	s_or_b32 exec_lo, exec_lo, s2
	v_mov_b32_e32 v107, 0
	ds_load_b64 v[108:109], v107 offset:64
	s_wait_dscnt 0x0
	v_pk_mul_f32 v[110:111], v[104:105], v[108:109] op_sel:[1,1] op_sel_hi:[0,1]
	v_pk_fma_f32 v[112:113], v[104:105], v[108:109], v[110:111] op_sel_hi:[1,0,1]
	v_pk_fma_f32 v[104:105], v[104:105], v[108:109], v[110:111] neg_lo:[0,0,1] neg_hi:[0,0,1]
	s_delay_alu instid0(VALU_DEP_2)
	v_mov_b32_e32 v105, v113
	scratch_store_b64 off, v[104:105], off offset:64
.LBB49_570:
	s_wait_xcnt 0x0
	s_or_b32 exec_lo, exec_lo, s0
	scratch_load_b64 v[104:105], off, off offset:72
	s_mov_b32 s0, exec_lo
	s_wait_loadcnt 0x0
	ds_store_b64 v1, v[104:105]
	s_wait_storecnt_dscnt 0x0
	s_barrier_signal -1
	s_barrier_wait -1
	s_wait_xcnt 0x0
	v_cmpx_gt_u32_e32 9, v0
	s_cbranch_execz .LBB49_580
; %bb.571:
	v_cmp_ne_u32_e32 vcc_lo, 1, v106
	s_cbranch_vccnz .LBB49_573
; %bb.572:
	scratch_load_b64 v[104:105], v51, off
	ds_load_b64 v[108:109], v1
	s_wait_loadcnt_dscnt 0x0
	v_pk_mul_f32 v[110:111], v[108:109], v[104:105] op_sel:[1,1] op_sel_hi:[0,1]
	s_delay_alu instid0(VALU_DEP_1) | instskip(SKIP_1) | instid1(VALU_DEP_2)
	v_pk_fma_f32 v[112:113], v[108:109], v[104:105], v[110:111] op_sel_hi:[1,0,1]
	v_pk_fma_f32 v[104:105], v[108:109], v[104:105], v[110:111] neg_lo:[0,0,1] neg_hi:[0,0,1]
	v_mov_b32_e32 v105, v113
	s_cbranch_execz .LBB49_574
	s_branch .LBB49_575
.LBB49_573:
                                        ; implicit-def: $vgpr104_vgpr105
.LBB49_574:
	ds_load_b64 v[104:105], v1
.LBB49_575:
	s_mov_b32 s2, exec_lo
	v_cmpx_ne_u32_e32 8, v0
	s_cbranch_execz .LBB49_579
; %bb.576:
	v_add_nc_u32_e32 v107, 0x198, v50
	v_add3_u32 v108, 0, v50, 8
	v_mov_b32_e32 v109, v0
	s_mov_b32 s3, 0
.LBB49_577:                             ; =>This Inner Loop Header: Depth=1
	scratch_load_b64 v[110:111], v108, off
	ds_load_b64 v[112:113], v107
	s_wait_xcnt 0x0
	v_dual_add_nc_u32 v107, 8, v107 :: v_dual_add_nc_u32 v108, 8, v108
	s_wait_loadcnt_dscnt 0x0
	v_pk_mul_f32 v[114:115], v[112:113], v[110:111] op_sel:[1,1] op_sel_hi:[0,1]
	s_delay_alu instid0(VALU_DEP_1) | instskip(SKIP_2) | instid1(VALU_DEP_3)
	v_pk_fma_f32 v[116:117], v[112:113], v[110:111], v[114:115] op_sel_hi:[1,0,1]
	v_add_nc_u32_e32 v109, 1, v109
	v_pk_fma_f32 v[110:111], v[112:113], v[110:111], v[114:115] neg_lo:[0,0,1] neg_hi:[0,0,1]
	v_mov_b32_e32 v111, v117
	s_delay_alu instid0(VALU_DEP_3) | instskip(NEXT) | instid1(VALU_DEP_2)
	v_cmp_lt_u32_e32 vcc_lo, 7, v109
	v_pk_add_f32 v[104:105], v[104:105], v[110:111]
	s_or_b32 s3, vcc_lo, s3
	s_delay_alu instid0(SALU_CYCLE_1)
	s_and_not1_b32 exec_lo, exec_lo, s3
	s_cbranch_execnz .LBB49_577
; %bb.578:
	s_or_b32 exec_lo, exec_lo, s3
.LBB49_579:
	s_delay_alu instid0(SALU_CYCLE_1) | instskip(SKIP_4) | instid1(VALU_DEP_1)
	s_or_b32 exec_lo, exec_lo, s2
	v_mov_b32_e32 v107, 0
	ds_load_b64 v[108:109], v107 offset:72
	s_wait_dscnt 0x0
	v_pk_mul_f32 v[110:111], v[104:105], v[108:109] op_sel:[1,1] op_sel_hi:[0,1]
	v_pk_fma_f32 v[112:113], v[104:105], v[108:109], v[110:111] op_sel_hi:[1,0,1]
	v_pk_fma_f32 v[104:105], v[104:105], v[108:109], v[110:111] neg_lo:[0,0,1] neg_hi:[0,0,1]
	s_delay_alu instid0(VALU_DEP_2)
	v_mov_b32_e32 v105, v113
	scratch_store_b64 off, v[104:105], off offset:72
.LBB49_580:
	s_wait_xcnt 0x0
	s_or_b32 exec_lo, exec_lo, s0
	scratch_load_b64 v[104:105], off, off offset:80
	s_mov_b32 s0, exec_lo
	s_wait_loadcnt 0x0
	ds_store_b64 v1, v[104:105]
	s_wait_storecnt_dscnt 0x0
	s_barrier_signal -1
	s_barrier_wait -1
	s_wait_xcnt 0x0
	v_cmpx_gt_u32_e32 10, v0
	s_cbranch_execz .LBB49_590
; %bb.581:
	v_cmp_ne_u32_e32 vcc_lo, 1, v106
	s_cbranch_vccnz .LBB49_583
; %bb.582:
	scratch_load_b64 v[104:105], v51, off
	ds_load_b64 v[108:109], v1
	s_wait_loadcnt_dscnt 0x0
	v_pk_mul_f32 v[110:111], v[108:109], v[104:105] op_sel:[1,1] op_sel_hi:[0,1]
	s_delay_alu instid0(VALU_DEP_1) | instskip(SKIP_1) | instid1(VALU_DEP_2)
	v_pk_fma_f32 v[112:113], v[108:109], v[104:105], v[110:111] op_sel_hi:[1,0,1]
	v_pk_fma_f32 v[104:105], v[108:109], v[104:105], v[110:111] neg_lo:[0,0,1] neg_hi:[0,0,1]
	v_mov_b32_e32 v105, v113
	s_cbranch_execz .LBB49_584
	s_branch .LBB49_585
.LBB49_583:
                                        ; implicit-def: $vgpr104_vgpr105
.LBB49_584:
	ds_load_b64 v[104:105], v1
.LBB49_585:
	s_mov_b32 s2, exec_lo
	v_cmpx_ne_u32_e32 9, v0
	s_cbranch_execz .LBB49_589
; %bb.586:
	v_add_nc_u32_e32 v107, 0x198, v50
	v_add3_u32 v108, 0, v50, 8
	v_mov_b32_e32 v109, v0
	s_mov_b32 s3, 0
.LBB49_587:                             ; =>This Inner Loop Header: Depth=1
	scratch_load_b64 v[110:111], v108, off
	ds_load_b64 v[112:113], v107
	s_wait_xcnt 0x0
	v_dual_add_nc_u32 v107, 8, v107 :: v_dual_add_nc_u32 v108, 8, v108
	s_wait_loadcnt_dscnt 0x0
	v_pk_mul_f32 v[114:115], v[112:113], v[110:111] op_sel:[1,1] op_sel_hi:[0,1]
	s_delay_alu instid0(VALU_DEP_1) | instskip(SKIP_2) | instid1(VALU_DEP_3)
	v_pk_fma_f32 v[116:117], v[112:113], v[110:111], v[114:115] op_sel_hi:[1,0,1]
	v_add_nc_u32_e32 v109, 1, v109
	v_pk_fma_f32 v[110:111], v[112:113], v[110:111], v[114:115] neg_lo:[0,0,1] neg_hi:[0,0,1]
	v_mov_b32_e32 v111, v117
	s_delay_alu instid0(VALU_DEP_3) | instskip(NEXT) | instid1(VALU_DEP_2)
	v_cmp_lt_u32_e32 vcc_lo, 8, v109
	v_pk_add_f32 v[104:105], v[104:105], v[110:111]
	s_or_b32 s3, vcc_lo, s3
	s_delay_alu instid0(SALU_CYCLE_1)
	s_and_not1_b32 exec_lo, exec_lo, s3
	s_cbranch_execnz .LBB49_587
; %bb.588:
	s_or_b32 exec_lo, exec_lo, s3
.LBB49_589:
	s_delay_alu instid0(SALU_CYCLE_1) | instskip(SKIP_4) | instid1(VALU_DEP_1)
	s_or_b32 exec_lo, exec_lo, s2
	v_mov_b32_e32 v107, 0
	ds_load_b64 v[108:109], v107 offset:80
	s_wait_dscnt 0x0
	v_pk_mul_f32 v[110:111], v[104:105], v[108:109] op_sel:[1,1] op_sel_hi:[0,1]
	v_pk_fma_f32 v[112:113], v[104:105], v[108:109], v[110:111] op_sel_hi:[1,0,1]
	v_pk_fma_f32 v[104:105], v[104:105], v[108:109], v[110:111] neg_lo:[0,0,1] neg_hi:[0,0,1]
	s_delay_alu instid0(VALU_DEP_2)
	v_mov_b32_e32 v105, v113
	scratch_store_b64 off, v[104:105], off offset:80
.LBB49_590:
	s_wait_xcnt 0x0
	s_or_b32 exec_lo, exec_lo, s0
	scratch_load_b64 v[104:105], off, off offset:88
	s_mov_b32 s0, exec_lo
	s_wait_loadcnt 0x0
	ds_store_b64 v1, v[104:105]
	s_wait_storecnt_dscnt 0x0
	s_barrier_signal -1
	s_barrier_wait -1
	s_wait_xcnt 0x0
	v_cmpx_gt_u32_e32 11, v0
	s_cbranch_execz .LBB49_600
; %bb.591:
	v_cmp_ne_u32_e32 vcc_lo, 1, v106
	s_cbranch_vccnz .LBB49_593
; %bb.592:
	scratch_load_b64 v[104:105], v51, off
	ds_load_b64 v[108:109], v1
	s_wait_loadcnt_dscnt 0x0
	v_pk_mul_f32 v[110:111], v[108:109], v[104:105] op_sel:[1,1] op_sel_hi:[0,1]
	s_delay_alu instid0(VALU_DEP_1) | instskip(SKIP_1) | instid1(VALU_DEP_2)
	v_pk_fma_f32 v[112:113], v[108:109], v[104:105], v[110:111] op_sel_hi:[1,0,1]
	v_pk_fma_f32 v[104:105], v[108:109], v[104:105], v[110:111] neg_lo:[0,0,1] neg_hi:[0,0,1]
	v_mov_b32_e32 v105, v113
	s_cbranch_execz .LBB49_594
	s_branch .LBB49_595
.LBB49_593:
                                        ; implicit-def: $vgpr104_vgpr105
.LBB49_594:
	ds_load_b64 v[104:105], v1
.LBB49_595:
	s_mov_b32 s2, exec_lo
	v_cmpx_ne_u32_e32 10, v0
	s_cbranch_execz .LBB49_599
; %bb.596:
	v_add_nc_u32_e32 v107, 0x198, v50
	v_add3_u32 v108, 0, v50, 8
	v_mov_b32_e32 v109, v0
	s_mov_b32 s3, 0
.LBB49_597:                             ; =>This Inner Loop Header: Depth=1
	scratch_load_b64 v[110:111], v108, off
	ds_load_b64 v[112:113], v107
	s_wait_xcnt 0x0
	v_dual_add_nc_u32 v107, 8, v107 :: v_dual_add_nc_u32 v108, 8, v108
	s_wait_loadcnt_dscnt 0x0
	v_pk_mul_f32 v[114:115], v[112:113], v[110:111] op_sel:[1,1] op_sel_hi:[0,1]
	s_delay_alu instid0(VALU_DEP_1) | instskip(SKIP_2) | instid1(VALU_DEP_3)
	v_pk_fma_f32 v[116:117], v[112:113], v[110:111], v[114:115] op_sel_hi:[1,0,1]
	v_add_nc_u32_e32 v109, 1, v109
	v_pk_fma_f32 v[110:111], v[112:113], v[110:111], v[114:115] neg_lo:[0,0,1] neg_hi:[0,0,1]
	v_mov_b32_e32 v111, v117
	s_delay_alu instid0(VALU_DEP_3) | instskip(NEXT) | instid1(VALU_DEP_2)
	v_cmp_lt_u32_e32 vcc_lo, 9, v109
	v_pk_add_f32 v[104:105], v[104:105], v[110:111]
	s_or_b32 s3, vcc_lo, s3
	s_delay_alu instid0(SALU_CYCLE_1)
	s_and_not1_b32 exec_lo, exec_lo, s3
	s_cbranch_execnz .LBB49_597
; %bb.598:
	s_or_b32 exec_lo, exec_lo, s3
.LBB49_599:
	s_delay_alu instid0(SALU_CYCLE_1) | instskip(SKIP_4) | instid1(VALU_DEP_1)
	s_or_b32 exec_lo, exec_lo, s2
	v_mov_b32_e32 v107, 0
	ds_load_b64 v[108:109], v107 offset:88
	s_wait_dscnt 0x0
	v_pk_mul_f32 v[110:111], v[104:105], v[108:109] op_sel:[1,1] op_sel_hi:[0,1]
	v_pk_fma_f32 v[112:113], v[104:105], v[108:109], v[110:111] op_sel_hi:[1,0,1]
	v_pk_fma_f32 v[104:105], v[104:105], v[108:109], v[110:111] neg_lo:[0,0,1] neg_hi:[0,0,1]
	s_delay_alu instid0(VALU_DEP_2)
	v_mov_b32_e32 v105, v113
	scratch_store_b64 off, v[104:105], off offset:88
.LBB49_600:
	s_wait_xcnt 0x0
	s_or_b32 exec_lo, exec_lo, s0
	scratch_load_b64 v[104:105], off, off offset:96
	s_mov_b32 s0, exec_lo
	s_wait_loadcnt 0x0
	ds_store_b64 v1, v[104:105]
	s_wait_storecnt_dscnt 0x0
	s_barrier_signal -1
	s_barrier_wait -1
	s_wait_xcnt 0x0
	v_cmpx_gt_u32_e32 12, v0
	s_cbranch_execz .LBB49_610
; %bb.601:
	v_cmp_ne_u32_e32 vcc_lo, 1, v106
	s_cbranch_vccnz .LBB49_603
; %bb.602:
	scratch_load_b64 v[104:105], v51, off
	ds_load_b64 v[108:109], v1
	s_wait_loadcnt_dscnt 0x0
	v_pk_mul_f32 v[110:111], v[108:109], v[104:105] op_sel:[1,1] op_sel_hi:[0,1]
	s_delay_alu instid0(VALU_DEP_1) | instskip(SKIP_1) | instid1(VALU_DEP_2)
	v_pk_fma_f32 v[112:113], v[108:109], v[104:105], v[110:111] op_sel_hi:[1,0,1]
	v_pk_fma_f32 v[104:105], v[108:109], v[104:105], v[110:111] neg_lo:[0,0,1] neg_hi:[0,0,1]
	v_mov_b32_e32 v105, v113
	s_cbranch_execz .LBB49_604
	s_branch .LBB49_605
.LBB49_603:
                                        ; implicit-def: $vgpr104_vgpr105
.LBB49_604:
	ds_load_b64 v[104:105], v1
.LBB49_605:
	s_mov_b32 s2, exec_lo
	v_cmpx_ne_u32_e32 11, v0
	s_cbranch_execz .LBB49_609
; %bb.606:
	v_add_nc_u32_e32 v107, 0x198, v50
	v_add3_u32 v108, 0, v50, 8
	v_mov_b32_e32 v109, v0
	s_mov_b32 s3, 0
.LBB49_607:                             ; =>This Inner Loop Header: Depth=1
	scratch_load_b64 v[110:111], v108, off
	ds_load_b64 v[112:113], v107
	s_wait_xcnt 0x0
	v_dual_add_nc_u32 v107, 8, v107 :: v_dual_add_nc_u32 v108, 8, v108
	s_wait_loadcnt_dscnt 0x0
	v_pk_mul_f32 v[114:115], v[112:113], v[110:111] op_sel:[1,1] op_sel_hi:[0,1]
	s_delay_alu instid0(VALU_DEP_1) | instskip(SKIP_2) | instid1(VALU_DEP_3)
	v_pk_fma_f32 v[116:117], v[112:113], v[110:111], v[114:115] op_sel_hi:[1,0,1]
	v_add_nc_u32_e32 v109, 1, v109
	v_pk_fma_f32 v[110:111], v[112:113], v[110:111], v[114:115] neg_lo:[0,0,1] neg_hi:[0,0,1]
	v_mov_b32_e32 v111, v117
	s_delay_alu instid0(VALU_DEP_3) | instskip(NEXT) | instid1(VALU_DEP_2)
	v_cmp_lt_u32_e32 vcc_lo, 10, v109
	v_pk_add_f32 v[104:105], v[104:105], v[110:111]
	s_or_b32 s3, vcc_lo, s3
	s_delay_alu instid0(SALU_CYCLE_1)
	s_and_not1_b32 exec_lo, exec_lo, s3
	s_cbranch_execnz .LBB49_607
; %bb.608:
	s_or_b32 exec_lo, exec_lo, s3
.LBB49_609:
	s_delay_alu instid0(SALU_CYCLE_1) | instskip(SKIP_4) | instid1(VALU_DEP_1)
	s_or_b32 exec_lo, exec_lo, s2
	v_mov_b32_e32 v107, 0
	ds_load_b64 v[108:109], v107 offset:96
	s_wait_dscnt 0x0
	v_pk_mul_f32 v[110:111], v[104:105], v[108:109] op_sel:[1,1] op_sel_hi:[0,1]
	v_pk_fma_f32 v[112:113], v[104:105], v[108:109], v[110:111] op_sel_hi:[1,0,1]
	v_pk_fma_f32 v[104:105], v[104:105], v[108:109], v[110:111] neg_lo:[0,0,1] neg_hi:[0,0,1]
	s_delay_alu instid0(VALU_DEP_2)
	v_mov_b32_e32 v105, v113
	scratch_store_b64 off, v[104:105], off offset:96
.LBB49_610:
	s_wait_xcnt 0x0
	s_or_b32 exec_lo, exec_lo, s0
	scratch_load_b64 v[104:105], off, off offset:104
	s_mov_b32 s0, exec_lo
	s_wait_loadcnt 0x0
	ds_store_b64 v1, v[104:105]
	s_wait_storecnt_dscnt 0x0
	s_barrier_signal -1
	s_barrier_wait -1
	s_wait_xcnt 0x0
	v_cmpx_gt_u32_e32 13, v0
	s_cbranch_execz .LBB49_620
; %bb.611:
	v_cmp_ne_u32_e32 vcc_lo, 1, v106
	s_cbranch_vccnz .LBB49_613
; %bb.612:
	scratch_load_b64 v[104:105], v51, off
	ds_load_b64 v[108:109], v1
	s_wait_loadcnt_dscnt 0x0
	v_pk_mul_f32 v[110:111], v[108:109], v[104:105] op_sel:[1,1] op_sel_hi:[0,1]
	s_delay_alu instid0(VALU_DEP_1) | instskip(SKIP_1) | instid1(VALU_DEP_2)
	v_pk_fma_f32 v[112:113], v[108:109], v[104:105], v[110:111] op_sel_hi:[1,0,1]
	v_pk_fma_f32 v[104:105], v[108:109], v[104:105], v[110:111] neg_lo:[0,0,1] neg_hi:[0,0,1]
	v_mov_b32_e32 v105, v113
	s_cbranch_execz .LBB49_614
	s_branch .LBB49_615
.LBB49_613:
                                        ; implicit-def: $vgpr104_vgpr105
.LBB49_614:
	ds_load_b64 v[104:105], v1
.LBB49_615:
	s_mov_b32 s2, exec_lo
	v_cmpx_ne_u32_e32 12, v0
	s_cbranch_execz .LBB49_619
; %bb.616:
	v_add_nc_u32_e32 v107, 0x198, v50
	v_add3_u32 v108, 0, v50, 8
	v_mov_b32_e32 v109, v0
	s_mov_b32 s3, 0
.LBB49_617:                             ; =>This Inner Loop Header: Depth=1
	scratch_load_b64 v[110:111], v108, off
	ds_load_b64 v[112:113], v107
	s_wait_xcnt 0x0
	v_dual_add_nc_u32 v107, 8, v107 :: v_dual_add_nc_u32 v108, 8, v108
	s_wait_loadcnt_dscnt 0x0
	v_pk_mul_f32 v[114:115], v[112:113], v[110:111] op_sel:[1,1] op_sel_hi:[0,1]
	s_delay_alu instid0(VALU_DEP_1) | instskip(SKIP_2) | instid1(VALU_DEP_3)
	v_pk_fma_f32 v[116:117], v[112:113], v[110:111], v[114:115] op_sel_hi:[1,0,1]
	v_add_nc_u32_e32 v109, 1, v109
	v_pk_fma_f32 v[110:111], v[112:113], v[110:111], v[114:115] neg_lo:[0,0,1] neg_hi:[0,0,1]
	v_mov_b32_e32 v111, v117
	s_delay_alu instid0(VALU_DEP_3) | instskip(NEXT) | instid1(VALU_DEP_2)
	v_cmp_lt_u32_e32 vcc_lo, 11, v109
	v_pk_add_f32 v[104:105], v[104:105], v[110:111]
	s_or_b32 s3, vcc_lo, s3
	s_delay_alu instid0(SALU_CYCLE_1)
	s_and_not1_b32 exec_lo, exec_lo, s3
	s_cbranch_execnz .LBB49_617
; %bb.618:
	s_or_b32 exec_lo, exec_lo, s3
.LBB49_619:
	s_delay_alu instid0(SALU_CYCLE_1) | instskip(SKIP_4) | instid1(VALU_DEP_1)
	s_or_b32 exec_lo, exec_lo, s2
	v_mov_b32_e32 v107, 0
	ds_load_b64 v[108:109], v107 offset:104
	s_wait_dscnt 0x0
	v_pk_mul_f32 v[110:111], v[104:105], v[108:109] op_sel:[1,1] op_sel_hi:[0,1]
	v_pk_fma_f32 v[112:113], v[104:105], v[108:109], v[110:111] op_sel_hi:[1,0,1]
	v_pk_fma_f32 v[104:105], v[104:105], v[108:109], v[110:111] neg_lo:[0,0,1] neg_hi:[0,0,1]
	s_delay_alu instid0(VALU_DEP_2)
	v_mov_b32_e32 v105, v113
	scratch_store_b64 off, v[104:105], off offset:104
.LBB49_620:
	s_wait_xcnt 0x0
	s_or_b32 exec_lo, exec_lo, s0
	scratch_load_b64 v[104:105], off, off offset:112
	s_mov_b32 s0, exec_lo
	s_wait_loadcnt 0x0
	ds_store_b64 v1, v[104:105]
	s_wait_storecnt_dscnt 0x0
	s_barrier_signal -1
	s_barrier_wait -1
	s_wait_xcnt 0x0
	v_cmpx_gt_u32_e32 14, v0
	s_cbranch_execz .LBB49_630
; %bb.621:
	v_cmp_ne_u32_e32 vcc_lo, 1, v106
	s_cbranch_vccnz .LBB49_623
; %bb.622:
	scratch_load_b64 v[104:105], v51, off
	ds_load_b64 v[108:109], v1
	s_wait_loadcnt_dscnt 0x0
	v_pk_mul_f32 v[110:111], v[108:109], v[104:105] op_sel:[1,1] op_sel_hi:[0,1]
	s_delay_alu instid0(VALU_DEP_1) | instskip(SKIP_1) | instid1(VALU_DEP_2)
	v_pk_fma_f32 v[112:113], v[108:109], v[104:105], v[110:111] op_sel_hi:[1,0,1]
	v_pk_fma_f32 v[104:105], v[108:109], v[104:105], v[110:111] neg_lo:[0,0,1] neg_hi:[0,0,1]
	v_mov_b32_e32 v105, v113
	s_cbranch_execz .LBB49_624
	s_branch .LBB49_625
.LBB49_623:
                                        ; implicit-def: $vgpr104_vgpr105
.LBB49_624:
	ds_load_b64 v[104:105], v1
.LBB49_625:
	s_mov_b32 s2, exec_lo
	v_cmpx_ne_u32_e32 13, v0
	s_cbranch_execz .LBB49_629
; %bb.626:
	v_add_nc_u32_e32 v107, 0x198, v50
	v_add3_u32 v108, 0, v50, 8
	v_mov_b32_e32 v109, v0
	s_mov_b32 s3, 0
.LBB49_627:                             ; =>This Inner Loop Header: Depth=1
	scratch_load_b64 v[110:111], v108, off
	ds_load_b64 v[112:113], v107
	s_wait_xcnt 0x0
	v_dual_add_nc_u32 v107, 8, v107 :: v_dual_add_nc_u32 v108, 8, v108
	s_wait_loadcnt_dscnt 0x0
	v_pk_mul_f32 v[114:115], v[112:113], v[110:111] op_sel:[1,1] op_sel_hi:[0,1]
	s_delay_alu instid0(VALU_DEP_1) | instskip(SKIP_2) | instid1(VALU_DEP_3)
	v_pk_fma_f32 v[116:117], v[112:113], v[110:111], v[114:115] op_sel_hi:[1,0,1]
	v_add_nc_u32_e32 v109, 1, v109
	v_pk_fma_f32 v[110:111], v[112:113], v[110:111], v[114:115] neg_lo:[0,0,1] neg_hi:[0,0,1]
	v_mov_b32_e32 v111, v117
	s_delay_alu instid0(VALU_DEP_3) | instskip(NEXT) | instid1(VALU_DEP_2)
	v_cmp_lt_u32_e32 vcc_lo, 12, v109
	v_pk_add_f32 v[104:105], v[104:105], v[110:111]
	s_or_b32 s3, vcc_lo, s3
	s_delay_alu instid0(SALU_CYCLE_1)
	s_and_not1_b32 exec_lo, exec_lo, s3
	s_cbranch_execnz .LBB49_627
; %bb.628:
	s_or_b32 exec_lo, exec_lo, s3
.LBB49_629:
	s_delay_alu instid0(SALU_CYCLE_1) | instskip(SKIP_4) | instid1(VALU_DEP_1)
	s_or_b32 exec_lo, exec_lo, s2
	v_mov_b32_e32 v107, 0
	ds_load_b64 v[108:109], v107 offset:112
	s_wait_dscnt 0x0
	v_pk_mul_f32 v[110:111], v[104:105], v[108:109] op_sel:[1,1] op_sel_hi:[0,1]
	v_pk_fma_f32 v[112:113], v[104:105], v[108:109], v[110:111] op_sel_hi:[1,0,1]
	v_pk_fma_f32 v[104:105], v[104:105], v[108:109], v[110:111] neg_lo:[0,0,1] neg_hi:[0,0,1]
	s_delay_alu instid0(VALU_DEP_2)
	v_mov_b32_e32 v105, v113
	scratch_store_b64 off, v[104:105], off offset:112
.LBB49_630:
	s_wait_xcnt 0x0
	s_or_b32 exec_lo, exec_lo, s0
	scratch_load_b64 v[104:105], off, off offset:120
	s_mov_b32 s0, exec_lo
	s_wait_loadcnt 0x0
	ds_store_b64 v1, v[104:105]
	s_wait_storecnt_dscnt 0x0
	s_barrier_signal -1
	s_barrier_wait -1
	s_wait_xcnt 0x0
	v_cmpx_gt_u32_e32 15, v0
	s_cbranch_execz .LBB49_640
; %bb.631:
	v_cmp_ne_u32_e32 vcc_lo, 1, v106
	s_cbranch_vccnz .LBB49_633
; %bb.632:
	scratch_load_b64 v[104:105], v51, off
	ds_load_b64 v[108:109], v1
	s_wait_loadcnt_dscnt 0x0
	v_pk_mul_f32 v[110:111], v[108:109], v[104:105] op_sel:[1,1] op_sel_hi:[0,1]
	s_delay_alu instid0(VALU_DEP_1) | instskip(SKIP_1) | instid1(VALU_DEP_2)
	v_pk_fma_f32 v[112:113], v[108:109], v[104:105], v[110:111] op_sel_hi:[1,0,1]
	v_pk_fma_f32 v[104:105], v[108:109], v[104:105], v[110:111] neg_lo:[0,0,1] neg_hi:[0,0,1]
	v_mov_b32_e32 v105, v113
	s_cbranch_execz .LBB49_634
	s_branch .LBB49_635
.LBB49_633:
                                        ; implicit-def: $vgpr104_vgpr105
.LBB49_634:
	ds_load_b64 v[104:105], v1
.LBB49_635:
	s_mov_b32 s2, exec_lo
	v_cmpx_ne_u32_e32 14, v0
	s_cbranch_execz .LBB49_639
; %bb.636:
	v_add_nc_u32_e32 v107, 0x198, v50
	v_add3_u32 v108, 0, v50, 8
	v_mov_b32_e32 v109, v0
	s_mov_b32 s3, 0
.LBB49_637:                             ; =>This Inner Loop Header: Depth=1
	scratch_load_b64 v[110:111], v108, off
	ds_load_b64 v[112:113], v107
	s_wait_xcnt 0x0
	v_dual_add_nc_u32 v107, 8, v107 :: v_dual_add_nc_u32 v108, 8, v108
	s_wait_loadcnt_dscnt 0x0
	v_pk_mul_f32 v[114:115], v[112:113], v[110:111] op_sel:[1,1] op_sel_hi:[0,1]
	s_delay_alu instid0(VALU_DEP_1) | instskip(SKIP_2) | instid1(VALU_DEP_3)
	v_pk_fma_f32 v[116:117], v[112:113], v[110:111], v[114:115] op_sel_hi:[1,0,1]
	v_add_nc_u32_e32 v109, 1, v109
	v_pk_fma_f32 v[110:111], v[112:113], v[110:111], v[114:115] neg_lo:[0,0,1] neg_hi:[0,0,1]
	v_mov_b32_e32 v111, v117
	s_delay_alu instid0(VALU_DEP_3) | instskip(NEXT) | instid1(VALU_DEP_2)
	v_cmp_lt_u32_e32 vcc_lo, 13, v109
	v_pk_add_f32 v[104:105], v[104:105], v[110:111]
	s_or_b32 s3, vcc_lo, s3
	s_delay_alu instid0(SALU_CYCLE_1)
	s_and_not1_b32 exec_lo, exec_lo, s3
	s_cbranch_execnz .LBB49_637
; %bb.638:
	s_or_b32 exec_lo, exec_lo, s3
.LBB49_639:
	s_delay_alu instid0(SALU_CYCLE_1) | instskip(SKIP_4) | instid1(VALU_DEP_1)
	s_or_b32 exec_lo, exec_lo, s2
	v_mov_b32_e32 v107, 0
	ds_load_b64 v[108:109], v107 offset:120
	s_wait_dscnt 0x0
	v_pk_mul_f32 v[110:111], v[104:105], v[108:109] op_sel:[1,1] op_sel_hi:[0,1]
	v_pk_fma_f32 v[112:113], v[104:105], v[108:109], v[110:111] op_sel_hi:[1,0,1]
	v_pk_fma_f32 v[104:105], v[104:105], v[108:109], v[110:111] neg_lo:[0,0,1] neg_hi:[0,0,1]
	s_delay_alu instid0(VALU_DEP_2)
	v_mov_b32_e32 v105, v113
	scratch_store_b64 off, v[104:105], off offset:120
.LBB49_640:
	s_wait_xcnt 0x0
	s_or_b32 exec_lo, exec_lo, s0
	scratch_load_b64 v[104:105], off, off offset:128
	s_mov_b32 s0, exec_lo
	s_wait_loadcnt 0x0
	ds_store_b64 v1, v[104:105]
	s_wait_storecnt_dscnt 0x0
	s_barrier_signal -1
	s_barrier_wait -1
	s_wait_xcnt 0x0
	v_cmpx_gt_u32_e32 16, v0
	s_cbranch_execz .LBB49_650
; %bb.641:
	v_cmp_ne_u32_e32 vcc_lo, 1, v106
	s_cbranch_vccnz .LBB49_643
; %bb.642:
	scratch_load_b64 v[104:105], v51, off
	ds_load_b64 v[108:109], v1
	s_wait_loadcnt_dscnt 0x0
	v_pk_mul_f32 v[110:111], v[108:109], v[104:105] op_sel:[1,1] op_sel_hi:[0,1]
	s_delay_alu instid0(VALU_DEP_1) | instskip(SKIP_1) | instid1(VALU_DEP_2)
	v_pk_fma_f32 v[112:113], v[108:109], v[104:105], v[110:111] op_sel_hi:[1,0,1]
	v_pk_fma_f32 v[104:105], v[108:109], v[104:105], v[110:111] neg_lo:[0,0,1] neg_hi:[0,0,1]
	v_mov_b32_e32 v105, v113
	s_cbranch_execz .LBB49_644
	s_branch .LBB49_645
.LBB49_643:
                                        ; implicit-def: $vgpr104_vgpr105
.LBB49_644:
	ds_load_b64 v[104:105], v1
.LBB49_645:
	s_mov_b32 s2, exec_lo
	v_cmpx_ne_u32_e32 15, v0
	s_cbranch_execz .LBB49_649
; %bb.646:
	v_add_nc_u32_e32 v107, 0x198, v50
	v_add3_u32 v108, 0, v50, 8
	v_mov_b32_e32 v109, v0
	s_mov_b32 s3, 0
.LBB49_647:                             ; =>This Inner Loop Header: Depth=1
	scratch_load_b64 v[110:111], v108, off
	ds_load_b64 v[112:113], v107
	s_wait_xcnt 0x0
	v_dual_add_nc_u32 v107, 8, v107 :: v_dual_add_nc_u32 v108, 8, v108
	s_wait_loadcnt_dscnt 0x0
	v_pk_mul_f32 v[114:115], v[112:113], v[110:111] op_sel:[1,1] op_sel_hi:[0,1]
	s_delay_alu instid0(VALU_DEP_1) | instskip(SKIP_2) | instid1(VALU_DEP_3)
	v_pk_fma_f32 v[116:117], v[112:113], v[110:111], v[114:115] op_sel_hi:[1,0,1]
	v_add_nc_u32_e32 v109, 1, v109
	v_pk_fma_f32 v[110:111], v[112:113], v[110:111], v[114:115] neg_lo:[0,0,1] neg_hi:[0,0,1]
	v_mov_b32_e32 v111, v117
	s_delay_alu instid0(VALU_DEP_3) | instskip(NEXT) | instid1(VALU_DEP_2)
	v_cmp_lt_u32_e32 vcc_lo, 14, v109
	v_pk_add_f32 v[104:105], v[104:105], v[110:111]
	s_or_b32 s3, vcc_lo, s3
	s_delay_alu instid0(SALU_CYCLE_1)
	s_and_not1_b32 exec_lo, exec_lo, s3
	s_cbranch_execnz .LBB49_647
; %bb.648:
	s_or_b32 exec_lo, exec_lo, s3
.LBB49_649:
	s_delay_alu instid0(SALU_CYCLE_1) | instskip(SKIP_4) | instid1(VALU_DEP_1)
	s_or_b32 exec_lo, exec_lo, s2
	v_mov_b32_e32 v107, 0
	ds_load_b64 v[108:109], v107 offset:128
	s_wait_dscnt 0x0
	v_pk_mul_f32 v[110:111], v[104:105], v[108:109] op_sel:[1,1] op_sel_hi:[0,1]
	v_pk_fma_f32 v[112:113], v[104:105], v[108:109], v[110:111] op_sel_hi:[1,0,1]
	v_pk_fma_f32 v[104:105], v[104:105], v[108:109], v[110:111] neg_lo:[0,0,1] neg_hi:[0,0,1]
	s_delay_alu instid0(VALU_DEP_2)
	v_mov_b32_e32 v105, v113
	scratch_store_b64 off, v[104:105], off offset:128
.LBB49_650:
	s_wait_xcnt 0x0
	s_or_b32 exec_lo, exec_lo, s0
	scratch_load_b64 v[104:105], off, off offset:136
	s_mov_b32 s0, exec_lo
	s_wait_loadcnt 0x0
	ds_store_b64 v1, v[104:105]
	s_wait_storecnt_dscnt 0x0
	s_barrier_signal -1
	s_barrier_wait -1
	s_wait_xcnt 0x0
	v_cmpx_gt_u32_e32 17, v0
	s_cbranch_execz .LBB49_660
; %bb.651:
	v_cmp_ne_u32_e32 vcc_lo, 1, v106
	s_cbranch_vccnz .LBB49_653
; %bb.652:
	scratch_load_b64 v[104:105], v51, off
	ds_load_b64 v[108:109], v1
	s_wait_loadcnt_dscnt 0x0
	v_pk_mul_f32 v[110:111], v[108:109], v[104:105] op_sel:[1,1] op_sel_hi:[0,1]
	s_delay_alu instid0(VALU_DEP_1) | instskip(SKIP_1) | instid1(VALU_DEP_2)
	v_pk_fma_f32 v[112:113], v[108:109], v[104:105], v[110:111] op_sel_hi:[1,0,1]
	v_pk_fma_f32 v[104:105], v[108:109], v[104:105], v[110:111] neg_lo:[0,0,1] neg_hi:[0,0,1]
	v_mov_b32_e32 v105, v113
	s_cbranch_execz .LBB49_654
	s_branch .LBB49_655
.LBB49_653:
                                        ; implicit-def: $vgpr104_vgpr105
.LBB49_654:
	ds_load_b64 v[104:105], v1
.LBB49_655:
	s_mov_b32 s2, exec_lo
	v_cmpx_ne_u32_e32 16, v0
	s_cbranch_execz .LBB49_659
; %bb.656:
	v_add_nc_u32_e32 v107, 0x198, v50
	v_add3_u32 v108, 0, v50, 8
	v_mov_b32_e32 v109, v0
	s_mov_b32 s3, 0
.LBB49_657:                             ; =>This Inner Loop Header: Depth=1
	scratch_load_b64 v[110:111], v108, off
	ds_load_b64 v[112:113], v107
	s_wait_xcnt 0x0
	v_dual_add_nc_u32 v107, 8, v107 :: v_dual_add_nc_u32 v108, 8, v108
	s_wait_loadcnt_dscnt 0x0
	v_pk_mul_f32 v[114:115], v[112:113], v[110:111] op_sel:[1,1] op_sel_hi:[0,1]
	s_delay_alu instid0(VALU_DEP_1) | instskip(SKIP_2) | instid1(VALU_DEP_3)
	v_pk_fma_f32 v[116:117], v[112:113], v[110:111], v[114:115] op_sel_hi:[1,0,1]
	v_add_nc_u32_e32 v109, 1, v109
	v_pk_fma_f32 v[110:111], v[112:113], v[110:111], v[114:115] neg_lo:[0,0,1] neg_hi:[0,0,1]
	v_mov_b32_e32 v111, v117
	s_delay_alu instid0(VALU_DEP_3) | instskip(NEXT) | instid1(VALU_DEP_2)
	v_cmp_lt_u32_e32 vcc_lo, 15, v109
	v_pk_add_f32 v[104:105], v[104:105], v[110:111]
	s_or_b32 s3, vcc_lo, s3
	s_delay_alu instid0(SALU_CYCLE_1)
	s_and_not1_b32 exec_lo, exec_lo, s3
	s_cbranch_execnz .LBB49_657
; %bb.658:
	s_or_b32 exec_lo, exec_lo, s3
.LBB49_659:
	s_delay_alu instid0(SALU_CYCLE_1) | instskip(SKIP_4) | instid1(VALU_DEP_1)
	s_or_b32 exec_lo, exec_lo, s2
	v_mov_b32_e32 v107, 0
	ds_load_b64 v[108:109], v107 offset:136
	s_wait_dscnt 0x0
	v_pk_mul_f32 v[110:111], v[104:105], v[108:109] op_sel:[1,1] op_sel_hi:[0,1]
	v_pk_fma_f32 v[112:113], v[104:105], v[108:109], v[110:111] op_sel_hi:[1,0,1]
	v_pk_fma_f32 v[104:105], v[104:105], v[108:109], v[110:111] neg_lo:[0,0,1] neg_hi:[0,0,1]
	s_delay_alu instid0(VALU_DEP_2)
	v_mov_b32_e32 v105, v113
	scratch_store_b64 off, v[104:105], off offset:136
.LBB49_660:
	s_wait_xcnt 0x0
	s_or_b32 exec_lo, exec_lo, s0
	scratch_load_b64 v[104:105], off, off offset:144
	s_mov_b32 s0, exec_lo
	s_wait_loadcnt 0x0
	ds_store_b64 v1, v[104:105]
	s_wait_storecnt_dscnt 0x0
	s_barrier_signal -1
	s_barrier_wait -1
	s_wait_xcnt 0x0
	v_cmpx_gt_u32_e32 18, v0
	s_cbranch_execz .LBB49_670
; %bb.661:
	v_cmp_ne_u32_e32 vcc_lo, 1, v106
	s_cbranch_vccnz .LBB49_663
; %bb.662:
	scratch_load_b64 v[104:105], v51, off
	ds_load_b64 v[108:109], v1
	s_wait_loadcnt_dscnt 0x0
	v_pk_mul_f32 v[110:111], v[108:109], v[104:105] op_sel:[1,1] op_sel_hi:[0,1]
	s_delay_alu instid0(VALU_DEP_1) | instskip(SKIP_1) | instid1(VALU_DEP_2)
	v_pk_fma_f32 v[112:113], v[108:109], v[104:105], v[110:111] op_sel_hi:[1,0,1]
	v_pk_fma_f32 v[104:105], v[108:109], v[104:105], v[110:111] neg_lo:[0,0,1] neg_hi:[0,0,1]
	v_mov_b32_e32 v105, v113
	s_cbranch_execz .LBB49_664
	s_branch .LBB49_665
.LBB49_663:
                                        ; implicit-def: $vgpr104_vgpr105
.LBB49_664:
	ds_load_b64 v[104:105], v1
.LBB49_665:
	s_mov_b32 s2, exec_lo
	v_cmpx_ne_u32_e32 17, v0
	s_cbranch_execz .LBB49_669
; %bb.666:
	v_add_nc_u32_e32 v107, 0x198, v50
	v_add3_u32 v108, 0, v50, 8
	v_mov_b32_e32 v109, v0
	s_mov_b32 s3, 0
.LBB49_667:                             ; =>This Inner Loop Header: Depth=1
	scratch_load_b64 v[110:111], v108, off
	ds_load_b64 v[112:113], v107
	s_wait_xcnt 0x0
	v_dual_add_nc_u32 v107, 8, v107 :: v_dual_add_nc_u32 v108, 8, v108
	s_wait_loadcnt_dscnt 0x0
	v_pk_mul_f32 v[114:115], v[112:113], v[110:111] op_sel:[1,1] op_sel_hi:[0,1]
	s_delay_alu instid0(VALU_DEP_1) | instskip(SKIP_2) | instid1(VALU_DEP_3)
	v_pk_fma_f32 v[116:117], v[112:113], v[110:111], v[114:115] op_sel_hi:[1,0,1]
	v_add_nc_u32_e32 v109, 1, v109
	v_pk_fma_f32 v[110:111], v[112:113], v[110:111], v[114:115] neg_lo:[0,0,1] neg_hi:[0,0,1]
	v_mov_b32_e32 v111, v117
	s_delay_alu instid0(VALU_DEP_3) | instskip(NEXT) | instid1(VALU_DEP_2)
	v_cmp_lt_u32_e32 vcc_lo, 16, v109
	v_pk_add_f32 v[104:105], v[104:105], v[110:111]
	s_or_b32 s3, vcc_lo, s3
	s_delay_alu instid0(SALU_CYCLE_1)
	s_and_not1_b32 exec_lo, exec_lo, s3
	s_cbranch_execnz .LBB49_667
; %bb.668:
	s_or_b32 exec_lo, exec_lo, s3
.LBB49_669:
	s_delay_alu instid0(SALU_CYCLE_1) | instskip(SKIP_4) | instid1(VALU_DEP_1)
	s_or_b32 exec_lo, exec_lo, s2
	v_mov_b32_e32 v107, 0
	ds_load_b64 v[108:109], v107 offset:144
	s_wait_dscnt 0x0
	v_pk_mul_f32 v[110:111], v[104:105], v[108:109] op_sel:[1,1] op_sel_hi:[0,1]
	v_pk_fma_f32 v[112:113], v[104:105], v[108:109], v[110:111] op_sel_hi:[1,0,1]
	v_pk_fma_f32 v[104:105], v[104:105], v[108:109], v[110:111] neg_lo:[0,0,1] neg_hi:[0,0,1]
	s_delay_alu instid0(VALU_DEP_2)
	v_mov_b32_e32 v105, v113
	scratch_store_b64 off, v[104:105], off offset:144
.LBB49_670:
	s_wait_xcnt 0x0
	s_or_b32 exec_lo, exec_lo, s0
	scratch_load_b64 v[104:105], off, off offset:152
	s_mov_b32 s0, exec_lo
	s_wait_loadcnt 0x0
	ds_store_b64 v1, v[104:105]
	s_wait_storecnt_dscnt 0x0
	s_barrier_signal -1
	s_barrier_wait -1
	s_wait_xcnt 0x0
	v_cmpx_gt_u32_e32 19, v0
	s_cbranch_execz .LBB49_680
; %bb.671:
	v_cmp_ne_u32_e32 vcc_lo, 1, v106
	s_cbranch_vccnz .LBB49_673
; %bb.672:
	scratch_load_b64 v[104:105], v51, off
	ds_load_b64 v[108:109], v1
	s_wait_loadcnt_dscnt 0x0
	v_pk_mul_f32 v[110:111], v[108:109], v[104:105] op_sel:[1,1] op_sel_hi:[0,1]
	s_delay_alu instid0(VALU_DEP_1) | instskip(SKIP_1) | instid1(VALU_DEP_2)
	v_pk_fma_f32 v[112:113], v[108:109], v[104:105], v[110:111] op_sel_hi:[1,0,1]
	v_pk_fma_f32 v[104:105], v[108:109], v[104:105], v[110:111] neg_lo:[0,0,1] neg_hi:[0,0,1]
	v_mov_b32_e32 v105, v113
	s_cbranch_execz .LBB49_674
	s_branch .LBB49_675
.LBB49_673:
                                        ; implicit-def: $vgpr104_vgpr105
.LBB49_674:
	ds_load_b64 v[104:105], v1
.LBB49_675:
	s_mov_b32 s2, exec_lo
	v_cmpx_ne_u32_e32 18, v0
	s_cbranch_execz .LBB49_679
; %bb.676:
	v_add_nc_u32_e32 v107, 0x198, v50
	v_add3_u32 v108, 0, v50, 8
	v_mov_b32_e32 v109, v0
	s_mov_b32 s3, 0
.LBB49_677:                             ; =>This Inner Loop Header: Depth=1
	scratch_load_b64 v[110:111], v108, off
	ds_load_b64 v[112:113], v107
	s_wait_xcnt 0x0
	v_dual_add_nc_u32 v107, 8, v107 :: v_dual_add_nc_u32 v108, 8, v108
	s_wait_loadcnt_dscnt 0x0
	v_pk_mul_f32 v[114:115], v[112:113], v[110:111] op_sel:[1,1] op_sel_hi:[0,1]
	s_delay_alu instid0(VALU_DEP_1) | instskip(SKIP_2) | instid1(VALU_DEP_3)
	v_pk_fma_f32 v[116:117], v[112:113], v[110:111], v[114:115] op_sel_hi:[1,0,1]
	v_add_nc_u32_e32 v109, 1, v109
	v_pk_fma_f32 v[110:111], v[112:113], v[110:111], v[114:115] neg_lo:[0,0,1] neg_hi:[0,0,1]
	v_mov_b32_e32 v111, v117
	s_delay_alu instid0(VALU_DEP_3) | instskip(NEXT) | instid1(VALU_DEP_2)
	v_cmp_lt_u32_e32 vcc_lo, 17, v109
	v_pk_add_f32 v[104:105], v[104:105], v[110:111]
	s_or_b32 s3, vcc_lo, s3
	s_delay_alu instid0(SALU_CYCLE_1)
	s_and_not1_b32 exec_lo, exec_lo, s3
	s_cbranch_execnz .LBB49_677
; %bb.678:
	s_or_b32 exec_lo, exec_lo, s3
.LBB49_679:
	s_delay_alu instid0(SALU_CYCLE_1) | instskip(SKIP_4) | instid1(VALU_DEP_1)
	s_or_b32 exec_lo, exec_lo, s2
	v_mov_b32_e32 v107, 0
	ds_load_b64 v[108:109], v107 offset:152
	s_wait_dscnt 0x0
	v_pk_mul_f32 v[110:111], v[104:105], v[108:109] op_sel:[1,1] op_sel_hi:[0,1]
	v_pk_fma_f32 v[112:113], v[104:105], v[108:109], v[110:111] op_sel_hi:[1,0,1]
	v_pk_fma_f32 v[104:105], v[104:105], v[108:109], v[110:111] neg_lo:[0,0,1] neg_hi:[0,0,1]
	s_delay_alu instid0(VALU_DEP_2)
	v_mov_b32_e32 v105, v113
	scratch_store_b64 off, v[104:105], off offset:152
.LBB49_680:
	s_wait_xcnt 0x0
	s_or_b32 exec_lo, exec_lo, s0
	scratch_load_b64 v[104:105], off, off offset:160
	s_mov_b32 s0, exec_lo
	s_wait_loadcnt 0x0
	ds_store_b64 v1, v[104:105]
	s_wait_storecnt_dscnt 0x0
	s_barrier_signal -1
	s_barrier_wait -1
	s_wait_xcnt 0x0
	v_cmpx_gt_u32_e32 20, v0
	s_cbranch_execz .LBB49_690
; %bb.681:
	v_cmp_ne_u32_e32 vcc_lo, 1, v106
	s_cbranch_vccnz .LBB49_683
; %bb.682:
	scratch_load_b64 v[104:105], v51, off
	ds_load_b64 v[108:109], v1
	s_wait_loadcnt_dscnt 0x0
	v_pk_mul_f32 v[110:111], v[108:109], v[104:105] op_sel:[1,1] op_sel_hi:[0,1]
	s_delay_alu instid0(VALU_DEP_1) | instskip(SKIP_1) | instid1(VALU_DEP_2)
	v_pk_fma_f32 v[112:113], v[108:109], v[104:105], v[110:111] op_sel_hi:[1,0,1]
	v_pk_fma_f32 v[104:105], v[108:109], v[104:105], v[110:111] neg_lo:[0,0,1] neg_hi:[0,0,1]
	v_mov_b32_e32 v105, v113
	s_cbranch_execz .LBB49_684
	s_branch .LBB49_685
.LBB49_683:
                                        ; implicit-def: $vgpr104_vgpr105
.LBB49_684:
	ds_load_b64 v[104:105], v1
.LBB49_685:
	s_mov_b32 s2, exec_lo
	v_cmpx_ne_u32_e32 19, v0
	s_cbranch_execz .LBB49_689
; %bb.686:
	v_add_nc_u32_e32 v107, 0x198, v50
	v_add3_u32 v108, 0, v50, 8
	v_mov_b32_e32 v109, v0
	s_mov_b32 s3, 0
.LBB49_687:                             ; =>This Inner Loop Header: Depth=1
	scratch_load_b64 v[110:111], v108, off
	ds_load_b64 v[112:113], v107
	s_wait_xcnt 0x0
	v_dual_add_nc_u32 v107, 8, v107 :: v_dual_add_nc_u32 v108, 8, v108
	s_wait_loadcnt_dscnt 0x0
	v_pk_mul_f32 v[114:115], v[112:113], v[110:111] op_sel:[1,1] op_sel_hi:[0,1]
	s_delay_alu instid0(VALU_DEP_1) | instskip(SKIP_2) | instid1(VALU_DEP_3)
	v_pk_fma_f32 v[116:117], v[112:113], v[110:111], v[114:115] op_sel_hi:[1,0,1]
	v_add_nc_u32_e32 v109, 1, v109
	v_pk_fma_f32 v[110:111], v[112:113], v[110:111], v[114:115] neg_lo:[0,0,1] neg_hi:[0,0,1]
	v_mov_b32_e32 v111, v117
	s_delay_alu instid0(VALU_DEP_3) | instskip(NEXT) | instid1(VALU_DEP_2)
	v_cmp_lt_u32_e32 vcc_lo, 18, v109
	v_pk_add_f32 v[104:105], v[104:105], v[110:111]
	s_or_b32 s3, vcc_lo, s3
	s_delay_alu instid0(SALU_CYCLE_1)
	s_and_not1_b32 exec_lo, exec_lo, s3
	s_cbranch_execnz .LBB49_687
; %bb.688:
	s_or_b32 exec_lo, exec_lo, s3
.LBB49_689:
	s_delay_alu instid0(SALU_CYCLE_1) | instskip(SKIP_4) | instid1(VALU_DEP_1)
	s_or_b32 exec_lo, exec_lo, s2
	v_mov_b32_e32 v107, 0
	ds_load_b64 v[108:109], v107 offset:160
	s_wait_dscnt 0x0
	v_pk_mul_f32 v[110:111], v[104:105], v[108:109] op_sel:[1,1] op_sel_hi:[0,1]
	v_pk_fma_f32 v[112:113], v[104:105], v[108:109], v[110:111] op_sel_hi:[1,0,1]
	v_pk_fma_f32 v[104:105], v[104:105], v[108:109], v[110:111] neg_lo:[0,0,1] neg_hi:[0,0,1]
	s_delay_alu instid0(VALU_DEP_2)
	v_mov_b32_e32 v105, v113
	scratch_store_b64 off, v[104:105], off offset:160
.LBB49_690:
	s_wait_xcnt 0x0
	s_or_b32 exec_lo, exec_lo, s0
	scratch_load_b64 v[104:105], off, off offset:168
	s_mov_b32 s0, exec_lo
	s_wait_loadcnt 0x0
	ds_store_b64 v1, v[104:105]
	s_wait_storecnt_dscnt 0x0
	s_barrier_signal -1
	s_barrier_wait -1
	s_wait_xcnt 0x0
	v_cmpx_gt_u32_e32 21, v0
	s_cbranch_execz .LBB49_700
; %bb.691:
	v_cmp_ne_u32_e32 vcc_lo, 1, v106
	s_cbranch_vccnz .LBB49_693
; %bb.692:
	scratch_load_b64 v[104:105], v51, off
	ds_load_b64 v[108:109], v1
	s_wait_loadcnt_dscnt 0x0
	v_pk_mul_f32 v[110:111], v[108:109], v[104:105] op_sel:[1,1] op_sel_hi:[0,1]
	s_delay_alu instid0(VALU_DEP_1) | instskip(SKIP_1) | instid1(VALU_DEP_2)
	v_pk_fma_f32 v[112:113], v[108:109], v[104:105], v[110:111] op_sel_hi:[1,0,1]
	v_pk_fma_f32 v[104:105], v[108:109], v[104:105], v[110:111] neg_lo:[0,0,1] neg_hi:[0,0,1]
	v_mov_b32_e32 v105, v113
	s_cbranch_execz .LBB49_694
	s_branch .LBB49_695
.LBB49_693:
                                        ; implicit-def: $vgpr104_vgpr105
.LBB49_694:
	ds_load_b64 v[104:105], v1
.LBB49_695:
	s_mov_b32 s2, exec_lo
	v_cmpx_ne_u32_e32 20, v0
	s_cbranch_execz .LBB49_699
; %bb.696:
	v_add_nc_u32_e32 v107, 0x198, v50
	v_add3_u32 v108, 0, v50, 8
	v_mov_b32_e32 v109, v0
	s_mov_b32 s3, 0
.LBB49_697:                             ; =>This Inner Loop Header: Depth=1
	scratch_load_b64 v[110:111], v108, off
	ds_load_b64 v[112:113], v107
	s_wait_xcnt 0x0
	v_dual_add_nc_u32 v107, 8, v107 :: v_dual_add_nc_u32 v108, 8, v108
	s_wait_loadcnt_dscnt 0x0
	v_pk_mul_f32 v[114:115], v[112:113], v[110:111] op_sel:[1,1] op_sel_hi:[0,1]
	s_delay_alu instid0(VALU_DEP_1) | instskip(SKIP_2) | instid1(VALU_DEP_3)
	v_pk_fma_f32 v[116:117], v[112:113], v[110:111], v[114:115] op_sel_hi:[1,0,1]
	v_add_nc_u32_e32 v109, 1, v109
	v_pk_fma_f32 v[110:111], v[112:113], v[110:111], v[114:115] neg_lo:[0,0,1] neg_hi:[0,0,1]
	v_mov_b32_e32 v111, v117
	s_delay_alu instid0(VALU_DEP_3) | instskip(NEXT) | instid1(VALU_DEP_2)
	v_cmp_lt_u32_e32 vcc_lo, 19, v109
	v_pk_add_f32 v[104:105], v[104:105], v[110:111]
	s_or_b32 s3, vcc_lo, s3
	s_delay_alu instid0(SALU_CYCLE_1)
	s_and_not1_b32 exec_lo, exec_lo, s3
	s_cbranch_execnz .LBB49_697
; %bb.698:
	s_or_b32 exec_lo, exec_lo, s3
.LBB49_699:
	s_delay_alu instid0(SALU_CYCLE_1) | instskip(SKIP_4) | instid1(VALU_DEP_1)
	s_or_b32 exec_lo, exec_lo, s2
	v_mov_b32_e32 v107, 0
	ds_load_b64 v[108:109], v107 offset:168
	s_wait_dscnt 0x0
	v_pk_mul_f32 v[110:111], v[104:105], v[108:109] op_sel:[1,1] op_sel_hi:[0,1]
	v_pk_fma_f32 v[112:113], v[104:105], v[108:109], v[110:111] op_sel_hi:[1,0,1]
	v_pk_fma_f32 v[104:105], v[104:105], v[108:109], v[110:111] neg_lo:[0,0,1] neg_hi:[0,0,1]
	s_delay_alu instid0(VALU_DEP_2)
	v_mov_b32_e32 v105, v113
	scratch_store_b64 off, v[104:105], off offset:168
.LBB49_700:
	s_wait_xcnt 0x0
	s_or_b32 exec_lo, exec_lo, s0
	scratch_load_b64 v[104:105], off, off offset:176
	s_mov_b32 s0, exec_lo
	s_wait_loadcnt 0x0
	ds_store_b64 v1, v[104:105]
	s_wait_storecnt_dscnt 0x0
	s_barrier_signal -1
	s_barrier_wait -1
	s_wait_xcnt 0x0
	v_cmpx_gt_u32_e32 22, v0
	s_cbranch_execz .LBB49_710
; %bb.701:
	v_cmp_ne_u32_e32 vcc_lo, 1, v106
	s_cbranch_vccnz .LBB49_703
; %bb.702:
	scratch_load_b64 v[104:105], v51, off
	ds_load_b64 v[108:109], v1
	s_wait_loadcnt_dscnt 0x0
	v_pk_mul_f32 v[110:111], v[108:109], v[104:105] op_sel:[1,1] op_sel_hi:[0,1]
	s_delay_alu instid0(VALU_DEP_1) | instskip(SKIP_1) | instid1(VALU_DEP_2)
	v_pk_fma_f32 v[112:113], v[108:109], v[104:105], v[110:111] op_sel_hi:[1,0,1]
	v_pk_fma_f32 v[104:105], v[108:109], v[104:105], v[110:111] neg_lo:[0,0,1] neg_hi:[0,0,1]
	v_mov_b32_e32 v105, v113
	s_cbranch_execz .LBB49_704
	s_branch .LBB49_705
.LBB49_703:
                                        ; implicit-def: $vgpr104_vgpr105
.LBB49_704:
	ds_load_b64 v[104:105], v1
.LBB49_705:
	s_mov_b32 s2, exec_lo
	v_cmpx_ne_u32_e32 21, v0
	s_cbranch_execz .LBB49_709
; %bb.706:
	v_add_nc_u32_e32 v107, 0x198, v50
	v_add3_u32 v108, 0, v50, 8
	v_mov_b32_e32 v109, v0
	s_mov_b32 s3, 0
.LBB49_707:                             ; =>This Inner Loop Header: Depth=1
	scratch_load_b64 v[110:111], v108, off
	ds_load_b64 v[112:113], v107
	s_wait_xcnt 0x0
	v_dual_add_nc_u32 v107, 8, v107 :: v_dual_add_nc_u32 v108, 8, v108
	s_wait_loadcnt_dscnt 0x0
	v_pk_mul_f32 v[114:115], v[112:113], v[110:111] op_sel:[1,1] op_sel_hi:[0,1]
	s_delay_alu instid0(VALU_DEP_1) | instskip(SKIP_2) | instid1(VALU_DEP_3)
	v_pk_fma_f32 v[116:117], v[112:113], v[110:111], v[114:115] op_sel_hi:[1,0,1]
	v_add_nc_u32_e32 v109, 1, v109
	v_pk_fma_f32 v[110:111], v[112:113], v[110:111], v[114:115] neg_lo:[0,0,1] neg_hi:[0,0,1]
	v_mov_b32_e32 v111, v117
	s_delay_alu instid0(VALU_DEP_3) | instskip(NEXT) | instid1(VALU_DEP_2)
	v_cmp_lt_u32_e32 vcc_lo, 20, v109
	v_pk_add_f32 v[104:105], v[104:105], v[110:111]
	s_or_b32 s3, vcc_lo, s3
	s_delay_alu instid0(SALU_CYCLE_1)
	s_and_not1_b32 exec_lo, exec_lo, s3
	s_cbranch_execnz .LBB49_707
; %bb.708:
	s_or_b32 exec_lo, exec_lo, s3
.LBB49_709:
	s_delay_alu instid0(SALU_CYCLE_1) | instskip(SKIP_4) | instid1(VALU_DEP_1)
	s_or_b32 exec_lo, exec_lo, s2
	v_mov_b32_e32 v107, 0
	ds_load_b64 v[108:109], v107 offset:176
	s_wait_dscnt 0x0
	v_pk_mul_f32 v[110:111], v[104:105], v[108:109] op_sel:[1,1] op_sel_hi:[0,1]
	v_pk_fma_f32 v[112:113], v[104:105], v[108:109], v[110:111] op_sel_hi:[1,0,1]
	v_pk_fma_f32 v[104:105], v[104:105], v[108:109], v[110:111] neg_lo:[0,0,1] neg_hi:[0,0,1]
	s_delay_alu instid0(VALU_DEP_2)
	v_mov_b32_e32 v105, v113
	scratch_store_b64 off, v[104:105], off offset:176
.LBB49_710:
	s_wait_xcnt 0x0
	s_or_b32 exec_lo, exec_lo, s0
	scratch_load_b64 v[104:105], off, off offset:184
	s_mov_b32 s0, exec_lo
	s_wait_loadcnt 0x0
	ds_store_b64 v1, v[104:105]
	s_wait_storecnt_dscnt 0x0
	s_barrier_signal -1
	s_barrier_wait -1
	s_wait_xcnt 0x0
	v_cmpx_gt_u32_e32 23, v0
	s_cbranch_execz .LBB49_720
; %bb.711:
	v_cmp_ne_u32_e32 vcc_lo, 1, v106
	s_cbranch_vccnz .LBB49_713
; %bb.712:
	scratch_load_b64 v[104:105], v51, off
	ds_load_b64 v[108:109], v1
	s_wait_loadcnt_dscnt 0x0
	v_pk_mul_f32 v[110:111], v[108:109], v[104:105] op_sel:[1,1] op_sel_hi:[0,1]
	s_delay_alu instid0(VALU_DEP_1) | instskip(SKIP_1) | instid1(VALU_DEP_2)
	v_pk_fma_f32 v[112:113], v[108:109], v[104:105], v[110:111] op_sel_hi:[1,0,1]
	v_pk_fma_f32 v[104:105], v[108:109], v[104:105], v[110:111] neg_lo:[0,0,1] neg_hi:[0,0,1]
	v_mov_b32_e32 v105, v113
	s_cbranch_execz .LBB49_714
	s_branch .LBB49_715
.LBB49_713:
                                        ; implicit-def: $vgpr104_vgpr105
.LBB49_714:
	ds_load_b64 v[104:105], v1
.LBB49_715:
	s_mov_b32 s2, exec_lo
	v_cmpx_ne_u32_e32 22, v0
	s_cbranch_execz .LBB49_719
; %bb.716:
	v_add_nc_u32_e32 v107, 0x198, v50
	v_add3_u32 v108, 0, v50, 8
	v_mov_b32_e32 v109, v0
	s_mov_b32 s3, 0
.LBB49_717:                             ; =>This Inner Loop Header: Depth=1
	scratch_load_b64 v[110:111], v108, off
	ds_load_b64 v[112:113], v107
	s_wait_xcnt 0x0
	v_dual_add_nc_u32 v107, 8, v107 :: v_dual_add_nc_u32 v108, 8, v108
	s_wait_loadcnt_dscnt 0x0
	v_pk_mul_f32 v[114:115], v[112:113], v[110:111] op_sel:[1,1] op_sel_hi:[0,1]
	s_delay_alu instid0(VALU_DEP_1) | instskip(SKIP_2) | instid1(VALU_DEP_3)
	v_pk_fma_f32 v[116:117], v[112:113], v[110:111], v[114:115] op_sel_hi:[1,0,1]
	v_add_nc_u32_e32 v109, 1, v109
	v_pk_fma_f32 v[110:111], v[112:113], v[110:111], v[114:115] neg_lo:[0,0,1] neg_hi:[0,0,1]
	v_mov_b32_e32 v111, v117
	s_delay_alu instid0(VALU_DEP_3) | instskip(NEXT) | instid1(VALU_DEP_2)
	v_cmp_lt_u32_e32 vcc_lo, 21, v109
	v_pk_add_f32 v[104:105], v[104:105], v[110:111]
	s_or_b32 s3, vcc_lo, s3
	s_delay_alu instid0(SALU_CYCLE_1)
	s_and_not1_b32 exec_lo, exec_lo, s3
	s_cbranch_execnz .LBB49_717
; %bb.718:
	s_or_b32 exec_lo, exec_lo, s3
.LBB49_719:
	s_delay_alu instid0(SALU_CYCLE_1) | instskip(SKIP_4) | instid1(VALU_DEP_1)
	s_or_b32 exec_lo, exec_lo, s2
	v_mov_b32_e32 v107, 0
	ds_load_b64 v[108:109], v107 offset:184
	s_wait_dscnt 0x0
	v_pk_mul_f32 v[110:111], v[104:105], v[108:109] op_sel:[1,1] op_sel_hi:[0,1]
	v_pk_fma_f32 v[112:113], v[104:105], v[108:109], v[110:111] op_sel_hi:[1,0,1]
	v_pk_fma_f32 v[104:105], v[104:105], v[108:109], v[110:111] neg_lo:[0,0,1] neg_hi:[0,0,1]
	s_delay_alu instid0(VALU_DEP_2)
	v_mov_b32_e32 v105, v113
	scratch_store_b64 off, v[104:105], off offset:184
.LBB49_720:
	s_wait_xcnt 0x0
	s_or_b32 exec_lo, exec_lo, s0
	scratch_load_b64 v[104:105], off, off offset:192
	s_mov_b32 s0, exec_lo
	s_wait_loadcnt 0x0
	ds_store_b64 v1, v[104:105]
	s_wait_storecnt_dscnt 0x0
	s_barrier_signal -1
	s_barrier_wait -1
	s_wait_xcnt 0x0
	v_cmpx_gt_u32_e32 24, v0
	s_cbranch_execz .LBB49_730
; %bb.721:
	v_cmp_ne_u32_e32 vcc_lo, 1, v106
	s_cbranch_vccnz .LBB49_723
; %bb.722:
	scratch_load_b64 v[104:105], v51, off
	ds_load_b64 v[108:109], v1
	s_wait_loadcnt_dscnt 0x0
	v_pk_mul_f32 v[110:111], v[108:109], v[104:105] op_sel:[1,1] op_sel_hi:[0,1]
	s_delay_alu instid0(VALU_DEP_1) | instskip(SKIP_1) | instid1(VALU_DEP_2)
	v_pk_fma_f32 v[112:113], v[108:109], v[104:105], v[110:111] op_sel_hi:[1,0,1]
	v_pk_fma_f32 v[104:105], v[108:109], v[104:105], v[110:111] neg_lo:[0,0,1] neg_hi:[0,0,1]
	v_mov_b32_e32 v105, v113
	s_cbranch_execz .LBB49_724
	s_branch .LBB49_725
.LBB49_723:
                                        ; implicit-def: $vgpr104_vgpr105
.LBB49_724:
	ds_load_b64 v[104:105], v1
.LBB49_725:
	s_mov_b32 s2, exec_lo
	v_cmpx_ne_u32_e32 23, v0
	s_cbranch_execz .LBB49_729
; %bb.726:
	v_add_nc_u32_e32 v107, 0x198, v50
	v_add3_u32 v108, 0, v50, 8
	v_mov_b32_e32 v109, v0
	s_mov_b32 s3, 0
.LBB49_727:                             ; =>This Inner Loop Header: Depth=1
	scratch_load_b64 v[110:111], v108, off
	ds_load_b64 v[112:113], v107
	s_wait_xcnt 0x0
	v_dual_add_nc_u32 v107, 8, v107 :: v_dual_add_nc_u32 v108, 8, v108
	s_wait_loadcnt_dscnt 0x0
	v_pk_mul_f32 v[114:115], v[112:113], v[110:111] op_sel:[1,1] op_sel_hi:[0,1]
	s_delay_alu instid0(VALU_DEP_1) | instskip(SKIP_2) | instid1(VALU_DEP_3)
	v_pk_fma_f32 v[116:117], v[112:113], v[110:111], v[114:115] op_sel_hi:[1,0,1]
	v_add_nc_u32_e32 v109, 1, v109
	v_pk_fma_f32 v[110:111], v[112:113], v[110:111], v[114:115] neg_lo:[0,0,1] neg_hi:[0,0,1]
	v_mov_b32_e32 v111, v117
	s_delay_alu instid0(VALU_DEP_3) | instskip(NEXT) | instid1(VALU_DEP_2)
	v_cmp_lt_u32_e32 vcc_lo, 22, v109
	v_pk_add_f32 v[104:105], v[104:105], v[110:111]
	s_or_b32 s3, vcc_lo, s3
	s_delay_alu instid0(SALU_CYCLE_1)
	s_and_not1_b32 exec_lo, exec_lo, s3
	s_cbranch_execnz .LBB49_727
; %bb.728:
	s_or_b32 exec_lo, exec_lo, s3
.LBB49_729:
	s_delay_alu instid0(SALU_CYCLE_1) | instskip(SKIP_4) | instid1(VALU_DEP_1)
	s_or_b32 exec_lo, exec_lo, s2
	v_mov_b32_e32 v107, 0
	ds_load_b64 v[108:109], v107 offset:192
	s_wait_dscnt 0x0
	v_pk_mul_f32 v[110:111], v[104:105], v[108:109] op_sel:[1,1] op_sel_hi:[0,1]
	v_pk_fma_f32 v[112:113], v[104:105], v[108:109], v[110:111] op_sel_hi:[1,0,1]
	v_pk_fma_f32 v[104:105], v[104:105], v[108:109], v[110:111] neg_lo:[0,0,1] neg_hi:[0,0,1]
	s_delay_alu instid0(VALU_DEP_2)
	v_mov_b32_e32 v105, v113
	scratch_store_b64 off, v[104:105], off offset:192
.LBB49_730:
	s_wait_xcnt 0x0
	s_or_b32 exec_lo, exec_lo, s0
	scratch_load_b64 v[104:105], off, off offset:200
	s_mov_b32 s0, exec_lo
	s_wait_loadcnt 0x0
	ds_store_b64 v1, v[104:105]
	s_wait_storecnt_dscnt 0x0
	s_barrier_signal -1
	s_barrier_wait -1
	s_wait_xcnt 0x0
	v_cmpx_gt_u32_e32 25, v0
	s_cbranch_execz .LBB49_740
; %bb.731:
	v_cmp_ne_u32_e32 vcc_lo, 1, v106
	s_cbranch_vccnz .LBB49_733
; %bb.732:
	scratch_load_b64 v[104:105], v51, off
	ds_load_b64 v[108:109], v1
	s_wait_loadcnt_dscnt 0x0
	v_pk_mul_f32 v[110:111], v[108:109], v[104:105] op_sel:[1,1] op_sel_hi:[0,1]
	s_delay_alu instid0(VALU_DEP_1) | instskip(SKIP_1) | instid1(VALU_DEP_2)
	v_pk_fma_f32 v[112:113], v[108:109], v[104:105], v[110:111] op_sel_hi:[1,0,1]
	v_pk_fma_f32 v[104:105], v[108:109], v[104:105], v[110:111] neg_lo:[0,0,1] neg_hi:[0,0,1]
	v_mov_b32_e32 v105, v113
	s_cbranch_execz .LBB49_734
	s_branch .LBB49_735
.LBB49_733:
                                        ; implicit-def: $vgpr104_vgpr105
.LBB49_734:
	ds_load_b64 v[104:105], v1
.LBB49_735:
	s_mov_b32 s2, exec_lo
	v_cmpx_ne_u32_e32 24, v0
	s_cbranch_execz .LBB49_739
; %bb.736:
	v_add_nc_u32_e32 v107, 0x198, v50
	v_add3_u32 v108, 0, v50, 8
	v_mov_b32_e32 v109, v0
	s_mov_b32 s3, 0
.LBB49_737:                             ; =>This Inner Loop Header: Depth=1
	scratch_load_b64 v[110:111], v108, off
	ds_load_b64 v[112:113], v107
	s_wait_xcnt 0x0
	v_dual_add_nc_u32 v107, 8, v107 :: v_dual_add_nc_u32 v108, 8, v108
	s_wait_loadcnt_dscnt 0x0
	v_pk_mul_f32 v[114:115], v[112:113], v[110:111] op_sel:[1,1] op_sel_hi:[0,1]
	s_delay_alu instid0(VALU_DEP_1) | instskip(SKIP_2) | instid1(VALU_DEP_3)
	v_pk_fma_f32 v[116:117], v[112:113], v[110:111], v[114:115] op_sel_hi:[1,0,1]
	v_add_nc_u32_e32 v109, 1, v109
	v_pk_fma_f32 v[110:111], v[112:113], v[110:111], v[114:115] neg_lo:[0,0,1] neg_hi:[0,0,1]
	v_mov_b32_e32 v111, v117
	s_delay_alu instid0(VALU_DEP_3) | instskip(NEXT) | instid1(VALU_DEP_2)
	v_cmp_lt_u32_e32 vcc_lo, 23, v109
	v_pk_add_f32 v[104:105], v[104:105], v[110:111]
	s_or_b32 s3, vcc_lo, s3
	s_delay_alu instid0(SALU_CYCLE_1)
	s_and_not1_b32 exec_lo, exec_lo, s3
	s_cbranch_execnz .LBB49_737
; %bb.738:
	s_or_b32 exec_lo, exec_lo, s3
.LBB49_739:
	s_delay_alu instid0(SALU_CYCLE_1) | instskip(SKIP_4) | instid1(VALU_DEP_1)
	s_or_b32 exec_lo, exec_lo, s2
	v_mov_b32_e32 v107, 0
	ds_load_b64 v[108:109], v107 offset:200
	s_wait_dscnt 0x0
	v_pk_mul_f32 v[110:111], v[104:105], v[108:109] op_sel:[1,1] op_sel_hi:[0,1]
	v_pk_fma_f32 v[112:113], v[104:105], v[108:109], v[110:111] op_sel_hi:[1,0,1]
	v_pk_fma_f32 v[104:105], v[104:105], v[108:109], v[110:111] neg_lo:[0,0,1] neg_hi:[0,0,1]
	s_delay_alu instid0(VALU_DEP_2)
	v_mov_b32_e32 v105, v113
	scratch_store_b64 off, v[104:105], off offset:200
.LBB49_740:
	s_wait_xcnt 0x0
	s_or_b32 exec_lo, exec_lo, s0
	scratch_load_b64 v[104:105], off, off offset:208
	s_mov_b32 s0, exec_lo
	s_wait_loadcnt 0x0
	ds_store_b64 v1, v[104:105]
	s_wait_storecnt_dscnt 0x0
	s_barrier_signal -1
	s_barrier_wait -1
	s_wait_xcnt 0x0
	v_cmpx_gt_u32_e32 26, v0
	s_cbranch_execz .LBB49_750
; %bb.741:
	v_cmp_ne_u32_e32 vcc_lo, 1, v106
	s_cbranch_vccnz .LBB49_743
; %bb.742:
	scratch_load_b64 v[104:105], v51, off
	ds_load_b64 v[108:109], v1
	s_wait_loadcnt_dscnt 0x0
	v_pk_mul_f32 v[110:111], v[108:109], v[104:105] op_sel:[1,1] op_sel_hi:[0,1]
	s_delay_alu instid0(VALU_DEP_1) | instskip(SKIP_1) | instid1(VALU_DEP_2)
	v_pk_fma_f32 v[112:113], v[108:109], v[104:105], v[110:111] op_sel_hi:[1,0,1]
	v_pk_fma_f32 v[104:105], v[108:109], v[104:105], v[110:111] neg_lo:[0,0,1] neg_hi:[0,0,1]
	v_mov_b32_e32 v105, v113
	s_cbranch_execz .LBB49_744
	s_branch .LBB49_745
.LBB49_743:
                                        ; implicit-def: $vgpr104_vgpr105
.LBB49_744:
	ds_load_b64 v[104:105], v1
.LBB49_745:
	s_mov_b32 s2, exec_lo
	v_cmpx_ne_u32_e32 25, v0
	s_cbranch_execz .LBB49_749
; %bb.746:
	v_add_nc_u32_e32 v107, 0x198, v50
	v_add3_u32 v108, 0, v50, 8
	v_mov_b32_e32 v109, v0
	s_mov_b32 s3, 0
.LBB49_747:                             ; =>This Inner Loop Header: Depth=1
	scratch_load_b64 v[110:111], v108, off
	ds_load_b64 v[112:113], v107
	s_wait_xcnt 0x0
	v_dual_add_nc_u32 v107, 8, v107 :: v_dual_add_nc_u32 v108, 8, v108
	s_wait_loadcnt_dscnt 0x0
	v_pk_mul_f32 v[114:115], v[112:113], v[110:111] op_sel:[1,1] op_sel_hi:[0,1]
	s_delay_alu instid0(VALU_DEP_1) | instskip(SKIP_2) | instid1(VALU_DEP_3)
	v_pk_fma_f32 v[116:117], v[112:113], v[110:111], v[114:115] op_sel_hi:[1,0,1]
	v_add_nc_u32_e32 v109, 1, v109
	v_pk_fma_f32 v[110:111], v[112:113], v[110:111], v[114:115] neg_lo:[0,0,1] neg_hi:[0,0,1]
	v_mov_b32_e32 v111, v117
	s_delay_alu instid0(VALU_DEP_3) | instskip(NEXT) | instid1(VALU_DEP_2)
	v_cmp_lt_u32_e32 vcc_lo, 24, v109
	v_pk_add_f32 v[104:105], v[104:105], v[110:111]
	s_or_b32 s3, vcc_lo, s3
	s_delay_alu instid0(SALU_CYCLE_1)
	s_and_not1_b32 exec_lo, exec_lo, s3
	s_cbranch_execnz .LBB49_747
; %bb.748:
	s_or_b32 exec_lo, exec_lo, s3
.LBB49_749:
	s_delay_alu instid0(SALU_CYCLE_1) | instskip(SKIP_4) | instid1(VALU_DEP_1)
	s_or_b32 exec_lo, exec_lo, s2
	v_mov_b32_e32 v107, 0
	ds_load_b64 v[108:109], v107 offset:208
	s_wait_dscnt 0x0
	v_pk_mul_f32 v[110:111], v[104:105], v[108:109] op_sel:[1,1] op_sel_hi:[0,1]
	v_pk_fma_f32 v[112:113], v[104:105], v[108:109], v[110:111] op_sel_hi:[1,0,1]
	v_pk_fma_f32 v[104:105], v[104:105], v[108:109], v[110:111] neg_lo:[0,0,1] neg_hi:[0,0,1]
	s_delay_alu instid0(VALU_DEP_2)
	v_mov_b32_e32 v105, v113
	scratch_store_b64 off, v[104:105], off offset:208
.LBB49_750:
	s_wait_xcnt 0x0
	s_or_b32 exec_lo, exec_lo, s0
	scratch_load_b64 v[104:105], off, off offset:216
	s_mov_b32 s0, exec_lo
	s_wait_loadcnt 0x0
	ds_store_b64 v1, v[104:105]
	s_wait_storecnt_dscnt 0x0
	s_barrier_signal -1
	s_barrier_wait -1
	s_wait_xcnt 0x0
	v_cmpx_gt_u32_e32 27, v0
	s_cbranch_execz .LBB49_760
; %bb.751:
	v_cmp_ne_u32_e32 vcc_lo, 1, v106
	s_cbranch_vccnz .LBB49_753
; %bb.752:
	scratch_load_b64 v[104:105], v51, off
	ds_load_b64 v[108:109], v1
	s_wait_loadcnt_dscnt 0x0
	v_pk_mul_f32 v[110:111], v[108:109], v[104:105] op_sel:[1,1] op_sel_hi:[0,1]
	s_delay_alu instid0(VALU_DEP_1) | instskip(SKIP_1) | instid1(VALU_DEP_2)
	v_pk_fma_f32 v[112:113], v[108:109], v[104:105], v[110:111] op_sel_hi:[1,0,1]
	v_pk_fma_f32 v[104:105], v[108:109], v[104:105], v[110:111] neg_lo:[0,0,1] neg_hi:[0,0,1]
	v_mov_b32_e32 v105, v113
	s_cbranch_execz .LBB49_754
	s_branch .LBB49_755
.LBB49_753:
                                        ; implicit-def: $vgpr104_vgpr105
.LBB49_754:
	ds_load_b64 v[104:105], v1
.LBB49_755:
	s_mov_b32 s2, exec_lo
	v_cmpx_ne_u32_e32 26, v0
	s_cbranch_execz .LBB49_759
; %bb.756:
	v_add_nc_u32_e32 v107, 0x198, v50
	v_add3_u32 v108, 0, v50, 8
	v_mov_b32_e32 v109, v0
	s_mov_b32 s3, 0
.LBB49_757:                             ; =>This Inner Loop Header: Depth=1
	scratch_load_b64 v[110:111], v108, off
	ds_load_b64 v[112:113], v107
	s_wait_xcnt 0x0
	v_dual_add_nc_u32 v107, 8, v107 :: v_dual_add_nc_u32 v108, 8, v108
	s_wait_loadcnt_dscnt 0x0
	v_pk_mul_f32 v[114:115], v[112:113], v[110:111] op_sel:[1,1] op_sel_hi:[0,1]
	s_delay_alu instid0(VALU_DEP_1) | instskip(SKIP_2) | instid1(VALU_DEP_3)
	v_pk_fma_f32 v[116:117], v[112:113], v[110:111], v[114:115] op_sel_hi:[1,0,1]
	v_add_nc_u32_e32 v109, 1, v109
	v_pk_fma_f32 v[110:111], v[112:113], v[110:111], v[114:115] neg_lo:[0,0,1] neg_hi:[0,0,1]
	v_mov_b32_e32 v111, v117
	s_delay_alu instid0(VALU_DEP_3) | instskip(NEXT) | instid1(VALU_DEP_2)
	v_cmp_lt_u32_e32 vcc_lo, 25, v109
	v_pk_add_f32 v[104:105], v[104:105], v[110:111]
	s_or_b32 s3, vcc_lo, s3
	s_delay_alu instid0(SALU_CYCLE_1)
	s_and_not1_b32 exec_lo, exec_lo, s3
	s_cbranch_execnz .LBB49_757
; %bb.758:
	s_or_b32 exec_lo, exec_lo, s3
.LBB49_759:
	s_delay_alu instid0(SALU_CYCLE_1) | instskip(SKIP_4) | instid1(VALU_DEP_1)
	s_or_b32 exec_lo, exec_lo, s2
	v_mov_b32_e32 v107, 0
	ds_load_b64 v[108:109], v107 offset:216
	s_wait_dscnt 0x0
	v_pk_mul_f32 v[110:111], v[104:105], v[108:109] op_sel:[1,1] op_sel_hi:[0,1]
	v_pk_fma_f32 v[112:113], v[104:105], v[108:109], v[110:111] op_sel_hi:[1,0,1]
	v_pk_fma_f32 v[104:105], v[104:105], v[108:109], v[110:111] neg_lo:[0,0,1] neg_hi:[0,0,1]
	s_delay_alu instid0(VALU_DEP_2)
	v_mov_b32_e32 v105, v113
	scratch_store_b64 off, v[104:105], off offset:216
.LBB49_760:
	s_wait_xcnt 0x0
	s_or_b32 exec_lo, exec_lo, s0
	scratch_load_b64 v[104:105], off, off offset:224
	s_mov_b32 s0, exec_lo
	s_wait_loadcnt 0x0
	ds_store_b64 v1, v[104:105]
	s_wait_storecnt_dscnt 0x0
	s_barrier_signal -1
	s_barrier_wait -1
	s_wait_xcnt 0x0
	v_cmpx_gt_u32_e32 28, v0
	s_cbranch_execz .LBB49_770
; %bb.761:
	v_cmp_ne_u32_e32 vcc_lo, 1, v106
	s_cbranch_vccnz .LBB49_763
; %bb.762:
	scratch_load_b64 v[104:105], v51, off
	ds_load_b64 v[108:109], v1
	s_wait_loadcnt_dscnt 0x0
	v_pk_mul_f32 v[110:111], v[108:109], v[104:105] op_sel:[1,1] op_sel_hi:[0,1]
	s_delay_alu instid0(VALU_DEP_1) | instskip(SKIP_1) | instid1(VALU_DEP_2)
	v_pk_fma_f32 v[112:113], v[108:109], v[104:105], v[110:111] op_sel_hi:[1,0,1]
	v_pk_fma_f32 v[104:105], v[108:109], v[104:105], v[110:111] neg_lo:[0,0,1] neg_hi:[0,0,1]
	v_mov_b32_e32 v105, v113
	s_cbranch_execz .LBB49_764
	s_branch .LBB49_765
.LBB49_763:
                                        ; implicit-def: $vgpr104_vgpr105
.LBB49_764:
	ds_load_b64 v[104:105], v1
.LBB49_765:
	s_mov_b32 s2, exec_lo
	v_cmpx_ne_u32_e32 27, v0
	s_cbranch_execz .LBB49_769
; %bb.766:
	v_add_nc_u32_e32 v107, 0x198, v50
	v_add3_u32 v108, 0, v50, 8
	v_mov_b32_e32 v109, v0
	s_mov_b32 s3, 0
.LBB49_767:                             ; =>This Inner Loop Header: Depth=1
	scratch_load_b64 v[110:111], v108, off
	ds_load_b64 v[112:113], v107
	s_wait_xcnt 0x0
	v_dual_add_nc_u32 v107, 8, v107 :: v_dual_add_nc_u32 v108, 8, v108
	s_wait_loadcnt_dscnt 0x0
	v_pk_mul_f32 v[114:115], v[112:113], v[110:111] op_sel:[1,1] op_sel_hi:[0,1]
	s_delay_alu instid0(VALU_DEP_1) | instskip(SKIP_2) | instid1(VALU_DEP_3)
	v_pk_fma_f32 v[116:117], v[112:113], v[110:111], v[114:115] op_sel_hi:[1,0,1]
	v_add_nc_u32_e32 v109, 1, v109
	v_pk_fma_f32 v[110:111], v[112:113], v[110:111], v[114:115] neg_lo:[0,0,1] neg_hi:[0,0,1]
	v_mov_b32_e32 v111, v117
	s_delay_alu instid0(VALU_DEP_3) | instskip(NEXT) | instid1(VALU_DEP_2)
	v_cmp_lt_u32_e32 vcc_lo, 26, v109
	v_pk_add_f32 v[104:105], v[104:105], v[110:111]
	s_or_b32 s3, vcc_lo, s3
	s_delay_alu instid0(SALU_CYCLE_1)
	s_and_not1_b32 exec_lo, exec_lo, s3
	s_cbranch_execnz .LBB49_767
; %bb.768:
	s_or_b32 exec_lo, exec_lo, s3
.LBB49_769:
	s_delay_alu instid0(SALU_CYCLE_1) | instskip(SKIP_4) | instid1(VALU_DEP_1)
	s_or_b32 exec_lo, exec_lo, s2
	v_mov_b32_e32 v107, 0
	ds_load_b64 v[108:109], v107 offset:224
	s_wait_dscnt 0x0
	v_pk_mul_f32 v[110:111], v[104:105], v[108:109] op_sel:[1,1] op_sel_hi:[0,1]
	v_pk_fma_f32 v[112:113], v[104:105], v[108:109], v[110:111] op_sel_hi:[1,0,1]
	v_pk_fma_f32 v[104:105], v[104:105], v[108:109], v[110:111] neg_lo:[0,0,1] neg_hi:[0,0,1]
	s_delay_alu instid0(VALU_DEP_2)
	v_mov_b32_e32 v105, v113
	scratch_store_b64 off, v[104:105], off offset:224
.LBB49_770:
	s_wait_xcnt 0x0
	s_or_b32 exec_lo, exec_lo, s0
	scratch_load_b64 v[104:105], off, off offset:232
	s_mov_b32 s0, exec_lo
	s_wait_loadcnt 0x0
	ds_store_b64 v1, v[104:105]
	s_wait_storecnt_dscnt 0x0
	s_barrier_signal -1
	s_barrier_wait -1
	s_wait_xcnt 0x0
	v_cmpx_gt_u32_e32 29, v0
	s_cbranch_execz .LBB49_780
; %bb.771:
	v_cmp_ne_u32_e32 vcc_lo, 1, v106
	s_cbranch_vccnz .LBB49_773
; %bb.772:
	scratch_load_b64 v[104:105], v51, off
	ds_load_b64 v[108:109], v1
	s_wait_loadcnt_dscnt 0x0
	v_pk_mul_f32 v[110:111], v[108:109], v[104:105] op_sel:[1,1] op_sel_hi:[0,1]
	s_delay_alu instid0(VALU_DEP_1) | instskip(SKIP_1) | instid1(VALU_DEP_2)
	v_pk_fma_f32 v[112:113], v[108:109], v[104:105], v[110:111] op_sel_hi:[1,0,1]
	v_pk_fma_f32 v[104:105], v[108:109], v[104:105], v[110:111] neg_lo:[0,0,1] neg_hi:[0,0,1]
	v_mov_b32_e32 v105, v113
	s_cbranch_execz .LBB49_774
	s_branch .LBB49_775
.LBB49_773:
                                        ; implicit-def: $vgpr104_vgpr105
.LBB49_774:
	ds_load_b64 v[104:105], v1
.LBB49_775:
	s_mov_b32 s2, exec_lo
	v_cmpx_ne_u32_e32 28, v0
	s_cbranch_execz .LBB49_779
; %bb.776:
	v_add_nc_u32_e32 v107, 0x198, v50
	v_add3_u32 v108, 0, v50, 8
	v_mov_b32_e32 v109, v0
	s_mov_b32 s3, 0
.LBB49_777:                             ; =>This Inner Loop Header: Depth=1
	scratch_load_b64 v[110:111], v108, off
	ds_load_b64 v[112:113], v107
	s_wait_xcnt 0x0
	v_dual_add_nc_u32 v107, 8, v107 :: v_dual_add_nc_u32 v108, 8, v108
	s_wait_loadcnt_dscnt 0x0
	v_pk_mul_f32 v[114:115], v[112:113], v[110:111] op_sel:[1,1] op_sel_hi:[0,1]
	s_delay_alu instid0(VALU_DEP_1) | instskip(SKIP_2) | instid1(VALU_DEP_3)
	v_pk_fma_f32 v[116:117], v[112:113], v[110:111], v[114:115] op_sel_hi:[1,0,1]
	v_add_nc_u32_e32 v109, 1, v109
	v_pk_fma_f32 v[110:111], v[112:113], v[110:111], v[114:115] neg_lo:[0,0,1] neg_hi:[0,0,1]
	v_mov_b32_e32 v111, v117
	s_delay_alu instid0(VALU_DEP_3) | instskip(NEXT) | instid1(VALU_DEP_2)
	v_cmp_lt_u32_e32 vcc_lo, 27, v109
	v_pk_add_f32 v[104:105], v[104:105], v[110:111]
	s_or_b32 s3, vcc_lo, s3
	s_delay_alu instid0(SALU_CYCLE_1)
	s_and_not1_b32 exec_lo, exec_lo, s3
	s_cbranch_execnz .LBB49_777
; %bb.778:
	s_or_b32 exec_lo, exec_lo, s3
.LBB49_779:
	s_delay_alu instid0(SALU_CYCLE_1) | instskip(SKIP_4) | instid1(VALU_DEP_1)
	s_or_b32 exec_lo, exec_lo, s2
	v_mov_b32_e32 v107, 0
	ds_load_b64 v[108:109], v107 offset:232
	s_wait_dscnt 0x0
	v_pk_mul_f32 v[110:111], v[104:105], v[108:109] op_sel:[1,1] op_sel_hi:[0,1]
	v_pk_fma_f32 v[112:113], v[104:105], v[108:109], v[110:111] op_sel_hi:[1,0,1]
	v_pk_fma_f32 v[104:105], v[104:105], v[108:109], v[110:111] neg_lo:[0,0,1] neg_hi:[0,0,1]
	s_delay_alu instid0(VALU_DEP_2)
	v_mov_b32_e32 v105, v113
	scratch_store_b64 off, v[104:105], off offset:232
.LBB49_780:
	s_wait_xcnt 0x0
	s_or_b32 exec_lo, exec_lo, s0
	scratch_load_b64 v[104:105], off, off offset:240
	s_mov_b32 s0, exec_lo
	s_wait_loadcnt 0x0
	ds_store_b64 v1, v[104:105]
	s_wait_storecnt_dscnt 0x0
	s_barrier_signal -1
	s_barrier_wait -1
	s_wait_xcnt 0x0
	v_cmpx_gt_u32_e32 30, v0
	s_cbranch_execz .LBB49_790
; %bb.781:
	v_cmp_ne_u32_e32 vcc_lo, 1, v106
	s_cbranch_vccnz .LBB49_783
; %bb.782:
	scratch_load_b64 v[104:105], v51, off
	ds_load_b64 v[108:109], v1
	s_wait_loadcnt_dscnt 0x0
	v_pk_mul_f32 v[110:111], v[108:109], v[104:105] op_sel:[1,1] op_sel_hi:[0,1]
	s_delay_alu instid0(VALU_DEP_1) | instskip(SKIP_1) | instid1(VALU_DEP_2)
	v_pk_fma_f32 v[112:113], v[108:109], v[104:105], v[110:111] op_sel_hi:[1,0,1]
	v_pk_fma_f32 v[104:105], v[108:109], v[104:105], v[110:111] neg_lo:[0,0,1] neg_hi:[0,0,1]
	v_mov_b32_e32 v105, v113
	s_cbranch_execz .LBB49_784
	s_branch .LBB49_785
.LBB49_783:
                                        ; implicit-def: $vgpr104_vgpr105
.LBB49_784:
	ds_load_b64 v[104:105], v1
.LBB49_785:
	s_mov_b32 s2, exec_lo
	v_cmpx_ne_u32_e32 29, v0
	s_cbranch_execz .LBB49_789
; %bb.786:
	v_add_nc_u32_e32 v107, 0x198, v50
	v_add3_u32 v108, 0, v50, 8
	v_mov_b32_e32 v109, v0
	s_mov_b32 s3, 0
.LBB49_787:                             ; =>This Inner Loop Header: Depth=1
	scratch_load_b64 v[110:111], v108, off
	ds_load_b64 v[112:113], v107
	s_wait_xcnt 0x0
	v_dual_add_nc_u32 v107, 8, v107 :: v_dual_add_nc_u32 v108, 8, v108
	s_wait_loadcnt_dscnt 0x0
	v_pk_mul_f32 v[114:115], v[112:113], v[110:111] op_sel:[1,1] op_sel_hi:[0,1]
	s_delay_alu instid0(VALU_DEP_1) | instskip(SKIP_2) | instid1(VALU_DEP_3)
	v_pk_fma_f32 v[116:117], v[112:113], v[110:111], v[114:115] op_sel_hi:[1,0,1]
	v_add_nc_u32_e32 v109, 1, v109
	v_pk_fma_f32 v[110:111], v[112:113], v[110:111], v[114:115] neg_lo:[0,0,1] neg_hi:[0,0,1]
	v_mov_b32_e32 v111, v117
	s_delay_alu instid0(VALU_DEP_3) | instskip(NEXT) | instid1(VALU_DEP_2)
	v_cmp_lt_u32_e32 vcc_lo, 28, v109
	v_pk_add_f32 v[104:105], v[104:105], v[110:111]
	s_or_b32 s3, vcc_lo, s3
	s_delay_alu instid0(SALU_CYCLE_1)
	s_and_not1_b32 exec_lo, exec_lo, s3
	s_cbranch_execnz .LBB49_787
; %bb.788:
	s_or_b32 exec_lo, exec_lo, s3
.LBB49_789:
	s_delay_alu instid0(SALU_CYCLE_1) | instskip(SKIP_4) | instid1(VALU_DEP_1)
	s_or_b32 exec_lo, exec_lo, s2
	v_mov_b32_e32 v107, 0
	ds_load_b64 v[108:109], v107 offset:240
	s_wait_dscnt 0x0
	v_pk_mul_f32 v[110:111], v[104:105], v[108:109] op_sel:[1,1] op_sel_hi:[0,1]
	v_pk_fma_f32 v[112:113], v[104:105], v[108:109], v[110:111] op_sel_hi:[1,0,1]
	v_pk_fma_f32 v[104:105], v[104:105], v[108:109], v[110:111] neg_lo:[0,0,1] neg_hi:[0,0,1]
	s_delay_alu instid0(VALU_DEP_2)
	v_mov_b32_e32 v105, v113
	scratch_store_b64 off, v[104:105], off offset:240
.LBB49_790:
	s_wait_xcnt 0x0
	s_or_b32 exec_lo, exec_lo, s0
	scratch_load_b64 v[104:105], off, off offset:248
	s_mov_b32 s0, exec_lo
	s_wait_loadcnt 0x0
	ds_store_b64 v1, v[104:105]
	s_wait_storecnt_dscnt 0x0
	s_barrier_signal -1
	s_barrier_wait -1
	s_wait_xcnt 0x0
	v_cmpx_gt_u32_e32 31, v0
	s_cbranch_execz .LBB49_800
; %bb.791:
	v_cmp_ne_u32_e32 vcc_lo, 1, v106
	s_cbranch_vccnz .LBB49_793
; %bb.792:
	scratch_load_b64 v[104:105], v51, off
	ds_load_b64 v[108:109], v1
	s_wait_loadcnt_dscnt 0x0
	v_pk_mul_f32 v[110:111], v[108:109], v[104:105] op_sel:[1,1] op_sel_hi:[0,1]
	s_delay_alu instid0(VALU_DEP_1) | instskip(SKIP_1) | instid1(VALU_DEP_2)
	v_pk_fma_f32 v[112:113], v[108:109], v[104:105], v[110:111] op_sel_hi:[1,0,1]
	v_pk_fma_f32 v[104:105], v[108:109], v[104:105], v[110:111] neg_lo:[0,0,1] neg_hi:[0,0,1]
	v_mov_b32_e32 v105, v113
	s_cbranch_execz .LBB49_794
	s_branch .LBB49_795
.LBB49_793:
                                        ; implicit-def: $vgpr104_vgpr105
.LBB49_794:
	ds_load_b64 v[104:105], v1
.LBB49_795:
	s_mov_b32 s2, exec_lo
	v_cmpx_ne_u32_e32 30, v0
	s_cbranch_execz .LBB49_799
; %bb.796:
	v_add_nc_u32_e32 v107, 0x198, v50
	v_add3_u32 v108, 0, v50, 8
	v_mov_b32_e32 v109, v0
	s_mov_b32 s3, 0
.LBB49_797:                             ; =>This Inner Loop Header: Depth=1
	scratch_load_b64 v[110:111], v108, off
	ds_load_b64 v[112:113], v107
	s_wait_xcnt 0x0
	v_dual_add_nc_u32 v107, 8, v107 :: v_dual_add_nc_u32 v108, 8, v108
	s_wait_loadcnt_dscnt 0x0
	v_pk_mul_f32 v[114:115], v[112:113], v[110:111] op_sel:[1,1] op_sel_hi:[0,1]
	s_delay_alu instid0(VALU_DEP_1) | instskip(SKIP_2) | instid1(VALU_DEP_3)
	v_pk_fma_f32 v[116:117], v[112:113], v[110:111], v[114:115] op_sel_hi:[1,0,1]
	v_add_nc_u32_e32 v109, 1, v109
	v_pk_fma_f32 v[110:111], v[112:113], v[110:111], v[114:115] neg_lo:[0,0,1] neg_hi:[0,0,1]
	v_mov_b32_e32 v111, v117
	s_delay_alu instid0(VALU_DEP_3) | instskip(NEXT) | instid1(VALU_DEP_2)
	v_cmp_lt_u32_e32 vcc_lo, 29, v109
	v_pk_add_f32 v[104:105], v[104:105], v[110:111]
	s_or_b32 s3, vcc_lo, s3
	s_delay_alu instid0(SALU_CYCLE_1)
	s_and_not1_b32 exec_lo, exec_lo, s3
	s_cbranch_execnz .LBB49_797
; %bb.798:
	s_or_b32 exec_lo, exec_lo, s3
.LBB49_799:
	s_delay_alu instid0(SALU_CYCLE_1) | instskip(SKIP_4) | instid1(VALU_DEP_1)
	s_or_b32 exec_lo, exec_lo, s2
	v_mov_b32_e32 v107, 0
	ds_load_b64 v[108:109], v107 offset:248
	s_wait_dscnt 0x0
	v_pk_mul_f32 v[110:111], v[104:105], v[108:109] op_sel:[1,1] op_sel_hi:[0,1]
	v_pk_fma_f32 v[112:113], v[104:105], v[108:109], v[110:111] op_sel_hi:[1,0,1]
	v_pk_fma_f32 v[104:105], v[104:105], v[108:109], v[110:111] neg_lo:[0,0,1] neg_hi:[0,0,1]
	s_delay_alu instid0(VALU_DEP_2)
	v_mov_b32_e32 v105, v113
	scratch_store_b64 off, v[104:105], off offset:248
.LBB49_800:
	s_wait_xcnt 0x0
	s_or_b32 exec_lo, exec_lo, s0
	scratch_load_b64 v[104:105], off, off offset:256
	s_mov_b32 s0, exec_lo
	s_wait_loadcnt 0x0
	ds_store_b64 v1, v[104:105]
	s_wait_storecnt_dscnt 0x0
	s_barrier_signal -1
	s_barrier_wait -1
	s_wait_xcnt 0x0
	v_cmpx_gt_u32_e32 32, v0
	s_cbranch_execz .LBB49_810
; %bb.801:
	v_cmp_ne_u32_e32 vcc_lo, 1, v106
	s_cbranch_vccnz .LBB49_803
; %bb.802:
	scratch_load_b64 v[104:105], v51, off
	ds_load_b64 v[108:109], v1
	s_wait_loadcnt_dscnt 0x0
	v_pk_mul_f32 v[110:111], v[108:109], v[104:105] op_sel:[1,1] op_sel_hi:[0,1]
	s_delay_alu instid0(VALU_DEP_1) | instskip(SKIP_1) | instid1(VALU_DEP_2)
	v_pk_fma_f32 v[112:113], v[108:109], v[104:105], v[110:111] op_sel_hi:[1,0,1]
	v_pk_fma_f32 v[104:105], v[108:109], v[104:105], v[110:111] neg_lo:[0,0,1] neg_hi:[0,0,1]
	v_mov_b32_e32 v105, v113
	s_cbranch_execz .LBB49_804
	s_branch .LBB49_805
.LBB49_803:
                                        ; implicit-def: $vgpr104_vgpr105
.LBB49_804:
	ds_load_b64 v[104:105], v1
.LBB49_805:
	s_mov_b32 s2, exec_lo
	v_cmpx_ne_u32_e32 31, v0
	s_cbranch_execz .LBB49_809
; %bb.806:
	v_add_nc_u32_e32 v107, 0x198, v50
	v_add3_u32 v108, 0, v50, 8
	v_mov_b32_e32 v109, v0
	s_mov_b32 s3, 0
.LBB49_807:                             ; =>This Inner Loop Header: Depth=1
	scratch_load_b64 v[110:111], v108, off
	ds_load_b64 v[112:113], v107
	s_wait_xcnt 0x0
	v_dual_add_nc_u32 v107, 8, v107 :: v_dual_add_nc_u32 v108, 8, v108
	s_wait_loadcnt_dscnt 0x0
	v_pk_mul_f32 v[114:115], v[112:113], v[110:111] op_sel:[1,1] op_sel_hi:[0,1]
	s_delay_alu instid0(VALU_DEP_1) | instskip(SKIP_2) | instid1(VALU_DEP_3)
	v_pk_fma_f32 v[116:117], v[112:113], v[110:111], v[114:115] op_sel_hi:[1,0,1]
	v_add_nc_u32_e32 v109, 1, v109
	v_pk_fma_f32 v[110:111], v[112:113], v[110:111], v[114:115] neg_lo:[0,0,1] neg_hi:[0,0,1]
	v_mov_b32_e32 v111, v117
	s_delay_alu instid0(VALU_DEP_3) | instskip(NEXT) | instid1(VALU_DEP_2)
	v_cmp_lt_u32_e32 vcc_lo, 30, v109
	v_pk_add_f32 v[104:105], v[104:105], v[110:111]
	s_or_b32 s3, vcc_lo, s3
	s_delay_alu instid0(SALU_CYCLE_1)
	s_and_not1_b32 exec_lo, exec_lo, s3
	s_cbranch_execnz .LBB49_807
; %bb.808:
	s_or_b32 exec_lo, exec_lo, s3
.LBB49_809:
	s_delay_alu instid0(SALU_CYCLE_1) | instskip(SKIP_4) | instid1(VALU_DEP_1)
	s_or_b32 exec_lo, exec_lo, s2
	v_mov_b32_e32 v107, 0
	ds_load_b64 v[108:109], v107 offset:256
	s_wait_dscnt 0x0
	v_pk_mul_f32 v[110:111], v[104:105], v[108:109] op_sel:[1,1] op_sel_hi:[0,1]
	v_pk_fma_f32 v[112:113], v[104:105], v[108:109], v[110:111] op_sel_hi:[1,0,1]
	v_pk_fma_f32 v[104:105], v[104:105], v[108:109], v[110:111] neg_lo:[0,0,1] neg_hi:[0,0,1]
	s_delay_alu instid0(VALU_DEP_2)
	v_mov_b32_e32 v105, v113
	scratch_store_b64 off, v[104:105], off offset:256
.LBB49_810:
	s_wait_xcnt 0x0
	s_or_b32 exec_lo, exec_lo, s0
	scratch_load_b64 v[104:105], off, off offset:264
	s_mov_b32 s0, exec_lo
	s_wait_loadcnt 0x0
	ds_store_b64 v1, v[104:105]
	s_wait_storecnt_dscnt 0x0
	s_barrier_signal -1
	s_barrier_wait -1
	s_wait_xcnt 0x0
	v_cmpx_gt_u32_e32 33, v0
	s_cbranch_execz .LBB49_820
; %bb.811:
	v_cmp_ne_u32_e32 vcc_lo, 1, v106
	s_cbranch_vccnz .LBB49_813
; %bb.812:
	scratch_load_b64 v[104:105], v51, off
	ds_load_b64 v[108:109], v1
	s_wait_loadcnt_dscnt 0x0
	v_pk_mul_f32 v[110:111], v[108:109], v[104:105] op_sel:[1,1] op_sel_hi:[0,1]
	s_delay_alu instid0(VALU_DEP_1) | instskip(SKIP_1) | instid1(VALU_DEP_2)
	v_pk_fma_f32 v[112:113], v[108:109], v[104:105], v[110:111] op_sel_hi:[1,0,1]
	v_pk_fma_f32 v[104:105], v[108:109], v[104:105], v[110:111] neg_lo:[0,0,1] neg_hi:[0,0,1]
	v_mov_b32_e32 v105, v113
	s_cbranch_execz .LBB49_814
	s_branch .LBB49_815
.LBB49_813:
                                        ; implicit-def: $vgpr104_vgpr105
.LBB49_814:
	ds_load_b64 v[104:105], v1
.LBB49_815:
	s_mov_b32 s2, exec_lo
	v_cmpx_ne_u32_e32 32, v0
	s_cbranch_execz .LBB49_819
; %bb.816:
	v_add_nc_u32_e32 v107, 0x198, v50
	v_add3_u32 v108, 0, v50, 8
	v_mov_b32_e32 v109, v0
	s_mov_b32 s3, 0
.LBB49_817:                             ; =>This Inner Loop Header: Depth=1
	scratch_load_b64 v[110:111], v108, off
	ds_load_b64 v[112:113], v107
	s_wait_xcnt 0x0
	v_dual_add_nc_u32 v107, 8, v107 :: v_dual_add_nc_u32 v108, 8, v108
	s_wait_loadcnt_dscnt 0x0
	v_pk_mul_f32 v[114:115], v[112:113], v[110:111] op_sel:[1,1] op_sel_hi:[0,1]
	s_delay_alu instid0(VALU_DEP_1) | instskip(SKIP_2) | instid1(VALU_DEP_3)
	v_pk_fma_f32 v[116:117], v[112:113], v[110:111], v[114:115] op_sel_hi:[1,0,1]
	v_add_nc_u32_e32 v109, 1, v109
	v_pk_fma_f32 v[110:111], v[112:113], v[110:111], v[114:115] neg_lo:[0,0,1] neg_hi:[0,0,1]
	v_mov_b32_e32 v111, v117
	s_delay_alu instid0(VALU_DEP_3) | instskip(NEXT) | instid1(VALU_DEP_2)
	v_cmp_lt_u32_e32 vcc_lo, 31, v109
	v_pk_add_f32 v[104:105], v[104:105], v[110:111]
	s_or_b32 s3, vcc_lo, s3
	s_delay_alu instid0(SALU_CYCLE_1)
	s_and_not1_b32 exec_lo, exec_lo, s3
	s_cbranch_execnz .LBB49_817
; %bb.818:
	s_or_b32 exec_lo, exec_lo, s3
.LBB49_819:
	s_delay_alu instid0(SALU_CYCLE_1) | instskip(SKIP_4) | instid1(VALU_DEP_1)
	s_or_b32 exec_lo, exec_lo, s2
	v_mov_b32_e32 v107, 0
	ds_load_b64 v[108:109], v107 offset:264
	s_wait_dscnt 0x0
	v_pk_mul_f32 v[110:111], v[104:105], v[108:109] op_sel:[1,1] op_sel_hi:[0,1]
	v_pk_fma_f32 v[112:113], v[104:105], v[108:109], v[110:111] op_sel_hi:[1,0,1]
	v_pk_fma_f32 v[104:105], v[104:105], v[108:109], v[110:111] neg_lo:[0,0,1] neg_hi:[0,0,1]
	s_delay_alu instid0(VALU_DEP_2)
	v_mov_b32_e32 v105, v113
	scratch_store_b64 off, v[104:105], off offset:264
.LBB49_820:
	s_wait_xcnt 0x0
	s_or_b32 exec_lo, exec_lo, s0
	scratch_load_b64 v[104:105], off, off offset:272
	s_mov_b32 s0, exec_lo
	s_wait_loadcnt 0x0
	ds_store_b64 v1, v[104:105]
	s_wait_storecnt_dscnt 0x0
	s_barrier_signal -1
	s_barrier_wait -1
	s_wait_xcnt 0x0
	v_cmpx_gt_u32_e32 34, v0
	s_cbranch_execz .LBB49_830
; %bb.821:
	v_cmp_ne_u32_e32 vcc_lo, 1, v106
	s_cbranch_vccnz .LBB49_823
; %bb.822:
	scratch_load_b64 v[104:105], v51, off
	ds_load_b64 v[108:109], v1
	s_wait_loadcnt_dscnt 0x0
	v_pk_mul_f32 v[110:111], v[108:109], v[104:105] op_sel:[1,1] op_sel_hi:[0,1]
	s_delay_alu instid0(VALU_DEP_1) | instskip(SKIP_1) | instid1(VALU_DEP_2)
	v_pk_fma_f32 v[112:113], v[108:109], v[104:105], v[110:111] op_sel_hi:[1,0,1]
	v_pk_fma_f32 v[104:105], v[108:109], v[104:105], v[110:111] neg_lo:[0,0,1] neg_hi:[0,0,1]
	v_mov_b32_e32 v105, v113
	s_cbranch_execz .LBB49_824
	s_branch .LBB49_825
.LBB49_823:
                                        ; implicit-def: $vgpr104_vgpr105
.LBB49_824:
	ds_load_b64 v[104:105], v1
.LBB49_825:
	s_mov_b32 s2, exec_lo
	v_cmpx_ne_u32_e32 33, v0
	s_cbranch_execz .LBB49_829
; %bb.826:
	v_add_nc_u32_e32 v107, 0x198, v50
	v_add3_u32 v108, 0, v50, 8
	v_mov_b32_e32 v109, v0
	s_mov_b32 s3, 0
.LBB49_827:                             ; =>This Inner Loop Header: Depth=1
	scratch_load_b64 v[110:111], v108, off
	ds_load_b64 v[112:113], v107
	s_wait_xcnt 0x0
	v_dual_add_nc_u32 v107, 8, v107 :: v_dual_add_nc_u32 v108, 8, v108
	s_wait_loadcnt_dscnt 0x0
	v_pk_mul_f32 v[114:115], v[112:113], v[110:111] op_sel:[1,1] op_sel_hi:[0,1]
	s_delay_alu instid0(VALU_DEP_1) | instskip(SKIP_2) | instid1(VALU_DEP_3)
	v_pk_fma_f32 v[116:117], v[112:113], v[110:111], v[114:115] op_sel_hi:[1,0,1]
	v_add_nc_u32_e32 v109, 1, v109
	v_pk_fma_f32 v[110:111], v[112:113], v[110:111], v[114:115] neg_lo:[0,0,1] neg_hi:[0,0,1]
	v_mov_b32_e32 v111, v117
	s_delay_alu instid0(VALU_DEP_3) | instskip(NEXT) | instid1(VALU_DEP_2)
	v_cmp_lt_u32_e32 vcc_lo, 32, v109
	v_pk_add_f32 v[104:105], v[104:105], v[110:111]
	s_or_b32 s3, vcc_lo, s3
	s_delay_alu instid0(SALU_CYCLE_1)
	s_and_not1_b32 exec_lo, exec_lo, s3
	s_cbranch_execnz .LBB49_827
; %bb.828:
	s_or_b32 exec_lo, exec_lo, s3
.LBB49_829:
	s_delay_alu instid0(SALU_CYCLE_1) | instskip(SKIP_4) | instid1(VALU_DEP_1)
	s_or_b32 exec_lo, exec_lo, s2
	v_mov_b32_e32 v107, 0
	ds_load_b64 v[108:109], v107 offset:272
	s_wait_dscnt 0x0
	v_pk_mul_f32 v[110:111], v[104:105], v[108:109] op_sel:[1,1] op_sel_hi:[0,1]
	v_pk_fma_f32 v[112:113], v[104:105], v[108:109], v[110:111] op_sel_hi:[1,0,1]
	v_pk_fma_f32 v[104:105], v[104:105], v[108:109], v[110:111] neg_lo:[0,0,1] neg_hi:[0,0,1]
	s_delay_alu instid0(VALU_DEP_2)
	v_mov_b32_e32 v105, v113
	scratch_store_b64 off, v[104:105], off offset:272
.LBB49_830:
	s_wait_xcnt 0x0
	s_or_b32 exec_lo, exec_lo, s0
	scratch_load_b64 v[104:105], off, off offset:280
	s_mov_b32 s0, exec_lo
	s_wait_loadcnt 0x0
	ds_store_b64 v1, v[104:105]
	s_wait_storecnt_dscnt 0x0
	s_barrier_signal -1
	s_barrier_wait -1
	s_wait_xcnt 0x0
	v_cmpx_gt_u32_e32 35, v0
	s_cbranch_execz .LBB49_840
; %bb.831:
	v_cmp_ne_u32_e32 vcc_lo, 1, v106
	s_cbranch_vccnz .LBB49_833
; %bb.832:
	scratch_load_b64 v[104:105], v51, off
	ds_load_b64 v[108:109], v1
	s_wait_loadcnt_dscnt 0x0
	v_pk_mul_f32 v[110:111], v[108:109], v[104:105] op_sel:[1,1] op_sel_hi:[0,1]
	s_delay_alu instid0(VALU_DEP_1) | instskip(SKIP_1) | instid1(VALU_DEP_2)
	v_pk_fma_f32 v[112:113], v[108:109], v[104:105], v[110:111] op_sel_hi:[1,0,1]
	v_pk_fma_f32 v[104:105], v[108:109], v[104:105], v[110:111] neg_lo:[0,0,1] neg_hi:[0,0,1]
	v_mov_b32_e32 v105, v113
	s_cbranch_execz .LBB49_834
	s_branch .LBB49_835
.LBB49_833:
                                        ; implicit-def: $vgpr104_vgpr105
.LBB49_834:
	ds_load_b64 v[104:105], v1
.LBB49_835:
	s_mov_b32 s2, exec_lo
	v_cmpx_ne_u32_e32 34, v0
	s_cbranch_execz .LBB49_839
; %bb.836:
	v_add_nc_u32_e32 v107, 0x198, v50
	v_add3_u32 v108, 0, v50, 8
	v_mov_b32_e32 v109, v0
	s_mov_b32 s3, 0
.LBB49_837:                             ; =>This Inner Loop Header: Depth=1
	scratch_load_b64 v[110:111], v108, off
	ds_load_b64 v[112:113], v107
	s_wait_xcnt 0x0
	v_dual_add_nc_u32 v107, 8, v107 :: v_dual_add_nc_u32 v108, 8, v108
	s_wait_loadcnt_dscnt 0x0
	v_pk_mul_f32 v[114:115], v[112:113], v[110:111] op_sel:[1,1] op_sel_hi:[0,1]
	s_delay_alu instid0(VALU_DEP_1) | instskip(SKIP_2) | instid1(VALU_DEP_3)
	v_pk_fma_f32 v[116:117], v[112:113], v[110:111], v[114:115] op_sel_hi:[1,0,1]
	v_add_nc_u32_e32 v109, 1, v109
	v_pk_fma_f32 v[110:111], v[112:113], v[110:111], v[114:115] neg_lo:[0,0,1] neg_hi:[0,0,1]
	v_mov_b32_e32 v111, v117
	s_delay_alu instid0(VALU_DEP_3) | instskip(NEXT) | instid1(VALU_DEP_2)
	v_cmp_lt_u32_e32 vcc_lo, 33, v109
	v_pk_add_f32 v[104:105], v[104:105], v[110:111]
	s_or_b32 s3, vcc_lo, s3
	s_delay_alu instid0(SALU_CYCLE_1)
	s_and_not1_b32 exec_lo, exec_lo, s3
	s_cbranch_execnz .LBB49_837
; %bb.838:
	s_or_b32 exec_lo, exec_lo, s3
.LBB49_839:
	s_delay_alu instid0(SALU_CYCLE_1) | instskip(SKIP_4) | instid1(VALU_DEP_1)
	s_or_b32 exec_lo, exec_lo, s2
	v_mov_b32_e32 v107, 0
	ds_load_b64 v[108:109], v107 offset:280
	s_wait_dscnt 0x0
	v_pk_mul_f32 v[110:111], v[104:105], v[108:109] op_sel:[1,1] op_sel_hi:[0,1]
	v_pk_fma_f32 v[112:113], v[104:105], v[108:109], v[110:111] op_sel_hi:[1,0,1]
	v_pk_fma_f32 v[104:105], v[104:105], v[108:109], v[110:111] neg_lo:[0,0,1] neg_hi:[0,0,1]
	s_delay_alu instid0(VALU_DEP_2)
	v_mov_b32_e32 v105, v113
	scratch_store_b64 off, v[104:105], off offset:280
.LBB49_840:
	s_wait_xcnt 0x0
	s_or_b32 exec_lo, exec_lo, s0
	scratch_load_b64 v[104:105], off, off offset:288
	s_mov_b32 s0, exec_lo
	s_wait_loadcnt 0x0
	ds_store_b64 v1, v[104:105]
	s_wait_storecnt_dscnt 0x0
	s_barrier_signal -1
	s_barrier_wait -1
	s_wait_xcnt 0x0
	v_cmpx_gt_u32_e32 36, v0
	s_cbranch_execz .LBB49_850
; %bb.841:
	v_cmp_ne_u32_e32 vcc_lo, 1, v106
	s_cbranch_vccnz .LBB49_843
; %bb.842:
	scratch_load_b64 v[104:105], v51, off
	ds_load_b64 v[108:109], v1
	s_wait_loadcnt_dscnt 0x0
	v_pk_mul_f32 v[110:111], v[108:109], v[104:105] op_sel:[1,1] op_sel_hi:[0,1]
	s_delay_alu instid0(VALU_DEP_1) | instskip(SKIP_1) | instid1(VALU_DEP_2)
	v_pk_fma_f32 v[112:113], v[108:109], v[104:105], v[110:111] op_sel_hi:[1,0,1]
	v_pk_fma_f32 v[104:105], v[108:109], v[104:105], v[110:111] neg_lo:[0,0,1] neg_hi:[0,0,1]
	v_mov_b32_e32 v105, v113
	s_cbranch_execz .LBB49_844
	s_branch .LBB49_845
.LBB49_843:
                                        ; implicit-def: $vgpr104_vgpr105
.LBB49_844:
	ds_load_b64 v[104:105], v1
.LBB49_845:
	s_mov_b32 s2, exec_lo
	v_cmpx_ne_u32_e32 35, v0
	s_cbranch_execz .LBB49_849
; %bb.846:
	v_add_nc_u32_e32 v107, 0x198, v50
	v_add3_u32 v108, 0, v50, 8
	v_mov_b32_e32 v109, v0
	s_mov_b32 s3, 0
.LBB49_847:                             ; =>This Inner Loop Header: Depth=1
	scratch_load_b64 v[110:111], v108, off
	ds_load_b64 v[112:113], v107
	s_wait_xcnt 0x0
	v_dual_add_nc_u32 v107, 8, v107 :: v_dual_add_nc_u32 v108, 8, v108
	s_wait_loadcnt_dscnt 0x0
	v_pk_mul_f32 v[114:115], v[112:113], v[110:111] op_sel:[1,1] op_sel_hi:[0,1]
	s_delay_alu instid0(VALU_DEP_1) | instskip(SKIP_2) | instid1(VALU_DEP_3)
	v_pk_fma_f32 v[116:117], v[112:113], v[110:111], v[114:115] op_sel_hi:[1,0,1]
	v_add_nc_u32_e32 v109, 1, v109
	v_pk_fma_f32 v[110:111], v[112:113], v[110:111], v[114:115] neg_lo:[0,0,1] neg_hi:[0,0,1]
	v_mov_b32_e32 v111, v117
	s_delay_alu instid0(VALU_DEP_3) | instskip(NEXT) | instid1(VALU_DEP_2)
	v_cmp_lt_u32_e32 vcc_lo, 34, v109
	v_pk_add_f32 v[104:105], v[104:105], v[110:111]
	s_or_b32 s3, vcc_lo, s3
	s_delay_alu instid0(SALU_CYCLE_1)
	s_and_not1_b32 exec_lo, exec_lo, s3
	s_cbranch_execnz .LBB49_847
; %bb.848:
	s_or_b32 exec_lo, exec_lo, s3
.LBB49_849:
	s_delay_alu instid0(SALU_CYCLE_1) | instskip(SKIP_4) | instid1(VALU_DEP_1)
	s_or_b32 exec_lo, exec_lo, s2
	v_mov_b32_e32 v107, 0
	ds_load_b64 v[108:109], v107 offset:288
	s_wait_dscnt 0x0
	v_pk_mul_f32 v[110:111], v[104:105], v[108:109] op_sel:[1,1] op_sel_hi:[0,1]
	v_pk_fma_f32 v[112:113], v[104:105], v[108:109], v[110:111] op_sel_hi:[1,0,1]
	v_pk_fma_f32 v[104:105], v[104:105], v[108:109], v[110:111] neg_lo:[0,0,1] neg_hi:[0,0,1]
	s_delay_alu instid0(VALU_DEP_2)
	v_mov_b32_e32 v105, v113
	scratch_store_b64 off, v[104:105], off offset:288
.LBB49_850:
	s_wait_xcnt 0x0
	s_or_b32 exec_lo, exec_lo, s0
	scratch_load_b64 v[104:105], off, off offset:296
	s_mov_b32 s0, exec_lo
	s_wait_loadcnt 0x0
	ds_store_b64 v1, v[104:105]
	s_wait_storecnt_dscnt 0x0
	s_barrier_signal -1
	s_barrier_wait -1
	s_wait_xcnt 0x0
	v_cmpx_gt_u32_e32 37, v0
	s_cbranch_execz .LBB49_860
; %bb.851:
	v_cmp_ne_u32_e32 vcc_lo, 1, v106
	s_cbranch_vccnz .LBB49_853
; %bb.852:
	scratch_load_b64 v[104:105], v51, off
	ds_load_b64 v[108:109], v1
	s_wait_loadcnt_dscnt 0x0
	v_pk_mul_f32 v[110:111], v[108:109], v[104:105] op_sel:[1,1] op_sel_hi:[0,1]
	s_delay_alu instid0(VALU_DEP_1) | instskip(SKIP_1) | instid1(VALU_DEP_2)
	v_pk_fma_f32 v[112:113], v[108:109], v[104:105], v[110:111] op_sel_hi:[1,0,1]
	v_pk_fma_f32 v[104:105], v[108:109], v[104:105], v[110:111] neg_lo:[0,0,1] neg_hi:[0,0,1]
	v_mov_b32_e32 v105, v113
	s_cbranch_execz .LBB49_854
	s_branch .LBB49_855
.LBB49_853:
                                        ; implicit-def: $vgpr104_vgpr105
.LBB49_854:
	ds_load_b64 v[104:105], v1
.LBB49_855:
	s_mov_b32 s2, exec_lo
	v_cmpx_ne_u32_e32 36, v0
	s_cbranch_execz .LBB49_859
; %bb.856:
	v_add_nc_u32_e32 v107, 0x198, v50
	v_add3_u32 v108, 0, v50, 8
	v_mov_b32_e32 v109, v0
	s_mov_b32 s3, 0
.LBB49_857:                             ; =>This Inner Loop Header: Depth=1
	scratch_load_b64 v[110:111], v108, off
	ds_load_b64 v[112:113], v107
	s_wait_xcnt 0x0
	v_dual_add_nc_u32 v107, 8, v107 :: v_dual_add_nc_u32 v108, 8, v108
	s_wait_loadcnt_dscnt 0x0
	v_pk_mul_f32 v[114:115], v[112:113], v[110:111] op_sel:[1,1] op_sel_hi:[0,1]
	s_delay_alu instid0(VALU_DEP_1) | instskip(SKIP_2) | instid1(VALU_DEP_3)
	v_pk_fma_f32 v[116:117], v[112:113], v[110:111], v[114:115] op_sel_hi:[1,0,1]
	v_add_nc_u32_e32 v109, 1, v109
	v_pk_fma_f32 v[110:111], v[112:113], v[110:111], v[114:115] neg_lo:[0,0,1] neg_hi:[0,0,1]
	v_mov_b32_e32 v111, v117
	s_delay_alu instid0(VALU_DEP_3) | instskip(NEXT) | instid1(VALU_DEP_2)
	v_cmp_lt_u32_e32 vcc_lo, 35, v109
	v_pk_add_f32 v[104:105], v[104:105], v[110:111]
	s_or_b32 s3, vcc_lo, s3
	s_delay_alu instid0(SALU_CYCLE_1)
	s_and_not1_b32 exec_lo, exec_lo, s3
	s_cbranch_execnz .LBB49_857
; %bb.858:
	s_or_b32 exec_lo, exec_lo, s3
.LBB49_859:
	s_delay_alu instid0(SALU_CYCLE_1) | instskip(SKIP_4) | instid1(VALU_DEP_1)
	s_or_b32 exec_lo, exec_lo, s2
	v_mov_b32_e32 v107, 0
	ds_load_b64 v[108:109], v107 offset:296
	s_wait_dscnt 0x0
	v_pk_mul_f32 v[110:111], v[104:105], v[108:109] op_sel:[1,1] op_sel_hi:[0,1]
	v_pk_fma_f32 v[112:113], v[104:105], v[108:109], v[110:111] op_sel_hi:[1,0,1]
	v_pk_fma_f32 v[104:105], v[104:105], v[108:109], v[110:111] neg_lo:[0,0,1] neg_hi:[0,0,1]
	s_delay_alu instid0(VALU_DEP_2)
	v_mov_b32_e32 v105, v113
	scratch_store_b64 off, v[104:105], off offset:296
.LBB49_860:
	s_wait_xcnt 0x0
	s_or_b32 exec_lo, exec_lo, s0
	scratch_load_b64 v[104:105], off, off offset:304
	s_mov_b32 s0, exec_lo
	s_wait_loadcnt 0x0
	ds_store_b64 v1, v[104:105]
	s_wait_storecnt_dscnt 0x0
	s_barrier_signal -1
	s_barrier_wait -1
	s_wait_xcnt 0x0
	v_cmpx_gt_u32_e32 38, v0
	s_cbranch_execz .LBB49_870
; %bb.861:
	v_cmp_ne_u32_e32 vcc_lo, 1, v106
	s_cbranch_vccnz .LBB49_863
; %bb.862:
	scratch_load_b64 v[104:105], v51, off
	ds_load_b64 v[108:109], v1
	s_wait_loadcnt_dscnt 0x0
	v_pk_mul_f32 v[110:111], v[108:109], v[104:105] op_sel:[1,1] op_sel_hi:[0,1]
	s_delay_alu instid0(VALU_DEP_1) | instskip(SKIP_1) | instid1(VALU_DEP_2)
	v_pk_fma_f32 v[112:113], v[108:109], v[104:105], v[110:111] op_sel_hi:[1,0,1]
	v_pk_fma_f32 v[104:105], v[108:109], v[104:105], v[110:111] neg_lo:[0,0,1] neg_hi:[0,0,1]
	v_mov_b32_e32 v105, v113
	s_cbranch_execz .LBB49_864
	s_branch .LBB49_865
.LBB49_863:
                                        ; implicit-def: $vgpr104_vgpr105
.LBB49_864:
	ds_load_b64 v[104:105], v1
.LBB49_865:
	s_mov_b32 s2, exec_lo
	v_cmpx_ne_u32_e32 37, v0
	s_cbranch_execz .LBB49_869
; %bb.866:
	v_add_nc_u32_e32 v107, 0x198, v50
	v_add3_u32 v108, 0, v50, 8
	v_mov_b32_e32 v109, v0
	s_mov_b32 s3, 0
.LBB49_867:                             ; =>This Inner Loop Header: Depth=1
	scratch_load_b64 v[110:111], v108, off
	ds_load_b64 v[112:113], v107
	s_wait_xcnt 0x0
	v_dual_add_nc_u32 v107, 8, v107 :: v_dual_add_nc_u32 v108, 8, v108
	s_wait_loadcnt_dscnt 0x0
	v_pk_mul_f32 v[114:115], v[112:113], v[110:111] op_sel:[1,1] op_sel_hi:[0,1]
	s_delay_alu instid0(VALU_DEP_1) | instskip(SKIP_2) | instid1(VALU_DEP_3)
	v_pk_fma_f32 v[116:117], v[112:113], v[110:111], v[114:115] op_sel_hi:[1,0,1]
	v_add_nc_u32_e32 v109, 1, v109
	v_pk_fma_f32 v[110:111], v[112:113], v[110:111], v[114:115] neg_lo:[0,0,1] neg_hi:[0,0,1]
	v_mov_b32_e32 v111, v117
	s_delay_alu instid0(VALU_DEP_3) | instskip(NEXT) | instid1(VALU_DEP_2)
	v_cmp_lt_u32_e32 vcc_lo, 36, v109
	v_pk_add_f32 v[104:105], v[104:105], v[110:111]
	s_or_b32 s3, vcc_lo, s3
	s_delay_alu instid0(SALU_CYCLE_1)
	s_and_not1_b32 exec_lo, exec_lo, s3
	s_cbranch_execnz .LBB49_867
; %bb.868:
	s_or_b32 exec_lo, exec_lo, s3
.LBB49_869:
	s_delay_alu instid0(SALU_CYCLE_1) | instskip(SKIP_4) | instid1(VALU_DEP_1)
	s_or_b32 exec_lo, exec_lo, s2
	v_mov_b32_e32 v107, 0
	ds_load_b64 v[108:109], v107 offset:304
	s_wait_dscnt 0x0
	v_pk_mul_f32 v[110:111], v[104:105], v[108:109] op_sel:[1,1] op_sel_hi:[0,1]
	v_pk_fma_f32 v[112:113], v[104:105], v[108:109], v[110:111] op_sel_hi:[1,0,1]
	v_pk_fma_f32 v[104:105], v[104:105], v[108:109], v[110:111] neg_lo:[0,0,1] neg_hi:[0,0,1]
	s_delay_alu instid0(VALU_DEP_2)
	v_mov_b32_e32 v105, v113
	scratch_store_b64 off, v[104:105], off offset:304
.LBB49_870:
	s_wait_xcnt 0x0
	s_or_b32 exec_lo, exec_lo, s0
	scratch_load_b64 v[104:105], off, off offset:312
	s_mov_b32 s0, exec_lo
	s_wait_loadcnt 0x0
	ds_store_b64 v1, v[104:105]
	s_wait_storecnt_dscnt 0x0
	s_barrier_signal -1
	s_barrier_wait -1
	s_wait_xcnt 0x0
	v_cmpx_gt_u32_e32 39, v0
	s_cbranch_execz .LBB49_880
; %bb.871:
	v_cmp_ne_u32_e32 vcc_lo, 1, v106
	s_cbranch_vccnz .LBB49_873
; %bb.872:
	scratch_load_b64 v[104:105], v51, off
	ds_load_b64 v[108:109], v1
	s_wait_loadcnt_dscnt 0x0
	v_pk_mul_f32 v[110:111], v[108:109], v[104:105] op_sel:[1,1] op_sel_hi:[0,1]
	s_delay_alu instid0(VALU_DEP_1) | instskip(SKIP_1) | instid1(VALU_DEP_2)
	v_pk_fma_f32 v[112:113], v[108:109], v[104:105], v[110:111] op_sel_hi:[1,0,1]
	v_pk_fma_f32 v[104:105], v[108:109], v[104:105], v[110:111] neg_lo:[0,0,1] neg_hi:[0,0,1]
	v_mov_b32_e32 v105, v113
	s_cbranch_execz .LBB49_874
	s_branch .LBB49_875
.LBB49_873:
                                        ; implicit-def: $vgpr104_vgpr105
.LBB49_874:
	ds_load_b64 v[104:105], v1
.LBB49_875:
	s_mov_b32 s2, exec_lo
	v_cmpx_ne_u32_e32 38, v0
	s_cbranch_execz .LBB49_879
; %bb.876:
	v_add_nc_u32_e32 v107, 0x198, v50
	v_add3_u32 v108, 0, v50, 8
	v_mov_b32_e32 v109, v0
	s_mov_b32 s3, 0
.LBB49_877:                             ; =>This Inner Loop Header: Depth=1
	scratch_load_b64 v[110:111], v108, off
	ds_load_b64 v[112:113], v107
	s_wait_xcnt 0x0
	v_dual_add_nc_u32 v107, 8, v107 :: v_dual_add_nc_u32 v108, 8, v108
	s_wait_loadcnt_dscnt 0x0
	v_pk_mul_f32 v[114:115], v[112:113], v[110:111] op_sel:[1,1] op_sel_hi:[0,1]
	s_delay_alu instid0(VALU_DEP_1) | instskip(SKIP_2) | instid1(VALU_DEP_3)
	v_pk_fma_f32 v[116:117], v[112:113], v[110:111], v[114:115] op_sel_hi:[1,0,1]
	v_add_nc_u32_e32 v109, 1, v109
	v_pk_fma_f32 v[110:111], v[112:113], v[110:111], v[114:115] neg_lo:[0,0,1] neg_hi:[0,0,1]
	v_mov_b32_e32 v111, v117
	s_delay_alu instid0(VALU_DEP_3) | instskip(NEXT) | instid1(VALU_DEP_2)
	v_cmp_lt_u32_e32 vcc_lo, 37, v109
	v_pk_add_f32 v[104:105], v[104:105], v[110:111]
	s_or_b32 s3, vcc_lo, s3
	s_delay_alu instid0(SALU_CYCLE_1)
	s_and_not1_b32 exec_lo, exec_lo, s3
	s_cbranch_execnz .LBB49_877
; %bb.878:
	s_or_b32 exec_lo, exec_lo, s3
.LBB49_879:
	s_delay_alu instid0(SALU_CYCLE_1) | instskip(SKIP_4) | instid1(VALU_DEP_1)
	s_or_b32 exec_lo, exec_lo, s2
	v_mov_b32_e32 v107, 0
	ds_load_b64 v[108:109], v107 offset:312
	s_wait_dscnt 0x0
	v_pk_mul_f32 v[110:111], v[104:105], v[108:109] op_sel:[1,1] op_sel_hi:[0,1]
	v_pk_fma_f32 v[112:113], v[104:105], v[108:109], v[110:111] op_sel_hi:[1,0,1]
	v_pk_fma_f32 v[104:105], v[104:105], v[108:109], v[110:111] neg_lo:[0,0,1] neg_hi:[0,0,1]
	s_delay_alu instid0(VALU_DEP_2)
	v_mov_b32_e32 v105, v113
	scratch_store_b64 off, v[104:105], off offset:312
.LBB49_880:
	s_wait_xcnt 0x0
	s_or_b32 exec_lo, exec_lo, s0
	scratch_load_b64 v[104:105], off, off offset:320
	s_mov_b32 s0, exec_lo
	s_wait_loadcnt 0x0
	ds_store_b64 v1, v[104:105]
	s_wait_storecnt_dscnt 0x0
	s_barrier_signal -1
	s_barrier_wait -1
	s_wait_xcnt 0x0
	v_cmpx_gt_u32_e32 40, v0
	s_cbranch_execz .LBB49_890
; %bb.881:
	v_cmp_ne_u32_e32 vcc_lo, 1, v106
	s_cbranch_vccnz .LBB49_883
; %bb.882:
	scratch_load_b64 v[104:105], v51, off
	ds_load_b64 v[108:109], v1
	s_wait_loadcnt_dscnt 0x0
	v_pk_mul_f32 v[110:111], v[108:109], v[104:105] op_sel:[1,1] op_sel_hi:[0,1]
	s_delay_alu instid0(VALU_DEP_1) | instskip(SKIP_1) | instid1(VALU_DEP_2)
	v_pk_fma_f32 v[112:113], v[108:109], v[104:105], v[110:111] op_sel_hi:[1,0,1]
	v_pk_fma_f32 v[104:105], v[108:109], v[104:105], v[110:111] neg_lo:[0,0,1] neg_hi:[0,0,1]
	v_mov_b32_e32 v105, v113
	s_cbranch_execz .LBB49_884
	s_branch .LBB49_885
.LBB49_883:
                                        ; implicit-def: $vgpr104_vgpr105
.LBB49_884:
	ds_load_b64 v[104:105], v1
.LBB49_885:
	s_mov_b32 s2, exec_lo
	v_cmpx_ne_u32_e32 39, v0
	s_cbranch_execz .LBB49_889
; %bb.886:
	v_add_nc_u32_e32 v107, 0x198, v50
	v_add3_u32 v108, 0, v50, 8
	v_mov_b32_e32 v109, v0
	s_mov_b32 s3, 0
.LBB49_887:                             ; =>This Inner Loop Header: Depth=1
	scratch_load_b64 v[110:111], v108, off
	ds_load_b64 v[112:113], v107
	s_wait_xcnt 0x0
	v_dual_add_nc_u32 v107, 8, v107 :: v_dual_add_nc_u32 v108, 8, v108
	s_wait_loadcnt_dscnt 0x0
	v_pk_mul_f32 v[114:115], v[112:113], v[110:111] op_sel:[1,1] op_sel_hi:[0,1]
	s_delay_alu instid0(VALU_DEP_1) | instskip(SKIP_2) | instid1(VALU_DEP_3)
	v_pk_fma_f32 v[116:117], v[112:113], v[110:111], v[114:115] op_sel_hi:[1,0,1]
	v_add_nc_u32_e32 v109, 1, v109
	v_pk_fma_f32 v[110:111], v[112:113], v[110:111], v[114:115] neg_lo:[0,0,1] neg_hi:[0,0,1]
	v_mov_b32_e32 v111, v117
	s_delay_alu instid0(VALU_DEP_3) | instskip(NEXT) | instid1(VALU_DEP_2)
	v_cmp_lt_u32_e32 vcc_lo, 38, v109
	v_pk_add_f32 v[104:105], v[104:105], v[110:111]
	s_or_b32 s3, vcc_lo, s3
	s_delay_alu instid0(SALU_CYCLE_1)
	s_and_not1_b32 exec_lo, exec_lo, s3
	s_cbranch_execnz .LBB49_887
; %bb.888:
	s_or_b32 exec_lo, exec_lo, s3
.LBB49_889:
	s_delay_alu instid0(SALU_CYCLE_1) | instskip(SKIP_4) | instid1(VALU_DEP_1)
	s_or_b32 exec_lo, exec_lo, s2
	v_mov_b32_e32 v107, 0
	ds_load_b64 v[108:109], v107 offset:320
	s_wait_dscnt 0x0
	v_pk_mul_f32 v[110:111], v[104:105], v[108:109] op_sel:[1,1] op_sel_hi:[0,1]
	v_pk_fma_f32 v[112:113], v[104:105], v[108:109], v[110:111] op_sel_hi:[1,0,1]
	v_pk_fma_f32 v[104:105], v[104:105], v[108:109], v[110:111] neg_lo:[0,0,1] neg_hi:[0,0,1]
	s_delay_alu instid0(VALU_DEP_2)
	v_mov_b32_e32 v105, v113
	scratch_store_b64 off, v[104:105], off offset:320
.LBB49_890:
	s_wait_xcnt 0x0
	s_or_b32 exec_lo, exec_lo, s0
	scratch_load_b64 v[104:105], off, off offset:328
	s_mov_b32 s0, exec_lo
	s_wait_loadcnt 0x0
	ds_store_b64 v1, v[104:105]
	s_wait_storecnt_dscnt 0x0
	s_barrier_signal -1
	s_barrier_wait -1
	s_wait_xcnt 0x0
	v_cmpx_gt_u32_e32 41, v0
	s_cbranch_execz .LBB49_900
; %bb.891:
	v_cmp_ne_u32_e32 vcc_lo, 1, v106
	s_cbranch_vccnz .LBB49_893
; %bb.892:
	scratch_load_b64 v[104:105], v51, off
	ds_load_b64 v[108:109], v1
	s_wait_loadcnt_dscnt 0x0
	v_pk_mul_f32 v[110:111], v[108:109], v[104:105] op_sel:[1,1] op_sel_hi:[0,1]
	s_delay_alu instid0(VALU_DEP_1) | instskip(SKIP_1) | instid1(VALU_DEP_2)
	v_pk_fma_f32 v[112:113], v[108:109], v[104:105], v[110:111] op_sel_hi:[1,0,1]
	v_pk_fma_f32 v[104:105], v[108:109], v[104:105], v[110:111] neg_lo:[0,0,1] neg_hi:[0,0,1]
	v_mov_b32_e32 v105, v113
	s_cbranch_execz .LBB49_894
	s_branch .LBB49_895
.LBB49_893:
                                        ; implicit-def: $vgpr104_vgpr105
.LBB49_894:
	ds_load_b64 v[104:105], v1
.LBB49_895:
	s_mov_b32 s2, exec_lo
	v_cmpx_ne_u32_e32 40, v0
	s_cbranch_execz .LBB49_899
; %bb.896:
	v_add_nc_u32_e32 v107, 0x198, v50
	v_add3_u32 v108, 0, v50, 8
	v_mov_b32_e32 v109, v0
	s_mov_b32 s3, 0
.LBB49_897:                             ; =>This Inner Loop Header: Depth=1
	scratch_load_b64 v[110:111], v108, off
	ds_load_b64 v[112:113], v107
	s_wait_xcnt 0x0
	v_dual_add_nc_u32 v107, 8, v107 :: v_dual_add_nc_u32 v108, 8, v108
	s_wait_loadcnt_dscnt 0x0
	v_pk_mul_f32 v[114:115], v[112:113], v[110:111] op_sel:[1,1] op_sel_hi:[0,1]
	s_delay_alu instid0(VALU_DEP_1) | instskip(SKIP_2) | instid1(VALU_DEP_3)
	v_pk_fma_f32 v[116:117], v[112:113], v[110:111], v[114:115] op_sel_hi:[1,0,1]
	v_add_nc_u32_e32 v109, 1, v109
	v_pk_fma_f32 v[110:111], v[112:113], v[110:111], v[114:115] neg_lo:[0,0,1] neg_hi:[0,0,1]
	v_mov_b32_e32 v111, v117
	s_delay_alu instid0(VALU_DEP_3) | instskip(NEXT) | instid1(VALU_DEP_2)
	v_cmp_lt_u32_e32 vcc_lo, 39, v109
	v_pk_add_f32 v[104:105], v[104:105], v[110:111]
	s_or_b32 s3, vcc_lo, s3
	s_delay_alu instid0(SALU_CYCLE_1)
	s_and_not1_b32 exec_lo, exec_lo, s3
	s_cbranch_execnz .LBB49_897
; %bb.898:
	s_or_b32 exec_lo, exec_lo, s3
.LBB49_899:
	s_delay_alu instid0(SALU_CYCLE_1) | instskip(SKIP_4) | instid1(VALU_DEP_1)
	s_or_b32 exec_lo, exec_lo, s2
	v_mov_b32_e32 v107, 0
	ds_load_b64 v[108:109], v107 offset:328
	s_wait_dscnt 0x0
	v_pk_mul_f32 v[110:111], v[104:105], v[108:109] op_sel:[1,1] op_sel_hi:[0,1]
	v_pk_fma_f32 v[112:113], v[104:105], v[108:109], v[110:111] op_sel_hi:[1,0,1]
	v_pk_fma_f32 v[104:105], v[104:105], v[108:109], v[110:111] neg_lo:[0,0,1] neg_hi:[0,0,1]
	s_delay_alu instid0(VALU_DEP_2)
	v_mov_b32_e32 v105, v113
	scratch_store_b64 off, v[104:105], off offset:328
.LBB49_900:
	s_wait_xcnt 0x0
	s_or_b32 exec_lo, exec_lo, s0
	scratch_load_b64 v[104:105], off, off offset:336
	s_mov_b32 s0, exec_lo
	s_wait_loadcnt 0x0
	ds_store_b64 v1, v[104:105]
	s_wait_storecnt_dscnt 0x0
	s_barrier_signal -1
	s_barrier_wait -1
	s_wait_xcnt 0x0
	v_cmpx_gt_u32_e32 42, v0
	s_cbranch_execz .LBB49_910
; %bb.901:
	v_cmp_ne_u32_e32 vcc_lo, 1, v106
	s_cbranch_vccnz .LBB49_903
; %bb.902:
	scratch_load_b64 v[104:105], v51, off
	ds_load_b64 v[108:109], v1
	s_wait_loadcnt_dscnt 0x0
	v_pk_mul_f32 v[110:111], v[108:109], v[104:105] op_sel:[1,1] op_sel_hi:[0,1]
	s_delay_alu instid0(VALU_DEP_1) | instskip(SKIP_1) | instid1(VALU_DEP_2)
	v_pk_fma_f32 v[112:113], v[108:109], v[104:105], v[110:111] op_sel_hi:[1,0,1]
	v_pk_fma_f32 v[104:105], v[108:109], v[104:105], v[110:111] neg_lo:[0,0,1] neg_hi:[0,0,1]
	v_mov_b32_e32 v105, v113
	s_cbranch_execz .LBB49_904
	s_branch .LBB49_905
.LBB49_903:
                                        ; implicit-def: $vgpr104_vgpr105
.LBB49_904:
	ds_load_b64 v[104:105], v1
.LBB49_905:
	s_mov_b32 s2, exec_lo
	v_cmpx_ne_u32_e32 41, v0
	s_cbranch_execz .LBB49_909
; %bb.906:
	v_add_nc_u32_e32 v107, 0x198, v50
	v_add3_u32 v108, 0, v50, 8
	v_mov_b32_e32 v109, v0
	s_mov_b32 s3, 0
.LBB49_907:                             ; =>This Inner Loop Header: Depth=1
	scratch_load_b64 v[110:111], v108, off
	ds_load_b64 v[112:113], v107
	s_wait_xcnt 0x0
	v_dual_add_nc_u32 v107, 8, v107 :: v_dual_add_nc_u32 v108, 8, v108
	s_wait_loadcnt_dscnt 0x0
	v_pk_mul_f32 v[114:115], v[112:113], v[110:111] op_sel:[1,1] op_sel_hi:[0,1]
	s_delay_alu instid0(VALU_DEP_1) | instskip(SKIP_2) | instid1(VALU_DEP_3)
	v_pk_fma_f32 v[116:117], v[112:113], v[110:111], v[114:115] op_sel_hi:[1,0,1]
	v_add_nc_u32_e32 v109, 1, v109
	v_pk_fma_f32 v[110:111], v[112:113], v[110:111], v[114:115] neg_lo:[0,0,1] neg_hi:[0,0,1]
	v_mov_b32_e32 v111, v117
	s_delay_alu instid0(VALU_DEP_3) | instskip(NEXT) | instid1(VALU_DEP_2)
	v_cmp_lt_u32_e32 vcc_lo, 40, v109
	v_pk_add_f32 v[104:105], v[104:105], v[110:111]
	s_or_b32 s3, vcc_lo, s3
	s_delay_alu instid0(SALU_CYCLE_1)
	s_and_not1_b32 exec_lo, exec_lo, s3
	s_cbranch_execnz .LBB49_907
; %bb.908:
	s_or_b32 exec_lo, exec_lo, s3
.LBB49_909:
	s_delay_alu instid0(SALU_CYCLE_1) | instskip(SKIP_4) | instid1(VALU_DEP_1)
	s_or_b32 exec_lo, exec_lo, s2
	v_mov_b32_e32 v107, 0
	ds_load_b64 v[108:109], v107 offset:336
	s_wait_dscnt 0x0
	v_pk_mul_f32 v[110:111], v[104:105], v[108:109] op_sel:[1,1] op_sel_hi:[0,1]
	v_pk_fma_f32 v[112:113], v[104:105], v[108:109], v[110:111] op_sel_hi:[1,0,1]
	v_pk_fma_f32 v[104:105], v[104:105], v[108:109], v[110:111] neg_lo:[0,0,1] neg_hi:[0,0,1]
	s_delay_alu instid0(VALU_DEP_2)
	v_mov_b32_e32 v105, v113
	scratch_store_b64 off, v[104:105], off offset:336
.LBB49_910:
	s_wait_xcnt 0x0
	s_or_b32 exec_lo, exec_lo, s0
	scratch_load_b64 v[104:105], off, off offset:344
	s_mov_b32 s0, exec_lo
	s_wait_loadcnt 0x0
	ds_store_b64 v1, v[104:105]
	s_wait_storecnt_dscnt 0x0
	s_barrier_signal -1
	s_barrier_wait -1
	s_wait_xcnt 0x0
	v_cmpx_gt_u32_e32 43, v0
	s_cbranch_execz .LBB49_920
; %bb.911:
	v_cmp_ne_u32_e32 vcc_lo, 1, v106
	s_cbranch_vccnz .LBB49_913
; %bb.912:
	scratch_load_b64 v[104:105], v51, off
	ds_load_b64 v[108:109], v1
	s_wait_loadcnt_dscnt 0x0
	v_pk_mul_f32 v[110:111], v[108:109], v[104:105] op_sel:[1,1] op_sel_hi:[0,1]
	s_delay_alu instid0(VALU_DEP_1) | instskip(SKIP_1) | instid1(VALU_DEP_2)
	v_pk_fma_f32 v[112:113], v[108:109], v[104:105], v[110:111] op_sel_hi:[1,0,1]
	v_pk_fma_f32 v[104:105], v[108:109], v[104:105], v[110:111] neg_lo:[0,0,1] neg_hi:[0,0,1]
	v_mov_b32_e32 v105, v113
	s_cbranch_execz .LBB49_914
	s_branch .LBB49_915
.LBB49_913:
                                        ; implicit-def: $vgpr104_vgpr105
.LBB49_914:
	ds_load_b64 v[104:105], v1
.LBB49_915:
	s_mov_b32 s2, exec_lo
	v_cmpx_ne_u32_e32 42, v0
	s_cbranch_execz .LBB49_919
; %bb.916:
	v_add_nc_u32_e32 v107, 0x198, v50
	v_add3_u32 v108, 0, v50, 8
	v_mov_b32_e32 v109, v0
	s_mov_b32 s3, 0
.LBB49_917:                             ; =>This Inner Loop Header: Depth=1
	scratch_load_b64 v[110:111], v108, off
	ds_load_b64 v[112:113], v107
	s_wait_xcnt 0x0
	v_dual_add_nc_u32 v107, 8, v107 :: v_dual_add_nc_u32 v108, 8, v108
	s_wait_loadcnt_dscnt 0x0
	v_pk_mul_f32 v[114:115], v[112:113], v[110:111] op_sel:[1,1] op_sel_hi:[0,1]
	s_delay_alu instid0(VALU_DEP_1) | instskip(SKIP_2) | instid1(VALU_DEP_3)
	v_pk_fma_f32 v[116:117], v[112:113], v[110:111], v[114:115] op_sel_hi:[1,0,1]
	v_add_nc_u32_e32 v109, 1, v109
	v_pk_fma_f32 v[110:111], v[112:113], v[110:111], v[114:115] neg_lo:[0,0,1] neg_hi:[0,0,1]
	v_mov_b32_e32 v111, v117
	s_delay_alu instid0(VALU_DEP_3) | instskip(NEXT) | instid1(VALU_DEP_2)
	v_cmp_lt_u32_e32 vcc_lo, 41, v109
	v_pk_add_f32 v[104:105], v[104:105], v[110:111]
	s_or_b32 s3, vcc_lo, s3
	s_delay_alu instid0(SALU_CYCLE_1)
	s_and_not1_b32 exec_lo, exec_lo, s3
	s_cbranch_execnz .LBB49_917
; %bb.918:
	s_or_b32 exec_lo, exec_lo, s3
.LBB49_919:
	s_delay_alu instid0(SALU_CYCLE_1) | instskip(SKIP_4) | instid1(VALU_DEP_1)
	s_or_b32 exec_lo, exec_lo, s2
	v_mov_b32_e32 v107, 0
	ds_load_b64 v[108:109], v107 offset:344
	s_wait_dscnt 0x0
	v_pk_mul_f32 v[110:111], v[104:105], v[108:109] op_sel:[1,1] op_sel_hi:[0,1]
	v_pk_fma_f32 v[112:113], v[104:105], v[108:109], v[110:111] op_sel_hi:[1,0,1]
	v_pk_fma_f32 v[104:105], v[104:105], v[108:109], v[110:111] neg_lo:[0,0,1] neg_hi:[0,0,1]
	s_delay_alu instid0(VALU_DEP_2)
	v_mov_b32_e32 v105, v113
	scratch_store_b64 off, v[104:105], off offset:344
.LBB49_920:
	s_wait_xcnt 0x0
	s_or_b32 exec_lo, exec_lo, s0
	scratch_load_b64 v[104:105], off, off offset:352
	s_mov_b32 s0, exec_lo
	s_wait_loadcnt 0x0
	ds_store_b64 v1, v[104:105]
	s_wait_storecnt_dscnt 0x0
	s_barrier_signal -1
	s_barrier_wait -1
	s_wait_xcnt 0x0
	v_cmpx_gt_u32_e32 44, v0
	s_cbranch_execz .LBB49_930
; %bb.921:
	v_cmp_ne_u32_e32 vcc_lo, 1, v106
	s_cbranch_vccnz .LBB49_923
; %bb.922:
	scratch_load_b64 v[104:105], v51, off
	ds_load_b64 v[108:109], v1
	s_wait_loadcnt_dscnt 0x0
	v_pk_mul_f32 v[110:111], v[108:109], v[104:105] op_sel:[1,1] op_sel_hi:[0,1]
	s_delay_alu instid0(VALU_DEP_1) | instskip(SKIP_1) | instid1(VALU_DEP_2)
	v_pk_fma_f32 v[112:113], v[108:109], v[104:105], v[110:111] op_sel_hi:[1,0,1]
	v_pk_fma_f32 v[104:105], v[108:109], v[104:105], v[110:111] neg_lo:[0,0,1] neg_hi:[0,0,1]
	v_mov_b32_e32 v105, v113
	s_cbranch_execz .LBB49_924
	s_branch .LBB49_925
.LBB49_923:
                                        ; implicit-def: $vgpr104_vgpr105
.LBB49_924:
	ds_load_b64 v[104:105], v1
.LBB49_925:
	s_mov_b32 s2, exec_lo
	v_cmpx_ne_u32_e32 43, v0
	s_cbranch_execz .LBB49_929
; %bb.926:
	v_add_nc_u32_e32 v107, 0x198, v50
	v_add3_u32 v108, 0, v50, 8
	v_mov_b32_e32 v109, v0
	s_mov_b32 s3, 0
.LBB49_927:                             ; =>This Inner Loop Header: Depth=1
	scratch_load_b64 v[110:111], v108, off
	ds_load_b64 v[112:113], v107
	s_wait_xcnt 0x0
	v_dual_add_nc_u32 v107, 8, v107 :: v_dual_add_nc_u32 v108, 8, v108
	s_wait_loadcnt_dscnt 0x0
	v_pk_mul_f32 v[114:115], v[112:113], v[110:111] op_sel:[1,1] op_sel_hi:[0,1]
	s_delay_alu instid0(VALU_DEP_1) | instskip(SKIP_2) | instid1(VALU_DEP_3)
	v_pk_fma_f32 v[116:117], v[112:113], v[110:111], v[114:115] op_sel_hi:[1,0,1]
	v_add_nc_u32_e32 v109, 1, v109
	v_pk_fma_f32 v[110:111], v[112:113], v[110:111], v[114:115] neg_lo:[0,0,1] neg_hi:[0,0,1]
	v_mov_b32_e32 v111, v117
	s_delay_alu instid0(VALU_DEP_3) | instskip(NEXT) | instid1(VALU_DEP_2)
	v_cmp_lt_u32_e32 vcc_lo, 42, v109
	v_pk_add_f32 v[104:105], v[104:105], v[110:111]
	s_or_b32 s3, vcc_lo, s3
	s_delay_alu instid0(SALU_CYCLE_1)
	s_and_not1_b32 exec_lo, exec_lo, s3
	s_cbranch_execnz .LBB49_927
; %bb.928:
	s_or_b32 exec_lo, exec_lo, s3
.LBB49_929:
	s_delay_alu instid0(SALU_CYCLE_1) | instskip(SKIP_4) | instid1(VALU_DEP_1)
	s_or_b32 exec_lo, exec_lo, s2
	v_mov_b32_e32 v107, 0
	ds_load_b64 v[108:109], v107 offset:352
	s_wait_dscnt 0x0
	v_pk_mul_f32 v[110:111], v[104:105], v[108:109] op_sel:[1,1] op_sel_hi:[0,1]
	v_pk_fma_f32 v[112:113], v[104:105], v[108:109], v[110:111] op_sel_hi:[1,0,1]
	v_pk_fma_f32 v[104:105], v[104:105], v[108:109], v[110:111] neg_lo:[0,0,1] neg_hi:[0,0,1]
	s_delay_alu instid0(VALU_DEP_2)
	v_mov_b32_e32 v105, v113
	scratch_store_b64 off, v[104:105], off offset:352
.LBB49_930:
	s_wait_xcnt 0x0
	s_or_b32 exec_lo, exec_lo, s0
	scratch_load_b64 v[104:105], off, off offset:360
	s_mov_b32 s0, exec_lo
	s_wait_loadcnt 0x0
	ds_store_b64 v1, v[104:105]
	s_wait_storecnt_dscnt 0x0
	s_barrier_signal -1
	s_barrier_wait -1
	s_wait_xcnt 0x0
	v_cmpx_gt_u32_e32 45, v0
	s_cbranch_execz .LBB49_940
; %bb.931:
	v_cmp_ne_u32_e32 vcc_lo, 1, v106
	s_cbranch_vccnz .LBB49_933
; %bb.932:
	scratch_load_b64 v[104:105], v51, off
	ds_load_b64 v[108:109], v1
	s_wait_loadcnt_dscnt 0x0
	v_pk_mul_f32 v[110:111], v[108:109], v[104:105] op_sel:[1,1] op_sel_hi:[0,1]
	s_delay_alu instid0(VALU_DEP_1) | instskip(SKIP_1) | instid1(VALU_DEP_2)
	v_pk_fma_f32 v[112:113], v[108:109], v[104:105], v[110:111] op_sel_hi:[1,0,1]
	v_pk_fma_f32 v[104:105], v[108:109], v[104:105], v[110:111] neg_lo:[0,0,1] neg_hi:[0,0,1]
	v_mov_b32_e32 v105, v113
	s_cbranch_execz .LBB49_934
	s_branch .LBB49_935
.LBB49_933:
                                        ; implicit-def: $vgpr104_vgpr105
.LBB49_934:
	ds_load_b64 v[104:105], v1
.LBB49_935:
	s_mov_b32 s2, exec_lo
	v_cmpx_ne_u32_e32 44, v0
	s_cbranch_execz .LBB49_939
; %bb.936:
	v_add_nc_u32_e32 v107, 0x198, v50
	v_add3_u32 v108, 0, v50, 8
	v_mov_b32_e32 v109, v0
	s_mov_b32 s3, 0
.LBB49_937:                             ; =>This Inner Loop Header: Depth=1
	scratch_load_b64 v[110:111], v108, off
	ds_load_b64 v[112:113], v107
	s_wait_xcnt 0x0
	v_dual_add_nc_u32 v107, 8, v107 :: v_dual_add_nc_u32 v108, 8, v108
	s_wait_loadcnt_dscnt 0x0
	v_pk_mul_f32 v[114:115], v[112:113], v[110:111] op_sel:[1,1] op_sel_hi:[0,1]
	s_delay_alu instid0(VALU_DEP_1) | instskip(SKIP_2) | instid1(VALU_DEP_3)
	v_pk_fma_f32 v[116:117], v[112:113], v[110:111], v[114:115] op_sel_hi:[1,0,1]
	v_add_nc_u32_e32 v109, 1, v109
	v_pk_fma_f32 v[110:111], v[112:113], v[110:111], v[114:115] neg_lo:[0,0,1] neg_hi:[0,0,1]
	v_mov_b32_e32 v111, v117
	s_delay_alu instid0(VALU_DEP_3) | instskip(NEXT) | instid1(VALU_DEP_2)
	v_cmp_lt_u32_e32 vcc_lo, 43, v109
	v_pk_add_f32 v[104:105], v[104:105], v[110:111]
	s_or_b32 s3, vcc_lo, s3
	s_delay_alu instid0(SALU_CYCLE_1)
	s_and_not1_b32 exec_lo, exec_lo, s3
	s_cbranch_execnz .LBB49_937
; %bb.938:
	s_or_b32 exec_lo, exec_lo, s3
.LBB49_939:
	s_delay_alu instid0(SALU_CYCLE_1) | instskip(SKIP_4) | instid1(VALU_DEP_1)
	s_or_b32 exec_lo, exec_lo, s2
	v_mov_b32_e32 v107, 0
	ds_load_b64 v[108:109], v107 offset:360
	s_wait_dscnt 0x0
	v_pk_mul_f32 v[110:111], v[104:105], v[108:109] op_sel:[1,1] op_sel_hi:[0,1]
	v_pk_fma_f32 v[112:113], v[104:105], v[108:109], v[110:111] op_sel_hi:[1,0,1]
	v_pk_fma_f32 v[104:105], v[104:105], v[108:109], v[110:111] neg_lo:[0,0,1] neg_hi:[0,0,1]
	s_delay_alu instid0(VALU_DEP_2)
	v_mov_b32_e32 v105, v113
	scratch_store_b64 off, v[104:105], off offset:360
.LBB49_940:
	s_wait_xcnt 0x0
	s_or_b32 exec_lo, exec_lo, s0
	scratch_load_b64 v[104:105], off, off offset:368
	s_mov_b32 s0, exec_lo
	s_wait_loadcnt 0x0
	ds_store_b64 v1, v[104:105]
	s_wait_storecnt_dscnt 0x0
	s_barrier_signal -1
	s_barrier_wait -1
	s_wait_xcnt 0x0
	v_cmpx_gt_u32_e32 46, v0
	s_cbranch_execz .LBB49_950
; %bb.941:
	v_cmp_ne_u32_e32 vcc_lo, 1, v106
	s_cbranch_vccnz .LBB49_943
; %bb.942:
	scratch_load_b64 v[104:105], v51, off
	ds_load_b64 v[108:109], v1
	s_wait_loadcnt_dscnt 0x0
	v_pk_mul_f32 v[110:111], v[108:109], v[104:105] op_sel:[1,1] op_sel_hi:[0,1]
	s_delay_alu instid0(VALU_DEP_1) | instskip(SKIP_1) | instid1(VALU_DEP_2)
	v_pk_fma_f32 v[112:113], v[108:109], v[104:105], v[110:111] op_sel_hi:[1,0,1]
	v_pk_fma_f32 v[104:105], v[108:109], v[104:105], v[110:111] neg_lo:[0,0,1] neg_hi:[0,0,1]
	v_mov_b32_e32 v105, v113
	s_cbranch_execz .LBB49_944
	s_branch .LBB49_945
.LBB49_943:
                                        ; implicit-def: $vgpr104_vgpr105
.LBB49_944:
	ds_load_b64 v[104:105], v1
.LBB49_945:
	s_mov_b32 s2, exec_lo
	v_cmpx_ne_u32_e32 45, v0
	s_cbranch_execz .LBB49_949
; %bb.946:
	v_add_nc_u32_e32 v107, 0x198, v50
	v_add3_u32 v108, 0, v50, 8
	v_mov_b32_e32 v109, v0
	s_mov_b32 s3, 0
.LBB49_947:                             ; =>This Inner Loop Header: Depth=1
	scratch_load_b64 v[110:111], v108, off
	ds_load_b64 v[112:113], v107
	s_wait_xcnt 0x0
	v_dual_add_nc_u32 v107, 8, v107 :: v_dual_add_nc_u32 v108, 8, v108
	s_wait_loadcnt_dscnt 0x0
	v_pk_mul_f32 v[114:115], v[112:113], v[110:111] op_sel:[1,1] op_sel_hi:[0,1]
	s_delay_alu instid0(VALU_DEP_1) | instskip(SKIP_2) | instid1(VALU_DEP_3)
	v_pk_fma_f32 v[116:117], v[112:113], v[110:111], v[114:115] op_sel_hi:[1,0,1]
	v_add_nc_u32_e32 v109, 1, v109
	v_pk_fma_f32 v[110:111], v[112:113], v[110:111], v[114:115] neg_lo:[0,0,1] neg_hi:[0,0,1]
	v_mov_b32_e32 v111, v117
	s_delay_alu instid0(VALU_DEP_3) | instskip(NEXT) | instid1(VALU_DEP_2)
	v_cmp_lt_u32_e32 vcc_lo, 44, v109
	v_pk_add_f32 v[104:105], v[104:105], v[110:111]
	s_or_b32 s3, vcc_lo, s3
	s_delay_alu instid0(SALU_CYCLE_1)
	s_and_not1_b32 exec_lo, exec_lo, s3
	s_cbranch_execnz .LBB49_947
; %bb.948:
	s_or_b32 exec_lo, exec_lo, s3
.LBB49_949:
	s_delay_alu instid0(SALU_CYCLE_1) | instskip(SKIP_4) | instid1(VALU_DEP_1)
	s_or_b32 exec_lo, exec_lo, s2
	v_mov_b32_e32 v107, 0
	ds_load_b64 v[108:109], v107 offset:368
	s_wait_dscnt 0x0
	v_pk_mul_f32 v[110:111], v[104:105], v[108:109] op_sel:[1,1] op_sel_hi:[0,1]
	v_pk_fma_f32 v[112:113], v[104:105], v[108:109], v[110:111] op_sel_hi:[1,0,1]
	v_pk_fma_f32 v[104:105], v[104:105], v[108:109], v[110:111] neg_lo:[0,0,1] neg_hi:[0,0,1]
	s_delay_alu instid0(VALU_DEP_2)
	v_mov_b32_e32 v105, v113
	scratch_store_b64 off, v[104:105], off offset:368
.LBB49_950:
	s_wait_xcnt 0x0
	s_or_b32 exec_lo, exec_lo, s0
	scratch_load_b64 v[104:105], off, off offset:376
	s_mov_b32 s0, exec_lo
	s_wait_loadcnt 0x0
	ds_store_b64 v1, v[104:105]
	s_wait_storecnt_dscnt 0x0
	s_barrier_signal -1
	s_barrier_wait -1
	s_wait_xcnt 0x0
	v_cmpx_gt_u32_e32 47, v0
	s_cbranch_execz .LBB49_960
; %bb.951:
	v_cmp_ne_u32_e32 vcc_lo, 1, v106
	s_cbranch_vccnz .LBB49_953
; %bb.952:
	scratch_load_b64 v[104:105], v51, off
	ds_load_b64 v[108:109], v1
	s_wait_loadcnt_dscnt 0x0
	v_pk_mul_f32 v[110:111], v[108:109], v[104:105] op_sel:[1,1] op_sel_hi:[0,1]
	s_delay_alu instid0(VALU_DEP_1) | instskip(SKIP_1) | instid1(VALU_DEP_2)
	v_pk_fma_f32 v[112:113], v[108:109], v[104:105], v[110:111] op_sel_hi:[1,0,1]
	v_pk_fma_f32 v[104:105], v[108:109], v[104:105], v[110:111] neg_lo:[0,0,1] neg_hi:[0,0,1]
	v_mov_b32_e32 v105, v113
	s_cbranch_execz .LBB49_954
	s_branch .LBB49_955
.LBB49_953:
                                        ; implicit-def: $vgpr104_vgpr105
.LBB49_954:
	ds_load_b64 v[104:105], v1
.LBB49_955:
	s_mov_b32 s2, exec_lo
	v_cmpx_ne_u32_e32 46, v0
	s_cbranch_execz .LBB49_959
; %bb.956:
	v_add_nc_u32_e32 v107, 0x198, v50
	v_add3_u32 v108, 0, v50, 8
	v_mov_b32_e32 v109, v0
	s_mov_b32 s3, 0
.LBB49_957:                             ; =>This Inner Loop Header: Depth=1
	scratch_load_b64 v[110:111], v108, off
	ds_load_b64 v[112:113], v107
	s_wait_xcnt 0x0
	v_dual_add_nc_u32 v107, 8, v107 :: v_dual_add_nc_u32 v108, 8, v108
	s_wait_loadcnt_dscnt 0x0
	v_pk_mul_f32 v[114:115], v[112:113], v[110:111] op_sel:[1,1] op_sel_hi:[0,1]
	s_delay_alu instid0(VALU_DEP_1) | instskip(SKIP_2) | instid1(VALU_DEP_3)
	v_pk_fma_f32 v[116:117], v[112:113], v[110:111], v[114:115] op_sel_hi:[1,0,1]
	v_add_nc_u32_e32 v109, 1, v109
	v_pk_fma_f32 v[110:111], v[112:113], v[110:111], v[114:115] neg_lo:[0,0,1] neg_hi:[0,0,1]
	v_mov_b32_e32 v111, v117
	s_delay_alu instid0(VALU_DEP_3) | instskip(NEXT) | instid1(VALU_DEP_2)
	v_cmp_lt_u32_e32 vcc_lo, 45, v109
	v_pk_add_f32 v[104:105], v[104:105], v[110:111]
	s_or_b32 s3, vcc_lo, s3
	s_delay_alu instid0(SALU_CYCLE_1)
	s_and_not1_b32 exec_lo, exec_lo, s3
	s_cbranch_execnz .LBB49_957
; %bb.958:
	s_or_b32 exec_lo, exec_lo, s3
.LBB49_959:
	s_delay_alu instid0(SALU_CYCLE_1) | instskip(SKIP_4) | instid1(VALU_DEP_1)
	s_or_b32 exec_lo, exec_lo, s2
	v_mov_b32_e32 v107, 0
	ds_load_b64 v[108:109], v107 offset:376
	s_wait_dscnt 0x0
	v_pk_mul_f32 v[110:111], v[104:105], v[108:109] op_sel:[1,1] op_sel_hi:[0,1]
	v_pk_fma_f32 v[112:113], v[104:105], v[108:109], v[110:111] op_sel_hi:[1,0,1]
	v_pk_fma_f32 v[104:105], v[104:105], v[108:109], v[110:111] neg_lo:[0,0,1] neg_hi:[0,0,1]
	s_delay_alu instid0(VALU_DEP_2)
	v_mov_b32_e32 v105, v113
	scratch_store_b64 off, v[104:105], off offset:376
.LBB49_960:
	s_wait_xcnt 0x0
	s_or_b32 exec_lo, exec_lo, s0
	scratch_load_b64 v[104:105], off, off offset:384
	v_cmp_gt_u32_e64 s0, 48, v0
	s_wait_loadcnt 0x0
	ds_store_b64 v1, v[104:105]
	s_wait_storecnt_dscnt 0x0
	s_barrier_signal -1
	s_barrier_wait -1
	s_wait_xcnt 0x0
	s_and_saveexec_b32 s2, s0
	s_cbranch_execz .LBB49_970
; %bb.961:
	v_cmp_ne_u32_e32 vcc_lo, 1, v106
	s_cbranch_vccnz .LBB49_963
; %bb.962:
	scratch_load_b64 v[104:105], v51, off
	ds_load_b64 v[108:109], v1
	s_wait_loadcnt_dscnt 0x0
	v_pk_mul_f32 v[110:111], v[108:109], v[104:105] op_sel:[1,1] op_sel_hi:[0,1]
	s_delay_alu instid0(VALU_DEP_1) | instskip(SKIP_1) | instid1(VALU_DEP_2)
	v_pk_fma_f32 v[112:113], v[108:109], v[104:105], v[110:111] op_sel_hi:[1,0,1]
	v_pk_fma_f32 v[104:105], v[108:109], v[104:105], v[110:111] neg_lo:[0,0,1] neg_hi:[0,0,1]
	v_mov_b32_e32 v105, v113
	s_cbranch_execz .LBB49_964
	s_branch .LBB49_965
.LBB49_963:
                                        ; implicit-def: $vgpr104_vgpr105
.LBB49_964:
	ds_load_b64 v[104:105], v1
.LBB49_965:
	s_mov_b32 s3, exec_lo
	v_cmpx_ne_u32_e32 47, v0
	s_cbranch_execz .LBB49_969
; %bb.966:
	v_add_nc_u32_e32 v107, 0x198, v50
	v_add3_u32 v108, 0, v50, 8
	v_mov_b32_e32 v109, v0
	s_mov_b32 s4, 0
.LBB49_967:                             ; =>This Inner Loop Header: Depth=1
	scratch_load_b64 v[110:111], v108, off
	ds_load_b64 v[112:113], v107
	s_wait_xcnt 0x0
	v_dual_add_nc_u32 v107, 8, v107 :: v_dual_add_nc_u32 v108, 8, v108
	s_wait_loadcnt_dscnt 0x0
	v_pk_mul_f32 v[114:115], v[112:113], v[110:111] op_sel:[1,1] op_sel_hi:[0,1]
	s_delay_alu instid0(VALU_DEP_1) | instskip(SKIP_2) | instid1(VALU_DEP_3)
	v_pk_fma_f32 v[116:117], v[112:113], v[110:111], v[114:115] op_sel_hi:[1,0,1]
	v_add_nc_u32_e32 v109, 1, v109
	v_pk_fma_f32 v[110:111], v[112:113], v[110:111], v[114:115] neg_lo:[0,0,1] neg_hi:[0,0,1]
	v_mov_b32_e32 v111, v117
	s_delay_alu instid0(VALU_DEP_3) | instskip(NEXT) | instid1(VALU_DEP_2)
	v_cmp_lt_u32_e32 vcc_lo, 46, v109
	v_pk_add_f32 v[104:105], v[104:105], v[110:111]
	s_or_b32 s4, vcc_lo, s4
	s_delay_alu instid0(SALU_CYCLE_1)
	s_and_not1_b32 exec_lo, exec_lo, s4
	s_cbranch_execnz .LBB49_967
; %bb.968:
	s_or_b32 exec_lo, exec_lo, s4
.LBB49_969:
	s_delay_alu instid0(SALU_CYCLE_1) | instskip(SKIP_4) | instid1(VALU_DEP_1)
	s_or_b32 exec_lo, exec_lo, s3
	v_mov_b32_e32 v107, 0
	ds_load_b64 v[108:109], v107 offset:384
	s_wait_dscnt 0x0
	v_pk_mul_f32 v[110:111], v[104:105], v[108:109] op_sel:[1,1] op_sel_hi:[0,1]
	v_pk_fma_f32 v[112:113], v[104:105], v[108:109], v[110:111] op_sel_hi:[1,0,1]
	v_pk_fma_f32 v[104:105], v[104:105], v[108:109], v[110:111] neg_lo:[0,0,1] neg_hi:[0,0,1]
	s_delay_alu instid0(VALU_DEP_2)
	v_mov_b32_e32 v105, v113
	scratch_store_b64 off, v[104:105], off offset:384
.LBB49_970:
	s_wait_xcnt 0x0
	s_or_b32 exec_lo, exec_lo, s2
	scratch_load_b64 v[104:105], off, off offset:392
	s_mov_b32 s2, exec_lo
                                        ; implicit-def: $vgpr140
                                        ; implicit-def: $sgpr4
	s_wait_loadcnt 0x0
	ds_store_b64 v1, v[104:105]
	s_wait_storecnt_dscnt 0x0
	s_barrier_signal -1
	s_barrier_wait -1
	s_wait_xcnt 0x0
	v_cmpx_ne_u32_e32 49, v0
	s_cbranch_execz .LBB49_980
; %bb.971:
	v_cmp_ne_u32_e32 vcc_lo, 1, v106
	s_cbranch_vccnz .LBB49_973
; %bb.972:
	scratch_load_b64 v[106:107], v51, off
	ds_load_b64 v[108:109], v1
	s_wait_loadcnt_dscnt 0x0
	v_dual_mul_f32 v51, v109, v107 :: v_dual_mul_f32 v105, v108, v107
	s_delay_alu instid0(VALU_DEP_1)
	v_dual_fma_f32 v104, v108, v106, -v51 :: v_dual_fmac_f32 v105, v109, v106
	s_cbranch_execz .LBB49_974
	s_branch .LBB49_975
.LBB49_973:
                                        ; implicit-def: $vgpr105
.LBB49_974:
	ds_load_b64 v[104:105], v1
.LBB49_975:
	s_and_saveexec_b32 s3, s0
	s_cbranch_execz .LBB49_979
; %bb.976:
	v_add_nc_u32_e32 v1, 0x198, v50
	v_add3_u32 v50, 0, v50, 8
	s_mov_b32 s0, 0
.LBB49_977:                             ; =>This Inner Loop Header: Depth=1
	scratch_load_b64 v[106:107], v50, off
	ds_load_b64 v[108:109], v1
	s_wait_loadcnt_dscnt 0x0
	v_dual_add_nc_u32 v1, 8, v1 :: v_dual_mul_f32 v51, v109, v107
	v_dual_mul_f32 v107, v108, v107 :: v_dual_add_nc_u32 v0, 1, v0
	s_delay_alu instid0(VALU_DEP_2) | instskip(NEXT) | instid1(VALU_DEP_2)
	v_fma_f32 v51, v108, v106, -v51
	v_fmac_f32_e32 v107, v109, v106
	s_delay_alu instid0(VALU_DEP_3) | instskip(NEXT) | instid1(VALU_DEP_3)
	v_cmp_lt_u32_e32 vcc_lo, 47, v0
	v_dual_add_nc_u32 v50, 8, v50 :: v_dual_add_f32 v104, v104, v51
	s_delay_alu instid0(VALU_DEP_3) | instskip(SKIP_1) | instid1(SALU_CYCLE_1)
	v_add_f32_e32 v105, v105, v107
	s_or_b32 s0, vcc_lo, s0
	s_and_not1_b32 exec_lo, exec_lo, s0
	s_cbranch_execnz .LBB49_977
; %bb.978:
	s_or_b32 exec_lo, exec_lo, s0
.LBB49_979:
	s_delay_alu instid0(SALU_CYCLE_1)
	s_or_b32 exec_lo, exec_lo, s3
	v_mov_b32_e32 v0, 0
	s_movk_i32 s4, 0x18c
	s_or_b32 s1, s1, exec_lo
	ds_load_b64 v[0:1], v0 offset:392
	s_wait_dscnt 0x0
	v_dual_mul_f32 v50, v105, v1 :: v_dual_mul_f32 v140, v104, v1
	s_delay_alu instid0(VALU_DEP_1)
	v_dual_fma_f32 v1, v104, v0, -v50 :: v_dual_fmac_f32 v140, v105, v0
	scratch_store_b32 off, v1, off offset:392
.LBB49_980:
	s_wait_xcnt 0x0
	s_or_b32 exec_lo, exec_lo, s2
.LBB49_981:
	v_lshl_add_u64 v[136:137], v[4:5], 3, s[6:7]
	v_lshl_add_u64 v[138:139], v[6:7], 3, s[6:7]
	;; [unrolled: 1-line block ×48, first 2 shown]
	s_and_saveexec_b32 s0, s1
	s_cbranch_execz .LBB49_983
; %bb.982:
	scratch_store_b32 off, v140, s4
.LBB49_983:
	s_wait_xcnt 0x0
	s_or_b32 exec_lo, exec_lo, s0
	s_clause 0x5
	scratch_load_b128 v[64:67], off, off
	scratch_load_b128 v[68:71], off, off offset:16
	scratch_load_b128 v[72:75], off, off offset:32
	;; [unrolled: 1-line block ×5, first 2 shown]
	s_wait_loadcnt 0x5
	s_clause 0x1
	global_store_b64 v[2:3], v[64:65], off
	global_store_b64 v[8:9], v[66:67], off
	s_clause 0x1
	scratch_load_b128 v[64:67], off, off offset:96
	scratch_load_b128 v[88:91], off, off offset:112
	s_wait_loadcnt 0x6
	s_clause 0x1
	global_store_b64 v[136:137], v[68:69], off
	global_store_b64 v[138:139], v[70:71], off
	s_clause 0x1
	scratch_load_b128 v[68:71], off, off offset:128
	scratch_load_b128 v[92:95], off, off offset:144
	;; [unrolled: 7-line block ×9, first 2 shown]
	s_wait_loadcnt 0xe
	s_clause 0x1
	global_store_b64 v[104:105], v[92:93], off
	global_store_b64 v[106:107], v[94:95], off
	scratch_load_b128 v[92:95], off, off offset:384
	s_wait_loadcnt 0xe
	s_clause 0x1
	global_store_b64 v[6:7], v[72:73], off
	global_store_b64 v[10:11], v[74:75], off
	s_wait_loadcnt 0xd
	s_clause 0x1
	global_store_b64 v[12:13], v[96:97], off
	global_store_b64 v[14:15], v[98:99], off
	;; [unrolled: 4-line block ×15, first 2 shown]
.LBB49_984:
	s_sendmsg sendmsg(MSG_DEALLOC_VGPRS)
	s_endpgm
	.section	.rodata,"a",@progbits
	.p2align	6, 0x0
	.amdhsa_kernel _ZN9rocsolver6v33100L18trti2_kernel_smallILi50E19rocblas_complex_numIfEPS3_EEv13rocblas_fill_17rocblas_diagonal_T1_iil
		.amdhsa_group_segment_fixed_size 800
		.amdhsa_private_segment_fixed_size 416
		.amdhsa_kernarg_size 32
		.amdhsa_user_sgpr_count 2
		.amdhsa_user_sgpr_dispatch_ptr 0
		.amdhsa_user_sgpr_queue_ptr 0
		.amdhsa_user_sgpr_kernarg_segment_ptr 1
		.amdhsa_user_sgpr_dispatch_id 0
		.amdhsa_user_sgpr_kernarg_preload_length 0
		.amdhsa_user_sgpr_kernarg_preload_offset 0
		.amdhsa_user_sgpr_private_segment_size 0
		.amdhsa_wavefront_size32 1
		.amdhsa_uses_dynamic_stack 0
		.amdhsa_enable_private_segment 1
		.amdhsa_system_sgpr_workgroup_id_x 1
		.amdhsa_system_sgpr_workgroup_id_y 0
		.amdhsa_system_sgpr_workgroup_id_z 0
		.amdhsa_system_sgpr_workgroup_info 0
		.amdhsa_system_vgpr_workitem_id 0
		.amdhsa_next_free_vgpr 144
		.amdhsa_next_free_sgpr 32
		.amdhsa_named_barrier_count 0
		.amdhsa_reserve_vcc 1
		.amdhsa_float_round_mode_32 0
		.amdhsa_float_round_mode_16_64 0
		.amdhsa_float_denorm_mode_32 3
		.amdhsa_float_denorm_mode_16_64 3
		.amdhsa_fp16_overflow 0
		.amdhsa_memory_ordered 1
		.amdhsa_forward_progress 1
		.amdhsa_inst_pref_size 255
		.amdhsa_round_robin_scheduling 0
		.amdhsa_exception_fp_ieee_invalid_op 0
		.amdhsa_exception_fp_denorm_src 0
		.amdhsa_exception_fp_ieee_div_zero 0
		.amdhsa_exception_fp_ieee_overflow 0
		.amdhsa_exception_fp_ieee_underflow 0
		.amdhsa_exception_fp_ieee_inexact 0
		.amdhsa_exception_int_div_zero 0
	.end_amdhsa_kernel
	.section	.text._ZN9rocsolver6v33100L18trti2_kernel_smallILi50E19rocblas_complex_numIfEPS3_EEv13rocblas_fill_17rocblas_diagonal_T1_iil,"axG",@progbits,_ZN9rocsolver6v33100L18trti2_kernel_smallILi50E19rocblas_complex_numIfEPS3_EEv13rocblas_fill_17rocblas_diagonal_T1_iil,comdat
.Lfunc_end49:
	.size	_ZN9rocsolver6v33100L18trti2_kernel_smallILi50E19rocblas_complex_numIfEPS3_EEv13rocblas_fill_17rocblas_diagonal_T1_iil, .Lfunc_end49-_ZN9rocsolver6v33100L18trti2_kernel_smallILi50E19rocblas_complex_numIfEPS3_EEv13rocblas_fill_17rocblas_diagonal_T1_iil
                                        ; -- End function
	.set _ZN9rocsolver6v33100L18trti2_kernel_smallILi50E19rocblas_complex_numIfEPS3_EEv13rocblas_fill_17rocblas_diagonal_T1_iil.num_vgpr, 144
	.set _ZN9rocsolver6v33100L18trti2_kernel_smallILi50E19rocblas_complex_numIfEPS3_EEv13rocblas_fill_17rocblas_diagonal_T1_iil.num_agpr, 0
	.set _ZN9rocsolver6v33100L18trti2_kernel_smallILi50E19rocblas_complex_numIfEPS3_EEv13rocblas_fill_17rocblas_diagonal_T1_iil.numbered_sgpr, 32
	.set _ZN9rocsolver6v33100L18trti2_kernel_smallILi50E19rocblas_complex_numIfEPS3_EEv13rocblas_fill_17rocblas_diagonal_T1_iil.num_named_barrier, 0
	.set _ZN9rocsolver6v33100L18trti2_kernel_smallILi50E19rocblas_complex_numIfEPS3_EEv13rocblas_fill_17rocblas_diagonal_T1_iil.private_seg_size, 416
	.set _ZN9rocsolver6v33100L18trti2_kernel_smallILi50E19rocblas_complex_numIfEPS3_EEv13rocblas_fill_17rocblas_diagonal_T1_iil.uses_vcc, 1
	.set _ZN9rocsolver6v33100L18trti2_kernel_smallILi50E19rocblas_complex_numIfEPS3_EEv13rocblas_fill_17rocblas_diagonal_T1_iil.uses_flat_scratch, 1
	.set _ZN9rocsolver6v33100L18trti2_kernel_smallILi50E19rocblas_complex_numIfEPS3_EEv13rocblas_fill_17rocblas_diagonal_T1_iil.has_dyn_sized_stack, 0
	.set _ZN9rocsolver6v33100L18trti2_kernel_smallILi50E19rocblas_complex_numIfEPS3_EEv13rocblas_fill_17rocblas_diagonal_T1_iil.has_recursion, 0
	.set _ZN9rocsolver6v33100L18trti2_kernel_smallILi50E19rocblas_complex_numIfEPS3_EEv13rocblas_fill_17rocblas_diagonal_T1_iil.has_indirect_call, 0
	.section	.AMDGPU.csdata,"",@progbits
; Kernel info:
; codeLenInByte = 37888
; TotalNumSgprs: 34
; NumVgprs: 144
; ScratchSize: 416
; MemoryBound: 0
; FloatMode: 240
; IeeeMode: 1
; LDSByteSize: 800 bytes/workgroup (compile time only)
; SGPRBlocks: 0
; VGPRBlocks: 8
; NumSGPRsForWavesPerEU: 34
; NumVGPRsForWavesPerEU: 144
; NamedBarCnt: 0
; Occupancy: 7
; WaveLimiterHint : 0
; COMPUTE_PGM_RSRC2:SCRATCH_EN: 1
; COMPUTE_PGM_RSRC2:USER_SGPR: 2
; COMPUTE_PGM_RSRC2:TRAP_HANDLER: 0
; COMPUTE_PGM_RSRC2:TGID_X_EN: 1
; COMPUTE_PGM_RSRC2:TGID_Y_EN: 0
; COMPUTE_PGM_RSRC2:TGID_Z_EN: 0
; COMPUTE_PGM_RSRC2:TIDIG_COMP_CNT: 0
	.section	.text._ZN9rocsolver6v33100L18trti2_kernel_smallILi51E19rocblas_complex_numIfEPS3_EEv13rocblas_fill_17rocblas_diagonal_T1_iil,"axG",@progbits,_ZN9rocsolver6v33100L18trti2_kernel_smallILi51E19rocblas_complex_numIfEPS3_EEv13rocblas_fill_17rocblas_diagonal_T1_iil,comdat
	.globl	_ZN9rocsolver6v33100L18trti2_kernel_smallILi51E19rocblas_complex_numIfEPS3_EEv13rocblas_fill_17rocblas_diagonal_T1_iil ; -- Begin function _ZN9rocsolver6v33100L18trti2_kernel_smallILi51E19rocblas_complex_numIfEPS3_EEv13rocblas_fill_17rocblas_diagonal_T1_iil
	.p2align	8
	.type	_ZN9rocsolver6v33100L18trti2_kernel_smallILi51E19rocblas_complex_numIfEPS3_EEv13rocblas_fill_17rocblas_diagonal_T1_iil,@function
_ZN9rocsolver6v33100L18trti2_kernel_smallILi51E19rocblas_complex_numIfEPS3_EEv13rocblas_fill_17rocblas_diagonal_T1_iil: ; @_ZN9rocsolver6v33100L18trti2_kernel_smallILi51E19rocblas_complex_numIfEPS3_EEv13rocblas_fill_17rocblas_diagonal_T1_iil
; %bb.0:
	s_mov_b32 s2, exec_lo
	v_cmpx_gt_u32_e32 51, v0
	s_cbranch_execz .LBB50_1004
; %bb.1:
	s_load_b256 s[4:11], s[0:1], 0x0
	s_wait_xcnt 0x0
	s_bfe_u32 s0, ttmp6, 0x4000c
	s_and_b32 s1, ttmp6, 15
	s_add_co_i32 s0, s0, 1
	s_getreg_b32 s2, hwreg(HW_REG_IB_STS2, 6, 4)
	s_mul_i32 s0, ttmp9, s0
	v_lshlrev_b32_e32 v50, 3, v0
	s_add_co_i32 s0, s1, s0
	v_mov_b32_e32 v51, 0
	s_wait_kmcnt 0x0
	v_add3_u32 v2, s9, s9, v0
	s_ashr_i32 s1, s8, 31
	s_cmp_eq_u32 s2, 0
	s_cselect_b32 s2, ttmp9, s0
	s_delay_alu instid0(VALU_DEP_1)
	v_add_nc_u32_e32 v4, s9, v2
	s_ashr_i32 s3, s2, 31
	s_mov_b32 s0, s8
	s_mul_u64 s[2:3], s[10:11], s[2:3]
	s_lshl_b64 s[0:1], s[0:1], 3
	v_add_nc_u32_e32 v10, s9, v4
	s_lshl_b64 s[2:3], s[2:3], 3
	s_delay_alu instid0(SALU_CYCLE_1) | instskip(NEXT) | instid1(VALU_DEP_1)
	s_add_nc_u64 s[2:3], s[6:7], s[2:3]
	v_add_nc_u32_e32 v12, s9, v10
	s_add_nc_u64 s[6:7], s[2:3], s[0:1]
	s_mov_b32 s0, s9
	s_ashr_i32 s1, s9, 31
	s_cmp_lg_u32 s5, 0x84
	v_add_nc_u32_e32 v14, s9, v12
	s_cselect_b32 s3, -1, 0
	v_add_nc_u64_e32 v[8:9], s[6:7], v[50:51]
	s_and_b32 vcc_lo, exec_lo, s3
	s_delay_alu instid0(VALU_DEP_2) | instskip(NEXT) | instid1(VALU_DEP_2)
	v_add_nc_u32_e32 v16, s9, v14
	v_lshl_add_u64 v[6:7], s[0:1], 3, v[8:9]
	s_delay_alu instid0(VALU_DEP_2)
	v_add_nc_u32_e32 v18, s9, v16
	s_clause 0x1
	global_load_b64 v[72:73], v10, s[6:7] scale_offset
	global_load_b64 v[74:75], v12, s[6:7] scale_offset
	s_mov_b32 s0, -1
	s_clause 0x3
	global_load_b64 v[76:77], v0, s[6:7] scale_offset
	global_load_b64 v[78:79], v[6:7], off
	global_load_b64 v[80:81], v2, s[6:7] scale_offset
	global_load_b64 v[82:83], v4, s[6:7] scale_offset
	v_add_nc_u32_e32 v20, s9, v18
	s_clause 0x1
	global_load_b64 v[84:85], v14, s[6:7] scale_offset
	global_load_b64 v[86:87], v16, s[6:7] scale_offset
	v_add_nc_u32_e32 v22, s9, v20
	s_delay_alu instid0(VALU_DEP_1) | instskip(NEXT) | instid1(VALU_DEP_1)
	v_add_nc_u32_e32 v24, s9, v22
	v_add_nc_u32_e32 v26, s9, v24
	s_delay_alu instid0(VALU_DEP_1) | instskip(NEXT) | instid1(VALU_DEP_1)
	v_add_nc_u32_e32 v28, s9, v26
	v_add_nc_u32_e32 v30, s9, v28
	s_clause 0x3
	global_load_b64 v[88:89], v18, s[6:7] scale_offset
	global_load_b64 v[90:91], v20, s[6:7] scale_offset
	;; [unrolled: 1-line block ×4, first 2 shown]
	v_add_nc_u32_e32 v32, s9, v30
	s_delay_alu instid0(VALU_DEP_1)
	v_add_nc_u32_e32 v34, s9, v32
	s_clause 0x3
	global_load_b64 v[96:97], v26, s[6:7] scale_offset
	global_load_b64 v[98:99], v28, s[6:7] scale_offset
	;; [unrolled: 1-line block ×4, first 2 shown]
	v_add_nc_u32_e32 v36, s9, v34
	s_delay_alu instid0(VALU_DEP_1) | instskip(NEXT) | instid1(VALU_DEP_1)
	v_add_nc_u32_e32 v38, s9, v36
	v_add_nc_u32_e32 v40, s9, v38
	s_delay_alu instid0(VALU_DEP_1) | instskip(NEXT) | instid1(VALU_DEP_1)
	v_add_nc_u32_e32 v42, s9, v40
	v_add_nc_u32_e32 v44, s9, v42
	s_delay_alu instid0(VALU_DEP_1)
	v_add_nc_u32_e32 v46, s9, v44
	s_clause 0x5
	global_load_b64 v[104:105], v34, s[6:7] scale_offset
	global_load_b64 v[106:107], v36, s[6:7] scale_offset
	;; [unrolled: 1-line block ×6, first 2 shown]
	v_add_nc_u32_e32 v48, s9, v46
	s_delay_alu instid0(VALU_DEP_1) | instskip(NEXT) | instid1(VALU_DEP_1)
	v_add_nc_u32_e32 v52, s9, v48
	v_add_nc_u32_e32 v54, s9, v52
	s_clause 0x1
	global_load_b64 v[116:117], v46, s[6:7] scale_offset
	global_load_b64 v[118:119], v48, s[6:7] scale_offset
	v_add_nc_u32_e32 v56, s9, v54
	s_clause 0x1
	global_load_b64 v[120:121], v52, s[6:7] scale_offset
	global_load_b64 v[122:123], v54, s[6:7] scale_offset
	v_add_nc_u32_e32 v58, s9, v56
	s_delay_alu instid0(VALU_DEP_1) | instskip(NEXT) | instid1(VALU_DEP_1)
	v_add_nc_u32_e32 v60, s9, v58
	v_add_nc_u32_e32 v62, s9, v60
	s_delay_alu instid0(VALU_DEP_1) | instskip(NEXT) | instid1(VALU_DEP_1)
	v_add_nc_u32_e32 v64, s9, v62
	;; [unrolled: 3-line block ×3, first 2 shown]
	v_add_nc_u32_e32 v70, s9, v68
	s_wait_loadcnt 0x18
	scratch_store_b128 off, v[72:75], off offset:32
	s_wait_xcnt 0x0
	v_add_nc_u32_e32 v72, s9, v70
	s_wait_loadcnt 0x16
	scratch_store_b128 off, v[76:79], off
	s_clause 0x1
	global_load_b64 v[124:125], v56, s[6:7] scale_offset
	global_load_b64 v[126:127], v58, s[6:7] scale_offset
	s_wait_loadcnt 0x16
	scratch_store_b128 off, v[80:83], off offset:16
	s_wait_loadcnt 0x14
	scratch_store_b128 off, v[84:87], off offset:48
	v_add_nc_u32_e32 v74, s9, v72
	s_clause 0x1
	global_load_b64 v[128:129], v60, s[6:7] scale_offset
	global_load_b64 v[130:131], v62, s[6:7] scale_offset
	s_wait_xcnt 0x6
	v_add_nc_u32_e32 v76, s9, v74
	s_delay_alu instid0(VALU_DEP_1) | instskip(SKIP_1) | instid1(VALU_DEP_1)
	v_add_nc_u32_e32 v78, s9, v76
	s_wait_xcnt 0x3
	v_add_nc_u32_e32 v80, s9, v78
	s_delay_alu instid0(VALU_DEP_1)
	v_add_nc_u32_e32 v82, s9, v80
	s_wait_loadcnt 0x14
	scratch_store_b128 off, v[88:91], off offset:64
	s_wait_loadcnt 0x12
	scratch_store_b128 off, v[92:95], off offset:80
	s_clause 0x1
	global_load_b64 v[132:133], v64, s[6:7] scale_offset
	global_load_b64 v[134:135], v66, s[6:7] scale_offset
	s_wait_loadcnt 0x12
	scratch_store_b128 off, v[96:99], off offset:96
	s_wait_loadcnt 0x10
	scratch_store_b128 off, v[100:103], off offset:112
	s_clause 0x3
	global_load_b64 v[136:137], v68, s[6:7] scale_offset
	global_load_b64 v[138:139], v70, s[6:7] scale_offset
	;; [unrolled: 1-line block ×4, first 2 shown]
	s_wait_xcnt 0xc
	v_add_nc_u32_e32 v84, s9, v82
	s_delay_alu instid0(VALU_DEP_1) | instskip(SKIP_1) | instid1(VALU_DEP_1)
	v_add_nc_u32_e32 v86, s9, v84
	s_wait_xcnt 0x9
	v_add_nc_u32_e32 v88, s9, v86
	s_delay_alu instid0(VALU_DEP_1) | instskip(SKIP_1) | instid1(VALU_DEP_1)
	v_add_nc_u32_e32 v90, s9, v88
	s_wait_xcnt 0x8
	v_add_nc_u32_e32 v92, s9, v90
	s_delay_alu instid0(VALU_DEP_1)
	v_add_nc_u32_e32 v94, s9, v92
	s_wait_loadcnt 0x12
	scratch_store_b128 off, v[104:107], off offset:128
	s_wait_loadcnt 0x10
	scratch_store_b128 off, v[108:111], off offset:144
	s_wait_loadcnt 0xe
	scratch_store_b128 off, v[112:115], off offset:160
	s_clause 0x3
	global_load_b64 v[106:107], v76, s[6:7] scale_offset
	global_load_b64 v[108:109], v78, s[6:7] scale_offset
	;; [unrolled: 1-line block ×4, first 2 shown]
	v_add_nc_u32_e32 v96, s9, v94
	s_delay_alu instid0(VALU_DEP_1) | instskip(NEXT) | instid1(VALU_DEP_1)
	v_add_nc_u32_e32 v98, s9, v96
	v_add_nc_u32_e32 v100, s9, v98
	s_wait_loadcnt 0x10
	scratch_store_b128 off, v[116:119], off offset:176
	s_clause 0x1
	global_load_b64 v[114:115], v84, s[6:7] scale_offset
	global_load_b64 v[116:117], v86, s[6:7] scale_offset
	v_add_nc_u32_e32 v102, s9, v100
	s_wait_loadcnt 0x10
	scratch_store_b128 off, v[120:123], off offset:192
	v_add_nc_u32_e32 v104, s9, v102
	s_wait_loadcnt 0xe
	scratch_store_b128 off, v[124:127], off offset:208
	s_wait_loadcnt 0xc
	scratch_store_b128 off, v[128:131], off offset:224
	;; [unrolled: 2-line block ×4, first 2 shown]
	s_clause 0x1
	global_load_b64 v[118:119], v88, s[6:7] scale_offset
	global_load_b64 v[120:121], v90, s[6:7] scale_offset
	s_wait_loadcnt 0x8
	scratch_store_b128 off, v[140:143], off offset:272
	s_wait_loadcnt 0x6
	scratch_store_b128 off, v[106:109], off offset:288
	;; [unrolled: 2-line block ×3, first 2 shown]
	s_clause 0x3
	global_load_b64 v[106:107], v92, s[6:7] scale_offset
	global_load_b64 v[108:109], v94, s[6:7] scale_offset
	;; [unrolled: 1-line block ×4, first 2 shown]
	s_wait_loadcnt 0x6
	scratch_store_b128 off, v[114:117], off offset:320
	s_clause 0x2
	global_load_b64 v[114:115], v100, s[6:7] scale_offset
	global_load_b64 v[116:117], v102, s[6:7] scale_offset
	;; [unrolled: 1-line block ×3, first 2 shown]
	s_wait_loadcnt 0x7
	scratch_store_b128 off, v[118:121], off offset:336
	s_wait_loadcnt 0x5
	scratch_store_b128 off, v[106:109], off offset:352
	;; [unrolled: 2-line block ×4, first 2 shown]
	s_wait_loadcnt 0x0
	scratch_store_b64 off, v[122:123], off offset:400
	s_cbranch_vccz .LBB50_7
; %bb.2:
	scratch_load_b64 v[106:107], v0, off scale_offset
                                        ; implicit-def: $vgpr111
                                        ; implicit-def: $vgpr108
	s_wait_loadcnt 0x0
	v_cmp_ngt_f32_e64 s0, |v106|, |v107|
	s_wait_xcnt 0x0
	s_and_saveexec_b32 s1, s0
	s_delay_alu instid0(SALU_CYCLE_1)
	s_xor_b32 s0, exec_lo, s1
	s_cbranch_execz .LBB50_4
; %bb.3:
	v_div_scale_f32 v1, null, v107, v107, v106
	v_div_scale_f32 v11, vcc_lo, v106, v107, v106
	s_delay_alu instid0(VALU_DEP_2) | instskip(SKIP_1) | instid1(TRANS32_DEP_1)
	v_rcp_f32_e32 v3, v1
	v_nop
	v_fma_f32 v5, -v1, v3, 1.0
	s_delay_alu instid0(VALU_DEP_1) | instskip(NEXT) | instid1(VALU_DEP_1)
	v_fmac_f32_e32 v3, v5, v3
	v_mul_f32_e32 v5, v11, v3
	s_delay_alu instid0(VALU_DEP_1) | instskip(NEXT) | instid1(VALU_DEP_1)
	v_fma_f32 v13, -v1, v5, v11
	v_fmac_f32_e32 v5, v13, v3
	s_delay_alu instid0(VALU_DEP_1) | instskip(NEXT) | instid1(VALU_DEP_1)
	v_fma_f32 v1, -v1, v5, v11
	v_div_fmas_f32 v1, v1, v3, v5
	s_delay_alu instid0(VALU_DEP_1) | instskip(NEXT) | instid1(VALU_DEP_1)
	v_div_fixup_f32 v1, v1, v107, v106
	v_fmac_f32_e32 v107, v106, v1
	s_delay_alu instid0(VALU_DEP_1) | instskip(NEXT) | instid1(VALU_DEP_1)
	v_div_scale_f32 v3, null, v107, v107, -1.0
	v_rcp_f32_e32 v5, v3
	v_nop
	s_delay_alu instid0(TRANS32_DEP_1) | instskip(NEXT) | instid1(VALU_DEP_1)
	v_fma_f32 v11, -v3, v5, 1.0
	v_fmac_f32_e32 v5, v11, v5
	v_div_scale_f32 v11, vcc_lo, -1.0, v107, -1.0
	s_delay_alu instid0(VALU_DEP_1) | instskip(NEXT) | instid1(VALU_DEP_1)
	v_mul_f32_e32 v13, v11, v5
	v_fma_f32 v15, -v3, v13, v11
	s_delay_alu instid0(VALU_DEP_1) | instskip(NEXT) | instid1(VALU_DEP_1)
	v_fmac_f32_e32 v13, v15, v5
	v_fma_f32 v3, -v3, v13, v11
	s_delay_alu instid0(VALU_DEP_1) | instskip(NEXT) | instid1(VALU_DEP_1)
	v_div_fmas_f32 v3, v3, v5, v13
	v_div_fixup_f32 v111, v3, v107, -1.0
                                        ; implicit-def: $vgpr106_vgpr107
	s_delay_alu instid0(VALU_DEP_1) | instskip(NEXT) | instid1(VALU_DEP_1)
	v_mul_f32_e32 v108, v1, v111
	v_xor_b32_e32 v110, 0x80000000, v108
.LBB50_4:
	s_or_saveexec_b32 s0, s0
	v_lshl_add_u32 v1, v0, 3, 0
	s_xor_b32 exec_lo, exec_lo, s0
	s_cbranch_execz .LBB50_6
; %bb.5:
	v_div_scale_f32 v3, null, v106, v106, v107
	v_div_scale_f32 v13, vcc_lo, v107, v106, v107
	s_delay_alu instid0(VALU_DEP_2) | instskip(SKIP_1) | instid1(TRANS32_DEP_1)
	v_rcp_f32_e32 v5, v3
	v_nop
	v_fma_f32 v11, -v3, v5, 1.0
	s_delay_alu instid0(VALU_DEP_1) | instskip(NEXT) | instid1(VALU_DEP_1)
	v_fmac_f32_e32 v5, v11, v5
	v_mul_f32_e32 v11, v13, v5
	s_delay_alu instid0(VALU_DEP_1) | instskip(NEXT) | instid1(VALU_DEP_1)
	v_fma_f32 v15, -v3, v11, v13
	v_fmac_f32_e32 v11, v15, v5
	s_delay_alu instid0(VALU_DEP_1) | instskip(NEXT) | instid1(VALU_DEP_1)
	v_fma_f32 v3, -v3, v11, v13
	v_div_fmas_f32 v3, v3, v5, v11
	s_delay_alu instid0(VALU_DEP_1) | instskip(NEXT) | instid1(VALU_DEP_1)
	v_div_fixup_f32 v3, v3, v106, v107
	v_fmac_f32_e32 v106, v107, v3
	s_delay_alu instid0(VALU_DEP_1) | instskip(SKIP_1) | instid1(VALU_DEP_2)
	v_div_scale_f32 v5, null, v106, v106, 1.0
	v_div_scale_f32 v15, vcc_lo, 1.0, v106, 1.0
	v_rcp_f32_e32 v11, v5
	v_nop
	s_delay_alu instid0(TRANS32_DEP_1) | instskip(NEXT) | instid1(VALU_DEP_1)
	v_fma_f32 v13, -v5, v11, 1.0
	v_fmac_f32_e32 v11, v13, v11
	s_delay_alu instid0(VALU_DEP_1) | instskip(NEXT) | instid1(VALU_DEP_1)
	v_mul_f32_e32 v13, v15, v11
	v_fma_f32 v17, -v5, v13, v15
	s_delay_alu instid0(VALU_DEP_1) | instskip(NEXT) | instid1(VALU_DEP_1)
	v_fmac_f32_e32 v13, v17, v11
	v_fma_f32 v5, -v5, v13, v15
	s_delay_alu instid0(VALU_DEP_1) | instskip(NEXT) | instid1(VALU_DEP_1)
	v_div_fmas_f32 v5, v5, v11, v13
	v_div_fixup_f32 v110, v5, v106, 1.0
	s_delay_alu instid0(VALU_DEP_1)
	v_xor_b32_e32 v108, 0x80000000, v110
	v_mul_f32_e64 v111, v3, -v110
.LBB50_6:
	s_or_b32 exec_lo, exec_lo, s0
	s_delay_alu instid0(VALU_DEP_1)
	v_xor_b32_e32 v109, 0x80000000, v111
	s_mov_b32 s0, 0
	scratch_store_b64 v1, v[110:111], off
	ds_store_b64 v50, v[108:109]
.LBB50_7:
	s_and_b32 vcc_lo, exec_lo, s0
	s_cbranch_vccz .LBB50_9
; %bb.8:
	s_mov_b64 s[0:1], 0xbf800000
	s_wait_xcnt 0x3
	v_mov_b64_e32 v[106:107], s[0:1]
	ds_store_b64 v50, v[106:107]
.LBB50_9:
	v_dual_ashrrev_i32 v3, 31, v2 :: v_dual_ashrrev_i32 v5, 31, v4
	v_dual_ashrrev_i32 v11, 31, v10 :: v_dual_ashrrev_i32 v13, 31, v12
	;; [unrolled: 1-line block ×24, first 2 shown]
	v_dual_ashrrev_i32 v105, 31, v104 :: v_dual_mov_b32 v51, v50
	s_wait_xcnt 0x0
	v_add_nc_u32_e32 v1, 0x1a0, v50
	s_cmp_eq_u32 s4, 0x79
	s_cbranch_scc1 .LBB50_13
; %bb.10:
	scratch_load_b64 v[106:107], off, off offset:392
	v_cmp_eq_u32_e64 s0, 50, v0
	s_movk_i32 s1, 0x50
	s_movk_i32 s2, 0x60
	;; [unrolled: 1-line block ×20, first 2 shown]
	s_wait_loadcnt 0x0
	ds_store_b64 v1, v[106:107]
	s_wait_storecnt_dscnt 0x0
	s_barrier_signal -1
	s_barrier_wait -1
	s_wait_xcnt 0x0
	s_and_saveexec_b32 s4, s0
	s_cbranch_execz .LBB50_17
; %bb.11:
	s_and_b32 vcc_lo, exec_lo, s3
	s_cbranch_vccz .LBB50_14
; %bb.12:
	scratch_load_b64 v[106:107], v51, off
	ds_load_b64 v[108:109], v1
	s_wait_loadcnt_dscnt 0x0
	v_pk_mul_f32 v[110:111], v[108:109], v[106:107] op_sel:[1,1] op_sel_hi:[0,1]
	v_pk_mul_f32 v[112:113], v[108:109], v[106:107] op_sel_hi:[1,0]
	s_delay_alu instid0(VALU_DEP_2) | instskip(NEXT) | instid1(VALU_DEP_2)
	v_pk_fma_f32 v[106:107], v[108:109], v[106:107], v[110:111] op_sel_hi:[1,0,1]
	v_sub_f32_e32 v106, v112, v110
	s_cbranch_execz .LBB50_15
	s_branch .LBB50_16
.LBB50_13:
	s_mov_b32 s1, 0
                                        ; implicit-def: $vgpr142
                                        ; implicit-def: $sgpr4
	s_cbranch_execnz .LBB50_506
	s_branch .LBB50_1001
.LBB50_14:
                                        ; implicit-def: $vgpr107
.LBB50_15:
	ds_load_b64 v[106:107], v1
.LBB50_16:
	s_wait_dscnt 0x0
	v_dual_mov_b32 v108, 0 :: v_dual_mov_b32 v110, v107
	v_mov_b32_e32 v111, v106
	ds_load_b64 v[108:109], v108 offset:392
	s_wait_dscnt 0x0
	v_pk_mul_f32 v[110:111], v[110:111], v[108:109] op_sel:[0,1]
	s_delay_alu instid0(VALU_DEP_1) | instskip(SKIP_1) | instid1(VALU_DEP_2)
	v_pk_fma_f32 v[112:113], v[106:107], v[108:109], v[110:111] op_sel_hi:[1,0,1]
	v_pk_fma_f32 v[106:107], v[106:107], v[108:109], v[110:111] neg_lo:[0,0,1] neg_hi:[0,0,1]
	v_mov_b32_e32 v107, v113
	scratch_store_b64 off, v[106:107], off offset:392
.LBB50_17:
	s_wait_xcnt 0x0
	s_or_b32 exec_lo, exec_lo, s4
	scratch_load_b64 v[106:107], off, off offset:384
	s_mov_b32 s11, s2
	v_cmp_lt_u32_e64 s2, 48, v0
	s_mov_b32 s4, 16
	s_mov_b32 s5, 32
	;; [unrolled: 1-line block ×5, first 2 shown]
	s_wait_loadcnt 0x0
	ds_store_b64 v1, v[106:107]
	s_wait_storecnt_dscnt 0x0
	s_barrier_signal -1
	s_barrier_wait -1
	s_wait_xcnt 0x0
	s_and_saveexec_b32 s1, s2
	s_cbranch_execz .LBB50_25
; %bb.18:
	s_and_not1_b32 vcc_lo, exec_lo, s3
	s_cbranch_vccnz .LBB50_20
; %bb.19:
	scratch_load_b64 v[106:107], v51, off
	ds_load_b64 v[108:109], v1
	s_wait_loadcnt_dscnt 0x0
	v_pk_mul_f32 v[110:111], v[108:109], v[106:107] op_sel:[1,1] op_sel_hi:[0,1]
	s_delay_alu instid0(VALU_DEP_1) | instskip(SKIP_1) | instid1(VALU_DEP_2)
	v_pk_fma_f32 v[112:113], v[108:109], v[106:107], v[110:111] op_sel_hi:[1,0,1]
	v_pk_fma_f32 v[106:107], v[108:109], v[106:107], v[110:111] neg_lo:[0,0,1] neg_hi:[0,0,1]
	v_mov_b32_e32 v107, v113
	s_cbranch_execz .LBB50_21
	s_branch .LBB50_22
.LBB50_20:
                                        ; implicit-def: $vgpr106_vgpr107
.LBB50_21:
	ds_load_b64 v[106:107], v1
.LBB50_22:
	s_and_saveexec_b32 s30, s0
	s_cbranch_execz .LBB50_24
; %bb.23:
	scratch_load_b64 v[108:109], off, off offset:392
	v_mov_b32_e32 v110, 0
	ds_load_b64 v[110:111], v110 offset:808
	s_wait_loadcnt_dscnt 0x0
	v_pk_mul_f32 v[112:113], v[110:111], v[108:109] op_sel:[1,1] op_sel_hi:[0,1]
	s_delay_alu instid0(VALU_DEP_1) | instskip(SKIP_1) | instid1(VALU_DEP_2)
	v_pk_fma_f32 v[114:115], v[110:111], v[108:109], v[112:113] op_sel_hi:[1,0,1]
	v_pk_fma_f32 v[108:109], v[110:111], v[108:109], v[112:113] neg_lo:[0,0,1] neg_hi:[0,0,1]
	v_mov_b32_e32 v109, v115
	s_delay_alu instid0(VALU_DEP_1)
	v_pk_add_f32 v[106:107], v[106:107], v[108:109]
.LBB50_24:
	s_or_b32 exec_lo, exec_lo, s30
	v_mov_b32_e32 v108, 0
	ds_load_b64 v[108:109], v108 offset:384
	s_wait_dscnt 0x0
	v_pk_mul_f32 v[110:111], v[106:107], v[108:109] op_sel:[1,1] op_sel_hi:[0,1]
	s_delay_alu instid0(VALU_DEP_1) | instskip(SKIP_1) | instid1(VALU_DEP_2)
	v_pk_fma_f32 v[112:113], v[106:107], v[108:109], v[110:111] op_sel_hi:[1,0,1]
	v_pk_fma_f32 v[106:107], v[106:107], v[108:109], v[110:111] neg_lo:[0,0,1] neg_hi:[0,0,1]
	v_mov_b32_e32 v107, v113
	scratch_store_b64 off, v[106:107], off offset:384
.LBB50_25:
	s_wait_xcnt 0x0
	s_or_b32 exec_lo, exec_lo, s1
	scratch_load_b64 v[106:107], off, off offset:376
	v_cmp_lt_u32_e64 s1, 47, v0
	s_wait_loadcnt 0x0
	ds_store_b64 v1, v[106:107]
	s_wait_storecnt_dscnt 0x0
	s_barrier_signal -1
	s_barrier_wait -1
	s_wait_xcnt 0x0
	s_and_saveexec_b32 s0, s1
	s_cbranch_execz .LBB50_35
; %bb.26:
	s_and_not1_b32 vcc_lo, exec_lo, s3
	s_cbranch_vccnz .LBB50_28
; %bb.27:
	scratch_load_b64 v[106:107], v51, off
	ds_load_b64 v[108:109], v1
	s_wait_loadcnt_dscnt 0x0
	v_pk_mul_f32 v[110:111], v[108:109], v[106:107] op_sel:[1,1] op_sel_hi:[0,1]
	s_delay_alu instid0(VALU_DEP_1) | instskip(SKIP_1) | instid1(VALU_DEP_2)
	v_pk_fma_f32 v[112:113], v[108:109], v[106:107], v[110:111] op_sel_hi:[1,0,1]
	v_pk_fma_f32 v[106:107], v[108:109], v[106:107], v[110:111] neg_lo:[0,0,1] neg_hi:[0,0,1]
	v_mov_b32_e32 v107, v113
	s_cbranch_execz .LBB50_29
	s_branch .LBB50_30
.LBB50_28:
                                        ; implicit-def: $vgpr106_vgpr107
.LBB50_29:
	ds_load_b64 v[106:107], v1
.LBB50_30:
	s_and_saveexec_b32 s30, s2
	s_cbranch_execz .LBB50_34
; %bb.31:
	v_subrev_nc_u32_e32 v108, 48, v0
	s_movk_i32 s31, 0x320
	s_mov_b32 s2, 0
.LBB50_32:                              ; =>This Inner Loop Header: Depth=1
	scratch_load_b64 v[110:111], off, s29
	v_dual_mov_b32 v109, s31 :: v_dual_add_nc_u32 v108, -1, v108
	s_add_co_i32 s31, s31, 8
	s_wait_xcnt 0x0
	s_add_co_i32 s29, s29, 8
	ds_load_b64 v[112:113], v109
	v_cmp_eq_u32_e32 vcc_lo, 0, v108
	s_or_b32 s2, vcc_lo, s2
	s_wait_loadcnt_dscnt 0x0
	v_pk_mul_f32 v[114:115], v[112:113], v[110:111] op_sel:[1,1] op_sel_hi:[0,1]
	s_delay_alu instid0(VALU_DEP_1) | instskip(SKIP_1) | instid1(VALU_DEP_2)
	v_pk_fma_f32 v[116:117], v[112:113], v[110:111], v[114:115] op_sel_hi:[1,0,1]
	v_pk_fma_f32 v[110:111], v[112:113], v[110:111], v[114:115] neg_lo:[0,0,1] neg_hi:[0,0,1]
	v_mov_b32_e32 v111, v117
	s_delay_alu instid0(VALU_DEP_1)
	v_pk_add_f32 v[106:107], v[106:107], v[110:111]
	s_and_not1_b32 exec_lo, exec_lo, s2
	s_cbranch_execnz .LBB50_32
; %bb.33:
	s_or_b32 exec_lo, exec_lo, s2
.LBB50_34:
	s_delay_alu instid0(SALU_CYCLE_1) | instskip(SKIP_4) | instid1(VALU_DEP_1)
	s_or_b32 exec_lo, exec_lo, s30
	v_mov_b32_e32 v108, 0
	ds_load_b64 v[108:109], v108 offset:376
	s_wait_dscnt 0x0
	v_pk_mul_f32 v[110:111], v[106:107], v[108:109] op_sel:[1,1] op_sel_hi:[0,1]
	v_pk_fma_f32 v[112:113], v[106:107], v[108:109], v[110:111] op_sel_hi:[1,0,1]
	v_pk_fma_f32 v[106:107], v[106:107], v[108:109], v[110:111] neg_lo:[0,0,1] neg_hi:[0,0,1]
	s_delay_alu instid0(VALU_DEP_2)
	v_mov_b32_e32 v107, v113
	scratch_store_b64 off, v[106:107], off offset:376
.LBB50_35:
	s_wait_xcnt 0x0
	s_or_b32 exec_lo, exec_lo, s0
	scratch_load_b64 v[106:107], off, off offset:368
	v_cmp_lt_u32_e64 s0, 46, v0
	s_wait_loadcnt 0x0
	ds_store_b64 v1, v[106:107]
	s_wait_storecnt_dscnt 0x0
	s_barrier_signal -1
	s_barrier_wait -1
	s_wait_xcnt 0x0
	s_and_saveexec_b32 s2, s0
	s_cbranch_execz .LBB50_45
; %bb.36:
	s_and_not1_b32 vcc_lo, exec_lo, s3
	s_cbranch_vccnz .LBB50_38
; %bb.37:
	scratch_load_b64 v[106:107], v51, off
	ds_load_b64 v[108:109], v1
	s_wait_loadcnt_dscnt 0x0
	v_pk_mul_f32 v[110:111], v[108:109], v[106:107] op_sel:[1,1] op_sel_hi:[0,1]
	s_delay_alu instid0(VALU_DEP_1) | instskip(SKIP_1) | instid1(VALU_DEP_2)
	v_pk_fma_f32 v[112:113], v[108:109], v[106:107], v[110:111] op_sel_hi:[1,0,1]
	v_pk_fma_f32 v[106:107], v[108:109], v[106:107], v[110:111] neg_lo:[0,0,1] neg_hi:[0,0,1]
	v_mov_b32_e32 v107, v113
	s_cbranch_execz .LBB50_39
	s_branch .LBB50_40
.LBB50_38:
                                        ; implicit-def: $vgpr106_vgpr107
.LBB50_39:
	ds_load_b64 v[106:107], v1
.LBB50_40:
	s_and_saveexec_b32 s29, s1
	s_cbranch_execz .LBB50_44
; %bb.41:
	v_subrev_nc_u32_e32 v108, 47, v0
	s_movk_i32 s1, 0x178
	s_movk_i32 s31, 0x318
	s_mov_b32 s30, 0
.LBB50_42:                              ; =>This Inner Loop Header: Depth=1
	scratch_load_b64 v[110:111], off, s1
	v_dual_mov_b32 v109, s31 :: v_dual_add_nc_u32 v108, -1, v108
	s_add_co_i32 s31, s31, 8
	s_wait_xcnt 0x0
	s_add_co_i32 s1, s1, 8
	ds_load_b64 v[112:113], v109
	v_cmp_eq_u32_e32 vcc_lo, 0, v108
	s_or_b32 s30, vcc_lo, s30
	s_wait_loadcnt_dscnt 0x0
	v_pk_mul_f32 v[114:115], v[112:113], v[110:111] op_sel:[1,1] op_sel_hi:[0,1]
	s_delay_alu instid0(VALU_DEP_1) | instskip(SKIP_1) | instid1(VALU_DEP_2)
	v_pk_fma_f32 v[116:117], v[112:113], v[110:111], v[114:115] op_sel_hi:[1,0,1]
	v_pk_fma_f32 v[110:111], v[112:113], v[110:111], v[114:115] neg_lo:[0,0,1] neg_hi:[0,0,1]
	v_mov_b32_e32 v111, v117
	s_delay_alu instid0(VALU_DEP_1)
	v_pk_add_f32 v[106:107], v[106:107], v[110:111]
	s_and_not1_b32 exec_lo, exec_lo, s30
	s_cbranch_execnz .LBB50_42
; %bb.43:
	s_or_b32 exec_lo, exec_lo, s30
.LBB50_44:
	s_delay_alu instid0(SALU_CYCLE_1) | instskip(SKIP_4) | instid1(VALU_DEP_1)
	s_or_b32 exec_lo, exec_lo, s29
	v_mov_b32_e32 v108, 0
	ds_load_b64 v[108:109], v108 offset:368
	s_wait_dscnt 0x0
	v_pk_mul_f32 v[110:111], v[106:107], v[108:109] op_sel:[1,1] op_sel_hi:[0,1]
	v_pk_fma_f32 v[112:113], v[106:107], v[108:109], v[110:111] op_sel_hi:[1,0,1]
	v_pk_fma_f32 v[106:107], v[106:107], v[108:109], v[110:111] neg_lo:[0,0,1] neg_hi:[0,0,1]
	s_delay_alu instid0(VALU_DEP_2)
	v_mov_b32_e32 v107, v113
	scratch_store_b64 off, v[106:107], off offset:368
.LBB50_45:
	s_wait_xcnt 0x0
	s_or_b32 exec_lo, exec_lo, s2
	scratch_load_b64 v[106:107], off, off offset:360
	v_cmp_lt_u32_e64 s1, 45, v0
	s_wait_loadcnt 0x0
	ds_store_b64 v1, v[106:107]
	s_wait_storecnt_dscnt 0x0
	s_barrier_signal -1
	s_barrier_wait -1
	s_wait_xcnt 0x0
	s_and_saveexec_b32 s2, s1
	s_cbranch_execz .LBB50_55
; %bb.46:
	s_and_not1_b32 vcc_lo, exec_lo, s3
	s_cbranch_vccnz .LBB50_48
; %bb.47:
	scratch_load_b64 v[106:107], v51, off
	ds_load_b64 v[108:109], v1
	s_wait_loadcnt_dscnt 0x0
	v_pk_mul_f32 v[110:111], v[108:109], v[106:107] op_sel:[1,1] op_sel_hi:[0,1]
	s_delay_alu instid0(VALU_DEP_1) | instskip(SKIP_1) | instid1(VALU_DEP_2)
	v_pk_fma_f32 v[112:113], v[108:109], v[106:107], v[110:111] op_sel_hi:[1,0,1]
	v_pk_fma_f32 v[106:107], v[108:109], v[106:107], v[110:111] neg_lo:[0,0,1] neg_hi:[0,0,1]
	v_mov_b32_e32 v107, v113
	s_cbranch_execz .LBB50_49
	s_branch .LBB50_50
.LBB50_48:
                                        ; implicit-def: $vgpr106_vgpr107
.LBB50_49:
	ds_load_b64 v[106:107], v1
.LBB50_50:
	s_and_saveexec_b32 s29, s0
	s_cbranch_execz .LBB50_54
; %bb.51:
	v_subrev_nc_u32_e32 v108, 46, v0
	s_movk_i32 s30, 0x310
	s_mov_b32 s0, 0
.LBB50_52:                              ; =>This Inner Loop Header: Depth=1
	scratch_load_b64 v[110:111], off, s28
	v_dual_mov_b32 v109, s30 :: v_dual_add_nc_u32 v108, -1, v108
	s_add_co_i32 s30, s30, 8
	s_wait_xcnt 0x0
	s_add_co_i32 s28, s28, 8
	ds_load_b64 v[112:113], v109
	v_cmp_eq_u32_e32 vcc_lo, 0, v108
	s_or_b32 s0, vcc_lo, s0
	s_wait_loadcnt_dscnt 0x0
	v_pk_mul_f32 v[114:115], v[112:113], v[110:111] op_sel:[1,1] op_sel_hi:[0,1]
	s_delay_alu instid0(VALU_DEP_1) | instskip(SKIP_1) | instid1(VALU_DEP_2)
	v_pk_fma_f32 v[116:117], v[112:113], v[110:111], v[114:115] op_sel_hi:[1,0,1]
	v_pk_fma_f32 v[110:111], v[112:113], v[110:111], v[114:115] neg_lo:[0,0,1] neg_hi:[0,0,1]
	v_mov_b32_e32 v111, v117
	s_delay_alu instid0(VALU_DEP_1)
	v_pk_add_f32 v[106:107], v[106:107], v[110:111]
	s_and_not1_b32 exec_lo, exec_lo, s0
	s_cbranch_execnz .LBB50_52
; %bb.53:
	s_or_b32 exec_lo, exec_lo, s0
.LBB50_54:
	s_delay_alu instid0(SALU_CYCLE_1) | instskip(SKIP_4) | instid1(VALU_DEP_1)
	s_or_b32 exec_lo, exec_lo, s29
	v_mov_b32_e32 v108, 0
	ds_load_b64 v[108:109], v108 offset:360
	s_wait_dscnt 0x0
	v_pk_mul_f32 v[110:111], v[106:107], v[108:109] op_sel:[1,1] op_sel_hi:[0,1]
	v_pk_fma_f32 v[112:113], v[106:107], v[108:109], v[110:111] op_sel_hi:[1,0,1]
	v_pk_fma_f32 v[106:107], v[106:107], v[108:109], v[110:111] neg_lo:[0,0,1] neg_hi:[0,0,1]
	s_delay_alu instid0(VALU_DEP_2)
	v_mov_b32_e32 v107, v113
	scratch_store_b64 off, v[106:107], off offset:360
.LBB50_55:
	s_wait_xcnt 0x0
	s_or_b32 exec_lo, exec_lo, s2
	scratch_load_b64 v[106:107], off, off offset:352
	v_cmp_lt_u32_e64 s0, 44, v0
	s_wait_loadcnt 0x0
	ds_store_b64 v1, v[106:107]
	s_wait_storecnt_dscnt 0x0
	s_barrier_signal -1
	s_barrier_wait -1
	s_wait_xcnt 0x0
	s_and_saveexec_b32 s2, s0
	s_cbranch_execz .LBB50_65
; %bb.56:
	s_and_not1_b32 vcc_lo, exec_lo, s3
	s_cbranch_vccnz .LBB50_58
; %bb.57:
	scratch_load_b64 v[106:107], v51, off
	ds_load_b64 v[108:109], v1
	s_wait_loadcnt_dscnt 0x0
	v_pk_mul_f32 v[110:111], v[108:109], v[106:107] op_sel:[1,1] op_sel_hi:[0,1]
	s_delay_alu instid0(VALU_DEP_1) | instskip(SKIP_1) | instid1(VALU_DEP_2)
	v_pk_fma_f32 v[112:113], v[108:109], v[106:107], v[110:111] op_sel_hi:[1,0,1]
	v_pk_fma_f32 v[106:107], v[108:109], v[106:107], v[110:111] neg_lo:[0,0,1] neg_hi:[0,0,1]
	v_mov_b32_e32 v107, v113
	s_cbranch_execz .LBB50_59
	s_branch .LBB50_60
.LBB50_58:
                                        ; implicit-def: $vgpr106_vgpr107
.LBB50_59:
	ds_load_b64 v[106:107], v1
.LBB50_60:
	s_and_saveexec_b32 s28, s1
	s_cbranch_execz .LBB50_64
; %bb.61:
	v_subrev_nc_u32_e32 v108, 45, v0
	s_movk_i32 s1, 0x168
	s_movk_i32 s30, 0x308
	s_mov_b32 s29, 0
.LBB50_62:                              ; =>This Inner Loop Header: Depth=1
	scratch_load_b64 v[110:111], off, s1
	v_dual_mov_b32 v109, s30 :: v_dual_add_nc_u32 v108, -1, v108
	s_add_co_i32 s30, s30, 8
	s_wait_xcnt 0x0
	s_add_co_i32 s1, s1, 8
	ds_load_b64 v[112:113], v109
	v_cmp_eq_u32_e32 vcc_lo, 0, v108
	s_or_b32 s29, vcc_lo, s29
	s_wait_loadcnt_dscnt 0x0
	v_pk_mul_f32 v[114:115], v[112:113], v[110:111] op_sel:[1,1] op_sel_hi:[0,1]
	s_delay_alu instid0(VALU_DEP_1) | instskip(SKIP_1) | instid1(VALU_DEP_2)
	v_pk_fma_f32 v[116:117], v[112:113], v[110:111], v[114:115] op_sel_hi:[1,0,1]
	v_pk_fma_f32 v[110:111], v[112:113], v[110:111], v[114:115] neg_lo:[0,0,1] neg_hi:[0,0,1]
	v_mov_b32_e32 v111, v117
	s_delay_alu instid0(VALU_DEP_1)
	v_pk_add_f32 v[106:107], v[106:107], v[110:111]
	s_and_not1_b32 exec_lo, exec_lo, s29
	s_cbranch_execnz .LBB50_62
; %bb.63:
	s_or_b32 exec_lo, exec_lo, s29
.LBB50_64:
	s_delay_alu instid0(SALU_CYCLE_1) | instskip(SKIP_4) | instid1(VALU_DEP_1)
	s_or_b32 exec_lo, exec_lo, s28
	v_mov_b32_e32 v108, 0
	ds_load_b64 v[108:109], v108 offset:352
	s_wait_dscnt 0x0
	v_pk_mul_f32 v[110:111], v[106:107], v[108:109] op_sel:[1,1] op_sel_hi:[0,1]
	v_pk_fma_f32 v[112:113], v[106:107], v[108:109], v[110:111] op_sel_hi:[1,0,1]
	v_pk_fma_f32 v[106:107], v[106:107], v[108:109], v[110:111] neg_lo:[0,0,1] neg_hi:[0,0,1]
	s_delay_alu instid0(VALU_DEP_2)
	v_mov_b32_e32 v107, v113
	scratch_store_b64 off, v[106:107], off offset:352
.LBB50_65:
	s_wait_xcnt 0x0
	s_or_b32 exec_lo, exec_lo, s2
	scratch_load_b64 v[106:107], off, off offset:344
	v_cmp_lt_u32_e64 s1, 43, v0
	s_wait_loadcnt 0x0
	ds_store_b64 v1, v[106:107]
	s_wait_storecnt_dscnt 0x0
	s_barrier_signal -1
	s_barrier_wait -1
	s_wait_xcnt 0x0
	s_and_saveexec_b32 s2, s1
	s_cbranch_execz .LBB50_75
; %bb.66:
	s_and_not1_b32 vcc_lo, exec_lo, s3
	s_cbranch_vccnz .LBB50_68
; %bb.67:
	scratch_load_b64 v[106:107], v51, off
	ds_load_b64 v[108:109], v1
	s_wait_loadcnt_dscnt 0x0
	v_pk_mul_f32 v[110:111], v[108:109], v[106:107] op_sel:[1,1] op_sel_hi:[0,1]
	s_delay_alu instid0(VALU_DEP_1) | instskip(SKIP_1) | instid1(VALU_DEP_2)
	v_pk_fma_f32 v[112:113], v[108:109], v[106:107], v[110:111] op_sel_hi:[1,0,1]
	v_pk_fma_f32 v[106:107], v[108:109], v[106:107], v[110:111] neg_lo:[0,0,1] neg_hi:[0,0,1]
	v_mov_b32_e32 v107, v113
	s_cbranch_execz .LBB50_69
	s_branch .LBB50_70
.LBB50_68:
                                        ; implicit-def: $vgpr106_vgpr107
.LBB50_69:
	ds_load_b64 v[106:107], v1
.LBB50_70:
	s_and_saveexec_b32 s28, s0
	s_cbranch_execz .LBB50_74
; %bb.71:
	v_subrev_nc_u32_e32 v108, 44, v0
	s_movk_i32 s29, 0x300
	s_mov_b32 s0, 0
.LBB50_72:                              ; =>This Inner Loop Header: Depth=1
	scratch_load_b64 v[110:111], off, s27
	v_dual_mov_b32 v109, s29 :: v_dual_add_nc_u32 v108, -1, v108
	s_add_co_i32 s29, s29, 8
	s_wait_xcnt 0x0
	s_add_co_i32 s27, s27, 8
	ds_load_b64 v[112:113], v109
	v_cmp_eq_u32_e32 vcc_lo, 0, v108
	s_or_b32 s0, vcc_lo, s0
	s_wait_loadcnt_dscnt 0x0
	v_pk_mul_f32 v[114:115], v[112:113], v[110:111] op_sel:[1,1] op_sel_hi:[0,1]
	s_delay_alu instid0(VALU_DEP_1) | instskip(SKIP_1) | instid1(VALU_DEP_2)
	v_pk_fma_f32 v[116:117], v[112:113], v[110:111], v[114:115] op_sel_hi:[1,0,1]
	v_pk_fma_f32 v[110:111], v[112:113], v[110:111], v[114:115] neg_lo:[0,0,1] neg_hi:[0,0,1]
	v_mov_b32_e32 v111, v117
	s_delay_alu instid0(VALU_DEP_1)
	v_pk_add_f32 v[106:107], v[106:107], v[110:111]
	s_and_not1_b32 exec_lo, exec_lo, s0
	s_cbranch_execnz .LBB50_72
; %bb.73:
	s_or_b32 exec_lo, exec_lo, s0
.LBB50_74:
	s_delay_alu instid0(SALU_CYCLE_1) | instskip(SKIP_4) | instid1(VALU_DEP_1)
	s_or_b32 exec_lo, exec_lo, s28
	v_mov_b32_e32 v108, 0
	ds_load_b64 v[108:109], v108 offset:344
	s_wait_dscnt 0x0
	v_pk_mul_f32 v[110:111], v[106:107], v[108:109] op_sel:[1,1] op_sel_hi:[0,1]
	v_pk_fma_f32 v[112:113], v[106:107], v[108:109], v[110:111] op_sel_hi:[1,0,1]
	v_pk_fma_f32 v[106:107], v[106:107], v[108:109], v[110:111] neg_lo:[0,0,1] neg_hi:[0,0,1]
	s_delay_alu instid0(VALU_DEP_2)
	v_mov_b32_e32 v107, v113
	scratch_store_b64 off, v[106:107], off offset:344
.LBB50_75:
	s_wait_xcnt 0x0
	s_or_b32 exec_lo, exec_lo, s2
	scratch_load_b64 v[106:107], off, off offset:336
	v_cmp_lt_u32_e64 s0, 42, v0
	s_wait_loadcnt 0x0
	ds_store_b64 v1, v[106:107]
	s_wait_storecnt_dscnt 0x0
	s_barrier_signal -1
	s_barrier_wait -1
	s_wait_xcnt 0x0
	s_and_saveexec_b32 s2, s0
	s_cbranch_execz .LBB50_85
; %bb.76:
	s_and_not1_b32 vcc_lo, exec_lo, s3
	s_cbranch_vccnz .LBB50_78
; %bb.77:
	scratch_load_b64 v[106:107], v51, off
	ds_load_b64 v[108:109], v1
	s_wait_loadcnt_dscnt 0x0
	v_pk_mul_f32 v[110:111], v[108:109], v[106:107] op_sel:[1,1] op_sel_hi:[0,1]
	s_delay_alu instid0(VALU_DEP_1) | instskip(SKIP_1) | instid1(VALU_DEP_2)
	v_pk_fma_f32 v[112:113], v[108:109], v[106:107], v[110:111] op_sel_hi:[1,0,1]
	v_pk_fma_f32 v[106:107], v[108:109], v[106:107], v[110:111] neg_lo:[0,0,1] neg_hi:[0,0,1]
	v_mov_b32_e32 v107, v113
	s_cbranch_execz .LBB50_79
	s_branch .LBB50_80
.LBB50_78:
                                        ; implicit-def: $vgpr106_vgpr107
.LBB50_79:
	ds_load_b64 v[106:107], v1
.LBB50_80:
	s_and_saveexec_b32 s27, s1
	s_cbranch_execz .LBB50_84
; %bb.81:
	v_subrev_nc_u32_e32 v108, 43, v0
	s_movk_i32 s1, 0x158
	s_movk_i32 s29, 0x2f8
	s_mov_b32 s28, 0
.LBB50_82:                              ; =>This Inner Loop Header: Depth=1
	scratch_load_b64 v[110:111], off, s1
	v_dual_mov_b32 v109, s29 :: v_dual_add_nc_u32 v108, -1, v108
	s_add_co_i32 s29, s29, 8
	s_wait_xcnt 0x0
	s_add_co_i32 s1, s1, 8
	ds_load_b64 v[112:113], v109
	v_cmp_eq_u32_e32 vcc_lo, 0, v108
	s_or_b32 s28, vcc_lo, s28
	s_wait_loadcnt_dscnt 0x0
	v_pk_mul_f32 v[114:115], v[112:113], v[110:111] op_sel:[1,1] op_sel_hi:[0,1]
	s_delay_alu instid0(VALU_DEP_1) | instskip(SKIP_1) | instid1(VALU_DEP_2)
	v_pk_fma_f32 v[116:117], v[112:113], v[110:111], v[114:115] op_sel_hi:[1,0,1]
	v_pk_fma_f32 v[110:111], v[112:113], v[110:111], v[114:115] neg_lo:[0,0,1] neg_hi:[0,0,1]
	v_mov_b32_e32 v111, v117
	s_delay_alu instid0(VALU_DEP_1)
	v_pk_add_f32 v[106:107], v[106:107], v[110:111]
	s_and_not1_b32 exec_lo, exec_lo, s28
	s_cbranch_execnz .LBB50_82
; %bb.83:
	s_or_b32 exec_lo, exec_lo, s28
.LBB50_84:
	s_delay_alu instid0(SALU_CYCLE_1) | instskip(SKIP_4) | instid1(VALU_DEP_1)
	s_or_b32 exec_lo, exec_lo, s27
	v_mov_b32_e32 v108, 0
	ds_load_b64 v[108:109], v108 offset:336
	s_wait_dscnt 0x0
	v_pk_mul_f32 v[110:111], v[106:107], v[108:109] op_sel:[1,1] op_sel_hi:[0,1]
	v_pk_fma_f32 v[112:113], v[106:107], v[108:109], v[110:111] op_sel_hi:[1,0,1]
	v_pk_fma_f32 v[106:107], v[106:107], v[108:109], v[110:111] neg_lo:[0,0,1] neg_hi:[0,0,1]
	s_delay_alu instid0(VALU_DEP_2)
	v_mov_b32_e32 v107, v113
	scratch_store_b64 off, v[106:107], off offset:336
.LBB50_85:
	s_wait_xcnt 0x0
	s_or_b32 exec_lo, exec_lo, s2
	scratch_load_b64 v[106:107], off, off offset:328
	v_cmp_lt_u32_e64 s1, 41, v0
	s_wait_loadcnt 0x0
	ds_store_b64 v1, v[106:107]
	s_wait_storecnt_dscnt 0x0
	s_barrier_signal -1
	s_barrier_wait -1
	s_wait_xcnt 0x0
	s_and_saveexec_b32 s2, s1
	s_cbranch_execz .LBB50_95
; %bb.86:
	s_and_not1_b32 vcc_lo, exec_lo, s3
	s_cbranch_vccnz .LBB50_88
; %bb.87:
	scratch_load_b64 v[106:107], v51, off
	ds_load_b64 v[108:109], v1
	s_wait_loadcnt_dscnt 0x0
	v_pk_mul_f32 v[110:111], v[108:109], v[106:107] op_sel:[1,1] op_sel_hi:[0,1]
	s_delay_alu instid0(VALU_DEP_1) | instskip(SKIP_1) | instid1(VALU_DEP_2)
	v_pk_fma_f32 v[112:113], v[108:109], v[106:107], v[110:111] op_sel_hi:[1,0,1]
	v_pk_fma_f32 v[106:107], v[108:109], v[106:107], v[110:111] neg_lo:[0,0,1] neg_hi:[0,0,1]
	v_mov_b32_e32 v107, v113
	s_cbranch_execz .LBB50_89
	s_branch .LBB50_90
.LBB50_88:
                                        ; implicit-def: $vgpr106_vgpr107
.LBB50_89:
	ds_load_b64 v[106:107], v1
.LBB50_90:
	s_and_saveexec_b32 s27, s0
	s_cbranch_execz .LBB50_94
; %bb.91:
	v_subrev_nc_u32_e32 v108, 42, v0
	s_movk_i32 s28, 0x2f0
	s_mov_b32 s0, 0
.LBB50_92:                              ; =>This Inner Loop Header: Depth=1
	scratch_load_b64 v[110:111], off, s26
	v_dual_mov_b32 v109, s28 :: v_dual_add_nc_u32 v108, -1, v108
	s_add_co_i32 s28, s28, 8
	s_wait_xcnt 0x0
	s_add_co_i32 s26, s26, 8
	ds_load_b64 v[112:113], v109
	v_cmp_eq_u32_e32 vcc_lo, 0, v108
	s_or_b32 s0, vcc_lo, s0
	s_wait_loadcnt_dscnt 0x0
	v_pk_mul_f32 v[114:115], v[112:113], v[110:111] op_sel:[1,1] op_sel_hi:[0,1]
	s_delay_alu instid0(VALU_DEP_1) | instskip(SKIP_1) | instid1(VALU_DEP_2)
	v_pk_fma_f32 v[116:117], v[112:113], v[110:111], v[114:115] op_sel_hi:[1,0,1]
	v_pk_fma_f32 v[110:111], v[112:113], v[110:111], v[114:115] neg_lo:[0,0,1] neg_hi:[0,0,1]
	v_mov_b32_e32 v111, v117
	s_delay_alu instid0(VALU_DEP_1)
	v_pk_add_f32 v[106:107], v[106:107], v[110:111]
	s_and_not1_b32 exec_lo, exec_lo, s0
	s_cbranch_execnz .LBB50_92
; %bb.93:
	s_or_b32 exec_lo, exec_lo, s0
.LBB50_94:
	s_delay_alu instid0(SALU_CYCLE_1) | instskip(SKIP_4) | instid1(VALU_DEP_1)
	s_or_b32 exec_lo, exec_lo, s27
	v_mov_b32_e32 v108, 0
	ds_load_b64 v[108:109], v108 offset:328
	s_wait_dscnt 0x0
	v_pk_mul_f32 v[110:111], v[106:107], v[108:109] op_sel:[1,1] op_sel_hi:[0,1]
	v_pk_fma_f32 v[112:113], v[106:107], v[108:109], v[110:111] op_sel_hi:[1,0,1]
	v_pk_fma_f32 v[106:107], v[106:107], v[108:109], v[110:111] neg_lo:[0,0,1] neg_hi:[0,0,1]
	s_delay_alu instid0(VALU_DEP_2)
	v_mov_b32_e32 v107, v113
	scratch_store_b64 off, v[106:107], off offset:328
.LBB50_95:
	s_wait_xcnt 0x0
	s_or_b32 exec_lo, exec_lo, s2
	scratch_load_b64 v[106:107], off, off offset:320
	v_cmp_lt_u32_e64 s0, 40, v0
	s_wait_loadcnt 0x0
	ds_store_b64 v1, v[106:107]
	s_wait_storecnt_dscnt 0x0
	s_barrier_signal -1
	s_barrier_wait -1
	s_wait_xcnt 0x0
	s_and_saveexec_b32 s2, s0
	s_cbranch_execz .LBB50_105
; %bb.96:
	s_and_not1_b32 vcc_lo, exec_lo, s3
	s_cbranch_vccnz .LBB50_98
; %bb.97:
	scratch_load_b64 v[106:107], v51, off
	ds_load_b64 v[108:109], v1
	s_wait_loadcnt_dscnt 0x0
	v_pk_mul_f32 v[110:111], v[108:109], v[106:107] op_sel:[1,1] op_sel_hi:[0,1]
	s_delay_alu instid0(VALU_DEP_1) | instskip(SKIP_1) | instid1(VALU_DEP_2)
	v_pk_fma_f32 v[112:113], v[108:109], v[106:107], v[110:111] op_sel_hi:[1,0,1]
	v_pk_fma_f32 v[106:107], v[108:109], v[106:107], v[110:111] neg_lo:[0,0,1] neg_hi:[0,0,1]
	v_mov_b32_e32 v107, v113
	s_cbranch_execz .LBB50_99
	s_branch .LBB50_100
.LBB50_98:
                                        ; implicit-def: $vgpr106_vgpr107
.LBB50_99:
	ds_load_b64 v[106:107], v1
.LBB50_100:
	s_and_saveexec_b32 s26, s1
	s_cbranch_execz .LBB50_104
; %bb.101:
	v_subrev_nc_u32_e32 v108, 41, v0
	s_movk_i32 s1, 0x148
	s_movk_i32 s28, 0x2e8
	s_mov_b32 s27, 0
.LBB50_102:                             ; =>This Inner Loop Header: Depth=1
	scratch_load_b64 v[110:111], off, s1
	v_dual_mov_b32 v109, s28 :: v_dual_add_nc_u32 v108, -1, v108
	s_add_co_i32 s28, s28, 8
	s_wait_xcnt 0x0
	s_add_co_i32 s1, s1, 8
	ds_load_b64 v[112:113], v109
	v_cmp_eq_u32_e32 vcc_lo, 0, v108
	s_or_b32 s27, vcc_lo, s27
	s_wait_loadcnt_dscnt 0x0
	v_pk_mul_f32 v[114:115], v[112:113], v[110:111] op_sel:[1,1] op_sel_hi:[0,1]
	s_delay_alu instid0(VALU_DEP_1) | instskip(SKIP_1) | instid1(VALU_DEP_2)
	v_pk_fma_f32 v[116:117], v[112:113], v[110:111], v[114:115] op_sel_hi:[1,0,1]
	v_pk_fma_f32 v[110:111], v[112:113], v[110:111], v[114:115] neg_lo:[0,0,1] neg_hi:[0,0,1]
	v_mov_b32_e32 v111, v117
	s_delay_alu instid0(VALU_DEP_1)
	v_pk_add_f32 v[106:107], v[106:107], v[110:111]
	s_and_not1_b32 exec_lo, exec_lo, s27
	s_cbranch_execnz .LBB50_102
; %bb.103:
	s_or_b32 exec_lo, exec_lo, s27
.LBB50_104:
	s_delay_alu instid0(SALU_CYCLE_1) | instskip(SKIP_4) | instid1(VALU_DEP_1)
	s_or_b32 exec_lo, exec_lo, s26
	v_mov_b32_e32 v108, 0
	ds_load_b64 v[108:109], v108 offset:320
	s_wait_dscnt 0x0
	v_pk_mul_f32 v[110:111], v[106:107], v[108:109] op_sel:[1,1] op_sel_hi:[0,1]
	v_pk_fma_f32 v[112:113], v[106:107], v[108:109], v[110:111] op_sel_hi:[1,0,1]
	v_pk_fma_f32 v[106:107], v[106:107], v[108:109], v[110:111] neg_lo:[0,0,1] neg_hi:[0,0,1]
	s_delay_alu instid0(VALU_DEP_2)
	v_mov_b32_e32 v107, v113
	scratch_store_b64 off, v[106:107], off offset:320
.LBB50_105:
	s_wait_xcnt 0x0
	s_or_b32 exec_lo, exec_lo, s2
	scratch_load_b64 v[106:107], off, off offset:312
	v_cmp_lt_u32_e64 s1, 39, v0
	s_wait_loadcnt 0x0
	ds_store_b64 v1, v[106:107]
	s_wait_storecnt_dscnt 0x0
	s_barrier_signal -1
	s_barrier_wait -1
	s_wait_xcnt 0x0
	s_and_saveexec_b32 s2, s1
	s_cbranch_execz .LBB50_115
; %bb.106:
	s_and_not1_b32 vcc_lo, exec_lo, s3
	s_cbranch_vccnz .LBB50_108
; %bb.107:
	scratch_load_b64 v[106:107], v51, off
	ds_load_b64 v[108:109], v1
	s_wait_loadcnt_dscnt 0x0
	v_pk_mul_f32 v[110:111], v[108:109], v[106:107] op_sel:[1,1] op_sel_hi:[0,1]
	s_delay_alu instid0(VALU_DEP_1) | instskip(SKIP_1) | instid1(VALU_DEP_2)
	v_pk_fma_f32 v[112:113], v[108:109], v[106:107], v[110:111] op_sel_hi:[1,0,1]
	v_pk_fma_f32 v[106:107], v[108:109], v[106:107], v[110:111] neg_lo:[0,0,1] neg_hi:[0,0,1]
	v_mov_b32_e32 v107, v113
	s_cbranch_execz .LBB50_109
	s_branch .LBB50_110
.LBB50_108:
                                        ; implicit-def: $vgpr106_vgpr107
.LBB50_109:
	ds_load_b64 v[106:107], v1
.LBB50_110:
	s_and_saveexec_b32 s26, s0
	s_cbranch_execz .LBB50_114
; %bb.111:
	v_subrev_nc_u32_e32 v108, 40, v0
	s_movk_i32 s27, 0x2e0
	s_mov_b32 s0, 0
.LBB50_112:                             ; =>This Inner Loop Header: Depth=1
	scratch_load_b64 v[110:111], off, s25
	v_dual_mov_b32 v109, s27 :: v_dual_add_nc_u32 v108, -1, v108
	s_add_co_i32 s27, s27, 8
	s_wait_xcnt 0x0
	s_add_co_i32 s25, s25, 8
	ds_load_b64 v[112:113], v109
	v_cmp_eq_u32_e32 vcc_lo, 0, v108
	s_or_b32 s0, vcc_lo, s0
	s_wait_loadcnt_dscnt 0x0
	v_pk_mul_f32 v[114:115], v[112:113], v[110:111] op_sel:[1,1] op_sel_hi:[0,1]
	s_delay_alu instid0(VALU_DEP_1) | instskip(SKIP_1) | instid1(VALU_DEP_2)
	v_pk_fma_f32 v[116:117], v[112:113], v[110:111], v[114:115] op_sel_hi:[1,0,1]
	v_pk_fma_f32 v[110:111], v[112:113], v[110:111], v[114:115] neg_lo:[0,0,1] neg_hi:[0,0,1]
	v_mov_b32_e32 v111, v117
	s_delay_alu instid0(VALU_DEP_1)
	v_pk_add_f32 v[106:107], v[106:107], v[110:111]
	s_and_not1_b32 exec_lo, exec_lo, s0
	s_cbranch_execnz .LBB50_112
; %bb.113:
	s_or_b32 exec_lo, exec_lo, s0
.LBB50_114:
	s_delay_alu instid0(SALU_CYCLE_1) | instskip(SKIP_4) | instid1(VALU_DEP_1)
	s_or_b32 exec_lo, exec_lo, s26
	v_mov_b32_e32 v108, 0
	ds_load_b64 v[108:109], v108 offset:312
	s_wait_dscnt 0x0
	v_pk_mul_f32 v[110:111], v[106:107], v[108:109] op_sel:[1,1] op_sel_hi:[0,1]
	v_pk_fma_f32 v[112:113], v[106:107], v[108:109], v[110:111] op_sel_hi:[1,0,1]
	v_pk_fma_f32 v[106:107], v[106:107], v[108:109], v[110:111] neg_lo:[0,0,1] neg_hi:[0,0,1]
	s_delay_alu instid0(VALU_DEP_2)
	v_mov_b32_e32 v107, v113
	scratch_store_b64 off, v[106:107], off offset:312
.LBB50_115:
	s_wait_xcnt 0x0
	s_or_b32 exec_lo, exec_lo, s2
	scratch_load_b64 v[106:107], off, off offset:304
	v_cmp_lt_u32_e64 s0, 38, v0
	s_wait_loadcnt 0x0
	ds_store_b64 v1, v[106:107]
	s_wait_storecnt_dscnt 0x0
	s_barrier_signal -1
	s_barrier_wait -1
	s_wait_xcnt 0x0
	s_and_saveexec_b32 s2, s0
	s_cbranch_execz .LBB50_125
; %bb.116:
	s_and_not1_b32 vcc_lo, exec_lo, s3
	s_cbranch_vccnz .LBB50_118
; %bb.117:
	scratch_load_b64 v[106:107], v51, off
	ds_load_b64 v[108:109], v1
	s_wait_loadcnt_dscnt 0x0
	v_pk_mul_f32 v[110:111], v[108:109], v[106:107] op_sel:[1,1] op_sel_hi:[0,1]
	s_delay_alu instid0(VALU_DEP_1) | instskip(SKIP_1) | instid1(VALU_DEP_2)
	v_pk_fma_f32 v[112:113], v[108:109], v[106:107], v[110:111] op_sel_hi:[1,0,1]
	v_pk_fma_f32 v[106:107], v[108:109], v[106:107], v[110:111] neg_lo:[0,0,1] neg_hi:[0,0,1]
	v_mov_b32_e32 v107, v113
	s_cbranch_execz .LBB50_119
	s_branch .LBB50_120
.LBB50_118:
                                        ; implicit-def: $vgpr106_vgpr107
.LBB50_119:
	ds_load_b64 v[106:107], v1
.LBB50_120:
	s_and_saveexec_b32 s25, s1
	s_cbranch_execz .LBB50_124
; %bb.121:
	v_subrev_nc_u32_e32 v108, 39, v0
	s_movk_i32 s1, 0x138
	s_movk_i32 s27, 0x2d8
	s_mov_b32 s26, 0
.LBB50_122:                             ; =>This Inner Loop Header: Depth=1
	scratch_load_b64 v[110:111], off, s1
	v_dual_mov_b32 v109, s27 :: v_dual_add_nc_u32 v108, -1, v108
	s_add_co_i32 s27, s27, 8
	s_wait_xcnt 0x0
	s_add_co_i32 s1, s1, 8
	ds_load_b64 v[112:113], v109
	v_cmp_eq_u32_e32 vcc_lo, 0, v108
	s_or_b32 s26, vcc_lo, s26
	s_wait_loadcnt_dscnt 0x0
	v_pk_mul_f32 v[114:115], v[112:113], v[110:111] op_sel:[1,1] op_sel_hi:[0,1]
	s_delay_alu instid0(VALU_DEP_1) | instskip(SKIP_1) | instid1(VALU_DEP_2)
	v_pk_fma_f32 v[116:117], v[112:113], v[110:111], v[114:115] op_sel_hi:[1,0,1]
	v_pk_fma_f32 v[110:111], v[112:113], v[110:111], v[114:115] neg_lo:[0,0,1] neg_hi:[0,0,1]
	v_mov_b32_e32 v111, v117
	s_delay_alu instid0(VALU_DEP_1)
	v_pk_add_f32 v[106:107], v[106:107], v[110:111]
	s_and_not1_b32 exec_lo, exec_lo, s26
	s_cbranch_execnz .LBB50_122
; %bb.123:
	s_or_b32 exec_lo, exec_lo, s26
.LBB50_124:
	s_delay_alu instid0(SALU_CYCLE_1) | instskip(SKIP_4) | instid1(VALU_DEP_1)
	s_or_b32 exec_lo, exec_lo, s25
	v_mov_b32_e32 v108, 0
	ds_load_b64 v[108:109], v108 offset:304
	s_wait_dscnt 0x0
	v_pk_mul_f32 v[110:111], v[106:107], v[108:109] op_sel:[1,1] op_sel_hi:[0,1]
	v_pk_fma_f32 v[112:113], v[106:107], v[108:109], v[110:111] op_sel_hi:[1,0,1]
	v_pk_fma_f32 v[106:107], v[106:107], v[108:109], v[110:111] neg_lo:[0,0,1] neg_hi:[0,0,1]
	s_delay_alu instid0(VALU_DEP_2)
	v_mov_b32_e32 v107, v113
	scratch_store_b64 off, v[106:107], off offset:304
.LBB50_125:
	s_wait_xcnt 0x0
	s_or_b32 exec_lo, exec_lo, s2
	scratch_load_b64 v[106:107], off, off offset:296
	v_cmp_lt_u32_e64 s1, 37, v0
	s_wait_loadcnt 0x0
	ds_store_b64 v1, v[106:107]
	s_wait_storecnt_dscnt 0x0
	s_barrier_signal -1
	s_barrier_wait -1
	s_wait_xcnt 0x0
	s_and_saveexec_b32 s2, s1
	s_cbranch_execz .LBB50_135
; %bb.126:
	s_and_not1_b32 vcc_lo, exec_lo, s3
	s_cbranch_vccnz .LBB50_128
; %bb.127:
	scratch_load_b64 v[106:107], v51, off
	ds_load_b64 v[108:109], v1
	s_wait_loadcnt_dscnt 0x0
	v_pk_mul_f32 v[110:111], v[108:109], v[106:107] op_sel:[1,1] op_sel_hi:[0,1]
	s_delay_alu instid0(VALU_DEP_1) | instskip(SKIP_1) | instid1(VALU_DEP_2)
	v_pk_fma_f32 v[112:113], v[108:109], v[106:107], v[110:111] op_sel_hi:[1,0,1]
	v_pk_fma_f32 v[106:107], v[108:109], v[106:107], v[110:111] neg_lo:[0,0,1] neg_hi:[0,0,1]
	v_mov_b32_e32 v107, v113
	s_cbranch_execz .LBB50_129
	s_branch .LBB50_130
.LBB50_128:
                                        ; implicit-def: $vgpr106_vgpr107
.LBB50_129:
	ds_load_b64 v[106:107], v1
.LBB50_130:
	s_and_saveexec_b32 s25, s0
	s_cbranch_execz .LBB50_134
; %bb.131:
	v_subrev_nc_u32_e32 v108, 38, v0
	s_movk_i32 s26, 0x2d0
	s_mov_b32 s0, 0
.LBB50_132:                             ; =>This Inner Loop Header: Depth=1
	scratch_load_b64 v[110:111], off, s24
	v_dual_mov_b32 v109, s26 :: v_dual_add_nc_u32 v108, -1, v108
	s_add_co_i32 s26, s26, 8
	s_wait_xcnt 0x0
	s_add_co_i32 s24, s24, 8
	ds_load_b64 v[112:113], v109
	v_cmp_eq_u32_e32 vcc_lo, 0, v108
	s_or_b32 s0, vcc_lo, s0
	s_wait_loadcnt_dscnt 0x0
	v_pk_mul_f32 v[114:115], v[112:113], v[110:111] op_sel:[1,1] op_sel_hi:[0,1]
	s_delay_alu instid0(VALU_DEP_1) | instskip(SKIP_1) | instid1(VALU_DEP_2)
	v_pk_fma_f32 v[116:117], v[112:113], v[110:111], v[114:115] op_sel_hi:[1,0,1]
	v_pk_fma_f32 v[110:111], v[112:113], v[110:111], v[114:115] neg_lo:[0,0,1] neg_hi:[0,0,1]
	v_mov_b32_e32 v111, v117
	s_delay_alu instid0(VALU_DEP_1)
	v_pk_add_f32 v[106:107], v[106:107], v[110:111]
	s_and_not1_b32 exec_lo, exec_lo, s0
	s_cbranch_execnz .LBB50_132
; %bb.133:
	s_or_b32 exec_lo, exec_lo, s0
.LBB50_134:
	s_delay_alu instid0(SALU_CYCLE_1) | instskip(SKIP_4) | instid1(VALU_DEP_1)
	s_or_b32 exec_lo, exec_lo, s25
	v_mov_b32_e32 v108, 0
	ds_load_b64 v[108:109], v108 offset:296
	s_wait_dscnt 0x0
	v_pk_mul_f32 v[110:111], v[106:107], v[108:109] op_sel:[1,1] op_sel_hi:[0,1]
	v_pk_fma_f32 v[112:113], v[106:107], v[108:109], v[110:111] op_sel_hi:[1,0,1]
	v_pk_fma_f32 v[106:107], v[106:107], v[108:109], v[110:111] neg_lo:[0,0,1] neg_hi:[0,0,1]
	s_delay_alu instid0(VALU_DEP_2)
	v_mov_b32_e32 v107, v113
	scratch_store_b64 off, v[106:107], off offset:296
.LBB50_135:
	s_wait_xcnt 0x0
	s_or_b32 exec_lo, exec_lo, s2
	scratch_load_b64 v[106:107], off, off offset:288
	v_cmp_lt_u32_e64 s0, 36, v0
	s_wait_loadcnt 0x0
	ds_store_b64 v1, v[106:107]
	s_wait_storecnt_dscnt 0x0
	s_barrier_signal -1
	s_barrier_wait -1
	s_wait_xcnt 0x0
	s_and_saveexec_b32 s2, s0
	s_cbranch_execz .LBB50_145
; %bb.136:
	s_and_not1_b32 vcc_lo, exec_lo, s3
	s_cbranch_vccnz .LBB50_138
; %bb.137:
	scratch_load_b64 v[106:107], v51, off
	ds_load_b64 v[108:109], v1
	s_wait_loadcnt_dscnt 0x0
	v_pk_mul_f32 v[110:111], v[108:109], v[106:107] op_sel:[1,1] op_sel_hi:[0,1]
	s_delay_alu instid0(VALU_DEP_1) | instskip(SKIP_1) | instid1(VALU_DEP_2)
	v_pk_fma_f32 v[112:113], v[108:109], v[106:107], v[110:111] op_sel_hi:[1,0,1]
	v_pk_fma_f32 v[106:107], v[108:109], v[106:107], v[110:111] neg_lo:[0,0,1] neg_hi:[0,0,1]
	v_mov_b32_e32 v107, v113
	s_cbranch_execz .LBB50_139
	s_branch .LBB50_140
.LBB50_138:
                                        ; implicit-def: $vgpr106_vgpr107
.LBB50_139:
	ds_load_b64 v[106:107], v1
.LBB50_140:
	s_and_saveexec_b32 s24, s1
	s_cbranch_execz .LBB50_144
; %bb.141:
	v_subrev_nc_u32_e32 v108, 37, v0
	s_movk_i32 s1, 0x128
	s_movk_i32 s26, 0x2c8
	s_mov_b32 s25, 0
.LBB50_142:                             ; =>This Inner Loop Header: Depth=1
	scratch_load_b64 v[110:111], off, s1
	v_dual_mov_b32 v109, s26 :: v_dual_add_nc_u32 v108, -1, v108
	s_add_co_i32 s26, s26, 8
	s_wait_xcnt 0x0
	s_add_co_i32 s1, s1, 8
	ds_load_b64 v[112:113], v109
	v_cmp_eq_u32_e32 vcc_lo, 0, v108
	s_or_b32 s25, vcc_lo, s25
	s_wait_loadcnt_dscnt 0x0
	v_pk_mul_f32 v[114:115], v[112:113], v[110:111] op_sel:[1,1] op_sel_hi:[0,1]
	s_delay_alu instid0(VALU_DEP_1) | instskip(SKIP_1) | instid1(VALU_DEP_2)
	v_pk_fma_f32 v[116:117], v[112:113], v[110:111], v[114:115] op_sel_hi:[1,0,1]
	v_pk_fma_f32 v[110:111], v[112:113], v[110:111], v[114:115] neg_lo:[0,0,1] neg_hi:[0,0,1]
	v_mov_b32_e32 v111, v117
	s_delay_alu instid0(VALU_DEP_1)
	v_pk_add_f32 v[106:107], v[106:107], v[110:111]
	s_and_not1_b32 exec_lo, exec_lo, s25
	s_cbranch_execnz .LBB50_142
; %bb.143:
	s_or_b32 exec_lo, exec_lo, s25
.LBB50_144:
	s_delay_alu instid0(SALU_CYCLE_1) | instskip(SKIP_4) | instid1(VALU_DEP_1)
	s_or_b32 exec_lo, exec_lo, s24
	v_mov_b32_e32 v108, 0
	ds_load_b64 v[108:109], v108 offset:288
	s_wait_dscnt 0x0
	v_pk_mul_f32 v[110:111], v[106:107], v[108:109] op_sel:[1,1] op_sel_hi:[0,1]
	v_pk_fma_f32 v[112:113], v[106:107], v[108:109], v[110:111] op_sel_hi:[1,0,1]
	v_pk_fma_f32 v[106:107], v[106:107], v[108:109], v[110:111] neg_lo:[0,0,1] neg_hi:[0,0,1]
	s_delay_alu instid0(VALU_DEP_2)
	v_mov_b32_e32 v107, v113
	scratch_store_b64 off, v[106:107], off offset:288
.LBB50_145:
	s_wait_xcnt 0x0
	s_or_b32 exec_lo, exec_lo, s2
	scratch_load_b64 v[106:107], off, off offset:280
	v_cmp_lt_u32_e64 s1, 35, v0
	s_wait_loadcnt 0x0
	ds_store_b64 v1, v[106:107]
	s_wait_storecnt_dscnt 0x0
	s_barrier_signal -1
	s_barrier_wait -1
	s_wait_xcnt 0x0
	s_and_saveexec_b32 s2, s1
	s_cbranch_execz .LBB50_155
; %bb.146:
	s_and_not1_b32 vcc_lo, exec_lo, s3
	s_cbranch_vccnz .LBB50_148
; %bb.147:
	scratch_load_b64 v[106:107], v51, off
	ds_load_b64 v[108:109], v1
	s_wait_loadcnt_dscnt 0x0
	v_pk_mul_f32 v[110:111], v[108:109], v[106:107] op_sel:[1,1] op_sel_hi:[0,1]
	s_delay_alu instid0(VALU_DEP_1) | instskip(SKIP_1) | instid1(VALU_DEP_2)
	v_pk_fma_f32 v[112:113], v[108:109], v[106:107], v[110:111] op_sel_hi:[1,0,1]
	v_pk_fma_f32 v[106:107], v[108:109], v[106:107], v[110:111] neg_lo:[0,0,1] neg_hi:[0,0,1]
	v_mov_b32_e32 v107, v113
	s_cbranch_execz .LBB50_149
	s_branch .LBB50_150
.LBB50_148:
                                        ; implicit-def: $vgpr106_vgpr107
.LBB50_149:
	ds_load_b64 v[106:107], v1
.LBB50_150:
	s_and_saveexec_b32 s24, s0
	s_cbranch_execz .LBB50_154
; %bb.151:
	v_subrev_nc_u32_e32 v108, 36, v0
	s_movk_i32 s25, 0x2c0
	s_mov_b32 s0, 0
.LBB50_152:                             ; =>This Inner Loop Header: Depth=1
	scratch_load_b64 v[110:111], off, s23
	v_dual_mov_b32 v109, s25 :: v_dual_add_nc_u32 v108, -1, v108
	s_add_co_i32 s25, s25, 8
	s_wait_xcnt 0x0
	s_add_co_i32 s23, s23, 8
	ds_load_b64 v[112:113], v109
	v_cmp_eq_u32_e32 vcc_lo, 0, v108
	s_or_b32 s0, vcc_lo, s0
	s_wait_loadcnt_dscnt 0x0
	v_pk_mul_f32 v[114:115], v[112:113], v[110:111] op_sel:[1,1] op_sel_hi:[0,1]
	s_delay_alu instid0(VALU_DEP_1) | instskip(SKIP_1) | instid1(VALU_DEP_2)
	v_pk_fma_f32 v[116:117], v[112:113], v[110:111], v[114:115] op_sel_hi:[1,0,1]
	v_pk_fma_f32 v[110:111], v[112:113], v[110:111], v[114:115] neg_lo:[0,0,1] neg_hi:[0,0,1]
	v_mov_b32_e32 v111, v117
	s_delay_alu instid0(VALU_DEP_1)
	v_pk_add_f32 v[106:107], v[106:107], v[110:111]
	s_and_not1_b32 exec_lo, exec_lo, s0
	s_cbranch_execnz .LBB50_152
; %bb.153:
	s_or_b32 exec_lo, exec_lo, s0
.LBB50_154:
	s_delay_alu instid0(SALU_CYCLE_1) | instskip(SKIP_4) | instid1(VALU_DEP_1)
	s_or_b32 exec_lo, exec_lo, s24
	v_mov_b32_e32 v108, 0
	ds_load_b64 v[108:109], v108 offset:280
	s_wait_dscnt 0x0
	v_pk_mul_f32 v[110:111], v[106:107], v[108:109] op_sel:[1,1] op_sel_hi:[0,1]
	v_pk_fma_f32 v[112:113], v[106:107], v[108:109], v[110:111] op_sel_hi:[1,0,1]
	v_pk_fma_f32 v[106:107], v[106:107], v[108:109], v[110:111] neg_lo:[0,0,1] neg_hi:[0,0,1]
	s_delay_alu instid0(VALU_DEP_2)
	v_mov_b32_e32 v107, v113
	scratch_store_b64 off, v[106:107], off offset:280
.LBB50_155:
	s_wait_xcnt 0x0
	s_or_b32 exec_lo, exec_lo, s2
	scratch_load_b64 v[106:107], off, off offset:272
	v_cmp_lt_u32_e64 s0, 34, v0
	s_wait_loadcnt 0x0
	ds_store_b64 v1, v[106:107]
	s_wait_storecnt_dscnt 0x0
	s_barrier_signal -1
	s_barrier_wait -1
	s_wait_xcnt 0x0
	s_and_saveexec_b32 s2, s0
	s_cbranch_execz .LBB50_165
; %bb.156:
	s_and_not1_b32 vcc_lo, exec_lo, s3
	s_cbranch_vccnz .LBB50_158
; %bb.157:
	scratch_load_b64 v[106:107], v51, off
	ds_load_b64 v[108:109], v1
	s_wait_loadcnt_dscnt 0x0
	v_pk_mul_f32 v[110:111], v[108:109], v[106:107] op_sel:[1,1] op_sel_hi:[0,1]
	s_delay_alu instid0(VALU_DEP_1) | instskip(SKIP_1) | instid1(VALU_DEP_2)
	v_pk_fma_f32 v[112:113], v[108:109], v[106:107], v[110:111] op_sel_hi:[1,0,1]
	v_pk_fma_f32 v[106:107], v[108:109], v[106:107], v[110:111] neg_lo:[0,0,1] neg_hi:[0,0,1]
	v_mov_b32_e32 v107, v113
	s_cbranch_execz .LBB50_159
	s_branch .LBB50_160
.LBB50_158:
                                        ; implicit-def: $vgpr106_vgpr107
.LBB50_159:
	ds_load_b64 v[106:107], v1
.LBB50_160:
	s_and_saveexec_b32 s23, s1
	s_cbranch_execz .LBB50_164
; %bb.161:
	v_subrev_nc_u32_e32 v108, 35, v0
	s_movk_i32 s1, 0x118
	s_movk_i32 s25, 0x2b8
	s_mov_b32 s24, 0
.LBB50_162:                             ; =>This Inner Loop Header: Depth=1
	scratch_load_b64 v[110:111], off, s1
	v_dual_mov_b32 v109, s25 :: v_dual_add_nc_u32 v108, -1, v108
	s_add_co_i32 s25, s25, 8
	s_wait_xcnt 0x0
	s_add_co_i32 s1, s1, 8
	ds_load_b64 v[112:113], v109
	v_cmp_eq_u32_e32 vcc_lo, 0, v108
	s_or_b32 s24, vcc_lo, s24
	s_wait_loadcnt_dscnt 0x0
	v_pk_mul_f32 v[114:115], v[112:113], v[110:111] op_sel:[1,1] op_sel_hi:[0,1]
	s_delay_alu instid0(VALU_DEP_1) | instskip(SKIP_1) | instid1(VALU_DEP_2)
	v_pk_fma_f32 v[116:117], v[112:113], v[110:111], v[114:115] op_sel_hi:[1,0,1]
	v_pk_fma_f32 v[110:111], v[112:113], v[110:111], v[114:115] neg_lo:[0,0,1] neg_hi:[0,0,1]
	v_mov_b32_e32 v111, v117
	s_delay_alu instid0(VALU_DEP_1)
	v_pk_add_f32 v[106:107], v[106:107], v[110:111]
	s_and_not1_b32 exec_lo, exec_lo, s24
	s_cbranch_execnz .LBB50_162
; %bb.163:
	s_or_b32 exec_lo, exec_lo, s24
.LBB50_164:
	s_delay_alu instid0(SALU_CYCLE_1) | instskip(SKIP_4) | instid1(VALU_DEP_1)
	s_or_b32 exec_lo, exec_lo, s23
	v_mov_b32_e32 v108, 0
	ds_load_b64 v[108:109], v108 offset:272
	s_wait_dscnt 0x0
	v_pk_mul_f32 v[110:111], v[106:107], v[108:109] op_sel:[1,1] op_sel_hi:[0,1]
	v_pk_fma_f32 v[112:113], v[106:107], v[108:109], v[110:111] op_sel_hi:[1,0,1]
	v_pk_fma_f32 v[106:107], v[106:107], v[108:109], v[110:111] neg_lo:[0,0,1] neg_hi:[0,0,1]
	s_delay_alu instid0(VALU_DEP_2)
	v_mov_b32_e32 v107, v113
	scratch_store_b64 off, v[106:107], off offset:272
.LBB50_165:
	s_wait_xcnt 0x0
	s_or_b32 exec_lo, exec_lo, s2
	scratch_load_b64 v[106:107], off, off offset:264
	v_cmp_lt_u32_e64 s1, 33, v0
	s_wait_loadcnt 0x0
	ds_store_b64 v1, v[106:107]
	s_wait_storecnt_dscnt 0x0
	s_barrier_signal -1
	s_barrier_wait -1
	s_wait_xcnt 0x0
	s_and_saveexec_b32 s2, s1
	s_cbranch_execz .LBB50_175
; %bb.166:
	s_and_not1_b32 vcc_lo, exec_lo, s3
	s_cbranch_vccnz .LBB50_168
; %bb.167:
	scratch_load_b64 v[106:107], v51, off
	ds_load_b64 v[108:109], v1
	s_wait_loadcnt_dscnt 0x0
	v_pk_mul_f32 v[110:111], v[108:109], v[106:107] op_sel:[1,1] op_sel_hi:[0,1]
	s_delay_alu instid0(VALU_DEP_1) | instskip(SKIP_1) | instid1(VALU_DEP_2)
	v_pk_fma_f32 v[112:113], v[108:109], v[106:107], v[110:111] op_sel_hi:[1,0,1]
	v_pk_fma_f32 v[106:107], v[108:109], v[106:107], v[110:111] neg_lo:[0,0,1] neg_hi:[0,0,1]
	v_mov_b32_e32 v107, v113
	s_cbranch_execz .LBB50_169
	s_branch .LBB50_170
.LBB50_168:
                                        ; implicit-def: $vgpr106_vgpr107
.LBB50_169:
	ds_load_b64 v[106:107], v1
.LBB50_170:
	s_and_saveexec_b32 s23, s0
	s_cbranch_execz .LBB50_174
; %bb.171:
	v_subrev_nc_u32_e32 v108, 34, v0
	s_movk_i32 s24, 0x2b0
	s_mov_b32 s0, 0
.LBB50_172:                             ; =>This Inner Loop Header: Depth=1
	scratch_load_b64 v[110:111], off, s22
	v_dual_mov_b32 v109, s24 :: v_dual_add_nc_u32 v108, -1, v108
	s_add_co_i32 s24, s24, 8
	s_wait_xcnt 0x0
	s_add_co_i32 s22, s22, 8
	ds_load_b64 v[112:113], v109
	v_cmp_eq_u32_e32 vcc_lo, 0, v108
	s_or_b32 s0, vcc_lo, s0
	s_wait_loadcnt_dscnt 0x0
	v_pk_mul_f32 v[114:115], v[112:113], v[110:111] op_sel:[1,1] op_sel_hi:[0,1]
	s_delay_alu instid0(VALU_DEP_1) | instskip(SKIP_1) | instid1(VALU_DEP_2)
	v_pk_fma_f32 v[116:117], v[112:113], v[110:111], v[114:115] op_sel_hi:[1,0,1]
	v_pk_fma_f32 v[110:111], v[112:113], v[110:111], v[114:115] neg_lo:[0,0,1] neg_hi:[0,0,1]
	v_mov_b32_e32 v111, v117
	s_delay_alu instid0(VALU_DEP_1)
	v_pk_add_f32 v[106:107], v[106:107], v[110:111]
	s_and_not1_b32 exec_lo, exec_lo, s0
	s_cbranch_execnz .LBB50_172
; %bb.173:
	s_or_b32 exec_lo, exec_lo, s0
.LBB50_174:
	s_delay_alu instid0(SALU_CYCLE_1) | instskip(SKIP_4) | instid1(VALU_DEP_1)
	s_or_b32 exec_lo, exec_lo, s23
	v_mov_b32_e32 v108, 0
	ds_load_b64 v[108:109], v108 offset:264
	s_wait_dscnt 0x0
	v_pk_mul_f32 v[110:111], v[106:107], v[108:109] op_sel:[1,1] op_sel_hi:[0,1]
	v_pk_fma_f32 v[112:113], v[106:107], v[108:109], v[110:111] op_sel_hi:[1,0,1]
	v_pk_fma_f32 v[106:107], v[106:107], v[108:109], v[110:111] neg_lo:[0,0,1] neg_hi:[0,0,1]
	s_delay_alu instid0(VALU_DEP_2)
	v_mov_b32_e32 v107, v113
	scratch_store_b64 off, v[106:107], off offset:264
.LBB50_175:
	s_wait_xcnt 0x0
	s_or_b32 exec_lo, exec_lo, s2
	scratch_load_b64 v[106:107], off, off offset:256
	v_cmp_lt_u32_e64 s0, 32, v0
	s_wait_loadcnt 0x0
	ds_store_b64 v1, v[106:107]
	s_wait_storecnt_dscnt 0x0
	s_barrier_signal -1
	s_barrier_wait -1
	s_wait_xcnt 0x0
	s_and_saveexec_b32 s2, s0
	s_cbranch_execz .LBB50_185
; %bb.176:
	s_and_not1_b32 vcc_lo, exec_lo, s3
	s_cbranch_vccnz .LBB50_178
; %bb.177:
	scratch_load_b64 v[106:107], v51, off
	ds_load_b64 v[108:109], v1
	s_wait_loadcnt_dscnt 0x0
	v_pk_mul_f32 v[110:111], v[108:109], v[106:107] op_sel:[1,1] op_sel_hi:[0,1]
	s_delay_alu instid0(VALU_DEP_1) | instskip(SKIP_1) | instid1(VALU_DEP_2)
	v_pk_fma_f32 v[112:113], v[108:109], v[106:107], v[110:111] op_sel_hi:[1,0,1]
	v_pk_fma_f32 v[106:107], v[108:109], v[106:107], v[110:111] neg_lo:[0,0,1] neg_hi:[0,0,1]
	v_mov_b32_e32 v107, v113
	s_cbranch_execz .LBB50_179
	s_branch .LBB50_180
.LBB50_178:
                                        ; implicit-def: $vgpr106_vgpr107
.LBB50_179:
	ds_load_b64 v[106:107], v1
.LBB50_180:
	s_and_saveexec_b32 s22, s1
	s_cbranch_execz .LBB50_184
; %bb.181:
	v_subrev_nc_u32_e32 v108, 33, v0
	s_movk_i32 s1, 0x108
	s_movk_i32 s24, 0x2a8
	s_mov_b32 s23, 0
.LBB50_182:                             ; =>This Inner Loop Header: Depth=1
	scratch_load_b64 v[110:111], off, s1
	v_dual_mov_b32 v109, s24 :: v_dual_add_nc_u32 v108, -1, v108
	s_add_co_i32 s24, s24, 8
	s_wait_xcnt 0x0
	s_add_co_i32 s1, s1, 8
	ds_load_b64 v[112:113], v109
	v_cmp_eq_u32_e32 vcc_lo, 0, v108
	s_or_b32 s23, vcc_lo, s23
	s_wait_loadcnt_dscnt 0x0
	v_pk_mul_f32 v[114:115], v[112:113], v[110:111] op_sel:[1,1] op_sel_hi:[0,1]
	s_delay_alu instid0(VALU_DEP_1) | instskip(SKIP_1) | instid1(VALU_DEP_2)
	v_pk_fma_f32 v[116:117], v[112:113], v[110:111], v[114:115] op_sel_hi:[1,0,1]
	v_pk_fma_f32 v[110:111], v[112:113], v[110:111], v[114:115] neg_lo:[0,0,1] neg_hi:[0,0,1]
	v_mov_b32_e32 v111, v117
	s_delay_alu instid0(VALU_DEP_1)
	v_pk_add_f32 v[106:107], v[106:107], v[110:111]
	s_and_not1_b32 exec_lo, exec_lo, s23
	s_cbranch_execnz .LBB50_182
; %bb.183:
	s_or_b32 exec_lo, exec_lo, s23
.LBB50_184:
	s_delay_alu instid0(SALU_CYCLE_1) | instskip(SKIP_4) | instid1(VALU_DEP_1)
	s_or_b32 exec_lo, exec_lo, s22
	v_mov_b32_e32 v108, 0
	ds_load_b64 v[108:109], v108 offset:256
	s_wait_dscnt 0x0
	v_pk_mul_f32 v[110:111], v[106:107], v[108:109] op_sel:[1,1] op_sel_hi:[0,1]
	v_pk_fma_f32 v[112:113], v[106:107], v[108:109], v[110:111] op_sel_hi:[1,0,1]
	v_pk_fma_f32 v[106:107], v[106:107], v[108:109], v[110:111] neg_lo:[0,0,1] neg_hi:[0,0,1]
	s_delay_alu instid0(VALU_DEP_2)
	v_mov_b32_e32 v107, v113
	scratch_store_b64 off, v[106:107], off offset:256
.LBB50_185:
	s_wait_xcnt 0x0
	s_or_b32 exec_lo, exec_lo, s2
	scratch_load_b64 v[106:107], off, off offset:248
	v_cmp_lt_u32_e64 s1, 31, v0
	s_wait_loadcnt 0x0
	ds_store_b64 v1, v[106:107]
	s_wait_storecnt_dscnt 0x0
	s_barrier_signal -1
	s_barrier_wait -1
	s_wait_xcnt 0x0
	s_and_saveexec_b32 s2, s1
	s_cbranch_execz .LBB50_195
; %bb.186:
	s_and_not1_b32 vcc_lo, exec_lo, s3
	s_cbranch_vccnz .LBB50_188
; %bb.187:
	scratch_load_b64 v[106:107], v51, off
	ds_load_b64 v[108:109], v1
	s_wait_loadcnt_dscnt 0x0
	v_pk_mul_f32 v[110:111], v[108:109], v[106:107] op_sel:[1,1] op_sel_hi:[0,1]
	s_delay_alu instid0(VALU_DEP_1) | instskip(SKIP_1) | instid1(VALU_DEP_2)
	v_pk_fma_f32 v[112:113], v[108:109], v[106:107], v[110:111] op_sel_hi:[1,0,1]
	v_pk_fma_f32 v[106:107], v[108:109], v[106:107], v[110:111] neg_lo:[0,0,1] neg_hi:[0,0,1]
	v_mov_b32_e32 v107, v113
	s_cbranch_execz .LBB50_189
	s_branch .LBB50_190
.LBB50_188:
                                        ; implicit-def: $vgpr106_vgpr107
.LBB50_189:
	ds_load_b64 v[106:107], v1
.LBB50_190:
	s_and_saveexec_b32 s22, s0
	s_cbranch_execz .LBB50_194
; %bb.191:
	v_subrev_nc_u32_e32 v108, 32, v0
	s_movk_i32 s23, 0x2a0
	s_mov_b32 s0, 0
.LBB50_192:                             ; =>This Inner Loop Header: Depth=1
	scratch_load_b64 v[110:111], off, s21
	v_dual_mov_b32 v109, s23 :: v_dual_add_nc_u32 v108, -1, v108
	s_add_co_i32 s23, s23, 8
	s_wait_xcnt 0x0
	s_add_co_i32 s21, s21, 8
	ds_load_b64 v[112:113], v109
	v_cmp_eq_u32_e32 vcc_lo, 0, v108
	s_or_b32 s0, vcc_lo, s0
	s_wait_loadcnt_dscnt 0x0
	v_pk_mul_f32 v[114:115], v[112:113], v[110:111] op_sel:[1,1] op_sel_hi:[0,1]
	s_delay_alu instid0(VALU_DEP_1) | instskip(SKIP_1) | instid1(VALU_DEP_2)
	v_pk_fma_f32 v[116:117], v[112:113], v[110:111], v[114:115] op_sel_hi:[1,0,1]
	v_pk_fma_f32 v[110:111], v[112:113], v[110:111], v[114:115] neg_lo:[0,0,1] neg_hi:[0,0,1]
	v_mov_b32_e32 v111, v117
	s_delay_alu instid0(VALU_DEP_1)
	v_pk_add_f32 v[106:107], v[106:107], v[110:111]
	s_and_not1_b32 exec_lo, exec_lo, s0
	s_cbranch_execnz .LBB50_192
; %bb.193:
	s_or_b32 exec_lo, exec_lo, s0
.LBB50_194:
	s_delay_alu instid0(SALU_CYCLE_1) | instskip(SKIP_4) | instid1(VALU_DEP_1)
	s_or_b32 exec_lo, exec_lo, s22
	v_mov_b32_e32 v108, 0
	ds_load_b64 v[108:109], v108 offset:248
	s_wait_dscnt 0x0
	v_pk_mul_f32 v[110:111], v[106:107], v[108:109] op_sel:[1,1] op_sel_hi:[0,1]
	v_pk_fma_f32 v[112:113], v[106:107], v[108:109], v[110:111] op_sel_hi:[1,0,1]
	v_pk_fma_f32 v[106:107], v[106:107], v[108:109], v[110:111] neg_lo:[0,0,1] neg_hi:[0,0,1]
	s_delay_alu instid0(VALU_DEP_2)
	v_mov_b32_e32 v107, v113
	scratch_store_b64 off, v[106:107], off offset:248
.LBB50_195:
	s_wait_xcnt 0x0
	s_or_b32 exec_lo, exec_lo, s2
	scratch_load_b64 v[106:107], off, off offset:240
	v_cmp_lt_u32_e64 s0, 30, v0
	s_wait_loadcnt 0x0
	ds_store_b64 v1, v[106:107]
	s_wait_storecnt_dscnt 0x0
	s_barrier_signal -1
	s_barrier_wait -1
	s_wait_xcnt 0x0
	s_and_saveexec_b32 s2, s0
	s_cbranch_execz .LBB50_205
; %bb.196:
	s_and_not1_b32 vcc_lo, exec_lo, s3
	s_cbranch_vccnz .LBB50_198
; %bb.197:
	scratch_load_b64 v[106:107], v51, off
	ds_load_b64 v[108:109], v1
	s_wait_loadcnt_dscnt 0x0
	v_pk_mul_f32 v[110:111], v[108:109], v[106:107] op_sel:[1,1] op_sel_hi:[0,1]
	s_delay_alu instid0(VALU_DEP_1) | instskip(SKIP_1) | instid1(VALU_DEP_2)
	v_pk_fma_f32 v[112:113], v[108:109], v[106:107], v[110:111] op_sel_hi:[1,0,1]
	v_pk_fma_f32 v[106:107], v[108:109], v[106:107], v[110:111] neg_lo:[0,0,1] neg_hi:[0,0,1]
	v_mov_b32_e32 v107, v113
	s_cbranch_execz .LBB50_199
	s_branch .LBB50_200
.LBB50_198:
                                        ; implicit-def: $vgpr106_vgpr107
.LBB50_199:
	ds_load_b64 v[106:107], v1
.LBB50_200:
	s_and_saveexec_b32 s21, s1
	s_cbranch_execz .LBB50_204
; %bb.201:
	v_subrev_nc_u32_e32 v108, 31, v0
	s_movk_i32 s1, 0xf8
	s_movk_i32 s23, 0x298
	s_mov_b32 s22, 0
.LBB50_202:                             ; =>This Inner Loop Header: Depth=1
	scratch_load_b64 v[110:111], off, s1
	v_dual_mov_b32 v109, s23 :: v_dual_add_nc_u32 v108, -1, v108
	s_add_co_i32 s23, s23, 8
	s_wait_xcnt 0x0
	s_add_co_i32 s1, s1, 8
	ds_load_b64 v[112:113], v109
	v_cmp_eq_u32_e32 vcc_lo, 0, v108
	s_or_b32 s22, vcc_lo, s22
	s_wait_loadcnt_dscnt 0x0
	v_pk_mul_f32 v[114:115], v[112:113], v[110:111] op_sel:[1,1] op_sel_hi:[0,1]
	s_delay_alu instid0(VALU_DEP_1) | instskip(SKIP_1) | instid1(VALU_DEP_2)
	v_pk_fma_f32 v[116:117], v[112:113], v[110:111], v[114:115] op_sel_hi:[1,0,1]
	v_pk_fma_f32 v[110:111], v[112:113], v[110:111], v[114:115] neg_lo:[0,0,1] neg_hi:[0,0,1]
	v_mov_b32_e32 v111, v117
	s_delay_alu instid0(VALU_DEP_1)
	v_pk_add_f32 v[106:107], v[106:107], v[110:111]
	s_and_not1_b32 exec_lo, exec_lo, s22
	s_cbranch_execnz .LBB50_202
; %bb.203:
	s_or_b32 exec_lo, exec_lo, s22
.LBB50_204:
	s_delay_alu instid0(SALU_CYCLE_1) | instskip(SKIP_4) | instid1(VALU_DEP_1)
	s_or_b32 exec_lo, exec_lo, s21
	v_mov_b32_e32 v108, 0
	ds_load_b64 v[108:109], v108 offset:240
	s_wait_dscnt 0x0
	v_pk_mul_f32 v[110:111], v[106:107], v[108:109] op_sel:[1,1] op_sel_hi:[0,1]
	v_pk_fma_f32 v[112:113], v[106:107], v[108:109], v[110:111] op_sel_hi:[1,0,1]
	v_pk_fma_f32 v[106:107], v[106:107], v[108:109], v[110:111] neg_lo:[0,0,1] neg_hi:[0,0,1]
	s_delay_alu instid0(VALU_DEP_2)
	v_mov_b32_e32 v107, v113
	scratch_store_b64 off, v[106:107], off offset:240
.LBB50_205:
	s_wait_xcnt 0x0
	s_or_b32 exec_lo, exec_lo, s2
	scratch_load_b64 v[106:107], off, off offset:232
	v_cmp_lt_u32_e64 s1, 29, v0
	s_wait_loadcnt 0x0
	ds_store_b64 v1, v[106:107]
	s_wait_storecnt_dscnt 0x0
	s_barrier_signal -1
	s_barrier_wait -1
	s_wait_xcnt 0x0
	s_and_saveexec_b32 s2, s1
	s_cbranch_execz .LBB50_215
; %bb.206:
	s_and_not1_b32 vcc_lo, exec_lo, s3
	s_cbranch_vccnz .LBB50_208
; %bb.207:
	scratch_load_b64 v[106:107], v51, off
	ds_load_b64 v[108:109], v1
	s_wait_loadcnt_dscnt 0x0
	v_pk_mul_f32 v[110:111], v[108:109], v[106:107] op_sel:[1,1] op_sel_hi:[0,1]
	s_delay_alu instid0(VALU_DEP_1) | instskip(SKIP_1) | instid1(VALU_DEP_2)
	v_pk_fma_f32 v[112:113], v[108:109], v[106:107], v[110:111] op_sel_hi:[1,0,1]
	v_pk_fma_f32 v[106:107], v[108:109], v[106:107], v[110:111] neg_lo:[0,0,1] neg_hi:[0,0,1]
	v_mov_b32_e32 v107, v113
	s_cbranch_execz .LBB50_209
	s_branch .LBB50_210
.LBB50_208:
                                        ; implicit-def: $vgpr106_vgpr107
.LBB50_209:
	ds_load_b64 v[106:107], v1
.LBB50_210:
	s_and_saveexec_b32 s21, s0
	s_cbranch_execz .LBB50_214
; %bb.211:
	v_subrev_nc_u32_e32 v108, 30, v0
	s_movk_i32 s22, 0x290
	s_mov_b32 s0, 0
.LBB50_212:                             ; =>This Inner Loop Header: Depth=1
	scratch_load_b64 v[110:111], off, s20
	v_dual_mov_b32 v109, s22 :: v_dual_add_nc_u32 v108, -1, v108
	s_add_co_i32 s22, s22, 8
	s_wait_xcnt 0x0
	s_add_co_i32 s20, s20, 8
	ds_load_b64 v[112:113], v109
	v_cmp_eq_u32_e32 vcc_lo, 0, v108
	s_or_b32 s0, vcc_lo, s0
	s_wait_loadcnt_dscnt 0x0
	v_pk_mul_f32 v[114:115], v[112:113], v[110:111] op_sel:[1,1] op_sel_hi:[0,1]
	s_delay_alu instid0(VALU_DEP_1) | instskip(SKIP_1) | instid1(VALU_DEP_2)
	v_pk_fma_f32 v[116:117], v[112:113], v[110:111], v[114:115] op_sel_hi:[1,0,1]
	v_pk_fma_f32 v[110:111], v[112:113], v[110:111], v[114:115] neg_lo:[0,0,1] neg_hi:[0,0,1]
	v_mov_b32_e32 v111, v117
	s_delay_alu instid0(VALU_DEP_1)
	v_pk_add_f32 v[106:107], v[106:107], v[110:111]
	s_and_not1_b32 exec_lo, exec_lo, s0
	s_cbranch_execnz .LBB50_212
; %bb.213:
	s_or_b32 exec_lo, exec_lo, s0
.LBB50_214:
	s_delay_alu instid0(SALU_CYCLE_1) | instskip(SKIP_4) | instid1(VALU_DEP_1)
	s_or_b32 exec_lo, exec_lo, s21
	v_mov_b32_e32 v108, 0
	ds_load_b64 v[108:109], v108 offset:232
	s_wait_dscnt 0x0
	v_pk_mul_f32 v[110:111], v[106:107], v[108:109] op_sel:[1,1] op_sel_hi:[0,1]
	v_pk_fma_f32 v[112:113], v[106:107], v[108:109], v[110:111] op_sel_hi:[1,0,1]
	v_pk_fma_f32 v[106:107], v[106:107], v[108:109], v[110:111] neg_lo:[0,0,1] neg_hi:[0,0,1]
	s_delay_alu instid0(VALU_DEP_2)
	v_mov_b32_e32 v107, v113
	scratch_store_b64 off, v[106:107], off offset:232
.LBB50_215:
	s_wait_xcnt 0x0
	s_or_b32 exec_lo, exec_lo, s2
	scratch_load_b64 v[106:107], off, off offset:224
	v_cmp_lt_u32_e64 s0, 28, v0
	s_wait_loadcnt 0x0
	ds_store_b64 v1, v[106:107]
	s_wait_storecnt_dscnt 0x0
	s_barrier_signal -1
	s_barrier_wait -1
	s_wait_xcnt 0x0
	s_and_saveexec_b32 s2, s0
	s_cbranch_execz .LBB50_225
; %bb.216:
	s_and_not1_b32 vcc_lo, exec_lo, s3
	s_cbranch_vccnz .LBB50_218
; %bb.217:
	scratch_load_b64 v[106:107], v51, off
	ds_load_b64 v[108:109], v1
	s_wait_loadcnt_dscnt 0x0
	v_pk_mul_f32 v[110:111], v[108:109], v[106:107] op_sel:[1,1] op_sel_hi:[0,1]
	s_delay_alu instid0(VALU_DEP_1) | instskip(SKIP_1) | instid1(VALU_DEP_2)
	v_pk_fma_f32 v[112:113], v[108:109], v[106:107], v[110:111] op_sel_hi:[1,0,1]
	v_pk_fma_f32 v[106:107], v[108:109], v[106:107], v[110:111] neg_lo:[0,0,1] neg_hi:[0,0,1]
	v_mov_b32_e32 v107, v113
	s_cbranch_execz .LBB50_219
	s_branch .LBB50_220
.LBB50_218:
                                        ; implicit-def: $vgpr106_vgpr107
.LBB50_219:
	ds_load_b64 v[106:107], v1
.LBB50_220:
	s_and_saveexec_b32 s20, s1
	s_cbranch_execz .LBB50_224
; %bb.221:
	v_subrev_nc_u32_e32 v108, 29, v0
	s_movk_i32 s1, 0xe8
	s_movk_i32 s22, 0x288
	s_mov_b32 s21, 0
.LBB50_222:                             ; =>This Inner Loop Header: Depth=1
	scratch_load_b64 v[110:111], off, s1
	v_dual_mov_b32 v109, s22 :: v_dual_add_nc_u32 v108, -1, v108
	s_add_co_i32 s22, s22, 8
	s_wait_xcnt 0x0
	s_add_co_i32 s1, s1, 8
	ds_load_b64 v[112:113], v109
	v_cmp_eq_u32_e32 vcc_lo, 0, v108
	s_or_b32 s21, vcc_lo, s21
	s_wait_loadcnt_dscnt 0x0
	v_pk_mul_f32 v[114:115], v[112:113], v[110:111] op_sel:[1,1] op_sel_hi:[0,1]
	s_delay_alu instid0(VALU_DEP_1) | instskip(SKIP_1) | instid1(VALU_DEP_2)
	v_pk_fma_f32 v[116:117], v[112:113], v[110:111], v[114:115] op_sel_hi:[1,0,1]
	v_pk_fma_f32 v[110:111], v[112:113], v[110:111], v[114:115] neg_lo:[0,0,1] neg_hi:[0,0,1]
	v_mov_b32_e32 v111, v117
	s_delay_alu instid0(VALU_DEP_1)
	v_pk_add_f32 v[106:107], v[106:107], v[110:111]
	s_and_not1_b32 exec_lo, exec_lo, s21
	s_cbranch_execnz .LBB50_222
; %bb.223:
	s_or_b32 exec_lo, exec_lo, s21
.LBB50_224:
	s_delay_alu instid0(SALU_CYCLE_1) | instskip(SKIP_4) | instid1(VALU_DEP_1)
	s_or_b32 exec_lo, exec_lo, s20
	v_mov_b32_e32 v108, 0
	ds_load_b64 v[108:109], v108 offset:224
	s_wait_dscnt 0x0
	v_pk_mul_f32 v[110:111], v[106:107], v[108:109] op_sel:[1,1] op_sel_hi:[0,1]
	v_pk_fma_f32 v[112:113], v[106:107], v[108:109], v[110:111] op_sel_hi:[1,0,1]
	v_pk_fma_f32 v[106:107], v[106:107], v[108:109], v[110:111] neg_lo:[0,0,1] neg_hi:[0,0,1]
	s_delay_alu instid0(VALU_DEP_2)
	v_mov_b32_e32 v107, v113
	scratch_store_b64 off, v[106:107], off offset:224
.LBB50_225:
	s_wait_xcnt 0x0
	s_or_b32 exec_lo, exec_lo, s2
	scratch_load_b64 v[106:107], off, off offset:216
	v_cmp_lt_u32_e64 s1, 27, v0
	s_wait_loadcnt 0x0
	ds_store_b64 v1, v[106:107]
	s_wait_storecnt_dscnt 0x0
	s_barrier_signal -1
	s_barrier_wait -1
	s_wait_xcnt 0x0
	s_and_saveexec_b32 s2, s1
	s_cbranch_execz .LBB50_235
; %bb.226:
	s_and_not1_b32 vcc_lo, exec_lo, s3
	s_cbranch_vccnz .LBB50_228
; %bb.227:
	scratch_load_b64 v[106:107], v51, off
	ds_load_b64 v[108:109], v1
	s_wait_loadcnt_dscnt 0x0
	v_pk_mul_f32 v[110:111], v[108:109], v[106:107] op_sel:[1,1] op_sel_hi:[0,1]
	s_delay_alu instid0(VALU_DEP_1) | instskip(SKIP_1) | instid1(VALU_DEP_2)
	v_pk_fma_f32 v[112:113], v[108:109], v[106:107], v[110:111] op_sel_hi:[1,0,1]
	v_pk_fma_f32 v[106:107], v[108:109], v[106:107], v[110:111] neg_lo:[0,0,1] neg_hi:[0,0,1]
	v_mov_b32_e32 v107, v113
	s_cbranch_execz .LBB50_229
	s_branch .LBB50_230
.LBB50_228:
                                        ; implicit-def: $vgpr106_vgpr107
.LBB50_229:
	ds_load_b64 v[106:107], v1
.LBB50_230:
	s_and_saveexec_b32 s20, s0
	s_cbranch_execz .LBB50_234
; %bb.231:
	v_subrev_nc_u32_e32 v108, 28, v0
	s_movk_i32 s21, 0x280
	s_mov_b32 s0, 0
.LBB50_232:                             ; =>This Inner Loop Header: Depth=1
	scratch_load_b64 v[110:111], off, s19
	v_dual_mov_b32 v109, s21 :: v_dual_add_nc_u32 v108, -1, v108
	s_add_co_i32 s21, s21, 8
	s_wait_xcnt 0x0
	s_add_co_i32 s19, s19, 8
	ds_load_b64 v[112:113], v109
	v_cmp_eq_u32_e32 vcc_lo, 0, v108
	s_or_b32 s0, vcc_lo, s0
	s_wait_loadcnt_dscnt 0x0
	v_pk_mul_f32 v[114:115], v[112:113], v[110:111] op_sel:[1,1] op_sel_hi:[0,1]
	s_delay_alu instid0(VALU_DEP_1) | instskip(SKIP_1) | instid1(VALU_DEP_2)
	v_pk_fma_f32 v[116:117], v[112:113], v[110:111], v[114:115] op_sel_hi:[1,0,1]
	v_pk_fma_f32 v[110:111], v[112:113], v[110:111], v[114:115] neg_lo:[0,0,1] neg_hi:[0,0,1]
	v_mov_b32_e32 v111, v117
	s_delay_alu instid0(VALU_DEP_1)
	v_pk_add_f32 v[106:107], v[106:107], v[110:111]
	s_and_not1_b32 exec_lo, exec_lo, s0
	s_cbranch_execnz .LBB50_232
; %bb.233:
	s_or_b32 exec_lo, exec_lo, s0
.LBB50_234:
	s_delay_alu instid0(SALU_CYCLE_1) | instskip(SKIP_4) | instid1(VALU_DEP_1)
	s_or_b32 exec_lo, exec_lo, s20
	v_mov_b32_e32 v108, 0
	ds_load_b64 v[108:109], v108 offset:216
	s_wait_dscnt 0x0
	v_pk_mul_f32 v[110:111], v[106:107], v[108:109] op_sel:[1,1] op_sel_hi:[0,1]
	v_pk_fma_f32 v[112:113], v[106:107], v[108:109], v[110:111] op_sel_hi:[1,0,1]
	v_pk_fma_f32 v[106:107], v[106:107], v[108:109], v[110:111] neg_lo:[0,0,1] neg_hi:[0,0,1]
	s_delay_alu instid0(VALU_DEP_2)
	v_mov_b32_e32 v107, v113
	scratch_store_b64 off, v[106:107], off offset:216
.LBB50_235:
	s_wait_xcnt 0x0
	s_or_b32 exec_lo, exec_lo, s2
	scratch_load_b64 v[106:107], off, off offset:208
	v_cmp_lt_u32_e64 s0, 26, v0
	s_wait_loadcnt 0x0
	ds_store_b64 v1, v[106:107]
	s_wait_storecnt_dscnt 0x0
	s_barrier_signal -1
	s_barrier_wait -1
	s_wait_xcnt 0x0
	s_and_saveexec_b32 s2, s0
	s_cbranch_execz .LBB50_245
; %bb.236:
	s_and_not1_b32 vcc_lo, exec_lo, s3
	s_cbranch_vccnz .LBB50_238
; %bb.237:
	scratch_load_b64 v[106:107], v51, off
	ds_load_b64 v[108:109], v1
	s_wait_loadcnt_dscnt 0x0
	v_pk_mul_f32 v[110:111], v[108:109], v[106:107] op_sel:[1,1] op_sel_hi:[0,1]
	s_delay_alu instid0(VALU_DEP_1) | instskip(SKIP_1) | instid1(VALU_DEP_2)
	v_pk_fma_f32 v[112:113], v[108:109], v[106:107], v[110:111] op_sel_hi:[1,0,1]
	v_pk_fma_f32 v[106:107], v[108:109], v[106:107], v[110:111] neg_lo:[0,0,1] neg_hi:[0,0,1]
	v_mov_b32_e32 v107, v113
	s_cbranch_execz .LBB50_239
	s_branch .LBB50_240
.LBB50_238:
                                        ; implicit-def: $vgpr106_vgpr107
.LBB50_239:
	ds_load_b64 v[106:107], v1
.LBB50_240:
	s_and_saveexec_b32 s19, s1
	s_cbranch_execz .LBB50_244
; %bb.241:
	v_subrev_nc_u32_e32 v108, 27, v0
	s_movk_i32 s1, 0xd8
	s_movk_i32 s21, 0x278
	s_mov_b32 s20, 0
.LBB50_242:                             ; =>This Inner Loop Header: Depth=1
	scratch_load_b64 v[110:111], off, s1
	v_dual_mov_b32 v109, s21 :: v_dual_add_nc_u32 v108, -1, v108
	s_add_co_i32 s21, s21, 8
	s_wait_xcnt 0x0
	s_add_co_i32 s1, s1, 8
	ds_load_b64 v[112:113], v109
	v_cmp_eq_u32_e32 vcc_lo, 0, v108
	s_or_b32 s20, vcc_lo, s20
	s_wait_loadcnt_dscnt 0x0
	v_pk_mul_f32 v[114:115], v[112:113], v[110:111] op_sel:[1,1] op_sel_hi:[0,1]
	s_delay_alu instid0(VALU_DEP_1) | instskip(SKIP_1) | instid1(VALU_DEP_2)
	v_pk_fma_f32 v[116:117], v[112:113], v[110:111], v[114:115] op_sel_hi:[1,0,1]
	v_pk_fma_f32 v[110:111], v[112:113], v[110:111], v[114:115] neg_lo:[0,0,1] neg_hi:[0,0,1]
	v_mov_b32_e32 v111, v117
	s_delay_alu instid0(VALU_DEP_1)
	v_pk_add_f32 v[106:107], v[106:107], v[110:111]
	s_and_not1_b32 exec_lo, exec_lo, s20
	s_cbranch_execnz .LBB50_242
; %bb.243:
	s_or_b32 exec_lo, exec_lo, s20
.LBB50_244:
	s_delay_alu instid0(SALU_CYCLE_1) | instskip(SKIP_4) | instid1(VALU_DEP_1)
	s_or_b32 exec_lo, exec_lo, s19
	v_mov_b32_e32 v108, 0
	ds_load_b64 v[108:109], v108 offset:208
	s_wait_dscnt 0x0
	v_pk_mul_f32 v[110:111], v[106:107], v[108:109] op_sel:[1,1] op_sel_hi:[0,1]
	v_pk_fma_f32 v[112:113], v[106:107], v[108:109], v[110:111] op_sel_hi:[1,0,1]
	v_pk_fma_f32 v[106:107], v[106:107], v[108:109], v[110:111] neg_lo:[0,0,1] neg_hi:[0,0,1]
	s_delay_alu instid0(VALU_DEP_2)
	v_mov_b32_e32 v107, v113
	scratch_store_b64 off, v[106:107], off offset:208
.LBB50_245:
	s_wait_xcnt 0x0
	s_or_b32 exec_lo, exec_lo, s2
	scratch_load_b64 v[106:107], off, off offset:200
	v_cmp_lt_u32_e64 s1, 25, v0
	s_wait_loadcnt 0x0
	ds_store_b64 v1, v[106:107]
	s_wait_storecnt_dscnt 0x0
	s_barrier_signal -1
	s_barrier_wait -1
	s_wait_xcnt 0x0
	s_and_saveexec_b32 s2, s1
	s_cbranch_execz .LBB50_255
; %bb.246:
	s_and_not1_b32 vcc_lo, exec_lo, s3
	s_cbranch_vccnz .LBB50_248
; %bb.247:
	scratch_load_b64 v[106:107], v51, off
	ds_load_b64 v[108:109], v1
	s_wait_loadcnt_dscnt 0x0
	v_pk_mul_f32 v[110:111], v[108:109], v[106:107] op_sel:[1,1] op_sel_hi:[0,1]
	s_delay_alu instid0(VALU_DEP_1) | instskip(SKIP_1) | instid1(VALU_DEP_2)
	v_pk_fma_f32 v[112:113], v[108:109], v[106:107], v[110:111] op_sel_hi:[1,0,1]
	v_pk_fma_f32 v[106:107], v[108:109], v[106:107], v[110:111] neg_lo:[0,0,1] neg_hi:[0,0,1]
	v_mov_b32_e32 v107, v113
	s_cbranch_execz .LBB50_249
	s_branch .LBB50_250
.LBB50_248:
                                        ; implicit-def: $vgpr106_vgpr107
.LBB50_249:
	ds_load_b64 v[106:107], v1
.LBB50_250:
	s_and_saveexec_b32 s19, s0
	s_cbranch_execz .LBB50_254
; %bb.251:
	v_subrev_nc_u32_e32 v108, 26, v0
	s_movk_i32 s20, 0x270
	s_mov_b32 s0, 0
.LBB50_252:                             ; =>This Inner Loop Header: Depth=1
	scratch_load_b64 v[110:111], off, s18
	v_dual_mov_b32 v109, s20 :: v_dual_add_nc_u32 v108, -1, v108
	s_add_co_i32 s20, s20, 8
	s_wait_xcnt 0x0
	s_add_co_i32 s18, s18, 8
	ds_load_b64 v[112:113], v109
	v_cmp_eq_u32_e32 vcc_lo, 0, v108
	s_or_b32 s0, vcc_lo, s0
	s_wait_loadcnt_dscnt 0x0
	v_pk_mul_f32 v[114:115], v[112:113], v[110:111] op_sel:[1,1] op_sel_hi:[0,1]
	s_delay_alu instid0(VALU_DEP_1) | instskip(SKIP_1) | instid1(VALU_DEP_2)
	v_pk_fma_f32 v[116:117], v[112:113], v[110:111], v[114:115] op_sel_hi:[1,0,1]
	v_pk_fma_f32 v[110:111], v[112:113], v[110:111], v[114:115] neg_lo:[0,0,1] neg_hi:[0,0,1]
	v_mov_b32_e32 v111, v117
	s_delay_alu instid0(VALU_DEP_1)
	v_pk_add_f32 v[106:107], v[106:107], v[110:111]
	s_and_not1_b32 exec_lo, exec_lo, s0
	s_cbranch_execnz .LBB50_252
; %bb.253:
	s_or_b32 exec_lo, exec_lo, s0
.LBB50_254:
	s_delay_alu instid0(SALU_CYCLE_1) | instskip(SKIP_4) | instid1(VALU_DEP_1)
	s_or_b32 exec_lo, exec_lo, s19
	v_mov_b32_e32 v108, 0
	ds_load_b64 v[108:109], v108 offset:200
	s_wait_dscnt 0x0
	v_pk_mul_f32 v[110:111], v[106:107], v[108:109] op_sel:[1,1] op_sel_hi:[0,1]
	v_pk_fma_f32 v[112:113], v[106:107], v[108:109], v[110:111] op_sel_hi:[1,0,1]
	v_pk_fma_f32 v[106:107], v[106:107], v[108:109], v[110:111] neg_lo:[0,0,1] neg_hi:[0,0,1]
	s_delay_alu instid0(VALU_DEP_2)
	v_mov_b32_e32 v107, v113
	scratch_store_b64 off, v[106:107], off offset:200
.LBB50_255:
	s_wait_xcnt 0x0
	s_or_b32 exec_lo, exec_lo, s2
	scratch_load_b64 v[106:107], off, off offset:192
	v_cmp_lt_u32_e64 s0, 24, v0
	s_wait_loadcnt 0x0
	ds_store_b64 v1, v[106:107]
	s_wait_storecnt_dscnt 0x0
	s_barrier_signal -1
	s_barrier_wait -1
	s_wait_xcnt 0x0
	s_and_saveexec_b32 s2, s0
	s_cbranch_execz .LBB50_265
; %bb.256:
	s_and_not1_b32 vcc_lo, exec_lo, s3
	s_cbranch_vccnz .LBB50_258
; %bb.257:
	scratch_load_b64 v[106:107], v51, off
	ds_load_b64 v[108:109], v1
	s_wait_loadcnt_dscnt 0x0
	v_pk_mul_f32 v[110:111], v[108:109], v[106:107] op_sel:[1,1] op_sel_hi:[0,1]
	s_delay_alu instid0(VALU_DEP_1) | instskip(SKIP_1) | instid1(VALU_DEP_2)
	v_pk_fma_f32 v[112:113], v[108:109], v[106:107], v[110:111] op_sel_hi:[1,0,1]
	v_pk_fma_f32 v[106:107], v[108:109], v[106:107], v[110:111] neg_lo:[0,0,1] neg_hi:[0,0,1]
	v_mov_b32_e32 v107, v113
	s_cbranch_execz .LBB50_259
	s_branch .LBB50_260
.LBB50_258:
                                        ; implicit-def: $vgpr106_vgpr107
.LBB50_259:
	ds_load_b64 v[106:107], v1
.LBB50_260:
	s_and_saveexec_b32 s18, s1
	s_cbranch_execz .LBB50_264
; %bb.261:
	v_subrev_nc_u32_e32 v108, 25, v0
	s_movk_i32 s1, 0xc8
	s_movk_i32 s20, 0x268
	s_mov_b32 s19, 0
.LBB50_262:                             ; =>This Inner Loop Header: Depth=1
	scratch_load_b64 v[110:111], off, s1
	v_dual_mov_b32 v109, s20 :: v_dual_add_nc_u32 v108, -1, v108
	s_add_co_i32 s20, s20, 8
	s_wait_xcnt 0x0
	s_add_co_i32 s1, s1, 8
	ds_load_b64 v[112:113], v109
	v_cmp_eq_u32_e32 vcc_lo, 0, v108
	s_or_b32 s19, vcc_lo, s19
	s_wait_loadcnt_dscnt 0x0
	v_pk_mul_f32 v[114:115], v[112:113], v[110:111] op_sel:[1,1] op_sel_hi:[0,1]
	s_delay_alu instid0(VALU_DEP_1) | instskip(SKIP_1) | instid1(VALU_DEP_2)
	v_pk_fma_f32 v[116:117], v[112:113], v[110:111], v[114:115] op_sel_hi:[1,0,1]
	v_pk_fma_f32 v[110:111], v[112:113], v[110:111], v[114:115] neg_lo:[0,0,1] neg_hi:[0,0,1]
	v_mov_b32_e32 v111, v117
	s_delay_alu instid0(VALU_DEP_1)
	v_pk_add_f32 v[106:107], v[106:107], v[110:111]
	s_and_not1_b32 exec_lo, exec_lo, s19
	s_cbranch_execnz .LBB50_262
; %bb.263:
	s_or_b32 exec_lo, exec_lo, s19
.LBB50_264:
	s_delay_alu instid0(SALU_CYCLE_1) | instskip(SKIP_4) | instid1(VALU_DEP_1)
	s_or_b32 exec_lo, exec_lo, s18
	v_mov_b32_e32 v108, 0
	ds_load_b64 v[108:109], v108 offset:192
	s_wait_dscnt 0x0
	v_pk_mul_f32 v[110:111], v[106:107], v[108:109] op_sel:[1,1] op_sel_hi:[0,1]
	v_pk_fma_f32 v[112:113], v[106:107], v[108:109], v[110:111] op_sel_hi:[1,0,1]
	v_pk_fma_f32 v[106:107], v[106:107], v[108:109], v[110:111] neg_lo:[0,0,1] neg_hi:[0,0,1]
	s_delay_alu instid0(VALU_DEP_2)
	v_mov_b32_e32 v107, v113
	scratch_store_b64 off, v[106:107], off offset:192
.LBB50_265:
	s_wait_xcnt 0x0
	s_or_b32 exec_lo, exec_lo, s2
	scratch_load_b64 v[106:107], off, off offset:184
	v_cmp_lt_u32_e64 s1, 23, v0
	s_wait_loadcnt 0x0
	ds_store_b64 v1, v[106:107]
	s_wait_storecnt_dscnt 0x0
	s_barrier_signal -1
	s_barrier_wait -1
	s_wait_xcnt 0x0
	s_and_saveexec_b32 s2, s1
	s_cbranch_execz .LBB50_275
; %bb.266:
	s_and_not1_b32 vcc_lo, exec_lo, s3
	s_cbranch_vccnz .LBB50_268
; %bb.267:
	scratch_load_b64 v[106:107], v51, off
	ds_load_b64 v[108:109], v1
	s_wait_loadcnt_dscnt 0x0
	v_pk_mul_f32 v[110:111], v[108:109], v[106:107] op_sel:[1,1] op_sel_hi:[0,1]
	s_delay_alu instid0(VALU_DEP_1) | instskip(SKIP_1) | instid1(VALU_DEP_2)
	v_pk_fma_f32 v[112:113], v[108:109], v[106:107], v[110:111] op_sel_hi:[1,0,1]
	v_pk_fma_f32 v[106:107], v[108:109], v[106:107], v[110:111] neg_lo:[0,0,1] neg_hi:[0,0,1]
	v_mov_b32_e32 v107, v113
	s_cbranch_execz .LBB50_269
	s_branch .LBB50_270
.LBB50_268:
                                        ; implicit-def: $vgpr106_vgpr107
.LBB50_269:
	ds_load_b64 v[106:107], v1
.LBB50_270:
	s_and_saveexec_b32 s18, s0
	s_cbranch_execz .LBB50_274
; %bb.271:
	v_subrev_nc_u32_e32 v108, 24, v0
	s_movk_i32 s19, 0x260
	s_mov_b32 s0, 0
.LBB50_272:                             ; =>This Inner Loop Header: Depth=1
	scratch_load_b64 v[110:111], off, s17
	v_dual_mov_b32 v109, s19 :: v_dual_add_nc_u32 v108, -1, v108
	s_add_co_i32 s19, s19, 8
	s_wait_xcnt 0x0
	s_add_co_i32 s17, s17, 8
	ds_load_b64 v[112:113], v109
	v_cmp_eq_u32_e32 vcc_lo, 0, v108
	s_or_b32 s0, vcc_lo, s0
	s_wait_loadcnt_dscnt 0x0
	v_pk_mul_f32 v[114:115], v[112:113], v[110:111] op_sel:[1,1] op_sel_hi:[0,1]
	s_delay_alu instid0(VALU_DEP_1) | instskip(SKIP_1) | instid1(VALU_DEP_2)
	v_pk_fma_f32 v[116:117], v[112:113], v[110:111], v[114:115] op_sel_hi:[1,0,1]
	v_pk_fma_f32 v[110:111], v[112:113], v[110:111], v[114:115] neg_lo:[0,0,1] neg_hi:[0,0,1]
	v_mov_b32_e32 v111, v117
	s_delay_alu instid0(VALU_DEP_1)
	v_pk_add_f32 v[106:107], v[106:107], v[110:111]
	s_and_not1_b32 exec_lo, exec_lo, s0
	s_cbranch_execnz .LBB50_272
; %bb.273:
	s_or_b32 exec_lo, exec_lo, s0
.LBB50_274:
	s_delay_alu instid0(SALU_CYCLE_1) | instskip(SKIP_4) | instid1(VALU_DEP_1)
	s_or_b32 exec_lo, exec_lo, s18
	v_mov_b32_e32 v108, 0
	ds_load_b64 v[108:109], v108 offset:184
	s_wait_dscnt 0x0
	v_pk_mul_f32 v[110:111], v[106:107], v[108:109] op_sel:[1,1] op_sel_hi:[0,1]
	v_pk_fma_f32 v[112:113], v[106:107], v[108:109], v[110:111] op_sel_hi:[1,0,1]
	v_pk_fma_f32 v[106:107], v[106:107], v[108:109], v[110:111] neg_lo:[0,0,1] neg_hi:[0,0,1]
	s_delay_alu instid0(VALU_DEP_2)
	v_mov_b32_e32 v107, v113
	scratch_store_b64 off, v[106:107], off offset:184
.LBB50_275:
	s_wait_xcnt 0x0
	s_or_b32 exec_lo, exec_lo, s2
	scratch_load_b64 v[106:107], off, off offset:176
	v_cmp_lt_u32_e64 s0, 22, v0
	s_wait_loadcnt 0x0
	ds_store_b64 v1, v[106:107]
	s_wait_storecnt_dscnt 0x0
	s_barrier_signal -1
	s_barrier_wait -1
	s_wait_xcnt 0x0
	s_and_saveexec_b32 s2, s0
	s_cbranch_execz .LBB50_285
; %bb.276:
	s_and_not1_b32 vcc_lo, exec_lo, s3
	s_cbranch_vccnz .LBB50_278
; %bb.277:
	scratch_load_b64 v[106:107], v51, off
	ds_load_b64 v[108:109], v1
	s_wait_loadcnt_dscnt 0x0
	v_pk_mul_f32 v[110:111], v[108:109], v[106:107] op_sel:[1,1] op_sel_hi:[0,1]
	s_delay_alu instid0(VALU_DEP_1) | instskip(SKIP_1) | instid1(VALU_DEP_2)
	v_pk_fma_f32 v[112:113], v[108:109], v[106:107], v[110:111] op_sel_hi:[1,0,1]
	v_pk_fma_f32 v[106:107], v[108:109], v[106:107], v[110:111] neg_lo:[0,0,1] neg_hi:[0,0,1]
	v_mov_b32_e32 v107, v113
	s_cbranch_execz .LBB50_279
	s_branch .LBB50_280
.LBB50_278:
                                        ; implicit-def: $vgpr106_vgpr107
.LBB50_279:
	ds_load_b64 v[106:107], v1
.LBB50_280:
	s_and_saveexec_b32 s17, s1
	s_cbranch_execz .LBB50_284
; %bb.281:
	v_subrev_nc_u32_e32 v108, 23, v0
	s_movk_i32 s1, 0xb8
	s_movk_i32 s19, 0x258
	s_mov_b32 s18, 0
.LBB50_282:                             ; =>This Inner Loop Header: Depth=1
	scratch_load_b64 v[110:111], off, s1
	v_dual_mov_b32 v109, s19 :: v_dual_add_nc_u32 v108, -1, v108
	s_add_co_i32 s19, s19, 8
	s_wait_xcnt 0x0
	s_add_co_i32 s1, s1, 8
	ds_load_b64 v[112:113], v109
	v_cmp_eq_u32_e32 vcc_lo, 0, v108
	s_or_b32 s18, vcc_lo, s18
	s_wait_loadcnt_dscnt 0x0
	v_pk_mul_f32 v[114:115], v[112:113], v[110:111] op_sel:[1,1] op_sel_hi:[0,1]
	s_delay_alu instid0(VALU_DEP_1) | instskip(SKIP_1) | instid1(VALU_DEP_2)
	v_pk_fma_f32 v[116:117], v[112:113], v[110:111], v[114:115] op_sel_hi:[1,0,1]
	v_pk_fma_f32 v[110:111], v[112:113], v[110:111], v[114:115] neg_lo:[0,0,1] neg_hi:[0,0,1]
	v_mov_b32_e32 v111, v117
	s_delay_alu instid0(VALU_DEP_1)
	v_pk_add_f32 v[106:107], v[106:107], v[110:111]
	s_and_not1_b32 exec_lo, exec_lo, s18
	s_cbranch_execnz .LBB50_282
; %bb.283:
	s_or_b32 exec_lo, exec_lo, s18
.LBB50_284:
	s_delay_alu instid0(SALU_CYCLE_1) | instskip(SKIP_4) | instid1(VALU_DEP_1)
	s_or_b32 exec_lo, exec_lo, s17
	v_mov_b32_e32 v108, 0
	ds_load_b64 v[108:109], v108 offset:176
	s_wait_dscnt 0x0
	v_pk_mul_f32 v[110:111], v[106:107], v[108:109] op_sel:[1,1] op_sel_hi:[0,1]
	v_pk_fma_f32 v[112:113], v[106:107], v[108:109], v[110:111] op_sel_hi:[1,0,1]
	v_pk_fma_f32 v[106:107], v[106:107], v[108:109], v[110:111] neg_lo:[0,0,1] neg_hi:[0,0,1]
	s_delay_alu instid0(VALU_DEP_2)
	v_mov_b32_e32 v107, v113
	scratch_store_b64 off, v[106:107], off offset:176
.LBB50_285:
	s_wait_xcnt 0x0
	s_or_b32 exec_lo, exec_lo, s2
	scratch_load_b64 v[106:107], off, off offset:168
	v_cmp_lt_u32_e64 s1, 21, v0
	s_wait_loadcnt 0x0
	ds_store_b64 v1, v[106:107]
	s_wait_storecnt_dscnt 0x0
	s_barrier_signal -1
	s_barrier_wait -1
	s_wait_xcnt 0x0
	s_and_saveexec_b32 s2, s1
	s_cbranch_execz .LBB50_295
; %bb.286:
	s_and_not1_b32 vcc_lo, exec_lo, s3
	s_cbranch_vccnz .LBB50_288
; %bb.287:
	scratch_load_b64 v[106:107], v51, off
	ds_load_b64 v[108:109], v1
	s_wait_loadcnt_dscnt 0x0
	v_pk_mul_f32 v[110:111], v[108:109], v[106:107] op_sel:[1,1] op_sel_hi:[0,1]
	s_delay_alu instid0(VALU_DEP_1) | instskip(SKIP_1) | instid1(VALU_DEP_2)
	v_pk_fma_f32 v[112:113], v[108:109], v[106:107], v[110:111] op_sel_hi:[1,0,1]
	v_pk_fma_f32 v[106:107], v[108:109], v[106:107], v[110:111] neg_lo:[0,0,1] neg_hi:[0,0,1]
	v_mov_b32_e32 v107, v113
	s_cbranch_execz .LBB50_289
	s_branch .LBB50_290
.LBB50_288:
                                        ; implicit-def: $vgpr106_vgpr107
.LBB50_289:
	ds_load_b64 v[106:107], v1
.LBB50_290:
	s_and_saveexec_b32 s17, s0
	s_cbranch_execz .LBB50_294
; %bb.291:
	v_subrev_nc_u32_e32 v108, 22, v0
	s_movk_i32 s18, 0x250
	s_mov_b32 s0, 0
.LBB50_292:                             ; =>This Inner Loop Header: Depth=1
	scratch_load_b64 v[110:111], off, s16
	v_dual_mov_b32 v109, s18 :: v_dual_add_nc_u32 v108, -1, v108
	s_add_co_i32 s18, s18, 8
	s_wait_xcnt 0x0
	s_add_co_i32 s16, s16, 8
	ds_load_b64 v[112:113], v109
	v_cmp_eq_u32_e32 vcc_lo, 0, v108
	s_or_b32 s0, vcc_lo, s0
	s_wait_loadcnt_dscnt 0x0
	v_pk_mul_f32 v[114:115], v[112:113], v[110:111] op_sel:[1,1] op_sel_hi:[0,1]
	s_delay_alu instid0(VALU_DEP_1) | instskip(SKIP_1) | instid1(VALU_DEP_2)
	v_pk_fma_f32 v[116:117], v[112:113], v[110:111], v[114:115] op_sel_hi:[1,0,1]
	v_pk_fma_f32 v[110:111], v[112:113], v[110:111], v[114:115] neg_lo:[0,0,1] neg_hi:[0,0,1]
	v_mov_b32_e32 v111, v117
	s_delay_alu instid0(VALU_DEP_1)
	v_pk_add_f32 v[106:107], v[106:107], v[110:111]
	s_and_not1_b32 exec_lo, exec_lo, s0
	s_cbranch_execnz .LBB50_292
; %bb.293:
	s_or_b32 exec_lo, exec_lo, s0
.LBB50_294:
	s_delay_alu instid0(SALU_CYCLE_1) | instskip(SKIP_4) | instid1(VALU_DEP_1)
	s_or_b32 exec_lo, exec_lo, s17
	v_mov_b32_e32 v108, 0
	ds_load_b64 v[108:109], v108 offset:168
	s_wait_dscnt 0x0
	v_pk_mul_f32 v[110:111], v[106:107], v[108:109] op_sel:[1,1] op_sel_hi:[0,1]
	v_pk_fma_f32 v[112:113], v[106:107], v[108:109], v[110:111] op_sel_hi:[1,0,1]
	v_pk_fma_f32 v[106:107], v[106:107], v[108:109], v[110:111] neg_lo:[0,0,1] neg_hi:[0,0,1]
	s_delay_alu instid0(VALU_DEP_2)
	v_mov_b32_e32 v107, v113
	scratch_store_b64 off, v[106:107], off offset:168
.LBB50_295:
	s_wait_xcnt 0x0
	s_or_b32 exec_lo, exec_lo, s2
	scratch_load_b64 v[106:107], off, off offset:160
	v_cmp_lt_u32_e64 s0, 20, v0
	s_wait_loadcnt 0x0
	ds_store_b64 v1, v[106:107]
	s_wait_storecnt_dscnt 0x0
	s_barrier_signal -1
	s_barrier_wait -1
	s_wait_xcnt 0x0
	s_and_saveexec_b32 s2, s0
	s_cbranch_execz .LBB50_305
; %bb.296:
	s_and_not1_b32 vcc_lo, exec_lo, s3
	s_cbranch_vccnz .LBB50_298
; %bb.297:
	scratch_load_b64 v[106:107], v51, off
	ds_load_b64 v[108:109], v1
	s_wait_loadcnt_dscnt 0x0
	v_pk_mul_f32 v[110:111], v[108:109], v[106:107] op_sel:[1,1] op_sel_hi:[0,1]
	s_delay_alu instid0(VALU_DEP_1) | instskip(SKIP_1) | instid1(VALU_DEP_2)
	v_pk_fma_f32 v[112:113], v[108:109], v[106:107], v[110:111] op_sel_hi:[1,0,1]
	v_pk_fma_f32 v[106:107], v[108:109], v[106:107], v[110:111] neg_lo:[0,0,1] neg_hi:[0,0,1]
	v_mov_b32_e32 v107, v113
	s_cbranch_execz .LBB50_299
	s_branch .LBB50_300
.LBB50_298:
                                        ; implicit-def: $vgpr106_vgpr107
.LBB50_299:
	ds_load_b64 v[106:107], v1
.LBB50_300:
	s_and_saveexec_b32 s16, s1
	s_cbranch_execz .LBB50_304
; %bb.301:
	v_subrev_nc_u32_e32 v108, 21, v0
	s_movk_i32 s1, 0xa8
	s_movk_i32 s18, 0x248
	s_mov_b32 s17, 0
.LBB50_302:                             ; =>This Inner Loop Header: Depth=1
	scratch_load_b64 v[110:111], off, s1
	v_dual_mov_b32 v109, s18 :: v_dual_add_nc_u32 v108, -1, v108
	s_add_co_i32 s18, s18, 8
	s_wait_xcnt 0x0
	s_add_co_i32 s1, s1, 8
	ds_load_b64 v[112:113], v109
	v_cmp_eq_u32_e32 vcc_lo, 0, v108
	s_or_b32 s17, vcc_lo, s17
	s_wait_loadcnt_dscnt 0x0
	v_pk_mul_f32 v[114:115], v[112:113], v[110:111] op_sel:[1,1] op_sel_hi:[0,1]
	s_delay_alu instid0(VALU_DEP_1) | instskip(SKIP_1) | instid1(VALU_DEP_2)
	v_pk_fma_f32 v[116:117], v[112:113], v[110:111], v[114:115] op_sel_hi:[1,0,1]
	v_pk_fma_f32 v[110:111], v[112:113], v[110:111], v[114:115] neg_lo:[0,0,1] neg_hi:[0,0,1]
	v_mov_b32_e32 v111, v117
	s_delay_alu instid0(VALU_DEP_1)
	v_pk_add_f32 v[106:107], v[106:107], v[110:111]
	s_and_not1_b32 exec_lo, exec_lo, s17
	s_cbranch_execnz .LBB50_302
; %bb.303:
	s_or_b32 exec_lo, exec_lo, s17
.LBB50_304:
	s_delay_alu instid0(SALU_CYCLE_1) | instskip(SKIP_4) | instid1(VALU_DEP_1)
	s_or_b32 exec_lo, exec_lo, s16
	v_mov_b32_e32 v108, 0
	ds_load_b64 v[108:109], v108 offset:160
	s_wait_dscnt 0x0
	v_pk_mul_f32 v[110:111], v[106:107], v[108:109] op_sel:[1,1] op_sel_hi:[0,1]
	v_pk_fma_f32 v[112:113], v[106:107], v[108:109], v[110:111] op_sel_hi:[1,0,1]
	v_pk_fma_f32 v[106:107], v[106:107], v[108:109], v[110:111] neg_lo:[0,0,1] neg_hi:[0,0,1]
	s_delay_alu instid0(VALU_DEP_2)
	v_mov_b32_e32 v107, v113
	scratch_store_b64 off, v[106:107], off offset:160
.LBB50_305:
	s_wait_xcnt 0x0
	s_or_b32 exec_lo, exec_lo, s2
	scratch_load_b64 v[106:107], off, off offset:152
	v_cmp_lt_u32_e64 s1, 19, v0
	s_wait_loadcnt 0x0
	ds_store_b64 v1, v[106:107]
	s_wait_storecnt_dscnt 0x0
	s_barrier_signal -1
	s_barrier_wait -1
	s_wait_xcnt 0x0
	s_and_saveexec_b32 s2, s1
	s_cbranch_execz .LBB50_315
; %bb.306:
	s_and_not1_b32 vcc_lo, exec_lo, s3
	s_cbranch_vccnz .LBB50_308
; %bb.307:
	scratch_load_b64 v[106:107], v51, off
	ds_load_b64 v[108:109], v1
	s_wait_loadcnt_dscnt 0x0
	v_pk_mul_f32 v[110:111], v[108:109], v[106:107] op_sel:[1,1] op_sel_hi:[0,1]
	s_delay_alu instid0(VALU_DEP_1) | instskip(SKIP_1) | instid1(VALU_DEP_2)
	v_pk_fma_f32 v[112:113], v[108:109], v[106:107], v[110:111] op_sel_hi:[1,0,1]
	v_pk_fma_f32 v[106:107], v[108:109], v[106:107], v[110:111] neg_lo:[0,0,1] neg_hi:[0,0,1]
	v_mov_b32_e32 v107, v113
	s_cbranch_execz .LBB50_309
	s_branch .LBB50_310
.LBB50_308:
                                        ; implicit-def: $vgpr106_vgpr107
.LBB50_309:
	ds_load_b64 v[106:107], v1
.LBB50_310:
	s_and_saveexec_b32 s16, s0
	s_cbranch_execz .LBB50_314
; %bb.311:
	v_subrev_nc_u32_e32 v108, 20, v0
	s_movk_i32 s17, 0x240
	s_mov_b32 s0, 0
.LBB50_312:                             ; =>This Inner Loop Header: Depth=1
	scratch_load_b64 v[110:111], off, s15
	v_dual_mov_b32 v109, s17 :: v_dual_add_nc_u32 v108, -1, v108
	s_add_co_i32 s17, s17, 8
	s_wait_xcnt 0x0
	s_add_co_i32 s15, s15, 8
	ds_load_b64 v[112:113], v109
	v_cmp_eq_u32_e32 vcc_lo, 0, v108
	s_or_b32 s0, vcc_lo, s0
	s_wait_loadcnt_dscnt 0x0
	v_pk_mul_f32 v[114:115], v[112:113], v[110:111] op_sel:[1,1] op_sel_hi:[0,1]
	s_delay_alu instid0(VALU_DEP_1) | instskip(SKIP_1) | instid1(VALU_DEP_2)
	v_pk_fma_f32 v[116:117], v[112:113], v[110:111], v[114:115] op_sel_hi:[1,0,1]
	v_pk_fma_f32 v[110:111], v[112:113], v[110:111], v[114:115] neg_lo:[0,0,1] neg_hi:[0,0,1]
	v_mov_b32_e32 v111, v117
	s_delay_alu instid0(VALU_DEP_1)
	v_pk_add_f32 v[106:107], v[106:107], v[110:111]
	s_and_not1_b32 exec_lo, exec_lo, s0
	s_cbranch_execnz .LBB50_312
; %bb.313:
	s_or_b32 exec_lo, exec_lo, s0
.LBB50_314:
	s_delay_alu instid0(SALU_CYCLE_1) | instskip(SKIP_4) | instid1(VALU_DEP_1)
	s_or_b32 exec_lo, exec_lo, s16
	v_mov_b32_e32 v108, 0
	ds_load_b64 v[108:109], v108 offset:152
	s_wait_dscnt 0x0
	v_pk_mul_f32 v[110:111], v[106:107], v[108:109] op_sel:[1,1] op_sel_hi:[0,1]
	v_pk_fma_f32 v[112:113], v[106:107], v[108:109], v[110:111] op_sel_hi:[1,0,1]
	v_pk_fma_f32 v[106:107], v[106:107], v[108:109], v[110:111] neg_lo:[0,0,1] neg_hi:[0,0,1]
	s_delay_alu instid0(VALU_DEP_2)
	v_mov_b32_e32 v107, v113
	scratch_store_b64 off, v[106:107], off offset:152
.LBB50_315:
	s_wait_xcnt 0x0
	s_or_b32 exec_lo, exec_lo, s2
	scratch_load_b64 v[106:107], off, off offset:144
	v_cmp_lt_u32_e64 s0, 18, v0
	s_wait_loadcnt 0x0
	ds_store_b64 v1, v[106:107]
	s_wait_storecnt_dscnt 0x0
	s_barrier_signal -1
	s_barrier_wait -1
	s_wait_xcnt 0x0
	s_and_saveexec_b32 s2, s0
	s_cbranch_execz .LBB50_325
; %bb.316:
	s_and_not1_b32 vcc_lo, exec_lo, s3
	s_cbranch_vccnz .LBB50_318
; %bb.317:
	scratch_load_b64 v[106:107], v51, off
	ds_load_b64 v[108:109], v1
	s_wait_loadcnt_dscnt 0x0
	v_pk_mul_f32 v[110:111], v[108:109], v[106:107] op_sel:[1,1] op_sel_hi:[0,1]
	s_delay_alu instid0(VALU_DEP_1) | instskip(SKIP_1) | instid1(VALU_DEP_2)
	v_pk_fma_f32 v[112:113], v[108:109], v[106:107], v[110:111] op_sel_hi:[1,0,1]
	v_pk_fma_f32 v[106:107], v[108:109], v[106:107], v[110:111] neg_lo:[0,0,1] neg_hi:[0,0,1]
	v_mov_b32_e32 v107, v113
	s_cbranch_execz .LBB50_319
	s_branch .LBB50_320
.LBB50_318:
                                        ; implicit-def: $vgpr106_vgpr107
.LBB50_319:
	ds_load_b64 v[106:107], v1
.LBB50_320:
	s_and_saveexec_b32 s15, s1
	s_cbranch_execz .LBB50_324
; %bb.321:
	v_subrev_nc_u32_e32 v108, 19, v0
	s_movk_i32 s1, 0x98
	s_movk_i32 s17, 0x238
	s_mov_b32 s16, 0
.LBB50_322:                             ; =>This Inner Loop Header: Depth=1
	scratch_load_b64 v[110:111], off, s1
	v_dual_mov_b32 v109, s17 :: v_dual_add_nc_u32 v108, -1, v108
	s_add_co_i32 s17, s17, 8
	s_wait_xcnt 0x0
	s_add_co_i32 s1, s1, 8
	ds_load_b64 v[112:113], v109
	v_cmp_eq_u32_e32 vcc_lo, 0, v108
	s_or_b32 s16, vcc_lo, s16
	s_wait_loadcnt_dscnt 0x0
	v_pk_mul_f32 v[114:115], v[112:113], v[110:111] op_sel:[1,1] op_sel_hi:[0,1]
	s_delay_alu instid0(VALU_DEP_1) | instskip(SKIP_1) | instid1(VALU_DEP_2)
	v_pk_fma_f32 v[116:117], v[112:113], v[110:111], v[114:115] op_sel_hi:[1,0,1]
	v_pk_fma_f32 v[110:111], v[112:113], v[110:111], v[114:115] neg_lo:[0,0,1] neg_hi:[0,0,1]
	v_mov_b32_e32 v111, v117
	s_delay_alu instid0(VALU_DEP_1)
	v_pk_add_f32 v[106:107], v[106:107], v[110:111]
	s_and_not1_b32 exec_lo, exec_lo, s16
	s_cbranch_execnz .LBB50_322
; %bb.323:
	s_or_b32 exec_lo, exec_lo, s16
.LBB50_324:
	s_delay_alu instid0(SALU_CYCLE_1) | instskip(SKIP_4) | instid1(VALU_DEP_1)
	s_or_b32 exec_lo, exec_lo, s15
	v_mov_b32_e32 v108, 0
	ds_load_b64 v[108:109], v108 offset:144
	s_wait_dscnt 0x0
	v_pk_mul_f32 v[110:111], v[106:107], v[108:109] op_sel:[1,1] op_sel_hi:[0,1]
	v_pk_fma_f32 v[112:113], v[106:107], v[108:109], v[110:111] op_sel_hi:[1,0,1]
	v_pk_fma_f32 v[106:107], v[106:107], v[108:109], v[110:111] neg_lo:[0,0,1] neg_hi:[0,0,1]
	s_delay_alu instid0(VALU_DEP_2)
	v_mov_b32_e32 v107, v113
	scratch_store_b64 off, v[106:107], off offset:144
.LBB50_325:
	s_wait_xcnt 0x0
	s_or_b32 exec_lo, exec_lo, s2
	scratch_load_b64 v[106:107], off, off offset:136
	v_cmp_lt_u32_e64 s1, 17, v0
	s_wait_loadcnt 0x0
	ds_store_b64 v1, v[106:107]
	s_wait_storecnt_dscnt 0x0
	s_barrier_signal -1
	s_barrier_wait -1
	s_wait_xcnt 0x0
	s_and_saveexec_b32 s2, s1
	s_cbranch_execz .LBB50_335
; %bb.326:
	s_and_not1_b32 vcc_lo, exec_lo, s3
	s_cbranch_vccnz .LBB50_328
; %bb.327:
	scratch_load_b64 v[106:107], v51, off
	ds_load_b64 v[108:109], v1
	s_wait_loadcnt_dscnt 0x0
	v_pk_mul_f32 v[110:111], v[108:109], v[106:107] op_sel:[1,1] op_sel_hi:[0,1]
	s_delay_alu instid0(VALU_DEP_1) | instskip(SKIP_1) | instid1(VALU_DEP_2)
	v_pk_fma_f32 v[112:113], v[108:109], v[106:107], v[110:111] op_sel_hi:[1,0,1]
	v_pk_fma_f32 v[106:107], v[108:109], v[106:107], v[110:111] neg_lo:[0,0,1] neg_hi:[0,0,1]
	v_mov_b32_e32 v107, v113
	s_cbranch_execz .LBB50_329
	s_branch .LBB50_330
.LBB50_328:
                                        ; implicit-def: $vgpr106_vgpr107
.LBB50_329:
	ds_load_b64 v[106:107], v1
.LBB50_330:
	s_and_saveexec_b32 s15, s0
	s_cbranch_execz .LBB50_334
; %bb.331:
	v_subrev_nc_u32_e32 v108, 18, v0
	s_movk_i32 s16, 0x230
	s_mov_b32 s0, 0
.LBB50_332:                             ; =>This Inner Loop Header: Depth=1
	scratch_load_b64 v[110:111], off, s14
	v_dual_mov_b32 v109, s16 :: v_dual_add_nc_u32 v108, -1, v108
	s_add_co_i32 s16, s16, 8
	s_wait_xcnt 0x0
	s_add_co_i32 s14, s14, 8
	ds_load_b64 v[112:113], v109
	v_cmp_eq_u32_e32 vcc_lo, 0, v108
	s_or_b32 s0, vcc_lo, s0
	s_wait_loadcnt_dscnt 0x0
	v_pk_mul_f32 v[114:115], v[112:113], v[110:111] op_sel:[1,1] op_sel_hi:[0,1]
	s_delay_alu instid0(VALU_DEP_1) | instskip(SKIP_1) | instid1(VALU_DEP_2)
	v_pk_fma_f32 v[116:117], v[112:113], v[110:111], v[114:115] op_sel_hi:[1,0,1]
	v_pk_fma_f32 v[110:111], v[112:113], v[110:111], v[114:115] neg_lo:[0,0,1] neg_hi:[0,0,1]
	v_mov_b32_e32 v111, v117
	s_delay_alu instid0(VALU_DEP_1)
	v_pk_add_f32 v[106:107], v[106:107], v[110:111]
	s_and_not1_b32 exec_lo, exec_lo, s0
	s_cbranch_execnz .LBB50_332
; %bb.333:
	s_or_b32 exec_lo, exec_lo, s0
.LBB50_334:
	s_delay_alu instid0(SALU_CYCLE_1) | instskip(SKIP_4) | instid1(VALU_DEP_1)
	s_or_b32 exec_lo, exec_lo, s15
	v_mov_b32_e32 v108, 0
	ds_load_b64 v[108:109], v108 offset:136
	s_wait_dscnt 0x0
	v_pk_mul_f32 v[110:111], v[106:107], v[108:109] op_sel:[1,1] op_sel_hi:[0,1]
	v_pk_fma_f32 v[112:113], v[106:107], v[108:109], v[110:111] op_sel_hi:[1,0,1]
	v_pk_fma_f32 v[106:107], v[106:107], v[108:109], v[110:111] neg_lo:[0,0,1] neg_hi:[0,0,1]
	s_delay_alu instid0(VALU_DEP_2)
	v_mov_b32_e32 v107, v113
	scratch_store_b64 off, v[106:107], off offset:136
.LBB50_335:
	s_wait_xcnt 0x0
	s_or_b32 exec_lo, exec_lo, s2
	scratch_load_b64 v[106:107], off, off offset:128
	v_cmp_lt_u32_e64 s0, 16, v0
	s_wait_loadcnt 0x0
	ds_store_b64 v1, v[106:107]
	s_wait_storecnt_dscnt 0x0
	s_barrier_signal -1
	s_barrier_wait -1
	s_wait_xcnt 0x0
	s_and_saveexec_b32 s2, s0
	s_cbranch_execz .LBB50_345
; %bb.336:
	s_and_not1_b32 vcc_lo, exec_lo, s3
	s_cbranch_vccnz .LBB50_338
; %bb.337:
	scratch_load_b64 v[106:107], v51, off
	ds_load_b64 v[108:109], v1
	s_wait_loadcnt_dscnt 0x0
	v_pk_mul_f32 v[110:111], v[108:109], v[106:107] op_sel:[1,1] op_sel_hi:[0,1]
	s_delay_alu instid0(VALU_DEP_1) | instskip(SKIP_1) | instid1(VALU_DEP_2)
	v_pk_fma_f32 v[112:113], v[108:109], v[106:107], v[110:111] op_sel_hi:[1,0,1]
	v_pk_fma_f32 v[106:107], v[108:109], v[106:107], v[110:111] neg_lo:[0,0,1] neg_hi:[0,0,1]
	v_mov_b32_e32 v107, v113
	s_cbranch_execz .LBB50_339
	s_branch .LBB50_340
.LBB50_338:
                                        ; implicit-def: $vgpr106_vgpr107
.LBB50_339:
	ds_load_b64 v[106:107], v1
.LBB50_340:
	s_and_saveexec_b32 s14, s1
	s_cbranch_execz .LBB50_344
; %bb.341:
	v_subrev_nc_u32_e32 v108, 17, v0
	s_movk_i32 s1, 0x88
	s_movk_i32 s16, 0x228
	s_mov_b32 s15, 0
.LBB50_342:                             ; =>This Inner Loop Header: Depth=1
	scratch_load_b64 v[110:111], off, s1
	v_dual_mov_b32 v109, s16 :: v_dual_add_nc_u32 v108, -1, v108
	s_add_co_i32 s16, s16, 8
	s_wait_xcnt 0x0
	s_add_co_i32 s1, s1, 8
	ds_load_b64 v[112:113], v109
	v_cmp_eq_u32_e32 vcc_lo, 0, v108
	s_or_b32 s15, vcc_lo, s15
	s_wait_loadcnt_dscnt 0x0
	v_pk_mul_f32 v[114:115], v[112:113], v[110:111] op_sel:[1,1] op_sel_hi:[0,1]
	s_delay_alu instid0(VALU_DEP_1) | instskip(SKIP_1) | instid1(VALU_DEP_2)
	v_pk_fma_f32 v[116:117], v[112:113], v[110:111], v[114:115] op_sel_hi:[1,0,1]
	v_pk_fma_f32 v[110:111], v[112:113], v[110:111], v[114:115] neg_lo:[0,0,1] neg_hi:[0,0,1]
	v_mov_b32_e32 v111, v117
	s_delay_alu instid0(VALU_DEP_1)
	v_pk_add_f32 v[106:107], v[106:107], v[110:111]
	s_and_not1_b32 exec_lo, exec_lo, s15
	s_cbranch_execnz .LBB50_342
; %bb.343:
	s_or_b32 exec_lo, exec_lo, s15
.LBB50_344:
	s_delay_alu instid0(SALU_CYCLE_1) | instskip(SKIP_4) | instid1(VALU_DEP_1)
	s_or_b32 exec_lo, exec_lo, s14
	v_mov_b32_e32 v108, 0
	ds_load_b64 v[108:109], v108 offset:128
	s_wait_dscnt 0x0
	v_pk_mul_f32 v[110:111], v[106:107], v[108:109] op_sel:[1,1] op_sel_hi:[0,1]
	v_pk_fma_f32 v[112:113], v[106:107], v[108:109], v[110:111] op_sel_hi:[1,0,1]
	v_pk_fma_f32 v[106:107], v[106:107], v[108:109], v[110:111] neg_lo:[0,0,1] neg_hi:[0,0,1]
	s_delay_alu instid0(VALU_DEP_2)
	v_mov_b32_e32 v107, v113
	scratch_store_b64 off, v[106:107], off offset:128
.LBB50_345:
	s_wait_xcnt 0x0
	s_or_b32 exec_lo, exec_lo, s2
	scratch_load_b64 v[106:107], off, off offset:120
	v_cmp_lt_u32_e64 s1, 15, v0
	s_wait_loadcnt 0x0
	ds_store_b64 v1, v[106:107]
	s_wait_storecnt_dscnt 0x0
	s_barrier_signal -1
	s_barrier_wait -1
	s_wait_xcnt 0x0
	s_and_saveexec_b32 s2, s1
	s_cbranch_execz .LBB50_355
; %bb.346:
	s_and_not1_b32 vcc_lo, exec_lo, s3
	s_cbranch_vccnz .LBB50_348
; %bb.347:
	scratch_load_b64 v[106:107], v51, off
	ds_load_b64 v[108:109], v1
	s_wait_loadcnt_dscnt 0x0
	v_pk_mul_f32 v[110:111], v[108:109], v[106:107] op_sel:[1,1] op_sel_hi:[0,1]
	s_delay_alu instid0(VALU_DEP_1) | instskip(SKIP_1) | instid1(VALU_DEP_2)
	v_pk_fma_f32 v[112:113], v[108:109], v[106:107], v[110:111] op_sel_hi:[1,0,1]
	v_pk_fma_f32 v[106:107], v[108:109], v[106:107], v[110:111] neg_lo:[0,0,1] neg_hi:[0,0,1]
	v_mov_b32_e32 v107, v113
	s_cbranch_execz .LBB50_349
	s_branch .LBB50_350
.LBB50_348:
                                        ; implicit-def: $vgpr106_vgpr107
.LBB50_349:
	ds_load_b64 v[106:107], v1
.LBB50_350:
	s_and_saveexec_b32 s14, s0
	s_cbranch_execz .LBB50_354
; %bb.351:
	v_add_nc_u32_e32 v108, -16, v0
	s_movk_i32 s15, 0x220
	s_mov_b32 s0, 0
.LBB50_352:                             ; =>This Inner Loop Header: Depth=1
	scratch_load_b64 v[110:111], off, s13
	v_dual_mov_b32 v109, s15 :: v_dual_add_nc_u32 v108, -1, v108
	s_add_co_i32 s15, s15, 8
	s_wait_xcnt 0x0
	s_add_co_i32 s13, s13, 8
	ds_load_b64 v[112:113], v109
	v_cmp_eq_u32_e32 vcc_lo, 0, v108
	s_or_b32 s0, vcc_lo, s0
	s_wait_loadcnt_dscnt 0x0
	v_pk_mul_f32 v[114:115], v[112:113], v[110:111] op_sel:[1,1] op_sel_hi:[0,1]
	s_delay_alu instid0(VALU_DEP_1) | instskip(SKIP_1) | instid1(VALU_DEP_2)
	v_pk_fma_f32 v[116:117], v[112:113], v[110:111], v[114:115] op_sel_hi:[1,0,1]
	v_pk_fma_f32 v[110:111], v[112:113], v[110:111], v[114:115] neg_lo:[0,0,1] neg_hi:[0,0,1]
	v_mov_b32_e32 v111, v117
	s_delay_alu instid0(VALU_DEP_1)
	v_pk_add_f32 v[106:107], v[106:107], v[110:111]
	s_and_not1_b32 exec_lo, exec_lo, s0
	s_cbranch_execnz .LBB50_352
; %bb.353:
	s_or_b32 exec_lo, exec_lo, s0
.LBB50_354:
	s_delay_alu instid0(SALU_CYCLE_1) | instskip(SKIP_4) | instid1(VALU_DEP_1)
	s_or_b32 exec_lo, exec_lo, s14
	v_mov_b32_e32 v108, 0
	ds_load_b64 v[108:109], v108 offset:120
	s_wait_dscnt 0x0
	v_pk_mul_f32 v[110:111], v[106:107], v[108:109] op_sel:[1,1] op_sel_hi:[0,1]
	v_pk_fma_f32 v[112:113], v[106:107], v[108:109], v[110:111] op_sel_hi:[1,0,1]
	v_pk_fma_f32 v[106:107], v[106:107], v[108:109], v[110:111] neg_lo:[0,0,1] neg_hi:[0,0,1]
	s_delay_alu instid0(VALU_DEP_2)
	v_mov_b32_e32 v107, v113
	scratch_store_b64 off, v[106:107], off offset:120
.LBB50_355:
	s_wait_xcnt 0x0
	s_or_b32 exec_lo, exec_lo, s2
	scratch_load_b64 v[106:107], off, off offset:112
	v_cmp_lt_u32_e64 s0, 14, v0
	s_wait_loadcnt 0x0
	ds_store_b64 v1, v[106:107]
	s_wait_storecnt_dscnt 0x0
	s_barrier_signal -1
	s_barrier_wait -1
	s_wait_xcnt 0x0
	s_and_saveexec_b32 s2, s0
	s_cbranch_execz .LBB50_365
; %bb.356:
	s_and_not1_b32 vcc_lo, exec_lo, s3
	s_cbranch_vccnz .LBB50_358
; %bb.357:
	scratch_load_b64 v[106:107], v51, off
	ds_load_b64 v[108:109], v1
	s_wait_loadcnt_dscnt 0x0
	v_pk_mul_f32 v[110:111], v[108:109], v[106:107] op_sel:[1,1] op_sel_hi:[0,1]
	s_delay_alu instid0(VALU_DEP_1) | instskip(SKIP_1) | instid1(VALU_DEP_2)
	v_pk_fma_f32 v[112:113], v[108:109], v[106:107], v[110:111] op_sel_hi:[1,0,1]
	v_pk_fma_f32 v[106:107], v[108:109], v[106:107], v[110:111] neg_lo:[0,0,1] neg_hi:[0,0,1]
	v_mov_b32_e32 v107, v113
	s_cbranch_execz .LBB50_359
	s_branch .LBB50_360
.LBB50_358:
                                        ; implicit-def: $vgpr106_vgpr107
.LBB50_359:
	ds_load_b64 v[106:107], v1
.LBB50_360:
	s_and_saveexec_b32 s13, s1
	s_cbranch_execz .LBB50_364
; %bb.361:
	v_add_nc_u32_e32 v108, -15, v0
	s_movk_i32 s1, 0x78
	s_movk_i32 s15, 0x218
	s_mov_b32 s14, 0
.LBB50_362:                             ; =>This Inner Loop Header: Depth=1
	scratch_load_b64 v[110:111], off, s1
	v_dual_mov_b32 v109, s15 :: v_dual_add_nc_u32 v108, -1, v108
	s_add_co_i32 s15, s15, 8
	s_wait_xcnt 0x0
	s_add_co_i32 s1, s1, 8
	ds_load_b64 v[112:113], v109
	v_cmp_eq_u32_e32 vcc_lo, 0, v108
	s_or_b32 s14, vcc_lo, s14
	s_wait_loadcnt_dscnt 0x0
	v_pk_mul_f32 v[114:115], v[112:113], v[110:111] op_sel:[1,1] op_sel_hi:[0,1]
	s_delay_alu instid0(VALU_DEP_1) | instskip(SKIP_1) | instid1(VALU_DEP_2)
	v_pk_fma_f32 v[116:117], v[112:113], v[110:111], v[114:115] op_sel_hi:[1,0,1]
	v_pk_fma_f32 v[110:111], v[112:113], v[110:111], v[114:115] neg_lo:[0,0,1] neg_hi:[0,0,1]
	v_mov_b32_e32 v111, v117
	s_delay_alu instid0(VALU_DEP_1)
	v_pk_add_f32 v[106:107], v[106:107], v[110:111]
	s_and_not1_b32 exec_lo, exec_lo, s14
	s_cbranch_execnz .LBB50_362
; %bb.363:
	s_or_b32 exec_lo, exec_lo, s14
.LBB50_364:
	s_delay_alu instid0(SALU_CYCLE_1) | instskip(SKIP_4) | instid1(VALU_DEP_1)
	s_or_b32 exec_lo, exec_lo, s13
	v_mov_b32_e32 v108, 0
	ds_load_b64 v[108:109], v108 offset:112
	s_wait_dscnt 0x0
	v_pk_mul_f32 v[110:111], v[106:107], v[108:109] op_sel:[1,1] op_sel_hi:[0,1]
	v_pk_fma_f32 v[112:113], v[106:107], v[108:109], v[110:111] op_sel_hi:[1,0,1]
	v_pk_fma_f32 v[106:107], v[106:107], v[108:109], v[110:111] neg_lo:[0,0,1] neg_hi:[0,0,1]
	s_delay_alu instid0(VALU_DEP_2)
	v_mov_b32_e32 v107, v113
	scratch_store_b64 off, v[106:107], off offset:112
.LBB50_365:
	s_wait_xcnt 0x0
	s_or_b32 exec_lo, exec_lo, s2
	scratch_load_b64 v[106:107], off, off offset:104
	v_cmp_lt_u32_e64 s1, 13, v0
	s_wait_loadcnt 0x0
	ds_store_b64 v1, v[106:107]
	s_wait_storecnt_dscnt 0x0
	s_barrier_signal -1
	s_barrier_wait -1
	s_wait_xcnt 0x0
	s_and_saveexec_b32 s2, s1
	s_cbranch_execz .LBB50_375
; %bb.366:
	s_and_not1_b32 vcc_lo, exec_lo, s3
	s_cbranch_vccnz .LBB50_368
; %bb.367:
	scratch_load_b64 v[106:107], v51, off
	ds_load_b64 v[108:109], v1
	s_wait_loadcnt_dscnt 0x0
	v_pk_mul_f32 v[110:111], v[108:109], v[106:107] op_sel:[1,1] op_sel_hi:[0,1]
	s_delay_alu instid0(VALU_DEP_1) | instskip(SKIP_1) | instid1(VALU_DEP_2)
	v_pk_fma_f32 v[112:113], v[108:109], v[106:107], v[110:111] op_sel_hi:[1,0,1]
	v_pk_fma_f32 v[106:107], v[108:109], v[106:107], v[110:111] neg_lo:[0,0,1] neg_hi:[0,0,1]
	v_mov_b32_e32 v107, v113
	s_cbranch_execz .LBB50_369
	s_branch .LBB50_370
.LBB50_368:
                                        ; implicit-def: $vgpr106_vgpr107
.LBB50_369:
	ds_load_b64 v[106:107], v1
.LBB50_370:
	s_and_saveexec_b32 s13, s0
	s_cbranch_execz .LBB50_374
; %bb.371:
	v_add_nc_u32_e32 v108, -14, v0
	s_movk_i32 s14, 0x210
	s_mov_b32 s0, 0
.LBB50_372:                             ; =>This Inner Loop Header: Depth=1
	scratch_load_b64 v[110:111], off, s12
	v_dual_mov_b32 v109, s14 :: v_dual_add_nc_u32 v108, -1, v108
	s_add_co_i32 s14, s14, 8
	s_wait_xcnt 0x0
	s_add_co_i32 s12, s12, 8
	ds_load_b64 v[112:113], v109
	v_cmp_eq_u32_e32 vcc_lo, 0, v108
	s_or_b32 s0, vcc_lo, s0
	s_wait_loadcnt_dscnt 0x0
	v_pk_mul_f32 v[114:115], v[112:113], v[110:111] op_sel:[1,1] op_sel_hi:[0,1]
	s_delay_alu instid0(VALU_DEP_1) | instskip(SKIP_1) | instid1(VALU_DEP_2)
	v_pk_fma_f32 v[116:117], v[112:113], v[110:111], v[114:115] op_sel_hi:[1,0,1]
	v_pk_fma_f32 v[110:111], v[112:113], v[110:111], v[114:115] neg_lo:[0,0,1] neg_hi:[0,0,1]
	v_mov_b32_e32 v111, v117
	s_delay_alu instid0(VALU_DEP_1)
	v_pk_add_f32 v[106:107], v[106:107], v[110:111]
	s_and_not1_b32 exec_lo, exec_lo, s0
	s_cbranch_execnz .LBB50_372
; %bb.373:
	s_or_b32 exec_lo, exec_lo, s0
.LBB50_374:
	s_delay_alu instid0(SALU_CYCLE_1) | instskip(SKIP_4) | instid1(VALU_DEP_1)
	s_or_b32 exec_lo, exec_lo, s13
	v_mov_b32_e32 v108, 0
	ds_load_b64 v[108:109], v108 offset:104
	s_wait_dscnt 0x0
	v_pk_mul_f32 v[110:111], v[106:107], v[108:109] op_sel:[1,1] op_sel_hi:[0,1]
	v_pk_fma_f32 v[112:113], v[106:107], v[108:109], v[110:111] op_sel_hi:[1,0,1]
	v_pk_fma_f32 v[106:107], v[106:107], v[108:109], v[110:111] neg_lo:[0,0,1] neg_hi:[0,0,1]
	s_delay_alu instid0(VALU_DEP_2)
	v_mov_b32_e32 v107, v113
	scratch_store_b64 off, v[106:107], off offset:104
.LBB50_375:
	s_wait_xcnt 0x0
	s_or_b32 exec_lo, exec_lo, s2
	scratch_load_b64 v[106:107], off, off offset:96
	v_cmp_lt_u32_e64 s0, 12, v0
	s_wait_loadcnt 0x0
	ds_store_b64 v1, v[106:107]
	s_wait_storecnt_dscnt 0x0
	s_barrier_signal -1
	s_barrier_wait -1
	s_wait_xcnt 0x0
	s_and_saveexec_b32 s2, s0
	s_cbranch_execz .LBB50_385
; %bb.376:
	s_and_not1_b32 vcc_lo, exec_lo, s3
	s_cbranch_vccnz .LBB50_378
; %bb.377:
	scratch_load_b64 v[106:107], v51, off
	ds_load_b64 v[108:109], v1
	s_wait_loadcnt_dscnt 0x0
	v_pk_mul_f32 v[110:111], v[108:109], v[106:107] op_sel:[1,1] op_sel_hi:[0,1]
	s_delay_alu instid0(VALU_DEP_1) | instskip(SKIP_1) | instid1(VALU_DEP_2)
	v_pk_fma_f32 v[112:113], v[108:109], v[106:107], v[110:111] op_sel_hi:[1,0,1]
	v_pk_fma_f32 v[106:107], v[108:109], v[106:107], v[110:111] neg_lo:[0,0,1] neg_hi:[0,0,1]
	v_mov_b32_e32 v107, v113
	s_cbranch_execz .LBB50_379
	s_branch .LBB50_380
.LBB50_378:
                                        ; implicit-def: $vgpr106_vgpr107
.LBB50_379:
	ds_load_b64 v[106:107], v1
.LBB50_380:
	s_and_saveexec_b32 s12, s1
	s_cbranch_execz .LBB50_384
; %bb.381:
	v_add_nc_u32_e32 v108, -13, v0
	s_movk_i32 s1, 0x68
	s_movk_i32 s14, 0x208
	s_mov_b32 s13, 0
.LBB50_382:                             ; =>This Inner Loop Header: Depth=1
	scratch_load_b64 v[110:111], off, s1
	v_dual_mov_b32 v109, s14 :: v_dual_add_nc_u32 v108, -1, v108
	s_add_co_i32 s14, s14, 8
	s_wait_xcnt 0x0
	s_add_co_i32 s1, s1, 8
	ds_load_b64 v[112:113], v109
	v_cmp_eq_u32_e32 vcc_lo, 0, v108
	s_or_b32 s13, vcc_lo, s13
	s_wait_loadcnt_dscnt 0x0
	v_pk_mul_f32 v[114:115], v[112:113], v[110:111] op_sel:[1,1] op_sel_hi:[0,1]
	s_delay_alu instid0(VALU_DEP_1) | instskip(SKIP_1) | instid1(VALU_DEP_2)
	v_pk_fma_f32 v[116:117], v[112:113], v[110:111], v[114:115] op_sel_hi:[1,0,1]
	v_pk_fma_f32 v[110:111], v[112:113], v[110:111], v[114:115] neg_lo:[0,0,1] neg_hi:[0,0,1]
	v_mov_b32_e32 v111, v117
	s_delay_alu instid0(VALU_DEP_1)
	v_pk_add_f32 v[106:107], v[106:107], v[110:111]
	s_and_not1_b32 exec_lo, exec_lo, s13
	s_cbranch_execnz .LBB50_382
; %bb.383:
	s_or_b32 exec_lo, exec_lo, s13
.LBB50_384:
	s_delay_alu instid0(SALU_CYCLE_1) | instskip(SKIP_4) | instid1(VALU_DEP_1)
	s_or_b32 exec_lo, exec_lo, s12
	v_mov_b32_e32 v108, 0
	ds_load_b64 v[108:109], v108 offset:96
	s_wait_dscnt 0x0
	v_pk_mul_f32 v[110:111], v[106:107], v[108:109] op_sel:[1,1] op_sel_hi:[0,1]
	v_pk_fma_f32 v[112:113], v[106:107], v[108:109], v[110:111] op_sel_hi:[1,0,1]
	v_pk_fma_f32 v[106:107], v[106:107], v[108:109], v[110:111] neg_lo:[0,0,1] neg_hi:[0,0,1]
	s_delay_alu instid0(VALU_DEP_2)
	v_mov_b32_e32 v107, v113
	scratch_store_b64 off, v[106:107], off offset:96
.LBB50_385:
	s_wait_xcnt 0x0
	s_or_b32 exec_lo, exec_lo, s2
	scratch_load_b64 v[106:107], off, off offset:88
	v_cmp_lt_u32_e64 s1, 11, v0
	s_wait_loadcnt 0x0
	ds_store_b64 v1, v[106:107]
	s_wait_storecnt_dscnt 0x0
	s_barrier_signal -1
	s_barrier_wait -1
	s_wait_xcnt 0x0
	s_and_saveexec_b32 s2, s1
	s_cbranch_execz .LBB50_395
; %bb.386:
	s_and_not1_b32 vcc_lo, exec_lo, s3
	s_cbranch_vccnz .LBB50_388
; %bb.387:
	scratch_load_b64 v[106:107], v51, off
	ds_load_b64 v[108:109], v1
	s_wait_loadcnt_dscnt 0x0
	v_pk_mul_f32 v[110:111], v[108:109], v[106:107] op_sel:[1,1] op_sel_hi:[0,1]
	s_delay_alu instid0(VALU_DEP_1) | instskip(SKIP_1) | instid1(VALU_DEP_2)
	v_pk_fma_f32 v[112:113], v[108:109], v[106:107], v[110:111] op_sel_hi:[1,0,1]
	v_pk_fma_f32 v[106:107], v[108:109], v[106:107], v[110:111] neg_lo:[0,0,1] neg_hi:[0,0,1]
	v_mov_b32_e32 v107, v113
	s_cbranch_execz .LBB50_389
	s_branch .LBB50_390
.LBB50_388:
                                        ; implicit-def: $vgpr106_vgpr107
.LBB50_389:
	ds_load_b64 v[106:107], v1
.LBB50_390:
	s_and_saveexec_b32 s12, s0
	s_cbranch_execz .LBB50_394
; %bb.391:
	v_add_nc_u32_e32 v108, -12, v0
	s_movk_i32 s13, 0x200
	s_mov_b32 s0, 0
.LBB50_392:                             ; =>This Inner Loop Header: Depth=1
	scratch_load_b64 v[110:111], off, s11
	v_dual_mov_b32 v109, s13 :: v_dual_add_nc_u32 v108, -1, v108
	s_add_co_i32 s13, s13, 8
	s_wait_xcnt 0x0
	s_add_co_i32 s11, s11, 8
	ds_load_b64 v[112:113], v109
	v_cmp_eq_u32_e32 vcc_lo, 0, v108
	s_or_b32 s0, vcc_lo, s0
	s_wait_loadcnt_dscnt 0x0
	v_pk_mul_f32 v[114:115], v[112:113], v[110:111] op_sel:[1,1] op_sel_hi:[0,1]
	s_delay_alu instid0(VALU_DEP_1) | instskip(SKIP_1) | instid1(VALU_DEP_2)
	v_pk_fma_f32 v[116:117], v[112:113], v[110:111], v[114:115] op_sel_hi:[1,0,1]
	v_pk_fma_f32 v[110:111], v[112:113], v[110:111], v[114:115] neg_lo:[0,0,1] neg_hi:[0,0,1]
	v_mov_b32_e32 v111, v117
	s_delay_alu instid0(VALU_DEP_1)
	v_pk_add_f32 v[106:107], v[106:107], v[110:111]
	s_and_not1_b32 exec_lo, exec_lo, s0
	s_cbranch_execnz .LBB50_392
; %bb.393:
	s_or_b32 exec_lo, exec_lo, s0
.LBB50_394:
	s_delay_alu instid0(SALU_CYCLE_1) | instskip(SKIP_4) | instid1(VALU_DEP_1)
	s_or_b32 exec_lo, exec_lo, s12
	v_mov_b32_e32 v108, 0
	ds_load_b64 v[108:109], v108 offset:88
	s_wait_dscnt 0x0
	v_pk_mul_f32 v[110:111], v[106:107], v[108:109] op_sel:[1,1] op_sel_hi:[0,1]
	v_pk_fma_f32 v[112:113], v[106:107], v[108:109], v[110:111] op_sel_hi:[1,0,1]
	v_pk_fma_f32 v[106:107], v[106:107], v[108:109], v[110:111] neg_lo:[0,0,1] neg_hi:[0,0,1]
	s_delay_alu instid0(VALU_DEP_2)
	v_mov_b32_e32 v107, v113
	scratch_store_b64 off, v[106:107], off offset:88
.LBB50_395:
	s_wait_xcnt 0x0
	s_or_b32 exec_lo, exec_lo, s2
	scratch_load_b64 v[106:107], off, off offset:80
	v_cmp_lt_u32_e64 s0, 10, v0
	s_wait_loadcnt 0x0
	ds_store_b64 v1, v[106:107]
	s_wait_storecnt_dscnt 0x0
	s_barrier_signal -1
	s_barrier_wait -1
	s_wait_xcnt 0x0
	s_and_saveexec_b32 s2, s0
	s_cbranch_execz .LBB50_405
; %bb.396:
	s_and_not1_b32 vcc_lo, exec_lo, s3
	s_cbranch_vccnz .LBB50_398
; %bb.397:
	scratch_load_b64 v[106:107], v51, off
	ds_load_b64 v[108:109], v1
	s_wait_loadcnt_dscnt 0x0
	v_pk_mul_f32 v[110:111], v[108:109], v[106:107] op_sel:[1,1] op_sel_hi:[0,1]
	s_delay_alu instid0(VALU_DEP_1) | instskip(SKIP_1) | instid1(VALU_DEP_2)
	v_pk_fma_f32 v[112:113], v[108:109], v[106:107], v[110:111] op_sel_hi:[1,0,1]
	v_pk_fma_f32 v[106:107], v[108:109], v[106:107], v[110:111] neg_lo:[0,0,1] neg_hi:[0,0,1]
	v_mov_b32_e32 v107, v113
	s_cbranch_execz .LBB50_399
	s_branch .LBB50_400
.LBB50_398:
                                        ; implicit-def: $vgpr106_vgpr107
.LBB50_399:
	ds_load_b64 v[106:107], v1
.LBB50_400:
	s_and_saveexec_b32 s11, s1
	s_cbranch_execz .LBB50_404
; %bb.401:
	v_add_nc_u32_e32 v108, -11, v0
	s_movk_i32 s1, 0x58
	s_movk_i32 s13, 0x1f8
	s_mov_b32 s12, 0
.LBB50_402:                             ; =>This Inner Loop Header: Depth=1
	scratch_load_b64 v[110:111], off, s1
	v_dual_mov_b32 v109, s13 :: v_dual_add_nc_u32 v108, -1, v108
	s_add_co_i32 s13, s13, 8
	s_wait_xcnt 0x0
	s_add_co_i32 s1, s1, 8
	ds_load_b64 v[112:113], v109
	v_cmp_eq_u32_e32 vcc_lo, 0, v108
	s_or_b32 s12, vcc_lo, s12
	s_wait_loadcnt_dscnt 0x0
	v_pk_mul_f32 v[114:115], v[112:113], v[110:111] op_sel:[1,1] op_sel_hi:[0,1]
	s_delay_alu instid0(VALU_DEP_1) | instskip(SKIP_1) | instid1(VALU_DEP_2)
	v_pk_fma_f32 v[116:117], v[112:113], v[110:111], v[114:115] op_sel_hi:[1,0,1]
	v_pk_fma_f32 v[110:111], v[112:113], v[110:111], v[114:115] neg_lo:[0,0,1] neg_hi:[0,0,1]
	v_mov_b32_e32 v111, v117
	s_delay_alu instid0(VALU_DEP_1)
	v_pk_add_f32 v[106:107], v[106:107], v[110:111]
	s_and_not1_b32 exec_lo, exec_lo, s12
	s_cbranch_execnz .LBB50_402
; %bb.403:
	s_or_b32 exec_lo, exec_lo, s12
.LBB50_404:
	s_delay_alu instid0(SALU_CYCLE_1) | instskip(SKIP_4) | instid1(VALU_DEP_1)
	s_or_b32 exec_lo, exec_lo, s11
	v_mov_b32_e32 v108, 0
	ds_load_b64 v[108:109], v108 offset:80
	s_wait_dscnt 0x0
	v_pk_mul_f32 v[110:111], v[106:107], v[108:109] op_sel:[1,1] op_sel_hi:[0,1]
	v_pk_fma_f32 v[112:113], v[106:107], v[108:109], v[110:111] op_sel_hi:[1,0,1]
	v_pk_fma_f32 v[106:107], v[106:107], v[108:109], v[110:111] neg_lo:[0,0,1] neg_hi:[0,0,1]
	s_delay_alu instid0(VALU_DEP_2)
	v_mov_b32_e32 v107, v113
	scratch_store_b64 off, v[106:107], off offset:80
.LBB50_405:
	s_wait_xcnt 0x0
	s_or_b32 exec_lo, exec_lo, s2
	scratch_load_b64 v[106:107], off, off offset:72
	v_cmp_lt_u32_e64 s1, 9, v0
	s_wait_loadcnt 0x0
	ds_store_b64 v1, v[106:107]
	s_wait_storecnt_dscnt 0x0
	s_barrier_signal -1
	s_barrier_wait -1
	s_wait_xcnt 0x0
	s_and_saveexec_b32 s2, s1
	s_cbranch_execz .LBB50_415
; %bb.406:
	s_and_not1_b32 vcc_lo, exec_lo, s3
	s_cbranch_vccnz .LBB50_408
; %bb.407:
	scratch_load_b64 v[106:107], v51, off
	ds_load_b64 v[108:109], v1
	s_wait_loadcnt_dscnt 0x0
	v_pk_mul_f32 v[110:111], v[108:109], v[106:107] op_sel:[1,1] op_sel_hi:[0,1]
	s_delay_alu instid0(VALU_DEP_1) | instskip(SKIP_1) | instid1(VALU_DEP_2)
	v_pk_fma_f32 v[112:113], v[108:109], v[106:107], v[110:111] op_sel_hi:[1,0,1]
	v_pk_fma_f32 v[106:107], v[108:109], v[106:107], v[110:111] neg_lo:[0,0,1] neg_hi:[0,0,1]
	v_mov_b32_e32 v107, v113
	s_cbranch_execz .LBB50_409
	s_branch .LBB50_410
.LBB50_408:
                                        ; implicit-def: $vgpr106_vgpr107
.LBB50_409:
	ds_load_b64 v[106:107], v1
.LBB50_410:
	s_and_saveexec_b32 s11, s0
	s_cbranch_execz .LBB50_414
; %bb.411:
	v_add_nc_u32_e32 v108, -10, v0
	s_movk_i32 s12, 0x1f0
	s_mov_b32 s0, 0
.LBB50_412:                             ; =>This Inner Loop Header: Depth=1
	scratch_load_b64 v[110:111], off, s10
	v_dual_mov_b32 v109, s12 :: v_dual_add_nc_u32 v108, -1, v108
	s_add_co_i32 s12, s12, 8
	s_wait_xcnt 0x0
	s_add_co_i32 s10, s10, 8
	ds_load_b64 v[112:113], v109
	v_cmp_eq_u32_e32 vcc_lo, 0, v108
	s_or_b32 s0, vcc_lo, s0
	s_wait_loadcnt_dscnt 0x0
	v_pk_mul_f32 v[114:115], v[112:113], v[110:111] op_sel:[1,1] op_sel_hi:[0,1]
	s_delay_alu instid0(VALU_DEP_1) | instskip(SKIP_1) | instid1(VALU_DEP_2)
	v_pk_fma_f32 v[116:117], v[112:113], v[110:111], v[114:115] op_sel_hi:[1,0,1]
	v_pk_fma_f32 v[110:111], v[112:113], v[110:111], v[114:115] neg_lo:[0,0,1] neg_hi:[0,0,1]
	v_mov_b32_e32 v111, v117
	s_delay_alu instid0(VALU_DEP_1)
	v_pk_add_f32 v[106:107], v[106:107], v[110:111]
	s_and_not1_b32 exec_lo, exec_lo, s0
	s_cbranch_execnz .LBB50_412
; %bb.413:
	s_or_b32 exec_lo, exec_lo, s0
.LBB50_414:
	s_delay_alu instid0(SALU_CYCLE_1) | instskip(SKIP_4) | instid1(VALU_DEP_1)
	s_or_b32 exec_lo, exec_lo, s11
	v_mov_b32_e32 v108, 0
	ds_load_b64 v[108:109], v108 offset:72
	s_wait_dscnt 0x0
	v_pk_mul_f32 v[110:111], v[106:107], v[108:109] op_sel:[1,1] op_sel_hi:[0,1]
	v_pk_fma_f32 v[112:113], v[106:107], v[108:109], v[110:111] op_sel_hi:[1,0,1]
	v_pk_fma_f32 v[106:107], v[106:107], v[108:109], v[110:111] neg_lo:[0,0,1] neg_hi:[0,0,1]
	s_delay_alu instid0(VALU_DEP_2)
	v_mov_b32_e32 v107, v113
	scratch_store_b64 off, v[106:107], off offset:72
.LBB50_415:
	s_wait_xcnt 0x0
	s_or_b32 exec_lo, exec_lo, s2
	scratch_load_b64 v[106:107], off, off offset:64
	v_cmp_lt_u32_e64 s0, 8, v0
	s_wait_loadcnt 0x0
	ds_store_b64 v1, v[106:107]
	s_wait_storecnt_dscnt 0x0
	s_barrier_signal -1
	s_barrier_wait -1
	s_wait_xcnt 0x0
	s_and_saveexec_b32 s2, s0
	s_cbranch_execz .LBB50_425
; %bb.416:
	s_and_not1_b32 vcc_lo, exec_lo, s3
	s_cbranch_vccnz .LBB50_418
; %bb.417:
	scratch_load_b64 v[106:107], v51, off
	ds_load_b64 v[108:109], v1
	s_wait_loadcnt_dscnt 0x0
	v_pk_mul_f32 v[110:111], v[108:109], v[106:107] op_sel:[1,1] op_sel_hi:[0,1]
	s_delay_alu instid0(VALU_DEP_1) | instskip(SKIP_1) | instid1(VALU_DEP_2)
	v_pk_fma_f32 v[112:113], v[108:109], v[106:107], v[110:111] op_sel_hi:[1,0,1]
	v_pk_fma_f32 v[106:107], v[108:109], v[106:107], v[110:111] neg_lo:[0,0,1] neg_hi:[0,0,1]
	v_mov_b32_e32 v107, v113
	s_cbranch_execz .LBB50_419
	s_branch .LBB50_420
.LBB50_418:
                                        ; implicit-def: $vgpr106_vgpr107
.LBB50_419:
	ds_load_b64 v[106:107], v1
.LBB50_420:
	s_and_saveexec_b32 s10, s1
	s_cbranch_execz .LBB50_424
; %bb.421:
	v_add_nc_u32_e32 v108, -9, v0
	s_movk_i32 s1, 0x48
	s_movk_i32 s12, 0x1e8
	s_mov_b32 s11, 0
.LBB50_422:                             ; =>This Inner Loop Header: Depth=1
	scratch_load_b64 v[110:111], off, s1
	v_dual_mov_b32 v109, s12 :: v_dual_add_nc_u32 v108, -1, v108
	s_add_co_i32 s12, s12, 8
	s_wait_xcnt 0x0
	s_add_co_i32 s1, s1, 8
	ds_load_b64 v[112:113], v109
	v_cmp_eq_u32_e32 vcc_lo, 0, v108
	s_or_b32 s11, vcc_lo, s11
	s_wait_loadcnt_dscnt 0x0
	v_pk_mul_f32 v[114:115], v[112:113], v[110:111] op_sel:[1,1] op_sel_hi:[0,1]
	s_delay_alu instid0(VALU_DEP_1) | instskip(SKIP_1) | instid1(VALU_DEP_2)
	v_pk_fma_f32 v[116:117], v[112:113], v[110:111], v[114:115] op_sel_hi:[1,0,1]
	v_pk_fma_f32 v[110:111], v[112:113], v[110:111], v[114:115] neg_lo:[0,0,1] neg_hi:[0,0,1]
	v_mov_b32_e32 v111, v117
	s_delay_alu instid0(VALU_DEP_1)
	v_pk_add_f32 v[106:107], v[106:107], v[110:111]
	s_and_not1_b32 exec_lo, exec_lo, s11
	s_cbranch_execnz .LBB50_422
; %bb.423:
	s_or_b32 exec_lo, exec_lo, s11
.LBB50_424:
	s_delay_alu instid0(SALU_CYCLE_1) | instskip(SKIP_4) | instid1(VALU_DEP_1)
	s_or_b32 exec_lo, exec_lo, s10
	v_mov_b32_e32 v108, 0
	ds_load_b64 v[108:109], v108 offset:64
	s_wait_dscnt 0x0
	v_pk_mul_f32 v[110:111], v[106:107], v[108:109] op_sel:[1,1] op_sel_hi:[0,1]
	v_pk_fma_f32 v[112:113], v[106:107], v[108:109], v[110:111] op_sel_hi:[1,0,1]
	v_pk_fma_f32 v[106:107], v[106:107], v[108:109], v[110:111] neg_lo:[0,0,1] neg_hi:[0,0,1]
	s_delay_alu instid0(VALU_DEP_2)
	v_mov_b32_e32 v107, v113
	scratch_store_b64 off, v[106:107], off offset:64
.LBB50_425:
	s_wait_xcnt 0x0
	s_or_b32 exec_lo, exec_lo, s2
	scratch_load_b64 v[106:107], off, off offset:56
	v_cmp_lt_u32_e64 s1, 7, v0
	s_wait_loadcnt 0x0
	ds_store_b64 v1, v[106:107]
	s_wait_storecnt_dscnt 0x0
	s_barrier_signal -1
	s_barrier_wait -1
	s_wait_xcnt 0x0
	s_and_saveexec_b32 s2, s1
	s_cbranch_execz .LBB50_435
; %bb.426:
	s_and_not1_b32 vcc_lo, exec_lo, s3
	s_cbranch_vccnz .LBB50_428
; %bb.427:
	scratch_load_b64 v[106:107], v51, off
	ds_load_b64 v[108:109], v1
	s_wait_loadcnt_dscnt 0x0
	v_pk_mul_f32 v[110:111], v[108:109], v[106:107] op_sel:[1,1] op_sel_hi:[0,1]
	s_delay_alu instid0(VALU_DEP_1) | instskip(SKIP_1) | instid1(VALU_DEP_2)
	v_pk_fma_f32 v[112:113], v[108:109], v[106:107], v[110:111] op_sel_hi:[1,0,1]
	v_pk_fma_f32 v[106:107], v[108:109], v[106:107], v[110:111] neg_lo:[0,0,1] neg_hi:[0,0,1]
	v_mov_b32_e32 v107, v113
	s_cbranch_execz .LBB50_429
	s_branch .LBB50_430
.LBB50_428:
                                        ; implicit-def: $vgpr106_vgpr107
.LBB50_429:
	ds_load_b64 v[106:107], v1
.LBB50_430:
	s_and_saveexec_b32 s10, s0
	s_cbranch_execz .LBB50_434
; %bb.431:
	v_add_nc_u32_e32 v108, -8, v0
	s_movk_i32 s11, 0x1e0
	s_mov_b32 s0, 0
.LBB50_432:                             ; =>This Inner Loop Header: Depth=1
	scratch_load_b64 v[110:111], off, s9
	v_dual_mov_b32 v109, s11 :: v_dual_add_nc_u32 v108, -1, v108
	s_add_co_i32 s11, s11, 8
	s_wait_xcnt 0x0
	s_add_co_i32 s9, s9, 8
	ds_load_b64 v[112:113], v109
	v_cmp_eq_u32_e32 vcc_lo, 0, v108
	s_or_b32 s0, vcc_lo, s0
	s_wait_loadcnt_dscnt 0x0
	v_pk_mul_f32 v[114:115], v[112:113], v[110:111] op_sel:[1,1] op_sel_hi:[0,1]
	s_delay_alu instid0(VALU_DEP_1) | instskip(SKIP_1) | instid1(VALU_DEP_2)
	v_pk_fma_f32 v[116:117], v[112:113], v[110:111], v[114:115] op_sel_hi:[1,0,1]
	v_pk_fma_f32 v[110:111], v[112:113], v[110:111], v[114:115] neg_lo:[0,0,1] neg_hi:[0,0,1]
	v_mov_b32_e32 v111, v117
	s_delay_alu instid0(VALU_DEP_1)
	v_pk_add_f32 v[106:107], v[106:107], v[110:111]
	s_and_not1_b32 exec_lo, exec_lo, s0
	s_cbranch_execnz .LBB50_432
; %bb.433:
	s_or_b32 exec_lo, exec_lo, s0
.LBB50_434:
	s_delay_alu instid0(SALU_CYCLE_1) | instskip(SKIP_4) | instid1(VALU_DEP_1)
	s_or_b32 exec_lo, exec_lo, s10
	v_mov_b32_e32 v108, 0
	ds_load_b64 v[108:109], v108 offset:56
	s_wait_dscnt 0x0
	v_pk_mul_f32 v[110:111], v[106:107], v[108:109] op_sel:[1,1] op_sel_hi:[0,1]
	v_pk_fma_f32 v[112:113], v[106:107], v[108:109], v[110:111] op_sel_hi:[1,0,1]
	v_pk_fma_f32 v[106:107], v[106:107], v[108:109], v[110:111] neg_lo:[0,0,1] neg_hi:[0,0,1]
	s_delay_alu instid0(VALU_DEP_2)
	v_mov_b32_e32 v107, v113
	scratch_store_b64 off, v[106:107], off offset:56
.LBB50_435:
	s_wait_xcnt 0x0
	s_or_b32 exec_lo, exec_lo, s2
	scratch_load_b64 v[106:107], off, off offset:48
	v_cmp_lt_u32_e64 s0, 6, v0
	s_wait_loadcnt 0x0
	ds_store_b64 v1, v[106:107]
	s_wait_storecnt_dscnt 0x0
	s_barrier_signal -1
	s_barrier_wait -1
	s_wait_xcnt 0x0
	s_and_saveexec_b32 s2, s0
	s_cbranch_execz .LBB50_445
; %bb.436:
	s_and_not1_b32 vcc_lo, exec_lo, s3
	s_cbranch_vccnz .LBB50_438
; %bb.437:
	scratch_load_b64 v[106:107], v51, off
	ds_load_b64 v[108:109], v1
	s_wait_loadcnt_dscnt 0x0
	v_pk_mul_f32 v[110:111], v[108:109], v[106:107] op_sel:[1,1] op_sel_hi:[0,1]
	s_delay_alu instid0(VALU_DEP_1) | instskip(SKIP_1) | instid1(VALU_DEP_2)
	v_pk_fma_f32 v[112:113], v[108:109], v[106:107], v[110:111] op_sel_hi:[1,0,1]
	v_pk_fma_f32 v[106:107], v[108:109], v[106:107], v[110:111] neg_lo:[0,0,1] neg_hi:[0,0,1]
	v_mov_b32_e32 v107, v113
	s_cbranch_execz .LBB50_439
	s_branch .LBB50_440
.LBB50_438:
                                        ; implicit-def: $vgpr106_vgpr107
.LBB50_439:
	ds_load_b64 v[106:107], v1
.LBB50_440:
	s_and_saveexec_b32 s9, s1
	s_cbranch_execz .LBB50_444
; %bb.441:
	v_add_nc_u32_e32 v108, -7, v0
	s_mov_b32 s1, 56
	s_movk_i32 s11, 0x1d8
	s_mov_b32 s10, 0
.LBB50_442:                             ; =>This Inner Loop Header: Depth=1
	scratch_load_b64 v[110:111], off, s1
	v_dual_mov_b32 v109, s11 :: v_dual_add_nc_u32 v108, -1, v108
	s_add_co_i32 s11, s11, 8
	s_wait_xcnt 0x0
	s_add_co_i32 s1, s1, 8
	ds_load_b64 v[112:113], v109
	v_cmp_eq_u32_e32 vcc_lo, 0, v108
	s_or_b32 s10, vcc_lo, s10
	s_wait_loadcnt_dscnt 0x0
	v_pk_mul_f32 v[114:115], v[112:113], v[110:111] op_sel:[1,1] op_sel_hi:[0,1]
	s_delay_alu instid0(VALU_DEP_1) | instskip(SKIP_1) | instid1(VALU_DEP_2)
	v_pk_fma_f32 v[116:117], v[112:113], v[110:111], v[114:115] op_sel_hi:[1,0,1]
	v_pk_fma_f32 v[110:111], v[112:113], v[110:111], v[114:115] neg_lo:[0,0,1] neg_hi:[0,0,1]
	v_mov_b32_e32 v111, v117
	s_delay_alu instid0(VALU_DEP_1)
	v_pk_add_f32 v[106:107], v[106:107], v[110:111]
	s_and_not1_b32 exec_lo, exec_lo, s10
	s_cbranch_execnz .LBB50_442
; %bb.443:
	s_or_b32 exec_lo, exec_lo, s10
.LBB50_444:
	s_delay_alu instid0(SALU_CYCLE_1) | instskip(SKIP_4) | instid1(VALU_DEP_1)
	s_or_b32 exec_lo, exec_lo, s9
	v_mov_b32_e32 v108, 0
	ds_load_b64 v[108:109], v108 offset:48
	s_wait_dscnt 0x0
	v_pk_mul_f32 v[110:111], v[106:107], v[108:109] op_sel:[1,1] op_sel_hi:[0,1]
	v_pk_fma_f32 v[112:113], v[106:107], v[108:109], v[110:111] op_sel_hi:[1,0,1]
	v_pk_fma_f32 v[106:107], v[106:107], v[108:109], v[110:111] neg_lo:[0,0,1] neg_hi:[0,0,1]
	s_delay_alu instid0(VALU_DEP_2)
	v_mov_b32_e32 v107, v113
	scratch_store_b64 off, v[106:107], off offset:48
.LBB50_445:
	s_wait_xcnt 0x0
	s_or_b32 exec_lo, exec_lo, s2
	scratch_load_b64 v[106:107], off, off offset:40
	v_cmp_lt_u32_e64 s1, 5, v0
	s_wait_loadcnt 0x0
	ds_store_b64 v1, v[106:107]
	s_wait_storecnt_dscnt 0x0
	s_barrier_signal -1
	s_barrier_wait -1
	s_wait_xcnt 0x0
	s_and_saveexec_b32 s2, s1
	s_cbranch_execz .LBB50_455
; %bb.446:
	s_and_not1_b32 vcc_lo, exec_lo, s3
	s_cbranch_vccnz .LBB50_448
; %bb.447:
	scratch_load_b64 v[106:107], v51, off
	ds_load_b64 v[108:109], v1
	s_wait_loadcnt_dscnt 0x0
	v_pk_mul_f32 v[110:111], v[108:109], v[106:107] op_sel:[1,1] op_sel_hi:[0,1]
	s_delay_alu instid0(VALU_DEP_1) | instskip(SKIP_1) | instid1(VALU_DEP_2)
	v_pk_fma_f32 v[112:113], v[108:109], v[106:107], v[110:111] op_sel_hi:[1,0,1]
	v_pk_fma_f32 v[106:107], v[108:109], v[106:107], v[110:111] neg_lo:[0,0,1] neg_hi:[0,0,1]
	v_mov_b32_e32 v107, v113
	s_cbranch_execz .LBB50_449
	s_branch .LBB50_450
.LBB50_448:
                                        ; implicit-def: $vgpr106_vgpr107
.LBB50_449:
	ds_load_b64 v[106:107], v1
.LBB50_450:
	s_and_saveexec_b32 s9, s0
	s_cbranch_execz .LBB50_454
; %bb.451:
	v_add_nc_u32_e32 v108, -6, v0
	s_movk_i32 s10, 0x1d0
	s_mov_b32 s0, 0
.LBB50_452:                             ; =>This Inner Loop Header: Depth=1
	scratch_load_b64 v[110:111], off, s8
	v_dual_mov_b32 v109, s10 :: v_dual_add_nc_u32 v108, -1, v108
	s_add_co_i32 s10, s10, 8
	s_wait_xcnt 0x0
	s_add_co_i32 s8, s8, 8
	ds_load_b64 v[112:113], v109
	v_cmp_eq_u32_e32 vcc_lo, 0, v108
	s_or_b32 s0, vcc_lo, s0
	s_wait_loadcnt_dscnt 0x0
	v_pk_mul_f32 v[114:115], v[112:113], v[110:111] op_sel:[1,1] op_sel_hi:[0,1]
	s_delay_alu instid0(VALU_DEP_1) | instskip(SKIP_1) | instid1(VALU_DEP_2)
	v_pk_fma_f32 v[116:117], v[112:113], v[110:111], v[114:115] op_sel_hi:[1,0,1]
	v_pk_fma_f32 v[110:111], v[112:113], v[110:111], v[114:115] neg_lo:[0,0,1] neg_hi:[0,0,1]
	v_mov_b32_e32 v111, v117
	s_delay_alu instid0(VALU_DEP_1)
	v_pk_add_f32 v[106:107], v[106:107], v[110:111]
	s_and_not1_b32 exec_lo, exec_lo, s0
	s_cbranch_execnz .LBB50_452
; %bb.453:
	s_or_b32 exec_lo, exec_lo, s0
.LBB50_454:
	s_delay_alu instid0(SALU_CYCLE_1) | instskip(SKIP_4) | instid1(VALU_DEP_1)
	s_or_b32 exec_lo, exec_lo, s9
	v_mov_b32_e32 v108, 0
	ds_load_b64 v[108:109], v108 offset:40
	s_wait_dscnt 0x0
	v_pk_mul_f32 v[110:111], v[106:107], v[108:109] op_sel:[1,1] op_sel_hi:[0,1]
	v_pk_fma_f32 v[112:113], v[106:107], v[108:109], v[110:111] op_sel_hi:[1,0,1]
	v_pk_fma_f32 v[106:107], v[106:107], v[108:109], v[110:111] neg_lo:[0,0,1] neg_hi:[0,0,1]
	s_delay_alu instid0(VALU_DEP_2)
	v_mov_b32_e32 v107, v113
	scratch_store_b64 off, v[106:107], off offset:40
.LBB50_455:
	s_wait_xcnt 0x0
	s_or_b32 exec_lo, exec_lo, s2
	scratch_load_b64 v[106:107], off, off offset:32
	v_cmp_lt_u32_e64 s0, 4, v0
	s_wait_loadcnt 0x0
	ds_store_b64 v1, v[106:107]
	s_wait_storecnt_dscnt 0x0
	s_barrier_signal -1
	s_barrier_wait -1
	s_wait_xcnt 0x0
	s_and_saveexec_b32 s2, s0
	s_cbranch_execz .LBB50_465
; %bb.456:
	s_and_not1_b32 vcc_lo, exec_lo, s3
	s_cbranch_vccnz .LBB50_458
; %bb.457:
	scratch_load_b64 v[106:107], v51, off
	ds_load_b64 v[108:109], v1
	s_wait_loadcnt_dscnt 0x0
	v_pk_mul_f32 v[110:111], v[108:109], v[106:107] op_sel:[1,1] op_sel_hi:[0,1]
	s_delay_alu instid0(VALU_DEP_1) | instskip(SKIP_1) | instid1(VALU_DEP_2)
	v_pk_fma_f32 v[112:113], v[108:109], v[106:107], v[110:111] op_sel_hi:[1,0,1]
	v_pk_fma_f32 v[106:107], v[108:109], v[106:107], v[110:111] neg_lo:[0,0,1] neg_hi:[0,0,1]
	v_mov_b32_e32 v107, v113
	s_cbranch_execz .LBB50_459
	s_branch .LBB50_460
.LBB50_458:
                                        ; implicit-def: $vgpr106_vgpr107
.LBB50_459:
	ds_load_b64 v[106:107], v1
.LBB50_460:
	s_and_saveexec_b32 s8, s1
	s_cbranch_execz .LBB50_464
; %bb.461:
	v_add_nc_u32_e32 v108, -5, v0
	s_mov_b32 s1, 40
	s_movk_i32 s10, 0x1c8
	s_mov_b32 s9, 0
.LBB50_462:                             ; =>This Inner Loop Header: Depth=1
	scratch_load_b64 v[110:111], off, s1
	v_dual_mov_b32 v109, s10 :: v_dual_add_nc_u32 v108, -1, v108
	s_add_co_i32 s10, s10, 8
	s_wait_xcnt 0x0
	s_add_co_i32 s1, s1, 8
	ds_load_b64 v[112:113], v109
	v_cmp_eq_u32_e32 vcc_lo, 0, v108
	s_or_b32 s9, vcc_lo, s9
	s_wait_loadcnt_dscnt 0x0
	v_pk_mul_f32 v[114:115], v[112:113], v[110:111] op_sel:[1,1] op_sel_hi:[0,1]
	s_delay_alu instid0(VALU_DEP_1) | instskip(SKIP_1) | instid1(VALU_DEP_2)
	v_pk_fma_f32 v[116:117], v[112:113], v[110:111], v[114:115] op_sel_hi:[1,0,1]
	v_pk_fma_f32 v[110:111], v[112:113], v[110:111], v[114:115] neg_lo:[0,0,1] neg_hi:[0,0,1]
	v_mov_b32_e32 v111, v117
	s_delay_alu instid0(VALU_DEP_1)
	v_pk_add_f32 v[106:107], v[106:107], v[110:111]
	s_and_not1_b32 exec_lo, exec_lo, s9
	s_cbranch_execnz .LBB50_462
; %bb.463:
	s_or_b32 exec_lo, exec_lo, s9
.LBB50_464:
	s_delay_alu instid0(SALU_CYCLE_1) | instskip(SKIP_4) | instid1(VALU_DEP_1)
	s_or_b32 exec_lo, exec_lo, s8
	v_mov_b32_e32 v108, 0
	ds_load_b64 v[108:109], v108 offset:32
	s_wait_dscnt 0x0
	v_pk_mul_f32 v[110:111], v[106:107], v[108:109] op_sel:[1,1] op_sel_hi:[0,1]
	v_pk_fma_f32 v[112:113], v[106:107], v[108:109], v[110:111] op_sel_hi:[1,0,1]
	v_pk_fma_f32 v[106:107], v[106:107], v[108:109], v[110:111] neg_lo:[0,0,1] neg_hi:[0,0,1]
	s_delay_alu instid0(VALU_DEP_2)
	v_mov_b32_e32 v107, v113
	scratch_store_b64 off, v[106:107], off offset:32
.LBB50_465:
	s_wait_xcnt 0x0
	s_or_b32 exec_lo, exec_lo, s2
	scratch_load_b64 v[106:107], off, off offset:24
	v_cmp_lt_u32_e64 s2, 3, v0
	s_wait_loadcnt 0x0
	ds_store_b64 v1, v[106:107]
	s_wait_storecnt_dscnt 0x0
	s_barrier_signal -1
	s_barrier_wait -1
	s_wait_xcnt 0x0
	s_and_saveexec_b32 s1, s2
	s_cbranch_execz .LBB50_475
; %bb.466:
	s_and_not1_b32 vcc_lo, exec_lo, s3
	s_cbranch_vccnz .LBB50_468
; %bb.467:
	scratch_load_b64 v[106:107], v51, off
	ds_load_b64 v[108:109], v1
	s_wait_loadcnt_dscnt 0x0
	v_pk_mul_f32 v[110:111], v[108:109], v[106:107] op_sel:[1,1] op_sel_hi:[0,1]
	s_delay_alu instid0(VALU_DEP_1) | instskip(SKIP_1) | instid1(VALU_DEP_2)
	v_pk_fma_f32 v[112:113], v[108:109], v[106:107], v[110:111] op_sel_hi:[1,0,1]
	v_pk_fma_f32 v[106:107], v[108:109], v[106:107], v[110:111] neg_lo:[0,0,1] neg_hi:[0,0,1]
	v_mov_b32_e32 v107, v113
	s_cbranch_execz .LBB50_469
	s_branch .LBB50_470
.LBB50_468:
                                        ; implicit-def: $vgpr106_vgpr107
.LBB50_469:
	ds_load_b64 v[106:107], v1
.LBB50_470:
	s_and_saveexec_b32 s8, s0
	s_cbranch_execz .LBB50_474
; %bb.471:
	v_add_nc_u32_e32 v108, -4, v0
	s_movk_i32 s9, 0x1c0
	s_mov_b32 s0, 0
.LBB50_472:                             ; =>This Inner Loop Header: Depth=1
	scratch_load_b64 v[110:111], off, s5
	v_dual_mov_b32 v109, s9 :: v_dual_add_nc_u32 v108, -1, v108
	s_add_co_i32 s9, s9, 8
	s_wait_xcnt 0x0
	s_add_co_i32 s5, s5, 8
	ds_load_b64 v[112:113], v109
	v_cmp_eq_u32_e32 vcc_lo, 0, v108
	s_or_b32 s0, vcc_lo, s0
	s_wait_loadcnt_dscnt 0x0
	v_pk_mul_f32 v[114:115], v[112:113], v[110:111] op_sel:[1,1] op_sel_hi:[0,1]
	s_delay_alu instid0(VALU_DEP_1) | instskip(SKIP_1) | instid1(VALU_DEP_2)
	v_pk_fma_f32 v[116:117], v[112:113], v[110:111], v[114:115] op_sel_hi:[1,0,1]
	v_pk_fma_f32 v[110:111], v[112:113], v[110:111], v[114:115] neg_lo:[0,0,1] neg_hi:[0,0,1]
	v_mov_b32_e32 v111, v117
	s_delay_alu instid0(VALU_DEP_1)
	v_pk_add_f32 v[106:107], v[106:107], v[110:111]
	s_and_not1_b32 exec_lo, exec_lo, s0
	s_cbranch_execnz .LBB50_472
; %bb.473:
	s_or_b32 exec_lo, exec_lo, s0
.LBB50_474:
	s_delay_alu instid0(SALU_CYCLE_1) | instskip(SKIP_4) | instid1(VALU_DEP_1)
	s_or_b32 exec_lo, exec_lo, s8
	v_mov_b32_e32 v108, 0
	ds_load_b64 v[108:109], v108 offset:24
	s_wait_dscnt 0x0
	v_pk_mul_f32 v[110:111], v[106:107], v[108:109] op_sel:[1,1] op_sel_hi:[0,1]
	v_pk_fma_f32 v[112:113], v[106:107], v[108:109], v[110:111] op_sel_hi:[1,0,1]
	v_pk_fma_f32 v[106:107], v[106:107], v[108:109], v[110:111] neg_lo:[0,0,1] neg_hi:[0,0,1]
	s_delay_alu instid0(VALU_DEP_2)
	v_mov_b32_e32 v107, v113
	scratch_store_b64 off, v[106:107], off offset:24
.LBB50_475:
	s_wait_xcnt 0x0
	s_or_b32 exec_lo, exec_lo, s1
	scratch_load_b64 v[106:107], off, off offset:16
	v_cmp_lt_u32_e64 s1, 2, v0
	s_wait_loadcnt 0x0
	ds_store_b64 v1, v[106:107]
	s_wait_storecnt_dscnt 0x0
	s_barrier_signal -1
	s_barrier_wait -1
	s_wait_xcnt 0x0
	s_and_saveexec_b32 s0, s1
	s_cbranch_execz .LBB50_485
; %bb.476:
	s_and_not1_b32 vcc_lo, exec_lo, s3
	s_cbranch_vccnz .LBB50_478
; %bb.477:
	scratch_load_b64 v[106:107], v51, off
	ds_load_b64 v[108:109], v1
	s_wait_loadcnt_dscnt 0x0
	v_pk_mul_f32 v[110:111], v[108:109], v[106:107] op_sel:[1,1] op_sel_hi:[0,1]
	s_delay_alu instid0(VALU_DEP_1) | instskip(SKIP_1) | instid1(VALU_DEP_2)
	v_pk_fma_f32 v[112:113], v[108:109], v[106:107], v[110:111] op_sel_hi:[1,0,1]
	v_pk_fma_f32 v[106:107], v[108:109], v[106:107], v[110:111] neg_lo:[0,0,1] neg_hi:[0,0,1]
	v_mov_b32_e32 v107, v113
	s_cbranch_execz .LBB50_479
	s_branch .LBB50_480
.LBB50_478:
                                        ; implicit-def: $vgpr106_vgpr107
.LBB50_479:
	ds_load_b64 v[106:107], v1
.LBB50_480:
	s_and_saveexec_b32 s5, s2
	s_cbranch_execz .LBB50_484
; %bb.481:
	v_add_nc_u32_e32 v108, -3, v0
	s_mov_b32 s2, 24
	s_movk_i32 s9, 0x1b8
	s_mov_b32 s8, 0
.LBB50_482:                             ; =>This Inner Loop Header: Depth=1
	scratch_load_b64 v[110:111], off, s2
	v_dual_mov_b32 v109, s9 :: v_dual_add_nc_u32 v108, -1, v108
	s_add_co_i32 s9, s9, 8
	s_wait_xcnt 0x0
	s_add_co_i32 s2, s2, 8
	ds_load_b64 v[112:113], v109
	v_cmp_eq_u32_e32 vcc_lo, 0, v108
	s_or_b32 s8, vcc_lo, s8
	s_wait_loadcnt_dscnt 0x0
	v_pk_mul_f32 v[114:115], v[112:113], v[110:111] op_sel:[1,1] op_sel_hi:[0,1]
	s_delay_alu instid0(VALU_DEP_1) | instskip(SKIP_1) | instid1(VALU_DEP_2)
	v_pk_fma_f32 v[116:117], v[112:113], v[110:111], v[114:115] op_sel_hi:[1,0,1]
	v_pk_fma_f32 v[110:111], v[112:113], v[110:111], v[114:115] neg_lo:[0,0,1] neg_hi:[0,0,1]
	v_mov_b32_e32 v111, v117
	s_delay_alu instid0(VALU_DEP_1)
	v_pk_add_f32 v[106:107], v[106:107], v[110:111]
	s_and_not1_b32 exec_lo, exec_lo, s8
	s_cbranch_execnz .LBB50_482
; %bb.483:
	s_or_b32 exec_lo, exec_lo, s8
.LBB50_484:
	s_delay_alu instid0(SALU_CYCLE_1) | instskip(SKIP_4) | instid1(VALU_DEP_1)
	s_or_b32 exec_lo, exec_lo, s5
	v_mov_b32_e32 v108, 0
	ds_load_b64 v[108:109], v108 offset:16
	s_wait_dscnt 0x0
	v_pk_mul_f32 v[110:111], v[106:107], v[108:109] op_sel:[1,1] op_sel_hi:[0,1]
	v_pk_fma_f32 v[112:113], v[106:107], v[108:109], v[110:111] op_sel_hi:[1,0,1]
	v_pk_fma_f32 v[106:107], v[106:107], v[108:109], v[110:111] neg_lo:[0,0,1] neg_hi:[0,0,1]
	s_delay_alu instid0(VALU_DEP_2)
	v_mov_b32_e32 v107, v113
	scratch_store_b64 off, v[106:107], off offset:16
.LBB50_485:
	s_wait_xcnt 0x0
	s_or_b32 exec_lo, exec_lo, s0
	scratch_load_b64 v[106:107], off, off offset:8
	v_cmp_lt_u32_e64 s0, 1, v0
	s_wait_loadcnt 0x0
	ds_store_b64 v1, v[106:107]
	s_wait_storecnt_dscnt 0x0
	s_barrier_signal -1
	s_barrier_wait -1
	s_wait_xcnt 0x0
	s_and_saveexec_b32 s2, s0
	s_cbranch_execz .LBB50_495
; %bb.486:
	s_and_not1_b32 vcc_lo, exec_lo, s3
	s_cbranch_vccnz .LBB50_488
; %bb.487:
	scratch_load_b64 v[106:107], v51, off
	ds_load_b64 v[108:109], v1
	s_wait_loadcnt_dscnt 0x0
	v_pk_mul_f32 v[110:111], v[108:109], v[106:107] op_sel:[1,1] op_sel_hi:[0,1]
	s_delay_alu instid0(VALU_DEP_1) | instskip(SKIP_1) | instid1(VALU_DEP_2)
	v_pk_fma_f32 v[112:113], v[108:109], v[106:107], v[110:111] op_sel_hi:[1,0,1]
	v_pk_fma_f32 v[106:107], v[108:109], v[106:107], v[110:111] neg_lo:[0,0,1] neg_hi:[0,0,1]
	v_mov_b32_e32 v107, v113
	s_cbranch_execz .LBB50_489
	s_branch .LBB50_490
.LBB50_488:
                                        ; implicit-def: $vgpr106_vgpr107
.LBB50_489:
	ds_load_b64 v[106:107], v1
.LBB50_490:
	s_and_saveexec_b32 s5, s1
	s_cbranch_execz .LBB50_494
; %bb.491:
	v_add_nc_u32_e32 v108, -2, v0
	s_movk_i32 s8, 0x1b0
	s_mov_b32 s1, 0
.LBB50_492:                             ; =>This Inner Loop Header: Depth=1
	scratch_load_b64 v[110:111], off, s4
	v_dual_mov_b32 v109, s8 :: v_dual_add_nc_u32 v108, -1, v108
	s_add_co_i32 s8, s8, 8
	s_wait_xcnt 0x0
	s_add_co_i32 s4, s4, 8
	ds_load_b64 v[112:113], v109
	v_cmp_eq_u32_e32 vcc_lo, 0, v108
	s_or_b32 s1, vcc_lo, s1
	s_wait_loadcnt_dscnt 0x0
	v_pk_mul_f32 v[114:115], v[112:113], v[110:111] op_sel:[1,1] op_sel_hi:[0,1]
	s_delay_alu instid0(VALU_DEP_1) | instskip(SKIP_1) | instid1(VALU_DEP_2)
	v_pk_fma_f32 v[116:117], v[112:113], v[110:111], v[114:115] op_sel_hi:[1,0,1]
	v_pk_fma_f32 v[110:111], v[112:113], v[110:111], v[114:115] neg_lo:[0,0,1] neg_hi:[0,0,1]
	v_mov_b32_e32 v111, v117
	s_delay_alu instid0(VALU_DEP_1)
	v_pk_add_f32 v[106:107], v[106:107], v[110:111]
	s_and_not1_b32 exec_lo, exec_lo, s1
	s_cbranch_execnz .LBB50_492
; %bb.493:
	s_or_b32 exec_lo, exec_lo, s1
.LBB50_494:
	s_delay_alu instid0(SALU_CYCLE_1) | instskip(SKIP_4) | instid1(VALU_DEP_1)
	s_or_b32 exec_lo, exec_lo, s5
	v_mov_b32_e32 v108, 0
	ds_load_b64 v[108:109], v108 offset:8
	s_wait_dscnt 0x0
	v_pk_mul_f32 v[110:111], v[106:107], v[108:109] op_sel:[1,1] op_sel_hi:[0,1]
	v_pk_fma_f32 v[112:113], v[106:107], v[108:109], v[110:111] op_sel_hi:[1,0,1]
	v_pk_fma_f32 v[106:107], v[106:107], v[108:109], v[110:111] neg_lo:[0,0,1] neg_hi:[0,0,1]
	s_delay_alu instid0(VALU_DEP_2)
	v_mov_b32_e32 v107, v113
	scratch_store_b64 off, v[106:107], off offset:8
.LBB50_495:
	s_wait_xcnt 0x0
	s_or_b32 exec_lo, exec_lo, s2
	scratch_load_b64 v[106:107], off, off
	s_mov_b32 s2, 0
	s_mov_b32 s1, 0
	s_mov_b32 s5, exec_lo
                                        ; implicit-def: $vgpr142
                                        ; implicit-def: $sgpr4
	s_wait_loadcnt 0x0
	ds_store_b64 v1, v[106:107]
	s_wait_storecnt_dscnt 0x0
	s_barrier_signal -1
	s_barrier_wait -1
	s_wait_xcnt 0x0
	v_cmpx_ne_u32_e32 0, v0
	s_cbranch_execz .LBB50_505
; %bb.496:
	s_and_not1_b32 vcc_lo, exec_lo, s3
	s_cbranch_vccnz .LBB50_498
; %bb.497:
	scratch_load_b64 v[108:109], v51, off
	ds_load_b64 v[110:111], v1
	s_wait_loadcnt_dscnt 0x0
	v_dual_mul_f32 v106, v111, v109 :: v_dual_mul_f32 v107, v110, v109
	s_delay_alu instid0(VALU_DEP_1)
	v_dual_fma_f32 v106, v110, v108, -v106 :: v_dual_fmac_f32 v107, v111, v108
	s_and_not1_b32 vcc_lo, exec_lo, s1
	s_cbranch_vccz .LBB50_499
	s_branch .LBB50_500
.LBB50_498:
                                        ; implicit-def: $vgpr106
.LBB50_499:
	ds_load_b64 v[106:107], v1
.LBB50_500:
	s_and_saveexec_b32 s1, s0
	s_cbranch_execz .LBB50_504
; %bb.501:
	v_add_nc_u32_e32 v108, -1, v0
	s_or_b32 s0, 0, 8
	s_movk_i32 s8, 0x1a8
	s_mov_b32 s4, 0
.LBB50_502:                             ; =>This Inner Loop Header: Depth=1
	scratch_load_b64 v[110:111], off, s0
	v_mov_b32_e32 v109, s8
	s_add_co_i32 s8, s8, 8
	s_wait_xcnt 0x0
	s_add_co_i32 s0, s0, 8
	v_add_nc_u32_e32 v108, -1, v108
	ds_load_b64 v[112:113], v109
	v_cmp_eq_u32_e32 vcc_lo, 0, v108
	s_or_b32 s4, vcc_lo, s4
	s_wait_loadcnt_dscnt 0x0
	v_dual_mul_f32 v109, v113, v111 :: v_dual_mul_f32 v111, v112, v111
	s_delay_alu instid0(VALU_DEP_1) | instskip(NEXT) | instid1(VALU_DEP_1)
	v_dual_fma_f32 v109, v112, v110, -v109 :: v_dual_fmac_f32 v111, v113, v110
	v_dual_add_f32 v106, v106, v109 :: v_dual_add_f32 v107, v107, v111
	s_and_not1_b32 exec_lo, exec_lo, s4
	s_cbranch_execnz .LBB50_502
; %bb.503:
	s_or_b32 exec_lo, exec_lo, s4
.LBB50_504:
	s_delay_alu instid0(SALU_CYCLE_1)
	s_or_b32 exec_lo, exec_lo, s1
	v_mov_b32_e32 v108, 0
	s_mov_b32 s1, exec_lo
	s_or_b32 s4, 0, 4
	ds_load_b64 v[108:109], v108
	s_wait_dscnt 0x0
	v_dual_mul_f32 v110, v107, v109 :: v_dual_mul_f32 v142, v106, v109
	s_delay_alu instid0(VALU_DEP_1) | instskip(NEXT) | instid1(VALU_DEP_2)
	v_fma_f32 v106, v106, v108, -v110
	v_fmac_f32_e32 v142, v107, v108
	scratch_store_b32 off, v106, off
.LBB50_505:
	s_wait_xcnt 0x0
	s_or_b32 exec_lo, exec_lo, s5
	s_delay_alu instid0(SALU_CYCLE_1)
	s_and_b32 vcc_lo, exec_lo, s2
	s_cbranch_vccz .LBB50_1001
.LBB50_506:
	scratch_load_b64 v[106:107], off, off offset:8
	v_cmp_eq_u32_e64 s0, 0, v0
	s_wait_loadcnt 0x0
	ds_store_b64 v1, v[106:107]
	s_wait_storecnt_dscnt 0x0
	s_barrier_signal -1
	s_barrier_wait -1
	s_wait_xcnt 0x0
	s_and_saveexec_b32 s2, s0
	s_cbranch_execz .LBB50_512
; %bb.507:
	s_and_b32 vcc_lo, exec_lo, s3
	s_cbranch_vccz .LBB50_509
; %bb.508:
	scratch_load_b64 v[106:107], v51, off
	ds_load_b64 v[108:109], v1
	s_wait_loadcnt_dscnt 0x0
	v_pk_mul_f32 v[110:111], v[108:109], v[106:107] op_sel:[1,1] op_sel_hi:[0,1]
	v_pk_mul_f32 v[112:113], v[108:109], v[106:107] op_sel_hi:[1,0]
	s_delay_alu instid0(VALU_DEP_2) | instskip(NEXT) | instid1(VALU_DEP_2)
	v_pk_fma_f32 v[106:107], v[108:109], v[106:107], v[110:111] op_sel_hi:[1,0,1]
	v_sub_f32_e32 v106, v112, v110
	s_cbranch_execz .LBB50_510
	s_branch .LBB50_511
.LBB50_509:
                                        ; implicit-def: $vgpr107
.LBB50_510:
	ds_load_b64 v[106:107], v1
.LBB50_511:
	s_wait_dscnt 0x0
	v_dual_mov_b32 v108, 0 :: v_dual_mov_b32 v110, v107
	v_mov_b32_e32 v111, v106
	ds_load_b64 v[108:109], v108 offset:8
	s_wait_dscnt 0x0
	v_pk_mul_f32 v[110:111], v[110:111], v[108:109] op_sel:[0,1]
	s_delay_alu instid0(VALU_DEP_1) | instskip(SKIP_1) | instid1(VALU_DEP_2)
	v_pk_fma_f32 v[112:113], v[106:107], v[108:109], v[110:111] op_sel_hi:[1,0,1]
	v_pk_fma_f32 v[106:107], v[106:107], v[108:109], v[110:111] neg_lo:[0,0,1] neg_hi:[0,0,1]
	v_mov_b32_e32 v107, v113
	scratch_store_b64 off, v[106:107], off offset:8
.LBB50_512:
	s_wait_xcnt 0x0
	s_or_b32 exec_lo, exec_lo, s2
	scratch_load_b64 v[106:107], off, off offset:16
	v_cndmask_b32_e64 v108, 0, 1, s3
	s_mov_b32 s2, exec_lo
	s_wait_loadcnt 0x0
	ds_store_b64 v1, v[106:107]
	s_wait_storecnt_dscnt 0x0
	s_barrier_signal -1
	s_barrier_wait -1
	s_wait_xcnt 0x0
	v_cmpx_gt_u32_e32 2, v0
	s_cbranch_execz .LBB50_520
; %bb.513:
	s_and_not1_b32 vcc_lo, exec_lo, s3
	s_cbranch_vccnz .LBB50_515
; %bb.514:
	scratch_load_b64 v[106:107], v51, off
	ds_load_b64 v[110:111], v1
	s_wait_loadcnt_dscnt 0x0
	v_pk_mul_f32 v[112:113], v[110:111], v[106:107] op_sel:[1,1] op_sel_hi:[0,1]
	s_delay_alu instid0(VALU_DEP_1) | instskip(SKIP_1) | instid1(VALU_DEP_2)
	v_pk_fma_f32 v[114:115], v[110:111], v[106:107], v[112:113] op_sel_hi:[1,0,1]
	v_pk_fma_f32 v[106:107], v[110:111], v[106:107], v[112:113] neg_lo:[0,0,1] neg_hi:[0,0,1]
	v_mov_b32_e32 v107, v115
	s_cbranch_execz .LBB50_516
	s_branch .LBB50_517
.LBB50_515:
                                        ; implicit-def: $vgpr106_vgpr107
.LBB50_516:
	ds_load_b64 v[106:107], v1
.LBB50_517:
	s_and_saveexec_b32 s3, s0
	s_cbranch_execz .LBB50_519
; %bb.518:
	scratch_load_b64 v[110:111], off, off offset:8
	v_mov_b32_e32 v109, 0
	ds_load_b64 v[112:113], v109 offset:424
	s_wait_loadcnt_dscnt 0x0
	v_pk_mul_f32 v[114:115], v[112:113], v[110:111] op_sel:[1,1] op_sel_hi:[0,1]
	s_delay_alu instid0(VALU_DEP_1) | instskip(SKIP_1) | instid1(VALU_DEP_2)
	v_pk_fma_f32 v[116:117], v[112:113], v[110:111], v[114:115] op_sel_hi:[1,0,1]
	v_pk_fma_f32 v[110:111], v[112:113], v[110:111], v[114:115] neg_lo:[0,0,1] neg_hi:[0,0,1]
	v_mov_b32_e32 v111, v117
	s_delay_alu instid0(VALU_DEP_1)
	v_pk_add_f32 v[106:107], v[106:107], v[110:111]
.LBB50_519:
	s_or_b32 exec_lo, exec_lo, s3
	v_mov_b32_e32 v109, 0
	ds_load_b64 v[110:111], v109 offset:16
	s_wait_dscnt 0x0
	v_pk_mul_f32 v[112:113], v[106:107], v[110:111] op_sel:[1,1] op_sel_hi:[0,1]
	s_delay_alu instid0(VALU_DEP_1) | instskip(SKIP_1) | instid1(VALU_DEP_2)
	v_pk_fma_f32 v[114:115], v[106:107], v[110:111], v[112:113] op_sel_hi:[1,0,1]
	v_pk_fma_f32 v[106:107], v[106:107], v[110:111], v[112:113] neg_lo:[0,0,1] neg_hi:[0,0,1]
	v_mov_b32_e32 v107, v115
	scratch_store_b64 off, v[106:107], off offset:16
.LBB50_520:
	s_wait_xcnt 0x0
	s_or_b32 exec_lo, exec_lo, s2
	scratch_load_b64 v[106:107], off, off offset:24
	s_mov_b32 s2, exec_lo
	s_wait_loadcnt 0x0
	ds_store_b64 v1, v[106:107]
	s_wait_storecnt_dscnt 0x0
	s_barrier_signal -1
	s_barrier_wait -1
	s_wait_xcnt 0x0
	v_cmpx_gt_u32_e32 3, v0
	s_cbranch_execz .LBB50_530
; %bb.521:
	v_cmp_ne_u32_e32 vcc_lo, 1, v108
	s_cbranch_vccnz .LBB50_523
; %bb.522:
	scratch_load_b64 v[106:107], v51, off
	ds_load_b64 v[110:111], v1
	s_wait_loadcnt_dscnt 0x0
	v_pk_mul_f32 v[112:113], v[110:111], v[106:107] op_sel:[1,1] op_sel_hi:[0,1]
	s_delay_alu instid0(VALU_DEP_1) | instskip(SKIP_1) | instid1(VALU_DEP_2)
	v_pk_fma_f32 v[114:115], v[110:111], v[106:107], v[112:113] op_sel_hi:[1,0,1]
	v_pk_fma_f32 v[106:107], v[110:111], v[106:107], v[112:113] neg_lo:[0,0,1] neg_hi:[0,0,1]
	v_mov_b32_e32 v107, v115
	s_cbranch_execz .LBB50_524
	s_branch .LBB50_525
.LBB50_523:
                                        ; implicit-def: $vgpr106_vgpr107
.LBB50_524:
	ds_load_b64 v[106:107], v1
.LBB50_525:
	s_mov_b32 s3, exec_lo
	v_cmpx_ne_u32_e32 2, v0
	s_cbranch_execz .LBB50_529
; %bb.526:
	scratch_load_b64 v[110:111], v51, off offset:8
	ds_load_b64 v[112:113], v1 offset:8
	s_wait_loadcnt_dscnt 0x0
	v_pk_mul_f32 v[114:115], v[112:113], v[110:111] op_sel:[1,1] op_sel_hi:[0,1]
	s_delay_alu instid0(VALU_DEP_1) | instskip(SKIP_1) | instid1(VALU_DEP_2)
	v_pk_fma_f32 v[116:117], v[112:113], v[110:111], v[114:115] op_sel_hi:[1,0,1]
	v_pk_fma_f32 v[110:111], v[112:113], v[110:111], v[114:115] neg_lo:[0,0,1] neg_hi:[0,0,1]
	v_mov_b32_e32 v111, v117
	s_delay_alu instid0(VALU_DEP_1)
	v_pk_add_f32 v[106:107], v[106:107], v[110:111]
	s_and_saveexec_b32 s4, s0
	s_cbranch_execz .LBB50_528
; %bb.527:
	scratch_load_b64 v[110:111], off, off offset:16
	v_mov_b32_e32 v109, 0
	ds_load_b64 v[112:113], v109 offset:432
	s_wait_loadcnt_dscnt 0x0
	v_pk_mul_f32 v[114:115], v[112:113], v[110:111] op_sel:[1,1] op_sel_hi:[0,1]
	s_delay_alu instid0(VALU_DEP_1) | instskip(SKIP_1) | instid1(VALU_DEP_2)
	v_pk_fma_f32 v[116:117], v[112:113], v[110:111], v[114:115] op_sel_hi:[1,0,1]
	v_pk_fma_f32 v[110:111], v[112:113], v[110:111], v[114:115] neg_lo:[0,0,1] neg_hi:[0,0,1]
	v_mov_b32_e32 v111, v117
	s_delay_alu instid0(VALU_DEP_1)
	v_pk_add_f32 v[106:107], v[106:107], v[110:111]
.LBB50_528:
	s_or_b32 exec_lo, exec_lo, s4
.LBB50_529:
	s_delay_alu instid0(SALU_CYCLE_1) | instskip(SKIP_4) | instid1(VALU_DEP_1)
	s_or_b32 exec_lo, exec_lo, s3
	v_mov_b32_e32 v109, 0
	ds_load_b64 v[110:111], v109 offset:24
	s_wait_dscnt 0x0
	v_pk_mul_f32 v[112:113], v[106:107], v[110:111] op_sel:[1,1] op_sel_hi:[0,1]
	v_pk_fma_f32 v[114:115], v[106:107], v[110:111], v[112:113] op_sel_hi:[1,0,1]
	v_pk_fma_f32 v[106:107], v[106:107], v[110:111], v[112:113] neg_lo:[0,0,1] neg_hi:[0,0,1]
	s_delay_alu instid0(VALU_DEP_2)
	v_mov_b32_e32 v107, v115
	scratch_store_b64 off, v[106:107], off offset:24
.LBB50_530:
	s_wait_xcnt 0x0
	s_or_b32 exec_lo, exec_lo, s2
	scratch_load_b64 v[106:107], off, off offset:32
	s_mov_b32 s0, exec_lo
	s_wait_loadcnt 0x0
	ds_store_b64 v1, v[106:107]
	s_wait_storecnt_dscnt 0x0
	s_barrier_signal -1
	s_barrier_wait -1
	s_wait_xcnt 0x0
	v_cmpx_gt_u32_e32 4, v0
	s_cbranch_execz .LBB50_540
; %bb.531:
	v_cmp_ne_u32_e32 vcc_lo, 1, v108
	s_cbranch_vccnz .LBB50_533
; %bb.532:
	scratch_load_b64 v[106:107], v51, off
	ds_load_b64 v[110:111], v1
	s_wait_loadcnt_dscnt 0x0
	v_pk_mul_f32 v[112:113], v[110:111], v[106:107] op_sel:[1,1] op_sel_hi:[0,1]
	s_delay_alu instid0(VALU_DEP_1) | instskip(SKIP_1) | instid1(VALU_DEP_2)
	v_pk_fma_f32 v[114:115], v[110:111], v[106:107], v[112:113] op_sel_hi:[1,0,1]
	v_pk_fma_f32 v[106:107], v[110:111], v[106:107], v[112:113] neg_lo:[0,0,1] neg_hi:[0,0,1]
	v_mov_b32_e32 v107, v115
	s_cbranch_execz .LBB50_534
	s_branch .LBB50_535
.LBB50_533:
                                        ; implicit-def: $vgpr106_vgpr107
.LBB50_534:
	ds_load_b64 v[106:107], v1
.LBB50_535:
	s_mov_b32 s2, exec_lo
	v_cmpx_ne_u32_e32 3, v0
	s_cbranch_execz .LBB50_539
; %bb.536:
	v_add_nc_u32_e32 v109, 0x1a8, v50
	v_add3_u32 v110, 0, v50, 8
	v_mov_b32_e32 v111, v0
	s_mov_b32 s3, 0
.LBB50_537:                             ; =>This Inner Loop Header: Depth=1
	scratch_load_b64 v[112:113], v110, off
	ds_load_b64 v[114:115], v109
	s_wait_xcnt 0x0
	v_dual_add_nc_u32 v109, 8, v109 :: v_dual_add_nc_u32 v110, 8, v110
	s_wait_loadcnt_dscnt 0x0
	v_pk_mul_f32 v[116:117], v[114:115], v[112:113] op_sel:[1,1] op_sel_hi:[0,1]
	s_delay_alu instid0(VALU_DEP_1) | instskip(SKIP_2) | instid1(VALU_DEP_3)
	v_pk_fma_f32 v[118:119], v[114:115], v[112:113], v[116:117] op_sel_hi:[1,0,1]
	v_add_nc_u32_e32 v111, 1, v111
	v_pk_fma_f32 v[112:113], v[114:115], v[112:113], v[116:117] neg_lo:[0,0,1] neg_hi:[0,0,1]
	v_mov_b32_e32 v113, v119
	s_delay_alu instid0(VALU_DEP_3) | instskip(NEXT) | instid1(VALU_DEP_2)
	v_cmp_lt_u32_e32 vcc_lo, 2, v111
	v_pk_add_f32 v[106:107], v[106:107], v[112:113]
	s_or_b32 s3, vcc_lo, s3
	s_delay_alu instid0(SALU_CYCLE_1)
	s_and_not1_b32 exec_lo, exec_lo, s3
	s_cbranch_execnz .LBB50_537
; %bb.538:
	s_or_b32 exec_lo, exec_lo, s3
.LBB50_539:
	s_delay_alu instid0(SALU_CYCLE_1) | instskip(SKIP_4) | instid1(VALU_DEP_1)
	s_or_b32 exec_lo, exec_lo, s2
	v_mov_b32_e32 v109, 0
	ds_load_b64 v[110:111], v109 offset:32
	s_wait_dscnt 0x0
	v_pk_mul_f32 v[112:113], v[106:107], v[110:111] op_sel:[1,1] op_sel_hi:[0,1]
	v_pk_fma_f32 v[114:115], v[106:107], v[110:111], v[112:113] op_sel_hi:[1,0,1]
	v_pk_fma_f32 v[106:107], v[106:107], v[110:111], v[112:113] neg_lo:[0,0,1] neg_hi:[0,0,1]
	s_delay_alu instid0(VALU_DEP_2)
	v_mov_b32_e32 v107, v115
	scratch_store_b64 off, v[106:107], off offset:32
.LBB50_540:
	s_wait_xcnt 0x0
	s_or_b32 exec_lo, exec_lo, s0
	scratch_load_b64 v[106:107], off, off offset:40
	s_mov_b32 s0, exec_lo
	s_wait_loadcnt 0x0
	ds_store_b64 v1, v[106:107]
	s_wait_storecnt_dscnt 0x0
	s_barrier_signal -1
	s_barrier_wait -1
	s_wait_xcnt 0x0
	v_cmpx_gt_u32_e32 5, v0
	s_cbranch_execz .LBB50_550
; %bb.541:
	v_cmp_ne_u32_e32 vcc_lo, 1, v108
	s_cbranch_vccnz .LBB50_543
; %bb.542:
	scratch_load_b64 v[106:107], v51, off
	ds_load_b64 v[110:111], v1
	s_wait_loadcnt_dscnt 0x0
	v_pk_mul_f32 v[112:113], v[110:111], v[106:107] op_sel:[1,1] op_sel_hi:[0,1]
	s_delay_alu instid0(VALU_DEP_1) | instskip(SKIP_1) | instid1(VALU_DEP_2)
	v_pk_fma_f32 v[114:115], v[110:111], v[106:107], v[112:113] op_sel_hi:[1,0,1]
	v_pk_fma_f32 v[106:107], v[110:111], v[106:107], v[112:113] neg_lo:[0,0,1] neg_hi:[0,0,1]
	v_mov_b32_e32 v107, v115
	s_cbranch_execz .LBB50_544
	s_branch .LBB50_545
.LBB50_543:
                                        ; implicit-def: $vgpr106_vgpr107
.LBB50_544:
	ds_load_b64 v[106:107], v1
.LBB50_545:
	s_mov_b32 s2, exec_lo
	v_cmpx_ne_u32_e32 4, v0
	s_cbranch_execz .LBB50_549
; %bb.546:
	v_add_nc_u32_e32 v109, 0x1a8, v50
	v_add3_u32 v110, 0, v50, 8
	v_mov_b32_e32 v111, v0
	s_mov_b32 s3, 0
.LBB50_547:                             ; =>This Inner Loop Header: Depth=1
	scratch_load_b64 v[112:113], v110, off
	ds_load_b64 v[114:115], v109
	s_wait_xcnt 0x0
	v_dual_add_nc_u32 v109, 8, v109 :: v_dual_add_nc_u32 v110, 8, v110
	s_wait_loadcnt_dscnt 0x0
	v_pk_mul_f32 v[116:117], v[114:115], v[112:113] op_sel:[1,1] op_sel_hi:[0,1]
	s_delay_alu instid0(VALU_DEP_1) | instskip(SKIP_2) | instid1(VALU_DEP_3)
	v_pk_fma_f32 v[118:119], v[114:115], v[112:113], v[116:117] op_sel_hi:[1,0,1]
	v_add_nc_u32_e32 v111, 1, v111
	v_pk_fma_f32 v[112:113], v[114:115], v[112:113], v[116:117] neg_lo:[0,0,1] neg_hi:[0,0,1]
	v_mov_b32_e32 v113, v119
	s_delay_alu instid0(VALU_DEP_3) | instskip(NEXT) | instid1(VALU_DEP_2)
	v_cmp_lt_u32_e32 vcc_lo, 3, v111
	v_pk_add_f32 v[106:107], v[106:107], v[112:113]
	s_or_b32 s3, vcc_lo, s3
	s_delay_alu instid0(SALU_CYCLE_1)
	s_and_not1_b32 exec_lo, exec_lo, s3
	s_cbranch_execnz .LBB50_547
; %bb.548:
	s_or_b32 exec_lo, exec_lo, s3
.LBB50_549:
	s_delay_alu instid0(SALU_CYCLE_1) | instskip(SKIP_4) | instid1(VALU_DEP_1)
	s_or_b32 exec_lo, exec_lo, s2
	v_mov_b32_e32 v109, 0
	ds_load_b64 v[110:111], v109 offset:40
	s_wait_dscnt 0x0
	v_pk_mul_f32 v[112:113], v[106:107], v[110:111] op_sel:[1,1] op_sel_hi:[0,1]
	v_pk_fma_f32 v[114:115], v[106:107], v[110:111], v[112:113] op_sel_hi:[1,0,1]
	v_pk_fma_f32 v[106:107], v[106:107], v[110:111], v[112:113] neg_lo:[0,0,1] neg_hi:[0,0,1]
	s_delay_alu instid0(VALU_DEP_2)
	v_mov_b32_e32 v107, v115
	scratch_store_b64 off, v[106:107], off offset:40
.LBB50_550:
	s_wait_xcnt 0x0
	s_or_b32 exec_lo, exec_lo, s0
	scratch_load_b64 v[106:107], off, off offset:48
	s_mov_b32 s0, exec_lo
	s_wait_loadcnt 0x0
	ds_store_b64 v1, v[106:107]
	s_wait_storecnt_dscnt 0x0
	s_barrier_signal -1
	s_barrier_wait -1
	s_wait_xcnt 0x0
	v_cmpx_gt_u32_e32 6, v0
	s_cbranch_execz .LBB50_560
; %bb.551:
	v_cmp_ne_u32_e32 vcc_lo, 1, v108
	s_cbranch_vccnz .LBB50_553
; %bb.552:
	scratch_load_b64 v[106:107], v51, off
	ds_load_b64 v[110:111], v1
	s_wait_loadcnt_dscnt 0x0
	v_pk_mul_f32 v[112:113], v[110:111], v[106:107] op_sel:[1,1] op_sel_hi:[0,1]
	s_delay_alu instid0(VALU_DEP_1) | instskip(SKIP_1) | instid1(VALU_DEP_2)
	v_pk_fma_f32 v[114:115], v[110:111], v[106:107], v[112:113] op_sel_hi:[1,0,1]
	v_pk_fma_f32 v[106:107], v[110:111], v[106:107], v[112:113] neg_lo:[0,0,1] neg_hi:[0,0,1]
	v_mov_b32_e32 v107, v115
	s_cbranch_execz .LBB50_554
	s_branch .LBB50_555
.LBB50_553:
                                        ; implicit-def: $vgpr106_vgpr107
.LBB50_554:
	ds_load_b64 v[106:107], v1
.LBB50_555:
	s_mov_b32 s2, exec_lo
	v_cmpx_ne_u32_e32 5, v0
	s_cbranch_execz .LBB50_559
; %bb.556:
	v_add_nc_u32_e32 v109, 0x1a8, v50
	v_add3_u32 v110, 0, v50, 8
	v_mov_b32_e32 v111, v0
	s_mov_b32 s3, 0
.LBB50_557:                             ; =>This Inner Loop Header: Depth=1
	scratch_load_b64 v[112:113], v110, off
	ds_load_b64 v[114:115], v109
	s_wait_xcnt 0x0
	v_dual_add_nc_u32 v109, 8, v109 :: v_dual_add_nc_u32 v110, 8, v110
	s_wait_loadcnt_dscnt 0x0
	v_pk_mul_f32 v[116:117], v[114:115], v[112:113] op_sel:[1,1] op_sel_hi:[0,1]
	s_delay_alu instid0(VALU_DEP_1) | instskip(SKIP_2) | instid1(VALU_DEP_3)
	v_pk_fma_f32 v[118:119], v[114:115], v[112:113], v[116:117] op_sel_hi:[1,0,1]
	v_add_nc_u32_e32 v111, 1, v111
	v_pk_fma_f32 v[112:113], v[114:115], v[112:113], v[116:117] neg_lo:[0,0,1] neg_hi:[0,0,1]
	v_mov_b32_e32 v113, v119
	s_delay_alu instid0(VALU_DEP_3) | instskip(NEXT) | instid1(VALU_DEP_2)
	v_cmp_lt_u32_e32 vcc_lo, 4, v111
	v_pk_add_f32 v[106:107], v[106:107], v[112:113]
	s_or_b32 s3, vcc_lo, s3
	s_delay_alu instid0(SALU_CYCLE_1)
	s_and_not1_b32 exec_lo, exec_lo, s3
	s_cbranch_execnz .LBB50_557
; %bb.558:
	s_or_b32 exec_lo, exec_lo, s3
.LBB50_559:
	s_delay_alu instid0(SALU_CYCLE_1) | instskip(SKIP_4) | instid1(VALU_DEP_1)
	s_or_b32 exec_lo, exec_lo, s2
	v_mov_b32_e32 v109, 0
	ds_load_b64 v[110:111], v109 offset:48
	s_wait_dscnt 0x0
	v_pk_mul_f32 v[112:113], v[106:107], v[110:111] op_sel:[1,1] op_sel_hi:[0,1]
	v_pk_fma_f32 v[114:115], v[106:107], v[110:111], v[112:113] op_sel_hi:[1,0,1]
	v_pk_fma_f32 v[106:107], v[106:107], v[110:111], v[112:113] neg_lo:[0,0,1] neg_hi:[0,0,1]
	s_delay_alu instid0(VALU_DEP_2)
	v_mov_b32_e32 v107, v115
	scratch_store_b64 off, v[106:107], off offset:48
.LBB50_560:
	s_wait_xcnt 0x0
	s_or_b32 exec_lo, exec_lo, s0
	scratch_load_b64 v[106:107], off, off offset:56
	s_mov_b32 s0, exec_lo
	s_wait_loadcnt 0x0
	ds_store_b64 v1, v[106:107]
	s_wait_storecnt_dscnt 0x0
	s_barrier_signal -1
	s_barrier_wait -1
	s_wait_xcnt 0x0
	v_cmpx_gt_u32_e32 7, v0
	s_cbranch_execz .LBB50_570
; %bb.561:
	v_cmp_ne_u32_e32 vcc_lo, 1, v108
	s_cbranch_vccnz .LBB50_563
; %bb.562:
	scratch_load_b64 v[106:107], v51, off
	ds_load_b64 v[110:111], v1
	s_wait_loadcnt_dscnt 0x0
	v_pk_mul_f32 v[112:113], v[110:111], v[106:107] op_sel:[1,1] op_sel_hi:[0,1]
	s_delay_alu instid0(VALU_DEP_1) | instskip(SKIP_1) | instid1(VALU_DEP_2)
	v_pk_fma_f32 v[114:115], v[110:111], v[106:107], v[112:113] op_sel_hi:[1,0,1]
	v_pk_fma_f32 v[106:107], v[110:111], v[106:107], v[112:113] neg_lo:[0,0,1] neg_hi:[0,0,1]
	v_mov_b32_e32 v107, v115
	s_cbranch_execz .LBB50_564
	s_branch .LBB50_565
.LBB50_563:
                                        ; implicit-def: $vgpr106_vgpr107
.LBB50_564:
	ds_load_b64 v[106:107], v1
.LBB50_565:
	s_mov_b32 s2, exec_lo
	v_cmpx_ne_u32_e32 6, v0
	s_cbranch_execz .LBB50_569
; %bb.566:
	v_add_nc_u32_e32 v109, 0x1a8, v50
	v_add3_u32 v110, 0, v50, 8
	v_mov_b32_e32 v111, v0
	s_mov_b32 s3, 0
.LBB50_567:                             ; =>This Inner Loop Header: Depth=1
	scratch_load_b64 v[112:113], v110, off
	ds_load_b64 v[114:115], v109
	s_wait_xcnt 0x0
	v_dual_add_nc_u32 v109, 8, v109 :: v_dual_add_nc_u32 v110, 8, v110
	s_wait_loadcnt_dscnt 0x0
	v_pk_mul_f32 v[116:117], v[114:115], v[112:113] op_sel:[1,1] op_sel_hi:[0,1]
	s_delay_alu instid0(VALU_DEP_1) | instskip(SKIP_2) | instid1(VALU_DEP_3)
	v_pk_fma_f32 v[118:119], v[114:115], v[112:113], v[116:117] op_sel_hi:[1,0,1]
	v_add_nc_u32_e32 v111, 1, v111
	v_pk_fma_f32 v[112:113], v[114:115], v[112:113], v[116:117] neg_lo:[0,0,1] neg_hi:[0,0,1]
	v_mov_b32_e32 v113, v119
	s_delay_alu instid0(VALU_DEP_3) | instskip(NEXT) | instid1(VALU_DEP_2)
	v_cmp_lt_u32_e32 vcc_lo, 5, v111
	v_pk_add_f32 v[106:107], v[106:107], v[112:113]
	s_or_b32 s3, vcc_lo, s3
	s_delay_alu instid0(SALU_CYCLE_1)
	s_and_not1_b32 exec_lo, exec_lo, s3
	s_cbranch_execnz .LBB50_567
; %bb.568:
	s_or_b32 exec_lo, exec_lo, s3
.LBB50_569:
	s_delay_alu instid0(SALU_CYCLE_1) | instskip(SKIP_4) | instid1(VALU_DEP_1)
	s_or_b32 exec_lo, exec_lo, s2
	v_mov_b32_e32 v109, 0
	ds_load_b64 v[110:111], v109 offset:56
	s_wait_dscnt 0x0
	v_pk_mul_f32 v[112:113], v[106:107], v[110:111] op_sel:[1,1] op_sel_hi:[0,1]
	v_pk_fma_f32 v[114:115], v[106:107], v[110:111], v[112:113] op_sel_hi:[1,0,1]
	v_pk_fma_f32 v[106:107], v[106:107], v[110:111], v[112:113] neg_lo:[0,0,1] neg_hi:[0,0,1]
	s_delay_alu instid0(VALU_DEP_2)
	v_mov_b32_e32 v107, v115
	scratch_store_b64 off, v[106:107], off offset:56
.LBB50_570:
	s_wait_xcnt 0x0
	s_or_b32 exec_lo, exec_lo, s0
	scratch_load_b64 v[106:107], off, off offset:64
	s_mov_b32 s0, exec_lo
	s_wait_loadcnt 0x0
	ds_store_b64 v1, v[106:107]
	s_wait_storecnt_dscnt 0x0
	s_barrier_signal -1
	s_barrier_wait -1
	s_wait_xcnt 0x0
	v_cmpx_gt_u32_e32 8, v0
	s_cbranch_execz .LBB50_580
; %bb.571:
	v_cmp_ne_u32_e32 vcc_lo, 1, v108
	s_cbranch_vccnz .LBB50_573
; %bb.572:
	scratch_load_b64 v[106:107], v51, off
	ds_load_b64 v[110:111], v1
	s_wait_loadcnt_dscnt 0x0
	v_pk_mul_f32 v[112:113], v[110:111], v[106:107] op_sel:[1,1] op_sel_hi:[0,1]
	s_delay_alu instid0(VALU_DEP_1) | instskip(SKIP_1) | instid1(VALU_DEP_2)
	v_pk_fma_f32 v[114:115], v[110:111], v[106:107], v[112:113] op_sel_hi:[1,0,1]
	v_pk_fma_f32 v[106:107], v[110:111], v[106:107], v[112:113] neg_lo:[0,0,1] neg_hi:[0,0,1]
	v_mov_b32_e32 v107, v115
	s_cbranch_execz .LBB50_574
	s_branch .LBB50_575
.LBB50_573:
                                        ; implicit-def: $vgpr106_vgpr107
.LBB50_574:
	ds_load_b64 v[106:107], v1
.LBB50_575:
	s_mov_b32 s2, exec_lo
	v_cmpx_ne_u32_e32 7, v0
	s_cbranch_execz .LBB50_579
; %bb.576:
	v_add_nc_u32_e32 v109, 0x1a8, v50
	v_add3_u32 v110, 0, v50, 8
	v_mov_b32_e32 v111, v0
	s_mov_b32 s3, 0
.LBB50_577:                             ; =>This Inner Loop Header: Depth=1
	scratch_load_b64 v[112:113], v110, off
	ds_load_b64 v[114:115], v109
	s_wait_xcnt 0x0
	v_dual_add_nc_u32 v109, 8, v109 :: v_dual_add_nc_u32 v110, 8, v110
	s_wait_loadcnt_dscnt 0x0
	v_pk_mul_f32 v[116:117], v[114:115], v[112:113] op_sel:[1,1] op_sel_hi:[0,1]
	s_delay_alu instid0(VALU_DEP_1) | instskip(SKIP_2) | instid1(VALU_DEP_3)
	v_pk_fma_f32 v[118:119], v[114:115], v[112:113], v[116:117] op_sel_hi:[1,0,1]
	v_add_nc_u32_e32 v111, 1, v111
	v_pk_fma_f32 v[112:113], v[114:115], v[112:113], v[116:117] neg_lo:[0,0,1] neg_hi:[0,0,1]
	v_mov_b32_e32 v113, v119
	s_delay_alu instid0(VALU_DEP_3) | instskip(NEXT) | instid1(VALU_DEP_2)
	v_cmp_lt_u32_e32 vcc_lo, 6, v111
	v_pk_add_f32 v[106:107], v[106:107], v[112:113]
	s_or_b32 s3, vcc_lo, s3
	s_delay_alu instid0(SALU_CYCLE_1)
	s_and_not1_b32 exec_lo, exec_lo, s3
	s_cbranch_execnz .LBB50_577
; %bb.578:
	s_or_b32 exec_lo, exec_lo, s3
.LBB50_579:
	s_delay_alu instid0(SALU_CYCLE_1) | instskip(SKIP_4) | instid1(VALU_DEP_1)
	s_or_b32 exec_lo, exec_lo, s2
	v_mov_b32_e32 v109, 0
	ds_load_b64 v[110:111], v109 offset:64
	s_wait_dscnt 0x0
	v_pk_mul_f32 v[112:113], v[106:107], v[110:111] op_sel:[1,1] op_sel_hi:[0,1]
	v_pk_fma_f32 v[114:115], v[106:107], v[110:111], v[112:113] op_sel_hi:[1,0,1]
	v_pk_fma_f32 v[106:107], v[106:107], v[110:111], v[112:113] neg_lo:[0,0,1] neg_hi:[0,0,1]
	s_delay_alu instid0(VALU_DEP_2)
	v_mov_b32_e32 v107, v115
	scratch_store_b64 off, v[106:107], off offset:64
.LBB50_580:
	s_wait_xcnt 0x0
	s_or_b32 exec_lo, exec_lo, s0
	scratch_load_b64 v[106:107], off, off offset:72
	s_mov_b32 s0, exec_lo
	s_wait_loadcnt 0x0
	ds_store_b64 v1, v[106:107]
	s_wait_storecnt_dscnt 0x0
	s_barrier_signal -1
	s_barrier_wait -1
	s_wait_xcnt 0x0
	v_cmpx_gt_u32_e32 9, v0
	s_cbranch_execz .LBB50_590
; %bb.581:
	v_cmp_ne_u32_e32 vcc_lo, 1, v108
	s_cbranch_vccnz .LBB50_583
; %bb.582:
	scratch_load_b64 v[106:107], v51, off
	ds_load_b64 v[110:111], v1
	s_wait_loadcnt_dscnt 0x0
	v_pk_mul_f32 v[112:113], v[110:111], v[106:107] op_sel:[1,1] op_sel_hi:[0,1]
	s_delay_alu instid0(VALU_DEP_1) | instskip(SKIP_1) | instid1(VALU_DEP_2)
	v_pk_fma_f32 v[114:115], v[110:111], v[106:107], v[112:113] op_sel_hi:[1,0,1]
	v_pk_fma_f32 v[106:107], v[110:111], v[106:107], v[112:113] neg_lo:[0,0,1] neg_hi:[0,0,1]
	v_mov_b32_e32 v107, v115
	s_cbranch_execz .LBB50_584
	s_branch .LBB50_585
.LBB50_583:
                                        ; implicit-def: $vgpr106_vgpr107
.LBB50_584:
	ds_load_b64 v[106:107], v1
.LBB50_585:
	s_mov_b32 s2, exec_lo
	v_cmpx_ne_u32_e32 8, v0
	s_cbranch_execz .LBB50_589
; %bb.586:
	v_add_nc_u32_e32 v109, 0x1a8, v50
	v_add3_u32 v110, 0, v50, 8
	v_mov_b32_e32 v111, v0
	s_mov_b32 s3, 0
.LBB50_587:                             ; =>This Inner Loop Header: Depth=1
	scratch_load_b64 v[112:113], v110, off
	ds_load_b64 v[114:115], v109
	s_wait_xcnt 0x0
	v_dual_add_nc_u32 v109, 8, v109 :: v_dual_add_nc_u32 v110, 8, v110
	s_wait_loadcnt_dscnt 0x0
	v_pk_mul_f32 v[116:117], v[114:115], v[112:113] op_sel:[1,1] op_sel_hi:[0,1]
	s_delay_alu instid0(VALU_DEP_1) | instskip(SKIP_2) | instid1(VALU_DEP_3)
	v_pk_fma_f32 v[118:119], v[114:115], v[112:113], v[116:117] op_sel_hi:[1,0,1]
	v_add_nc_u32_e32 v111, 1, v111
	v_pk_fma_f32 v[112:113], v[114:115], v[112:113], v[116:117] neg_lo:[0,0,1] neg_hi:[0,0,1]
	v_mov_b32_e32 v113, v119
	s_delay_alu instid0(VALU_DEP_3) | instskip(NEXT) | instid1(VALU_DEP_2)
	v_cmp_lt_u32_e32 vcc_lo, 7, v111
	v_pk_add_f32 v[106:107], v[106:107], v[112:113]
	s_or_b32 s3, vcc_lo, s3
	s_delay_alu instid0(SALU_CYCLE_1)
	s_and_not1_b32 exec_lo, exec_lo, s3
	s_cbranch_execnz .LBB50_587
; %bb.588:
	s_or_b32 exec_lo, exec_lo, s3
.LBB50_589:
	s_delay_alu instid0(SALU_CYCLE_1) | instskip(SKIP_4) | instid1(VALU_DEP_1)
	s_or_b32 exec_lo, exec_lo, s2
	v_mov_b32_e32 v109, 0
	ds_load_b64 v[110:111], v109 offset:72
	s_wait_dscnt 0x0
	v_pk_mul_f32 v[112:113], v[106:107], v[110:111] op_sel:[1,1] op_sel_hi:[0,1]
	v_pk_fma_f32 v[114:115], v[106:107], v[110:111], v[112:113] op_sel_hi:[1,0,1]
	v_pk_fma_f32 v[106:107], v[106:107], v[110:111], v[112:113] neg_lo:[0,0,1] neg_hi:[0,0,1]
	s_delay_alu instid0(VALU_DEP_2)
	v_mov_b32_e32 v107, v115
	scratch_store_b64 off, v[106:107], off offset:72
.LBB50_590:
	s_wait_xcnt 0x0
	s_or_b32 exec_lo, exec_lo, s0
	scratch_load_b64 v[106:107], off, off offset:80
	s_mov_b32 s0, exec_lo
	s_wait_loadcnt 0x0
	ds_store_b64 v1, v[106:107]
	s_wait_storecnt_dscnt 0x0
	s_barrier_signal -1
	s_barrier_wait -1
	s_wait_xcnt 0x0
	v_cmpx_gt_u32_e32 10, v0
	s_cbranch_execz .LBB50_600
; %bb.591:
	v_cmp_ne_u32_e32 vcc_lo, 1, v108
	s_cbranch_vccnz .LBB50_593
; %bb.592:
	scratch_load_b64 v[106:107], v51, off
	ds_load_b64 v[110:111], v1
	s_wait_loadcnt_dscnt 0x0
	v_pk_mul_f32 v[112:113], v[110:111], v[106:107] op_sel:[1,1] op_sel_hi:[0,1]
	s_delay_alu instid0(VALU_DEP_1) | instskip(SKIP_1) | instid1(VALU_DEP_2)
	v_pk_fma_f32 v[114:115], v[110:111], v[106:107], v[112:113] op_sel_hi:[1,0,1]
	v_pk_fma_f32 v[106:107], v[110:111], v[106:107], v[112:113] neg_lo:[0,0,1] neg_hi:[0,0,1]
	v_mov_b32_e32 v107, v115
	s_cbranch_execz .LBB50_594
	s_branch .LBB50_595
.LBB50_593:
                                        ; implicit-def: $vgpr106_vgpr107
.LBB50_594:
	ds_load_b64 v[106:107], v1
.LBB50_595:
	s_mov_b32 s2, exec_lo
	v_cmpx_ne_u32_e32 9, v0
	s_cbranch_execz .LBB50_599
; %bb.596:
	v_add_nc_u32_e32 v109, 0x1a8, v50
	v_add3_u32 v110, 0, v50, 8
	v_mov_b32_e32 v111, v0
	s_mov_b32 s3, 0
.LBB50_597:                             ; =>This Inner Loop Header: Depth=1
	scratch_load_b64 v[112:113], v110, off
	ds_load_b64 v[114:115], v109
	s_wait_xcnt 0x0
	v_dual_add_nc_u32 v109, 8, v109 :: v_dual_add_nc_u32 v110, 8, v110
	s_wait_loadcnt_dscnt 0x0
	v_pk_mul_f32 v[116:117], v[114:115], v[112:113] op_sel:[1,1] op_sel_hi:[0,1]
	s_delay_alu instid0(VALU_DEP_1) | instskip(SKIP_2) | instid1(VALU_DEP_3)
	v_pk_fma_f32 v[118:119], v[114:115], v[112:113], v[116:117] op_sel_hi:[1,0,1]
	v_add_nc_u32_e32 v111, 1, v111
	v_pk_fma_f32 v[112:113], v[114:115], v[112:113], v[116:117] neg_lo:[0,0,1] neg_hi:[0,0,1]
	v_mov_b32_e32 v113, v119
	s_delay_alu instid0(VALU_DEP_3) | instskip(NEXT) | instid1(VALU_DEP_2)
	v_cmp_lt_u32_e32 vcc_lo, 8, v111
	v_pk_add_f32 v[106:107], v[106:107], v[112:113]
	s_or_b32 s3, vcc_lo, s3
	s_delay_alu instid0(SALU_CYCLE_1)
	s_and_not1_b32 exec_lo, exec_lo, s3
	s_cbranch_execnz .LBB50_597
; %bb.598:
	s_or_b32 exec_lo, exec_lo, s3
.LBB50_599:
	s_delay_alu instid0(SALU_CYCLE_1) | instskip(SKIP_4) | instid1(VALU_DEP_1)
	s_or_b32 exec_lo, exec_lo, s2
	v_mov_b32_e32 v109, 0
	ds_load_b64 v[110:111], v109 offset:80
	s_wait_dscnt 0x0
	v_pk_mul_f32 v[112:113], v[106:107], v[110:111] op_sel:[1,1] op_sel_hi:[0,1]
	v_pk_fma_f32 v[114:115], v[106:107], v[110:111], v[112:113] op_sel_hi:[1,0,1]
	v_pk_fma_f32 v[106:107], v[106:107], v[110:111], v[112:113] neg_lo:[0,0,1] neg_hi:[0,0,1]
	s_delay_alu instid0(VALU_DEP_2)
	v_mov_b32_e32 v107, v115
	scratch_store_b64 off, v[106:107], off offset:80
.LBB50_600:
	s_wait_xcnt 0x0
	s_or_b32 exec_lo, exec_lo, s0
	scratch_load_b64 v[106:107], off, off offset:88
	s_mov_b32 s0, exec_lo
	s_wait_loadcnt 0x0
	ds_store_b64 v1, v[106:107]
	s_wait_storecnt_dscnt 0x0
	s_barrier_signal -1
	s_barrier_wait -1
	s_wait_xcnt 0x0
	v_cmpx_gt_u32_e32 11, v0
	s_cbranch_execz .LBB50_610
; %bb.601:
	v_cmp_ne_u32_e32 vcc_lo, 1, v108
	s_cbranch_vccnz .LBB50_603
; %bb.602:
	scratch_load_b64 v[106:107], v51, off
	ds_load_b64 v[110:111], v1
	s_wait_loadcnt_dscnt 0x0
	v_pk_mul_f32 v[112:113], v[110:111], v[106:107] op_sel:[1,1] op_sel_hi:[0,1]
	s_delay_alu instid0(VALU_DEP_1) | instskip(SKIP_1) | instid1(VALU_DEP_2)
	v_pk_fma_f32 v[114:115], v[110:111], v[106:107], v[112:113] op_sel_hi:[1,0,1]
	v_pk_fma_f32 v[106:107], v[110:111], v[106:107], v[112:113] neg_lo:[0,0,1] neg_hi:[0,0,1]
	v_mov_b32_e32 v107, v115
	s_cbranch_execz .LBB50_604
	s_branch .LBB50_605
.LBB50_603:
                                        ; implicit-def: $vgpr106_vgpr107
.LBB50_604:
	ds_load_b64 v[106:107], v1
.LBB50_605:
	s_mov_b32 s2, exec_lo
	v_cmpx_ne_u32_e32 10, v0
	s_cbranch_execz .LBB50_609
; %bb.606:
	v_add_nc_u32_e32 v109, 0x1a8, v50
	v_add3_u32 v110, 0, v50, 8
	v_mov_b32_e32 v111, v0
	s_mov_b32 s3, 0
.LBB50_607:                             ; =>This Inner Loop Header: Depth=1
	scratch_load_b64 v[112:113], v110, off
	ds_load_b64 v[114:115], v109
	s_wait_xcnt 0x0
	v_dual_add_nc_u32 v109, 8, v109 :: v_dual_add_nc_u32 v110, 8, v110
	s_wait_loadcnt_dscnt 0x0
	v_pk_mul_f32 v[116:117], v[114:115], v[112:113] op_sel:[1,1] op_sel_hi:[0,1]
	s_delay_alu instid0(VALU_DEP_1) | instskip(SKIP_2) | instid1(VALU_DEP_3)
	v_pk_fma_f32 v[118:119], v[114:115], v[112:113], v[116:117] op_sel_hi:[1,0,1]
	v_add_nc_u32_e32 v111, 1, v111
	v_pk_fma_f32 v[112:113], v[114:115], v[112:113], v[116:117] neg_lo:[0,0,1] neg_hi:[0,0,1]
	v_mov_b32_e32 v113, v119
	s_delay_alu instid0(VALU_DEP_3) | instskip(NEXT) | instid1(VALU_DEP_2)
	v_cmp_lt_u32_e32 vcc_lo, 9, v111
	v_pk_add_f32 v[106:107], v[106:107], v[112:113]
	s_or_b32 s3, vcc_lo, s3
	s_delay_alu instid0(SALU_CYCLE_1)
	s_and_not1_b32 exec_lo, exec_lo, s3
	s_cbranch_execnz .LBB50_607
; %bb.608:
	s_or_b32 exec_lo, exec_lo, s3
.LBB50_609:
	s_delay_alu instid0(SALU_CYCLE_1) | instskip(SKIP_4) | instid1(VALU_DEP_1)
	s_or_b32 exec_lo, exec_lo, s2
	v_mov_b32_e32 v109, 0
	ds_load_b64 v[110:111], v109 offset:88
	s_wait_dscnt 0x0
	v_pk_mul_f32 v[112:113], v[106:107], v[110:111] op_sel:[1,1] op_sel_hi:[0,1]
	v_pk_fma_f32 v[114:115], v[106:107], v[110:111], v[112:113] op_sel_hi:[1,0,1]
	v_pk_fma_f32 v[106:107], v[106:107], v[110:111], v[112:113] neg_lo:[0,0,1] neg_hi:[0,0,1]
	s_delay_alu instid0(VALU_DEP_2)
	v_mov_b32_e32 v107, v115
	scratch_store_b64 off, v[106:107], off offset:88
.LBB50_610:
	s_wait_xcnt 0x0
	s_or_b32 exec_lo, exec_lo, s0
	scratch_load_b64 v[106:107], off, off offset:96
	s_mov_b32 s0, exec_lo
	s_wait_loadcnt 0x0
	ds_store_b64 v1, v[106:107]
	s_wait_storecnt_dscnt 0x0
	s_barrier_signal -1
	s_barrier_wait -1
	s_wait_xcnt 0x0
	v_cmpx_gt_u32_e32 12, v0
	s_cbranch_execz .LBB50_620
; %bb.611:
	v_cmp_ne_u32_e32 vcc_lo, 1, v108
	s_cbranch_vccnz .LBB50_613
; %bb.612:
	scratch_load_b64 v[106:107], v51, off
	ds_load_b64 v[110:111], v1
	s_wait_loadcnt_dscnt 0x0
	v_pk_mul_f32 v[112:113], v[110:111], v[106:107] op_sel:[1,1] op_sel_hi:[0,1]
	s_delay_alu instid0(VALU_DEP_1) | instskip(SKIP_1) | instid1(VALU_DEP_2)
	v_pk_fma_f32 v[114:115], v[110:111], v[106:107], v[112:113] op_sel_hi:[1,0,1]
	v_pk_fma_f32 v[106:107], v[110:111], v[106:107], v[112:113] neg_lo:[0,0,1] neg_hi:[0,0,1]
	v_mov_b32_e32 v107, v115
	s_cbranch_execz .LBB50_614
	s_branch .LBB50_615
.LBB50_613:
                                        ; implicit-def: $vgpr106_vgpr107
.LBB50_614:
	ds_load_b64 v[106:107], v1
.LBB50_615:
	s_mov_b32 s2, exec_lo
	v_cmpx_ne_u32_e32 11, v0
	s_cbranch_execz .LBB50_619
; %bb.616:
	v_add_nc_u32_e32 v109, 0x1a8, v50
	v_add3_u32 v110, 0, v50, 8
	v_mov_b32_e32 v111, v0
	s_mov_b32 s3, 0
.LBB50_617:                             ; =>This Inner Loop Header: Depth=1
	scratch_load_b64 v[112:113], v110, off
	ds_load_b64 v[114:115], v109
	s_wait_xcnt 0x0
	v_dual_add_nc_u32 v109, 8, v109 :: v_dual_add_nc_u32 v110, 8, v110
	s_wait_loadcnt_dscnt 0x0
	v_pk_mul_f32 v[116:117], v[114:115], v[112:113] op_sel:[1,1] op_sel_hi:[0,1]
	s_delay_alu instid0(VALU_DEP_1) | instskip(SKIP_2) | instid1(VALU_DEP_3)
	v_pk_fma_f32 v[118:119], v[114:115], v[112:113], v[116:117] op_sel_hi:[1,0,1]
	v_add_nc_u32_e32 v111, 1, v111
	v_pk_fma_f32 v[112:113], v[114:115], v[112:113], v[116:117] neg_lo:[0,0,1] neg_hi:[0,0,1]
	v_mov_b32_e32 v113, v119
	s_delay_alu instid0(VALU_DEP_3) | instskip(NEXT) | instid1(VALU_DEP_2)
	v_cmp_lt_u32_e32 vcc_lo, 10, v111
	v_pk_add_f32 v[106:107], v[106:107], v[112:113]
	s_or_b32 s3, vcc_lo, s3
	s_delay_alu instid0(SALU_CYCLE_1)
	s_and_not1_b32 exec_lo, exec_lo, s3
	s_cbranch_execnz .LBB50_617
; %bb.618:
	s_or_b32 exec_lo, exec_lo, s3
.LBB50_619:
	s_delay_alu instid0(SALU_CYCLE_1) | instskip(SKIP_4) | instid1(VALU_DEP_1)
	s_or_b32 exec_lo, exec_lo, s2
	v_mov_b32_e32 v109, 0
	ds_load_b64 v[110:111], v109 offset:96
	s_wait_dscnt 0x0
	v_pk_mul_f32 v[112:113], v[106:107], v[110:111] op_sel:[1,1] op_sel_hi:[0,1]
	v_pk_fma_f32 v[114:115], v[106:107], v[110:111], v[112:113] op_sel_hi:[1,0,1]
	v_pk_fma_f32 v[106:107], v[106:107], v[110:111], v[112:113] neg_lo:[0,0,1] neg_hi:[0,0,1]
	s_delay_alu instid0(VALU_DEP_2)
	v_mov_b32_e32 v107, v115
	scratch_store_b64 off, v[106:107], off offset:96
.LBB50_620:
	s_wait_xcnt 0x0
	s_or_b32 exec_lo, exec_lo, s0
	scratch_load_b64 v[106:107], off, off offset:104
	s_mov_b32 s0, exec_lo
	s_wait_loadcnt 0x0
	ds_store_b64 v1, v[106:107]
	s_wait_storecnt_dscnt 0x0
	s_barrier_signal -1
	s_barrier_wait -1
	s_wait_xcnt 0x0
	v_cmpx_gt_u32_e32 13, v0
	s_cbranch_execz .LBB50_630
; %bb.621:
	v_cmp_ne_u32_e32 vcc_lo, 1, v108
	s_cbranch_vccnz .LBB50_623
; %bb.622:
	scratch_load_b64 v[106:107], v51, off
	ds_load_b64 v[110:111], v1
	s_wait_loadcnt_dscnt 0x0
	v_pk_mul_f32 v[112:113], v[110:111], v[106:107] op_sel:[1,1] op_sel_hi:[0,1]
	s_delay_alu instid0(VALU_DEP_1) | instskip(SKIP_1) | instid1(VALU_DEP_2)
	v_pk_fma_f32 v[114:115], v[110:111], v[106:107], v[112:113] op_sel_hi:[1,0,1]
	v_pk_fma_f32 v[106:107], v[110:111], v[106:107], v[112:113] neg_lo:[0,0,1] neg_hi:[0,0,1]
	v_mov_b32_e32 v107, v115
	s_cbranch_execz .LBB50_624
	s_branch .LBB50_625
.LBB50_623:
                                        ; implicit-def: $vgpr106_vgpr107
.LBB50_624:
	ds_load_b64 v[106:107], v1
.LBB50_625:
	s_mov_b32 s2, exec_lo
	v_cmpx_ne_u32_e32 12, v0
	s_cbranch_execz .LBB50_629
; %bb.626:
	v_add_nc_u32_e32 v109, 0x1a8, v50
	v_add3_u32 v110, 0, v50, 8
	v_mov_b32_e32 v111, v0
	s_mov_b32 s3, 0
.LBB50_627:                             ; =>This Inner Loop Header: Depth=1
	scratch_load_b64 v[112:113], v110, off
	ds_load_b64 v[114:115], v109
	s_wait_xcnt 0x0
	v_dual_add_nc_u32 v109, 8, v109 :: v_dual_add_nc_u32 v110, 8, v110
	s_wait_loadcnt_dscnt 0x0
	v_pk_mul_f32 v[116:117], v[114:115], v[112:113] op_sel:[1,1] op_sel_hi:[0,1]
	s_delay_alu instid0(VALU_DEP_1) | instskip(SKIP_2) | instid1(VALU_DEP_3)
	v_pk_fma_f32 v[118:119], v[114:115], v[112:113], v[116:117] op_sel_hi:[1,0,1]
	v_add_nc_u32_e32 v111, 1, v111
	v_pk_fma_f32 v[112:113], v[114:115], v[112:113], v[116:117] neg_lo:[0,0,1] neg_hi:[0,0,1]
	v_mov_b32_e32 v113, v119
	s_delay_alu instid0(VALU_DEP_3) | instskip(NEXT) | instid1(VALU_DEP_2)
	v_cmp_lt_u32_e32 vcc_lo, 11, v111
	v_pk_add_f32 v[106:107], v[106:107], v[112:113]
	s_or_b32 s3, vcc_lo, s3
	s_delay_alu instid0(SALU_CYCLE_1)
	s_and_not1_b32 exec_lo, exec_lo, s3
	s_cbranch_execnz .LBB50_627
; %bb.628:
	s_or_b32 exec_lo, exec_lo, s3
.LBB50_629:
	s_delay_alu instid0(SALU_CYCLE_1) | instskip(SKIP_4) | instid1(VALU_DEP_1)
	s_or_b32 exec_lo, exec_lo, s2
	v_mov_b32_e32 v109, 0
	ds_load_b64 v[110:111], v109 offset:104
	s_wait_dscnt 0x0
	v_pk_mul_f32 v[112:113], v[106:107], v[110:111] op_sel:[1,1] op_sel_hi:[0,1]
	v_pk_fma_f32 v[114:115], v[106:107], v[110:111], v[112:113] op_sel_hi:[1,0,1]
	v_pk_fma_f32 v[106:107], v[106:107], v[110:111], v[112:113] neg_lo:[0,0,1] neg_hi:[0,0,1]
	s_delay_alu instid0(VALU_DEP_2)
	v_mov_b32_e32 v107, v115
	scratch_store_b64 off, v[106:107], off offset:104
.LBB50_630:
	s_wait_xcnt 0x0
	s_or_b32 exec_lo, exec_lo, s0
	scratch_load_b64 v[106:107], off, off offset:112
	s_mov_b32 s0, exec_lo
	s_wait_loadcnt 0x0
	ds_store_b64 v1, v[106:107]
	s_wait_storecnt_dscnt 0x0
	s_barrier_signal -1
	s_barrier_wait -1
	s_wait_xcnt 0x0
	v_cmpx_gt_u32_e32 14, v0
	s_cbranch_execz .LBB50_640
; %bb.631:
	v_cmp_ne_u32_e32 vcc_lo, 1, v108
	s_cbranch_vccnz .LBB50_633
; %bb.632:
	scratch_load_b64 v[106:107], v51, off
	ds_load_b64 v[110:111], v1
	s_wait_loadcnt_dscnt 0x0
	v_pk_mul_f32 v[112:113], v[110:111], v[106:107] op_sel:[1,1] op_sel_hi:[0,1]
	s_delay_alu instid0(VALU_DEP_1) | instskip(SKIP_1) | instid1(VALU_DEP_2)
	v_pk_fma_f32 v[114:115], v[110:111], v[106:107], v[112:113] op_sel_hi:[1,0,1]
	v_pk_fma_f32 v[106:107], v[110:111], v[106:107], v[112:113] neg_lo:[0,0,1] neg_hi:[0,0,1]
	v_mov_b32_e32 v107, v115
	s_cbranch_execz .LBB50_634
	s_branch .LBB50_635
.LBB50_633:
                                        ; implicit-def: $vgpr106_vgpr107
.LBB50_634:
	ds_load_b64 v[106:107], v1
.LBB50_635:
	s_mov_b32 s2, exec_lo
	v_cmpx_ne_u32_e32 13, v0
	s_cbranch_execz .LBB50_639
; %bb.636:
	v_add_nc_u32_e32 v109, 0x1a8, v50
	v_add3_u32 v110, 0, v50, 8
	v_mov_b32_e32 v111, v0
	s_mov_b32 s3, 0
.LBB50_637:                             ; =>This Inner Loop Header: Depth=1
	scratch_load_b64 v[112:113], v110, off
	ds_load_b64 v[114:115], v109
	s_wait_xcnt 0x0
	v_dual_add_nc_u32 v109, 8, v109 :: v_dual_add_nc_u32 v110, 8, v110
	s_wait_loadcnt_dscnt 0x0
	v_pk_mul_f32 v[116:117], v[114:115], v[112:113] op_sel:[1,1] op_sel_hi:[0,1]
	s_delay_alu instid0(VALU_DEP_1) | instskip(SKIP_2) | instid1(VALU_DEP_3)
	v_pk_fma_f32 v[118:119], v[114:115], v[112:113], v[116:117] op_sel_hi:[1,0,1]
	v_add_nc_u32_e32 v111, 1, v111
	v_pk_fma_f32 v[112:113], v[114:115], v[112:113], v[116:117] neg_lo:[0,0,1] neg_hi:[0,0,1]
	v_mov_b32_e32 v113, v119
	s_delay_alu instid0(VALU_DEP_3) | instskip(NEXT) | instid1(VALU_DEP_2)
	v_cmp_lt_u32_e32 vcc_lo, 12, v111
	v_pk_add_f32 v[106:107], v[106:107], v[112:113]
	s_or_b32 s3, vcc_lo, s3
	s_delay_alu instid0(SALU_CYCLE_1)
	s_and_not1_b32 exec_lo, exec_lo, s3
	s_cbranch_execnz .LBB50_637
; %bb.638:
	s_or_b32 exec_lo, exec_lo, s3
.LBB50_639:
	s_delay_alu instid0(SALU_CYCLE_1) | instskip(SKIP_4) | instid1(VALU_DEP_1)
	s_or_b32 exec_lo, exec_lo, s2
	v_mov_b32_e32 v109, 0
	ds_load_b64 v[110:111], v109 offset:112
	s_wait_dscnt 0x0
	v_pk_mul_f32 v[112:113], v[106:107], v[110:111] op_sel:[1,1] op_sel_hi:[0,1]
	v_pk_fma_f32 v[114:115], v[106:107], v[110:111], v[112:113] op_sel_hi:[1,0,1]
	v_pk_fma_f32 v[106:107], v[106:107], v[110:111], v[112:113] neg_lo:[0,0,1] neg_hi:[0,0,1]
	s_delay_alu instid0(VALU_DEP_2)
	v_mov_b32_e32 v107, v115
	scratch_store_b64 off, v[106:107], off offset:112
.LBB50_640:
	s_wait_xcnt 0x0
	s_or_b32 exec_lo, exec_lo, s0
	scratch_load_b64 v[106:107], off, off offset:120
	s_mov_b32 s0, exec_lo
	s_wait_loadcnt 0x0
	ds_store_b64 v1, v[106:107]
	s_wait_storecnt_dscnt 0x0
	s_barrier_signal -1
	s_barrier_wait -1
	s_wait_xcnt 0x0
	v_cmpx_gt_u32_e32 15, v0
	s_cbranch_execz .LBB50_650
; %bb.641:
	v_cmp_ne_u32_e32 vcc_lo, 1, v108
	s_cbranch_vccnz .LBB50_643
; %bb.642:
	scratch_load_b64 v[106:107], v51, off
	ds_load_b64 v[110:111], v1
	s_wait_loadcnt_dscnt 0x0
	v_pk_mul_f32 v[112:113], v[110:111], v[106:107] op_sel:[1,1] op_sel_hi:[0,1]
	s_delay_alu instid0(VALU_DEP_1) | instskip(SKIP_1) | instid1(VALU_DEP_2)
	v_pk_fma_f32 v[114:115], v[110:111], v[106:107], v[112:113] op_sel_hi:[1,0,1]
	v_pk_fma_f32 v[106:107], v[110:111], v[106:107], v[112:113] neg_lo:[0,0,1] neg_hi:[0,0,1]
	v_mov_b32_e32 v107, v115
	s_cbranch_execz .LBB50_644
	s_branch .LBB50_645
.LBB50_643:
                                        ; implicit-def: $vgpr106_vgpr107
.LBB50_644:
	ds_load_b64 v[106:107], v1
.LBB50_645:
	s_mov_b32 s2, exec_lo
	v_cmpx_ne_u32_e32 14, v0
	s_cbranch_execz .LBB50_649
; %bb.646:
	v_add_nc_u32_e32 v109, 0x1a8, v50
	v_add3_u32 v110, 0, v50, 8
	v_mov_b32_e32 v111, v0
	s_mov_b32 s3, 0
.LBB50_647:                             ; =>This Inner Loop Header: Depth=1
	scratch_load_b64 v[112:113], v110, off
	ds_load_b64 v[114:115], v109
	s_wait_xcnt 0x0
	v_dual_add_nc_u32 v109, 8, v109 :: v_dual_add_nc_u32 v110, 8, v110
	s_wait_loadcnt_dscnt 0x0
	v_pk_mul_f32 v[116:117], v[114:115], v[112:113] op_sel:[1,1] op_sel_hi:[0,1]
	s_delay_alu instid0(VALU_DEP_1) | instskip(SKIP_2) | instid1(VALU_DEP_3)
	v_pk_fma_f32 v[118:119], v[114:115], v[112:113], v[116:117] op_sel_hi:[1,0,1]
	v_add_nc_u32_e32 v111, 1, v111
	v_pk_fma_f32 v[112:113], v[114:115], v[112:113], v[116:117] neg_lo:[0,0,1] neg_hi:[0,0,1]
	v_mov_b32_e32 v113, v119
	s_delay_alu instid0(VALU_DEP_3) | instskip(NEXT) | instid1(VALU_DEP_2)
	v_cmp_lt_u32_e32 vcc_lo, 13, v111
	v_pk_add_f32 v[106:107], v[106:107], v[112:113]
	s_or_b32 s3, vcc_lo, s3
	s_delay_alu instid0(SALU_CYCLE_1)
	s_and_not1_b32 exec_lo, exec_lo, s3
	s_cbranch_execnz .LBB50_647
; %bb.648:
	s_or_b32 exec_lo, exec_lo, s3
.LBB50_649:
	s_delay_alu instid0(SALU_CYCLE_1) | instskip(SKIP_4) | instid1(VALU_DEP_1)
	s_or_b32 exec_lo, exec_lo, s2
	v_mov_b32_e32 v109, 0
	ds_load_b64 v[110:111], v109 offset:120
	s_wait_dscnt 0x0
	v_pk_mul_f32 v[112:113], v[106:107], v[110:111] op_sel:[1,1] op_sel_hi:[0,1]
	v_pk_fma_f32 v[114:115], v[106:107], v[110:111], v[112:113] op_sel_hi:[1,0,1]
	v_pk_fma_f32 v[106:107], v[106:107], v[110:111], v[112:113] neg_lo:[0,0,1] neg_hi:[0,0,1]
	s_delay_alu instid0(VALU_DEP_2)
	v_mov_b32_e32 v107, v115
	scratch_store_b64 off, v[106:107], off offset:120
.LBB50_650:
	s_wait_xcnt 0x0
	s_or_b32 exec_lo, exec_lo, s0
	scratch_load_b64 v[106:107], off, off offset:128
	s_mov_b32 s0, exec_lo
	s_wait_loadcnt 0x0
	ds_store_b64 v1, v[106:107]
	s_wait_storecnt_dscnt 0x0
	s_barrier_signal -1
	s_barrier_wait -1
	s_wait_xcnt 0x0
	v_cmpx_gt_u32_e32 16, v0
	s_cbranch_execz .LBB50_660
; %bb.651:
	v_cmp_ne_u32_e32 vcc_lo, 1, v108
	s_cbranch_vccnz .LBB50_653
; %bb.652:
	scratch_load_b64 v[106:107], v51, off
	ds_load_b64 v[110:111], v1
	s_wait_loadcnt_dscnt 0x0
	v_pk_mul_f32 v[112:113], v[110:111], v[106:107] op_sel:[1,1] op_sel_hi:[0,1]
	s_delay_alu instid0(VALU_DEP_1) | instskip(SKIP_1) | instid1(VALU_DEP_2)
	v_pk_fma_f32 v[114:115], v[110:111], v[106:107], v[112:113] op_sel_hi:[1,0,1]
	v_pk_fma_f32 v[106:107], v[110:111], v[106:107], v[112:113] neg_lo:[0,0,1] neg_hi:[0,0,1]
	v_mov_b32_e32 v107, v115
	s_cbranch_execz .LBB50_654
	s_branch .LBB50_655
.LBB50_653:
                                        ; implicit-def: $vgpr106_vgpr107
.LBB50_654:
	ds_load_b64 v[106:107], v1
.LBB50_655:
	s_mov_b32 s2, exec_lo
	v_cmpx_ne_u32_e32 15, v0
	s_cbranch_execz .LBB50_659
; %bb.656:
	v_add_nc_u32_e32 v109, 0x1a8, v50
	v_add3_u32 v110, 0, v50, 8
	v_mov_b32_e32 v111, v0
	s_mov_b32 s3, 0
.LBB50_657:                             ; =>This Inner Loop Header: Depth=1
	scratch_load_b64 v[112:113], v110, off
	ds_load_b64 v[114:115], v109
	s_wait_xcnt 0x0
	v_dual_add_nc_u32 v109, 8, v109 :: v_dual_add_nc_u32 v110, 8, v110
	s_wait_loadcnt_dscnt 0x0
	v_pk_mul_f32 v[116:117], v[114:115], v[112:113] op_sel:[1,1] op_sel_hi:[0,1]
	s_delay_alu instid0(VALU_DEP_1) | instskip(SKIP_2) | instid1(VALU_DEP_3)
	v_pk_fma_f32 v[118:119], v[114:115], v[112:113], v[116:117] op_sel_hi:[1,0,1]
	v_add_nc_u32_e32 v111, 1, v111
	v_pk_fma_f32 v[112:113], v[114:115], v[112:113], v[116:117] neg_lo:[0,0,1] neg_hi:[0,0,1]
	v_mov_b32_e32 v113, v119
	s_delay_alu instid0(VALU_DEP_3) | instskip(NEXT) | instid1(VALU_DEP_2)
	v_cmp_lt_u32_e32 vcc_lo, 14, v111
	v_pk_add_f32 v[106:107], v[106:107], v[112:113]
	s_or_b32 s3, vcc_lo, s3
	s_delay_alu instid0(SALU_CYCLE_1)
	s_and_not1_b32 exec_lo, exec_lo, s3
	s_cbranch_execnz .LBB50_657
; %bb.658:
	s_or_b32 exec_lo, exec_lo, s3
.LBB50_659:
	s_delay_alu instid0(SALU_CYCLE_1) | instskip(SKIP_4) | instid1(VALU_DEP_1)
	s_or_b32 exec_lo, exec_lo, s2
	v_mov_b32_e32 v109, 0
	ds_load_b64 v[110:111], v109 offset:128
	s_wait_dscnt 0x0
	v_pk_mul_f32 v[112:113], v[106:107], v[110:111] op_sel:[1,1] op_sel_hi:[0,1]
	v_pk_fma_f32 v[114:115], v[106:107], v[110:111], v[112:113] op_sel_hi:[1,0,1]
	v_pk_fma_f32 v[106:107], v[106:107], v[110:111], v[112:113] neg_lo:[0,0,1] neg_hi:[0,0,1]
	s_delay_alu instid0(VALU_DEP_2)
	v_mov_b32_e32 v107, v115
	scratch_store_b64 off, v[106:107], off offset:128
.LBB50_660:
	s_wait_xcnt 0x0
	s_or_b32 exec_lo, exec_lo, s0
	scratch_load_b64 v[106:107], off, off offset:136
	s_mov_b32 s0, exec_lo
	s_wait_loadcnt 0x0
	ds_store_b64 v1, v[106:107]
	s_wait_storecnt_dscnt 0x0
	s_barrier_signal -1
	s_barrier_wait -1
	s_wait_xcnt 0x0
	v_cmpx_gt_u32_e32 17, v0
	s_cbranch_execz .LBB50_670
; %bb.661:
	v_cmp_ne_u32_e32 vcc_lo, 1, v108
	s_cbranch_vccnz .LBB50_663
; %bb.662:
	scratch_load_b64 v[106:107], v51, off
	ds_load_b64 v[110:111], v1
	s_wait_loadcnt_dscnt 0x0
	v_pk_mul_f32 v[112:113], v[110:111], v[106:107] op_sel:[1,1] op_sel_hi:[0,1]
	s_delay_alu instid0(VALU_DEP_1) | instskip(SKIP_1) | instid1(VALU_DEP_2)
	v_pk_fma_f32 v[114:115], v[110:111], v[106:107], v[112:113] op_sel_hi:[1,0,1]
	v_pk_fma_f32 v[106:107], v[110:111], v[106:107], v[112:113] neg_lo:[0,0,1] neg_hi:[0,0,1]
	v_mov_b32_e32 v107, v115
	s_cbranch_execz .LBB50_664
	s_branch .LBB50_665
.LBB50_663:
                                        ; implicit-def: $vgpr106_vgpr107
.LBB50_664:
	ds_load_b64 v[106:107], v1
.LBB50_665:
	s_mov_b32 s2, exec_lo
	v_cmpx_ne_u32_e32 16, v0
	s_cbranch_execz .LBB50_669
; %bb.666:
	v_add_nc_u32_e32 v109, 0x1a8, v50
	v_add3_u32 v110, 0, v50, 8
	v_mov_b32_e32 v111, v0
	s_mov_b32 s3, 0
.LBB50_667:                             ; =>This Inner Loop Header: Depth=1
	scratch_load_b64 v[112:113], v110, off
	ds_load_b64 v[114:115], v109
	s_wait_xcnt 0x0
	v_dual_add_nc_u32 v109, 8, v109 :: v_dual_add_nc_u32 v110, 8, v110
	s_wait_loadcnt_dscnt 0x0
	v_pk_mul_f32 v[116:117], v[114:115], v[112:113] op_sel:[1,1] op_sel_hi:[0,1]
	s_delay_alu instid0(VALU_DEP_1) | instskip(SKIP_2) | instid1(VALU_DEP_3)
	v_pk_fma_f32 v[118:119], v[114:115], v[112:113], v[116:117] op_sel_hi:[1,0,1]
	v_add_nc_u32_e32 v111, 1, v111
	v_pk_fma_f32 v[112:113], v[114:115], v[112:113], v[116:117] neg_lo:[0,0,1] neg_hi:[0,0,1]
	v_mov_b32_e32 v113, v119
	s_delay_alu instid0(VALU_DEP_3) | instskip(NEXT) | instid1(VALU_DEP_2)
	v_cmp_lt_u32_e32 vcc_lo, 15, v111
	v_pk_add_f32 v[106:107], v[106:107], v[112:113]
	s_or_b32 s3, vcc_lo, s3
	s_delay_alu instid0(SALU_CYCLE_1)
	s_and_not1_b32 exec_lo, exec_lo, s3
	s_cbranch_execnz .LBB50_667
; %bb.668:
	s_or_b32 exec_lo, exec_lo, s3
.LBB50_669:
	s_delay_alu instid0(SALU_CYCLE_1) | instskip(SKIP_4) | instid1(VALU_DEP_1)
	s_or_b32 exec_lo, exec_lo, s2
	v_mov_b32_e32 v109, 0
	ds_load_b64 v[110:111], v109 offset:136
	s_wait_dscnt 0x0
	v_pk_mul_f32 v[112:113], v[106:107], v[110:111] op_sel:[1,1] op_sel_hi:[0,1]
	v_pk_fma_f32 v[114:115], v[106:107], v[110:111], v[112:113] op_sel_hi:[1,0,1]
	v_pk_fma_f32 v[106:107], v[106:107], v[110:111], v[112:113] neg_lo:[0,0,1] neg_hi:[0,0,1]
	s_delay_alu instid0(VALU_DEP_2)
	v_mov_b32_e32 v107, v115
	scratch_store_b64 off, v[106:107], off offset:136
.LBB50_670:
	s_wait_xcnt 0x0
	s_or_b32 exec_lo, exec_lo, s0
	scratch_load_b64 v[106:107], off, off offset:144
	s_mov_b32 s0, exec_lo
	s_wait_loadcnt 0x0
	ds_store_b64 v1, v[106:107]
	s_wait_storecnt_dscnt 0x0
	s_barrier_signal -1
	s_barrier_wait -1
	s_wait_xcnt 0x0
	v_cmpx_gt_u32_e32 18, v0
	s_cbranch_execz .LBB50_680
; %bb.671:
	v_cmp_ne_u32_e32 vcc_lo, 1, v108
	s_cbranch_vccnz .LBB50_673
; %bb.672:
	scratch_load_b64 v[106:107], v51, off
	ds_load_b64 v[110:111], v1
	s_wait_loadcnt_dscnt 0x0
	v_pk_mul_f32 v[112:113], v[110:111], v[106:107] op_sel:[1,1] op_sel_hi:[0,1]
	s_delay_alu instid0(VALU_DEP_1) | instskip(SKIP_1) | instid1(VALU_DEP_2)
	v_pk_fma_f32 v[114:115], v[110:111], v[106:107], v[112:113] op_sel_hi:[1,0,1]
	v_pk_fma_f32 v[106:107], v[110:111], v[106:107], v[112:113] neg_lo:[0,0,1] neg_hi:[0,0,1]
	v_mov_b32_e32 v107, v115
	s_cbranch_execz .LBB50_674
	s_branch .LBB50_675
.LBB50_673:
                                        ; implicit-def: $vgpr106_vgpr107
.LBB50_674:
	ds_load_b64 v[106:107], v1
.LBB50_675:
	s_mov_b32 s2, exec_lo
	v_cmpx_ne_u32_e32 17, v0
	s_cbranch_execz .LBB50_679
; %bb.676:
	v_add_nc_u32_e32 v109, 0x1a8, v50
	v_add3_u32 v110, 0, v50, 8
	v_mov_b32_e32 v111, v0
	s_mov_b32 s3, 0
.LBB50_677:                             ; =>This Inner Loop Header: Depth=1
	scratch_load_b64 v[112:113], v110, off
	ds_load_b64 v[114:115], v109
	s_wait_xcnt 0x0
	v_dual_add_nc_u32 v109, 8, v109 :: v_dual_add_nc_u32 v110, 8, v110
	s_wait_loadcnt_dscnt 0x0
	v_pk_mul_f32 v[116:117], v[114:115], v[112:113] op_sel:[1,1] op_sel_hi:[0,1]
	s_delay_alu instid0(VALU_DEP_1) | instskip(SKIP_2) | instid1(VALU_DEP_3)
	v_pk_fma_f32 v[118:119], v[114:115], v[112:113], v[116:117] op_sel_hi:[1,0,1]
	v_add_nc_u32_e32 v111, 1, v111
	v_pk_fma_f32 v[112:113], v[114:115], v[112:113], v[116:117] neg_lo:[0,0,1] neg_hi:[0,0,1]
	v_mov_b32_e32 v113, v119
	s_delay_alu instid0(VALU_DEP_3) | instskip(NEXT) | instid1(VALU_DEP_2)
	v_cmp_lt_u32_e32 vcc_lo, 16, v111
	v_pk_add_f32 v[106:107], v[106:107], v[112:113]
	s_or_b32 s3, vcc_lo, s3
	s_delay_alu instid0(SALU_CYCLE_1)
	s_and_not1_b32 exec_lo, exec_lo, s3
	s_cbranch_execnz .LBB50_677
; %bb.678:
	s_or_b32 exec_lo, exec_lo, s3
.LBB50_679:
	s_delay_alu instid0(SALU_CYCLE_1) | instskip(SKIP_4) | instid1(VALU_DEP_1)
	s_or_b32 exec_lo, exec_lo, s2
	v_mov_b32_e32 v109, 0
	ds_load_b64 v[110:111], v109 offset:144
	s_wait_dscnt 0x0
	v_pk_mul_f32 v[112:113], v[106:107], v[110:111] op_sel:[1,1] op_sel_hi:[0,1]
	v_pk_fma_f32 v[114:115], v[106:107], v[110:111], v[112:113] op_sel_hi:[1,0,1]
	v_pk_fma_f32 v[106:107], v[106:107], v[110:111], v[112:113] neg_lo:[0,0,1] neg_hi:[0,0,1]
	s_delay_alu instid0(VALU_DEP_2)
	v_mov_b32_e32 v107, v115
	scratch_store_b64 off, v[106:107], off offset:144
.LBB50_680:
	s_wait_xcnt 0x0
	s_or_b32 exec_lo, exec_lo, s0
	scratch_load_b64 v[106:107], off, off offset:152
	s_mov_b32 s0, exec_lo
	s_wait_loadcnt 0x0
	ds_store_b64 v1, v[106:107]
	s_wait_storecnt_dscnt 0x0
	s_barrier_signal -1
	s_barrier_wait -1
	s_wait_xcnt 0x0
	v_cmpx_gt_u32_e32 19, v0
	s_cbranch_execz .LBB50_690
; %bb.681:
	v_cmp_ne_u32_e32 vcc_lo, 1, v108
	s_cbranch_vccnz .LBB50_683
; %bb.682:
	scratch_load_b64 v[106:107], v51, off
	ds_load_b64 v[110:111], v1
	s_wait_loadcnt_dscnt 0x0
	v_pk_mul_f32 v[112:113], v[110:111], v[106:107] op_sel:[1,1] op_sel_hi:[0,1]
	s_delay_alu instid0(VALU_DEP_1) | instskip(SKIP_1) | instid1(VALU_DEP_2)
	v_pk_fma_f32 v[114:115], v[110:111], v[106:107], v[112:113] op_sel_hi:[1,0,1]
	v_pk_fma_f32 v[106:107], v[110:111], v[106:107], v[112:113] neg_lo:[0,0,1] neg_hi:[0,0,1]
	v_mov_b32_e32 v107, v115
	s_cbranch_execz .LBB50_684
	s_branch .LBB50_685
.LBB50_683:
                                        ; implicit-def: $vgpr106_vgpr107
.LBB50_684:
	ds_load_b64 v[106:107], v1
.LBB50_685:
	s_mov_b32 s2, exec_lo
	v_cmpx_ne_u32_e32 18, v0
	s_cbranch_execz .LBB50_689
; %bb.686:
	v_add_nc_u32_e32 v109, 0x1a8, v50
	v_add3_u32 v110, 0, v50, 8
	v_mov_b32_e32 v111, v0
	s_mov_b32 s3, 0
.LBB50_687:                             ; =>This Inner Loop Header: Depth=1
	scratch_load_b64 v[112:113], v110, off
	ds_load_b64 v[114:115], v109
	s_wait_xcnt 0x0
	v_dual_add_nc_u32 v109, 8, v109 :: v_dual_add_nc_u32 v110, 8, v110
	s_wait_loadcnt_dscnt 0x0
	v_pk_mul_f32 v[116:117], v[114:115], v[112:113] op_sel:[1,1] op_sel_hi:[0,1]
	s_delay_alu instid0(VALU_DEP_1) | instskip(SKIP_2) | instid1(VALU_DEP_3)
	v_pk_fma_f32 v[118:119], v[114:115], v[112:113], v[116:117] op_sel_hi:[1,0,1]
	v_add_nc_u32_e32 v111, 1, v111
	v_pk_fma_f32 v[112:113], v[114:115], v[112:113], v[116:117] neg_lo:[0,0,1] neg_hi:[0,0,1]
	v_mov_b32_e32 v113, v119
	s_delay_alu instid0(VALU_DEP_3) | instskip(NEXT) | instid1(VALU_DEP_2)
	v_cmp_lt_u32_e32 vcc_lo, 17, v111
	v_pk_add_f32 v[106:107], v[106:107], v[112:113]
	s_or_b32 s3, vcc_lo, s3
	s_delay_alu instid0(SALU_CYCLE_1)
	s_and_not1_b32 exec_lo, exec_lo, s3
	s_cbranch_execnz .LBB50_687
; %bb.688:
	s_or_b32 exec_lo, exec_lo, s3
.LBB50_689:
	s_delay_alu instid0(SALU_CYCLE_1) | instskip(SKIP_4) | instid1(VALU_DEP_1)
	s_or_b32 exec_lo, exec_lo, s2
	v_mov_b32_e32 v109, 0
	ds_load_b64 v[110:111], v109 offset:152
	s_wait_dscnt 0x0
	v_pk_mul_f32 v[112:113], v[106:107], v[110:111] op_sel:[1,1] op_sel_hi:[0,1]
	v_pk_fma_f32 v[114:115], v[106:107], v[110:111], v[112:113] op_sel_hi:[1,0,1]
	v_pk_fma_f32 v[106:107], v[106:107], v[110:111], v[112:113] neg_lo:[0,0,1] neg_hi:[0,0,1]
	s_delay_alu instid0(VALU_DEP_2)
	v_mov_b32_e32 v107, v115
	scratch_store_b64 off, v[106:107], off offset:152
.LBB50_690:
	s_wait_xcnt 0x0
	s_or_b32 exec_lo, exec_lo, s0
	scratch_load_b64 v[106:107], off, off offset:160
	s_mov_b32 s0, exec_lo
	s_wait_loadcnt 0x0
	ds_store_b64 v1, v[106:107]
	s_wait_storecnt_dscnt 0x0
	s_barrier_signal -1
	s_barrier_wait -1
	s_wait_xcnt 0x0
	v_cmpx_gt_u32_e32 20, v0
	s_cbranch_execz .LBB50_700
; %bb.691:
	v_cmp_ne_u32_e32 vcc_lo, 1, v108
	s_cbranch_vccnz .LBB50_693
; %bb.692:
	scratch_load_b64 v[106:107], v51, off
	ds_load_b64 v[110:111], v1
	s_wait_loadcnt_dscnt 0x0
	v_pk_mul_f32 v[112:113], v[110:111], v[106:107] op_sel:[1,1] op_sel_hi:[0,1]
	s_delay_alu instid0(VALU_DEP_1) | instskip(SKIP_1) | instid1(VALU_DEP_2)
	v_pk_fma_f32 v[114:115], v[110:111], v[106:107], v[112:113] op_sel_hi:[1,0,1]
	v_pk_fma_f32 v[106:107], v[110:111], v[106:107], v[112:113] neg_lo:[0,0,1] neg_hi:[0,0,1]
	v_mov_b32_e32 v107, v115
	s_cbranch_execz .LBB50_694
	s_branch .LBB50_695
.LBB50_693:
                                        ; implicit-def: $vgpr106_vgpr107
.LBB50_694:
	ds_load_b64 v[106:107], v1
.LBB50_695:
	s_mov_b32 s2, exec_lo
	v_cmpx_ne_u32_e32 19, v0
	s_cbranch_execz .LBB50_699
; %bb.696:
	v_add_nc_u32_e32 v109, 0x1a8, v50
	v_add3_u32 v110, 0, v50, 8
	v_mov_b32_e32 v111, v0
	s_mov_b32 s3, 0
.LBB50_697:                             ; =>This Inner Loop Header: Depth=1
	scratch_load_b64 v[112:113], v110, off
	ds_load_b64 v[114:115], v109
	s_wait_xcnt 0x0
	v_dual_add_nc_u32 v109, 8, v109 :: v_dual_add_nc_u32 v110, 8, v110
	s_wait_loadcnt_dscnt 0x0
	v_pk_mul_f32 v[116:117], v[114:115], v[112:113] op_sel:[1,1] op_sel_hi:[0,1]
	s_delay_alu instid0(VALU_DEP_1) | instskip(SKIP_2) | instid1(VALU_DEP_3)
	v_pk_fma_f32 v[118:119], v[114:115], v[112:113], v[116:117] op_sel_hi:[1,0,1]
	v_add_nc_u32_e32 v111, 1, v111
	v_pk_fma_f32 v[112:113], v[114:115], v[112:113], v[116:117] neg_lo:[0,0,1] neg_hi:[0,0,1]
	v_mov_b32_e32 v113, v119
	s_delay_alu instid0(VALU_DEP_3) | instskip(NEXT) | instid1(VALU_DEP_2)
	v_cmp_lt_u32_e32 vcc_lo, 18, v111
	v_pk_add_f32 v[106:107], v[106:107], v[112:113]
	s_or_b32 s3, vcc_lo, s3
	s_delay_alu instid0(SALU_CYCLE_1)
	s_and_not1_b32 exec_lo, exec_lo, s3
	s_cbranch_execnz .LBB50_697
; %bb.698:
	s_or_b32 exec_lo, exec_lo, s3
.LBB50_699:
	s_delay_alu instid0(SALU_CYCLE_1) | instskip(SKIP_4) | instid1(VALU_DEP_1)
	s_or_b32 exec_lo, exec_lo, s2
	v_mov_b32_e32 v109, 0
	ds_load_b64 v[110:111], v109 offset:160
	s_wait_dscnt 0x0
	v_pk_mul_f32 v[112:113], v[106:107], v[110:111] op_sel:[1,1] op_sel_hi:[0,1]
	v_pk_fma_f32 v[114:115], v[106:107], v[110:111], v[112:113] op_sel_hi:[1,0,1]
	v_pk_fma_f32 v[106:107], v[106:107], v[110:111], v[112:113] neg_lo:[0,0,1] neg_hi:[0,0,1]
	s_delay_alu instid0(VALU_DEP_2)
	v_mov_b32_e32 v107, v115
	scratch_store_b64 off, v[106:107], off offset:160
.LBB50_700:
	s_wait_xcnt 0x0
	s_or_b32 exec_lo, exec_lo, s0
	scratch_load_b64 v[106:107], off, off offset:168
	s_mov_b32 s0, exec_lo
	s_wait_loadcnt 0x0
	ds_store_b64 v1, v[106:107]
	s_wait_storecnt_dscnt 0x0
	s_barrier_signal -1
	s_barrier_wait -1
	s_wait_xcnt 0x0
	v_cmpx_gt_u32_e32 21, v0
	s_cbranch_execz .LBB50_710
; %bb.701:
	v_cmp_ne_u32_e32 vcc_lo, 1, v108
	s_cbranch_vccnz .LBB50_703
; %bb.702:
	scratch_load_b64 v[106:107], v51, off
	ds_load_b64 v[110:111], v1
	s_wait_loadcnt_dscnt 0x0
	v_pk_mul_f32 v[112:113], v[110:111], v[106:107] op_sel:[1,1] op_sel_hi:[0,1]
	s_delay_alu instid0(VALU_DEP_1) | instskip(SKIP_1) | instid1(VALU_DEP_2)
	v_pk_fma_f32 v[114:115], v[110:111], v[106:107], v[112:113] op_sel_hi:[1,0,1]
	v_pk_fma_f32 v[106:107], v[110:111], v[106:107], v[112:113] neg_lo:[0,0,1] neg_hi:[0,0,1]
	v_mov_b32_e32 v107, v115
	s_cbranch_execz .LBB50_704
	s_branch .LBB50_705
.LBB50_703:
                                        ; implicit-def: $vgpr106_vgpr107
.LBB50_704:
	ds_load_b64 v[106:107], v1
.LBB50_705:
	s_mov_b32 s2, exec_lo
	v_cmpx_ne_u32_e32 20, v0
	s_cbranch_execz .LBB50_709
; %bb.706:
	v_add_nc_u32_e32 v109, 0x1a8, v50
	v_add3_u32 v110, 0, v50, 8
	v_mov_b32_e32 v111, v0
	s_mov_b32 s3, 0
.LBB50_707:                             ; =>This Inner Loop Header: Depth=1
	scratch_load_b64 v[112:113], v110, off
	ds_load_b64 v[114:115], v109
	s_wait_xcnt 0x0
	v_dual_add_nc_u32 v109, 8, v109 :: v_dual_add_nc_u32 v110, 8, v110
	s_wait_loadcnt_dscnt 0x0
	v_pk_mul_f32 v[116:117], v[114:115], v[112:113] op_sel:[1,1] op_sel_hi:[0,1]
	s_delay_alu instid0(VALU_DEP_1) | instskip(SKIP_2) | instid1(VALU_DEP_3)
	v_pk_fma_f32 v[118:119], v[114:115], v[112:113], v[116:117] op_sel_hi:[1,0,1]
	v_add_nc_u32_e32 v111, 1, v111
	v_pk_fma_f32 v[112:113], v[114:115], v[112:113], v[116:117] neg_lo:[0,0,1] neg_hi:[0,0,1]
	v_mov_b32_e32 v113, v119
	s_delay_alu instid0(VALU_DEP_3) | instskip(NEXT) | instid1(VALU_DEP_2)
	v_cmp_lt_u32_e32 vcc_lo, 19, v111
	v_pk_add_f32 v[106:107], v[106:107], v[112:113]
	s_or_b32 s3, vcc_lo, s3
	s_delay_alu instid0(SALU_CYCLE_1)
	s_and_not1_b32 exec_lo, exec_lo, s3
	s_cbranch_execnz .LBB50_707
; %bb.708:
	s_or_b32 exec_lo, exec_lo, s3
.LBB50_709:
	s_delay_alu instid0(SALU_CYCLE_1) | instskip(SKIP_4) | instid1(VALU_DEP_1)
	s_or_b32 exec_lo, exec_lo, s2
	v_mov_b32_e32 v109, 0
	ds_load_b64 v[110:111], v109 offset:168
	s_wait_dscnt 0x0
	v_pk_mul_f32 v[112:113], v[106:107], v[110:111] op_sel:[1,1] op_sel_hi:[0,1]
	v_pk_fma_f32 v[114:115], v[106:107], v[110:111], v[112:113] op_sel_hi:[1,0,1]
	v_pk_fma_f32 v[106:107], v[106:107], v[110:111], v[112:113] neg_lo:[0,0,1] neg_hi:[0,0,1]
	s_delay_alu instid0(VALU_DEP_2)
	v_mov_b32_e32 v107, v115
	scratch_store_b64 off, v[106:107], off offset:168
.LBB50_710:
	s_wait_xcnt 0x0
	s_or_b32 exec_lo, exec_lo, s0
	scratch_load_b64 v[106:107], off, off offset:176
	s_mov_b32 s0, exec_lo
	s_wait_loadcnt 0x0
	ds_store_b64 v1, v[106:107]
	s_wait_storecnt_dscnt 0x0
	s_barrier_signal -1
	s_barrier_wait -1
	s_wait_xcnt 0x0
	v_cmpx_gt_u32_e32 22, v0
	s_cbranch_execz .LBB50_720
; %bb.711:
	v_cmp_ne_u32_e32 vcc_lo, 1, v108
	s_cbranch_vccnz .LBB50_713
; %bb.712:
	scratch_load_b64 v[106:107], v51, off
	ds_load_b64 v[110:111], v1
	s_wait_loadcnt_dscnt 0x0
	v_pk_mul_f32 v[112:113], v[110:111], v[106:107] op_sel:[1,1] op_sel_hi:[0,1]
	s_delay_alu instid0(VALU_DEP_1) | instskip(SKIP_1) | instid1(VALU_DEP_2)
	v_pk_fma_f32 v[114:115], v[110:111], v[106:107], v[112:113] op_sel_hi:[1,0,1]
	v_pk_fma_f32 v[106:107], v[110:111], v[106:107], v[112:113] neg_lo:[0,0,1] neg_hi:[0,0,1]
	v_mov_b32_e32 v107, v115
	s_cbranch_execz .LBB50_714
	s_branch .LBB50_715
.LBB50_713:
                                        ; implicit-def: $vgpr106_vgpr107
.LBB50_714:
	ds_load_b64 v[106:107], v1
.LBB50_715:
	s_mov_b32 s2, exec_lo
	v_cmpx_ne_u32_e32 21, v0
	s_cbranch_execz .LBB50_719
; %bb.716:
	v_add_nc_u32_e32 v109, 0x1a8, v50
	v_add3_u32 v110, 0, v50, 8
	v_mov_b32_e32 v111, v0
	s_mov_b32 s3, 0
.LBB50_717:                             ; =>This Inner Loop Header: Depth=1
	scratch_load_b64 v[112:113], v110, off
	ds_load_b64 v[114:115], v109
	s_wait_xcnt 0x0
	v_dual_add_nc_u32 v109, 8, v109 :: v_dual_add_nc_u32 v110, 8, v110
	s_wait_loadcnt_dscnt 0x0
	v_pk_mul_f32 v[116:117], v[114:115], v[112:113] op_sel:[1,1] op_sel_hi:[0,1]
	s_delay_alu instid0(VALU_DEP_1) | instskip(SKIP_2) | instid1(VALU_DEP_3)
	v_pk_fma_f32 v[118:119], v[114:115], v[112:113], v[116:117] op_sel_hi:[1,0,1]
	v_add_nc_u32_e32 v111, 1, v111
	v_pk_fma_f32 v[112:113], v[114:115], v[112:113], v[116:117] neg_lo:[0,0,1] neg_hi:[0,0,1]
	v_mov_b32_e32 v113, v119
	s_delay_alu instid0(VALU_DEP_3) | instskip(NEXT) | instid1(VALU_DEP_2)
	v_cmp_lt_u32_e32 vcc_lo, 20, v111
	v_pk_add_f32 v[106:107], v[106:107], v[112:113]
	s_or_b32 s3, vcc_lo, s3
	s_delay_alu instid0(SALU_CYCLE_1)
	s_and_not1_b32 exec_lo, exec_lo, s3
	s_cbranch_execnz .LBB50_717
; %bb.718:
	s_or_b32 exec_lo, exec_lo, s3
.LBB50_719:
	s_delay_alu instid0(SALU_CYCLE_1) | instskip(SKIP_4) | instid1(VALU_DEP_1)
	s_or_b32 exec_lo, exec_lo, s2
	v_mov_b32_e32 v109, 0
	ds_load_b64 v[110:111], v109 offset:176
	s_wait_dscnt 0x0
	v_pk_mul_f32 v[112:113], v[106:107], v[110:111] op_sel:[1,1] op_sel_hi:[0,1]
	v_pk_fma_f32 v[114:115], v[106:107], v[110:111], v[112:113] op_sel_hi:[1,0,1]
	v_pk_fma_f32 v[106:107], v[106:107], v[110:111], v[112:113] neg_lo:[0,0,1] neg_hi:[0,0,1]
	s_delay_alu instid0(VALU_DEP_2)
	v_mov_b32_e32 v107, v115
	scratch_store_b64 off, v[106:107], off offset:176
.LBB50_720:
	s_wait_xcnt 0x0
	s_or_b32 exec_lo, exec_lo, s0
	scratch_load_b64 v[106:107], off, off offset:184
	s_mov_b32 s0, exec_lo
	s_wait_loadcnt 0x0
	ds_store_b64 v1, v[106:107]
	s_wait_storecnt_dscnt 0x0
	s_barrier_signal -1
	s_barrier_wait -1
	s_wait_xcnt 0x0
	v_cmpx_gt_u32_e32 23, v0
	s_cbranch_execz .LBB50_730
; %bb.721:
	v_cmp_ne_u32_e32 vcc_lo, 1, v108
	s_cbranch_vccnz .LBB50_723
; %bb.722:
	scratch_load_b64 v[106:107], v51, off
	ds_load_b64 v[110:111], v1
	s_wait_loadcnt_dscnt 0x0
	v_pk_mul_f32 v[112:113], v[110:111], v[106:107] op_sel:[1,1] op_sel_hi:[0,1]
	s_delay_alu instid0(VALU_DEP_1) | instskip(SKIP_1) | instid1(VALU_DEP_2)
	v_pk_fma_f32 v[114:115], v[110:111], v[106:107], v[112:113] op_sel_hi:[1,0,1]
	v_pk_fma_f32 v[106:107], v[110:111], v[106:107], v[112:113] neg_lo:[0,0,1] neg_hi:[0,0,1]
	v_mov_b32_e32 v107, v115
	s_cbranch_execz .LBB50_724
	s_branch .LBB50_725
.LBB50_723:
                                        ; implicit-def: $vgpr106_vgpr107
.LBB50_724:
	ds_load_b64 v[106:107], v1
.LBB50_725:
	s_mov_b32 s2, exec_lo
	v_cmpx_ne_u32_e32 22, v0
	s_cbranch_execz .LBB50_729
; %bb.726:
	v_add_nc_u32_e32 v109, 0x1a8, v50
	v_add3_u32 v110, 0, v50, 8
	v_mov_b32_e32 v111, v0
	s_mov_b32 s3, 0
.LBB50_727:                             ; =>This Inner Loop Header: Depth=1
	scratch_load_b64 v[112:113], v110, off
	ds_load_b64 v[114:115], v109
	s_wait_xcnt 0x0
	v_dual_add_nc_u32 v109, 8, v109 :: v_dual_add_nc_u32 v110, 8, v110
	s_wait_loadcnt_dscnt 0x0
	v_pk_mul_f32 v[116:117], v[114:115], v[112:113] op_sel:[1,1] op_sel_hi:[0,1]
	s_delay_alu instid0(VALU_DEP_1) | instskip(SKIP_2) | instid1(VALU_DEP_3)
	v_pk_fma_f32 v[118:119], v[114:115], v[112:113], v[116:117] op_sel_hi:[1,0,1]
	v_add_nc_u32_e32 v111, 1, v111
	v_pk_fma_f32 v[112:113], v[114:115], v[112:113], v[116:117] neg_lo:[0,0,1] neg_hi:[0,0,1]
	v_mov_b32_e32 v113, v119
	s_delay_alu instid0(VALU_DEP_3) | instskip(NEXT) | instid1(VALU_DEP_2)
	v_cmp_lt_u32_e32 vcc_lo, 21, v111
	v_pk_add_f32 v[106:107], v[106:107], v[112:113]
	s_or_b32 s3, vcc_lo, s3
	s_delay_alu instid0(SALU_CYCLE_1)
	s_and_not1_b32 exec_lo, exec_lo, s3
	s_cbranch_execnz .LBB50_727
; %bb.728:
	s_or_b32 exec_lo, exec_lo, s3
.LBB50_729:
	s_delay_alu instid0(SALU_CYCLE_1) | instskip(SKIP_4) | instid1(VALU_DEP_1)
	s_or_b32 exec_lo, exec_lo, s2
	v_mov_b32_e32 v109, 0
	ds_load_b64 v[110:111], v109 offset:184
	s_wait_dscnt 0x0
	v_pk_mul_f32 v[112:113], v[106:107], v[110:111] op_sel:[1,1] op_sel_hi:[0,1]
	v_pk_fma_f32 v[114:115], v[106:107], v[110:111], v[112:113] op_sel_hi:[1,0,1]
	v_pk_fma_f32 v[106:107], v[106:107], v[110:111], v[112:113] neg_lo:[0,0,1] neg_hi:[0,0,1]
	s_delay_alu instid0(VALU_DEP_2)
	v_mov_b32_e32 v107, v115
	scratch_store_b64 off, v[106:107], off offset:184
.LBB50_730:
	s_wait_xcnt 0x0
	s_or_b32 exec_lo, exec_lo, s0
	scratch_load_b64 v[106:107], off, off offset:192
	s_mov_b32 s0, exec_lo
	s_wait_loadcnt 0x0
	ds_store_b64 v1, v[106:107]
	s_wait_storecnt_dscnt 0x0
	s_barrier_signal -1
	s_barrier_wait -1
	s_wait_xcnt 0x0
	v_cmpx_gt_u32_e32 24, v0
	s_cbranch_execz .LBB50_740
; %bb.731:
	v_cmp_ne_u32_e32 vcc_lo, 1, v108
	s_cbranch_vccnz .LBB50_733
; %bb.732:
	scratch_load_b64 v[106:107], v51, off
	ds_load_b64 v[110:111], v1
	s_wait_loadcnt_dscnt 0x0
	v_pk_mul_f32 v[112:113], v[110:111], v[106:107] op_sel:[1,1] op_sel_hi:[0,1]
	s_delay_alu instid0(VALU_DEP_1) | instskip(SKIP_1) | instid1(VALU_DEP_2)
	v_pk_fma_f32 v[114:115], v[110:111], v[106:107], v[112:113] op_sel_hi:[1,0,1]
	v_pk_fma_f32 v[106:107], v[110:111], v[106:107], v[112:113] neg_lo:[0,0,1] neg_hi:[0,0,1]
	v_mov_b32_e32 v107, v115
	s_cbranch_execz .LBB50_734
	s_branch .LBB50_735
.LBB50_733:
                                        ; implicit-def: $vgpr106_vgpr107
.LBB50_734:
	ds_load_b64 v[106:107], v1
.LBB50_735:
	s_mov_b32 s2, exec_lo
	v_cmpx_ne_u32_e32 23, v0
	s_cbranch_execz .LBB50_739
; %bb.736:
	v_add_nc_u32_e32 v109, 0x1a8, v50
	v_add3_u32 v110, 0, v50, 8
	v_mov_b32_e32 v111, v0
	s_mov_b32 s3, 0
.LBB50_737:                             ; =>This Inner Loop Header: Depth=1
	scratch_load_b64 v[112:113], v110, off
	ds_load_b64 v[114:115], v109
	s_wait_xcnt 0x0
	v_dual_add_nc_u32 v109, 8, v109 :: v_dual_add_nc_u32 v110, 8, v110
	s_wait_loadcnt_dscnt 0x0
	v_pk_mul_f32 v[116:117], v[114:115], v[112:113] op_sel:[1,1] op_sel_hi:[0,1]
	s_delay_alu instid0(VALU_DEP_1) | instskip(SKIP_2) | instid1(VALU_DEP_3)
	v_pk_fma_f32 v[118:119], v[114:115], v[112:113], v[116:117] op_sel_hi:[1,0,1]
	v_add_nc_u32_e32 v111, 1, v111
	v_pk_fma_f32 v[112:113], v[114:115], v[112:113], v[116:117] neg_lo:[0,0,1] neg_hi:[0,0,1]
	v_mov_b32_e32 v113, v119
	s_delay_alu instid0(VALU_DEP_3) | instskip(NEXT) | instid1(VALU_DEP_2)
	v_cmp_lt_u32_e32 vcc_lo, 22, v111
	v_pk_add_f32 v[106:107], v[106:107], v[112:113]
	s_or_b32 s3, vcc_lo, s3
	s_delay_alu instid0(SALU_CYCLE_1)
	s_and_not1_b32 exec_lo, exec_lo, s3
	s_cbranch_execnz .LBB50_737
; %bb.738:
	s_or_b32 exec_lo, exec_lo, s3
.LBB50_739:
	s_delay_alu instid0(SALU_CYCLE_1) | instskip(SKIP_4) | instid1(VALU_DEP_1)
	s_or_b32 exec_lo, exec_lo, s2
	v_mov_b32_e32 v109, 0
	ds_load_b64 v[110:111], v109 offset:192
	s_wait_dscnt 0x0
	v_pk_mul_f32 v[112:113], v[106:107], v[110:111] op_sel:[1,1] op_sel_hi:[0,1]
	v_pk_fma_f32 v[114:115], v[106:107], v[110:111], v[112:113] op_sel_hi:[1,0,1]
	v_pk_fma_f32 v[106:107], v[106:107], v[110:111], v[112:113] neg_lo:[0,0,1] neg_hi:[0,0,1]
	s_delay_alu instid0(VALU_DEP_2)
	v_mov_b32_e32 v107, v115
	scratch_store_b64 off, v[106:107], off offset:192
.LBB50_740:
	s_wait_xcnt 0x0
	s_or_b32 exec_lo, exec_lo, s0
	scratch_load_b64 v[106:107], off, off offset:200
	s_mov_b32 s0, exec_lo
	s_wait_loadcnt 0x0
	ds_store_b64 v1, v[106:107]
	s_wait_storecnt_dscnt 0x0
	s_barrier_signal -1
	s_barrier_wait -1
	s_wait_xcnt 0x0
	v_cmpx_gt_u32_e32 25, v0
	s_cbranch_execz .LBB50_750
; %bb.741:
	v_cmp_ne_u32_e32 vcc_lo, 1, v108
	s_cbranch_vccnz .LBB50_743
; %bb.742:
	scratch_load_b64 v[106:107], v51, off
	ds_load_b64 v[110:111], v1
	s_wait_loadcnt_dscnt 0x0
	v_pk_mul_f32 v[112:113], v[110:111], v[106:107] op_sel:[1,1] op_sel_hi:[0,1]
	s_delay_alu instid0(VALU_DEP_1) | instskip(SKIP_1) | instid1(VALU_DEP_2)
	v_pk_fma_f32 v[114:115], v[110:111], v[106:107], v[112:113] op_sel_hi:[1,0,1]
	v_pk_fma_f32 v[106:107], v[110:111], v[106:107], v[112:113] neg_lo:[0,0,1] neg_hi:[0,0,1]
	v_mov_b32_e32 v107, v115
	s_cbranch_execz .LBB50_744
	s_branch .LBB50_745
.LBB50_743:
                                        ; implicit-def: $vgpr106_vgpr107
.LBB50_744:
	ds_load_b64 v[106:107], v1
.LBB50_745:
	s_mov_b32 s2, exec_lo
	v_cmpx_ne_u32_e32 24, v0
	s_cbranch_execz .LBB50_749
; %bb.746:
	v_add_nc_u32_e32 v109, 0x1a8, v50
	v_add3_u32 v110, 0, v50, 8
	v_mov_b32_e32 v111, v0
	s_mov_b32 s3, 0
.LBB50_747:                             ; =>This Inner Loop Header: Depth=1
	scratch_load_b64 v[112:113], v110, off
	ds_load_b64 v[114:115], v109
	s_wait_xcnt 0x0
	v_dual_add_nc_u32 v109, 8, v109 :: v_dual_add_nc_u32 v110, 8, v110
	s_wait_loadcnt_dscnt 0x0
	v_pk_mul_f32 v[116:117], v[114:115], v[112:113] op_sel:[1,1] op_sel_hi:[0,1]
	s_delay_alu instid0(VALU_DEP_1) | instskip(SKIP_2) | instid1(VALU_DEP_3)
	v_pk_fma_f32 v[118:119], v[114:115], v[112:113], v[116:117] op_sel_hi:[1,0,1]
	v_add_nc_u32_e32 v111, 1, v111
	v_pk_fma_f32 v[112:113], v[114:115], v[112:113], v[116:117] neg_lo:[0,0,1] neg_hi:[0,0,1]
	v_mov_b32_e32 v113, v119
	s_delay_alu instid0(VALU_DEP_3) | instskip(NEXT) | instid1(VALU_DEP_2)
	v_cmp_lt_u32_e32 vcc_lo, 23, v111
	v_pk_add_f32 v[106:107], v[106:107], v[112:113]
	s_or_b32 s3, vcc_lo, s3
	s_delay_alu instid0(SALU_CYCLE_1)
	s_and_not1_b32 exec_lo, exec_lo, s3
	s_cbranch_execnz .LBB50_747
; %bb.748:
	s_or_b32 exec_lo, exec_lo, s3
.LBB50_749:
	s_delay_alu instid0(SALU_CYCLE_1) | instskip(SKIP_4) | instid1(VALU_DEP_1)
	s_or_b32 exec_lo, exec_lo, s2
	v_mov_b32_e32 v109, 0
	ds_load_b64 v[110:111], v109 offset:200
	s_wait_dscnt 0x0
	v_pk_mul_f32 v[112:113], v[106:107], v[110:111] op_sel:[1,1] op_sel_hi:[0,1]
	v_pk_fma_f32 v[114:115], v[106:107], v[110:111], v[112:113] op_sel_hi:[1,0,1]
	v_pk_fma_f32 v[106:107], v[106:107], v[110:111], v[112:113] neg_lo:[0,0,1] neg_hi:[0,0,1]
	s_delay_alu instid0(VALU_DEP_2)
	v_mov_b32_e32 v107, v115
	scratch_store_b64 off, v[106:107], off offset:200
.LBB50_750:
	s_wait_xcnt 0x0
	s_or_b32 exec_lo, exec_lo, s0
	scratch_load_b64 v[106:107], off, off offset:208
	s_mov_b32 s0, exec_lo
	s_wait_loadcnt 0x0
	ds_store_b64 v1, v[106:107]
	s_wait_storecnt_dscnt 0x0
	s_barrier_signal -1
	s_barrier_wait -1
	s_wait_xcnt 0x0
	v_cmpx_gt_u32_e32 26, v0
	s_cbranch_execz .LBB50_760
; %bb.751:
	v_cmp_ne_u32_e32 vcc_lo, 1, v108
	s_cbranch_vccnz .LBB50_753
; %bb.752:
	scratch_load_b64 v[106:107], v51, off
	ds_load_b64 v[110:111], v1
	s_wait_loadcnt_dscnt 0x0
	v_pk_mul_f32 v[112:113], v[110:111], v[106:107] op_sel:[1,1] op_sel_hi:[0,1]
	s_delay_alu instid0(VALU_DEP_1) | instskip(SKIP_1) | instid1(VALU_DEP_2)
	v_pk_fma_f32 v[114:115], v[110:111], v[106:107], v[112:113] op_sel_hi:[1,0,1]
	v_pk_fma_f32 v[106:107], v[110:111], v[106:107], v[112:113] neg_lo:[0,0,1] neg_hi:[0,0,1]
	v_mov_b32_e32 v107, v115
	s_cbranch_execz .LBB50_754
	s_branch .LBB50_755
.LBB50_753:
                                        ; implicit-def: $vgpr106_vgpr107
.LBB50_754:
	ds_load_b64 v[106:107], v1
.LBB50_755:
	s_mov_b32 s2, exec_lo
	v_cmpx_ne_u32_e32 25, v0
	s_cbranch_execz .LBB50_759
; %bb.756:
	v_add_nc_u32_e32 v109, 0x1a8, v50
	v_add3_u32 v110, 0, v50, 8
	v_mov_b32_e32 v111, v0
	s_mov_b32 s3, 0
.LBB50_757:                             ; =>This Inner Loop Header: Depth=1
	scratch_load_b64 v[112:113], v110, off
	ds_load_b64 v[114:115], v109
	s_wait_xcnt 0x0
	v_dual_add_nc_u32 v109, 8, v109 :: v_dual_add_nc_u32 v110, 8, v110
	s_wait_loadcnt_dscnt 0x0
	v_pk_mul_f32 v[116:117], v[114:115], v[112:113] op_sel:[1,1] op_sel_hi:[0,1]
	s_delay_alu instid0(VALU_DEP_1) | instskip(SKIP_2) | instid1(VALU_DEP_3)
	v_pk_fma_f32 v[118:119], v[114:115], v[112:113], v[116:117] op_sel_hi:[1,0,1]
	v_add_nc_u32_e32 v111, 1, v111
	v_pk_fma_f32 v[112:113], v[114:115], v[112:113], v[116:117] neg_lo:[0,0,1] neg_hi:[0,0,1]
	v_mov_b32_e32 v113, v119
	s_delay_alu instid0(VALU_DEP_3) | instskip(NEXT) | instid1(VALU_DEP_2)
	v_cmp_lt_u32_e32 vcc_lo, 24, v111
	v_pk_add_f32 v[106:107], v[106:107], v[112:113]
	s_or_b32 s3, vcc_lo, s3
	s_delay_alu instid0(SALU_CYCLE_1)
	s_and_not1_b32 exec_lo, exec_lo, s3
	s_cbranch_execnz .LBB50_757
; %bb.758:
	s_or_b32 exec_lo, exec_lo, s3
.LBB50_759:
	s_delay_alu instid0(SALU_CYCLE_1) | instskip(SKIP_4) | instid1(VALU_DEP_1)
	s_or_b32 exec_lo, exec_lo, s2
	v_mov_b32_e32 v109, 0
	ds_load_b64 v[110:111], v109 offset:208
	s_wait_dscnt 0x0
	v_pk_mul_f32 v[112:113], v[106:107], v[110:111] op_sel:[1,1] op_sel_hi:[0,1]
	v_pk_fma_f32 v[114:115], v[106:107], v[110:111], v[112:113] op_sel_hi:[1,0,1]
	v_pk_fma_f32 v[106:107], v[106:107], v[110:111], v[112:113] neg_lo:[0,0,1] neg_hi:[0,0,1]
	s_delay_alu instid0(VALU_DEP_2)
	v_mov_b32_e32 v107, v115
	scratch_store_b64 off, v[106:107], off offset:208
.LBB50_760:
	s_wait_xcnt 0x0
	s_or_b32 exec_lo, exec_lo, s0
	scratch_load_b64 v[106:107], off, off offset:216
	s_mov_b32 s0, exec_lo
	s_wait_loadcnt 0x0
	ds_store_b64 v1, v[106:107]
	s_wait_storecnt_dscnt 0x0
	s_barrier_signal -1
	s_barrier_wait -1
	s_wait_xcnt 0x0
	v_cmpx_gt_u32_e32 27, v0
	s_cbranch_execz .LBB50_770
; %bb.761:
	v_cmp_ne_u32_e32 vcc_lo, 1, v108
	s_cbranch_vccnz .LBB50_763
; %bb.762:
	scratch_load_b64 v[106:107], v51, off
	ds_load_b64 v[110:111], v1
	s_wait_loadcnt_dscnt 0x0
	v_pk_mul_f32 v[112:113], v[110:111], v[106:107] op_sel:[1,1] op_sel_hi:[0,1]
	s_delay_alu instid0(VALU_DEP_1) | instskip(SKIP_1) | instid1(VALU_DEP_2)
	v_pk_fma_f32 v[114:115], v[110:111], v[106:107], v[112:113] op_sel_hi:[1,0,1]
	v_pk_fma_f32 v[106:107], v[110:111], v[106:107], v[112:113] neg_lo:[0,0,1] neg_hi:[0,0,1]
	v_mov_b32_e32 v107, v115
	s_cbranch_execz .LBB50_764
	s_branch .LBB50_765
.LBB50_763:
                                        ; implicit-def: $vgpr106_vgpr107
.LBB50_764:
	ds_load_b64 v[106:107], v1
.LBB50_765:
	s_mov_b32 s2, exec_lo
	v_cmpx_ne_u32_e32 26, v0
	s_cbranch_execz .LBB50_769
; %bb.766:
	v_add_nc_u32_e32 v109, 0x1a8, v50
	v_add3_u32 v110, 0, v50, 8
	v_mov_b32_e32 v111, v0
	s_mov_b32 s3, 0
.LBB50_767:                             ; =>This Inner Loop Header: Depth=1
	scratch_load_b64 v[112:113], v110, off
	ds_load_b64 v[114:115], v109
	s_wait_xcnt 0x0
	v_dual_add_nc_u32 v109, 8, v109 :: v_dual_add_nc_u32 v110, 8, v110
	s_wait_loadcnt_dscnt 0x0
	v_pk_mul_f32 v[116:117], v[114:115], v[112:113] op_sel:[1,1] op_sel_hi:[0,1]
	s_delay_alu instid0(VALU_DEP_1) | instskip(SKIP_2) | instid1(VALU_DEP_3)
	v_pk_fma_f32 v[118:119], v[114:115], v[112:113], v[116:117] op_sel_hi:[1,0,1]
	v_add_nc_u32_e32 v111, 1, v111
	v_pk_fma_f32 v[112:113], v[114:115], v[112:113], v[116:117] neg_lo:[0,0,1] neg_hi:[0,0,1]
	v_mov_b32_e32 v113, v119
	s_delay_alu instid0(VALU_DEP_3) | instskip(NEXT) | instid1(VALU_DEP_2)
	v_cmp_lt_u32_e32 vcc_lo, 25, v111
	v_pk_add_f32 v[106:107], v[106:107], v[112:113]
	s_or_b32 s3, vcc_lo, s3
	s_delay_alu instid0(SALU_CYCLE_1)
	s_and_not1_b32 exec_lo, exec_lo, s3
	s_cbranch_execnz .LBB50_767
; %bb.768:
	s_or_b32 exec_lo, exec_lo, s3
.LBB50_769:
	s_delay_alu instid0(SALU_CYCLE_1) | instskip(SKIP_4) | instid1(VALU_DEP_1)
	s_or_b32 exec_lo, exec_lo, s2
	v_mov_b32_e32 v109, 0
	ds_load_b64 v[110:111], v109 offset:216
	s_wait_dscnt 0x0
	v_pk_mul_f32 v[112:113], v[106:107], v[110:111] op_sel:[1,1] op_sel_hi:[0,1]
	v_pk_fma_f32 v[114:115], v[106:107], v[110:111], v[112:113] op_sel_hi:[1,0,1]
	v_pk_fma_f32 v[106:107], v[106:107], v[110:111], v[112:113] neg_lo:[0,0,1] neg_hi:[0,0,1]
	s_delay_alu instid0(VALU_DEP_2)
	v_mov_b32_e32 v107, v115
	scratch_store_b64 off, v[106:107], off offset:216
.LBB50_770:
	s_wait_xcnt 0x0
	s_or_b32 exec_lo, exec_lo, s0
	scratch_load_b64 v[106:107], off, off offset:224
	s_mov_b32 s0, exec_lo
	s_wait_loadcnt 0x0
	ds_store_b64 v1, v[106:107]
	s_wait_storecnt_dscnt 0x0
	s_barrier_signal -1
	s_barrier_wait -1
	s_wait_xcnt 0x0
	v_cmpx_gt_u32_e32 28, v0
	s_cbranch_execz .LBB50_780
; %bb.771:
	v_cmp_ne_u32_e32 vcc_lo, 1, v108
	s_cbranch_vccnz .LBB50_773
; %bb.772:
	scratch_load_b64 v[106:107], v51, off
	ds_load_b64 v[110:111], v1
	s_wait_loadcnt_dscnt 0x0
	v_pk_mul_f32 v[112:113], v[110:111], v[106:107] op_sel:[1,1] op_sel_hi:[0,1]
	s_delay_alu instid0(VALU_DEP_1) | instskip(SKIP_1) | instid1(VALU_DEP_2)
	v_pk_fma_f32 v[114:115], v[110:111], v[106:107], v[112:113] op_sel_hi:[1,0,1]
	v_pk_fma_f32 v[106:107], v[110:111], v[106:107], v[112:113] neg_lo:[0,0,1] neg_hi:[0,0,1]
	v_mov_b32_e32 v107, v115
	s_cbranch_execz .LBB50_774
	s_branch .LBB50_775
.LBB50_773:
                                        ; implicit-def: $vgpr106_vgpr107
.LBB50_774:
	ds_load_b64 v[106:107], v1
.LBB50_775:
	s_mov_b32 s2, exec_lo
	v_cmpx_ne_u32_e32 27, v0
	s_cbranch_execz .LBB50_779
; %bb.776:
	v_add_nc_u32_e32 v109, 0x1a8, v50
	v_add3_u32 v110, 0, v50, 8
	v_mov_b32_e32 v111, v0
	s_mov_b32 s3, 0
.LBB50_777:                             ; =>This Inner Loop Header: Depth=1
	scratch_load_b64 v[112:113], v110, off
	ds_load_b64 v[114:115], v109
	s_wait_xcnt 0x0
	v_dual_add_nc_u32 v109, 8, v109 :: v_dual_add_nc_u32 v110, 8, v110
	s_wait_loadcnt_dscnt 0x0
	v_pk_mul_f32 v[116:117], v[114:115], v[112:113] op_sel:[1,1] op_sel_hi:[0,1]
	s_delay_alu instid0(VALU_DEP_1) | instskip(SKIP_2) | instid1(VALU_DEP_3)
	v_pk_fma_f32 v[118:119], v[114:115], v[112:113], v[116:117] op_sel_hi:[1,0,1]
	v_add_nc_u32_e32 v111, 1, v111
	v_pk_fma_f32 v[112:113], v[114:115], v[112:113], v[116:117] neg_lo:[0,0,1] neg_hi:[0,0,1]
	v_mov_b32_e32 v113, v119
	s_delay_alu instid0(VALU_DEP_3) | instskip(NEXT) | instid1(VALU_DEP_2)
	v_cmp_lt_u32_e32 vcc_lo, 26, v111
	v_pk_add_f32 v[106:107], v[106:107], v[112:113]
	s_or_b32 s3, vcc_lo, s3
	s_delay_alu instid0(SALU_CYCLE_1)
	s_and_not1_b32 exec_lo, exec_lo, s3
	s_cbranch_execnz .LBB50_777
; %bb.778:
	s_or_b32 exec_lo, exec_lo, s3
.LBB50_779:
	s_delay_alu instid0(SALU_CYCLE_1) | instskip(SKIP_4) | instid1(VALU_DEP_1)
	s_or_b32 exec_lo, exec_lo, s2
	v_mov_b32_e32 v109, 0
	ds_load_b64 v[110:111], v109 offset:224
	s_wait_dscnt 0x0
	v_pk_mul_f32 v[112:113], v[106:107], v[110:111] op_sel:[1,1] op_sel_hi:[0,1]
	v_pk_fma_f32 v[114:115], v[106:107], v[110:111], v[112:113] op_sel_hi:[1,0,1]
	v_pk_fma_f32 v[106:107], v[106:107], v[110:111], v[112:113] neg_lo:[0,0,1] neg_hi:[0,0,1]
	s_delay_alu instid0(VALU_DEP_2)
	v_mov_b32_e32 v107, v115
	scratch_store_b64 off, v[106:107], off offset:224
.LBB50_780:
	s_wait_xcnt 0x0
	s_or_b32 exec_lo, exec_lo, s0
	scratch_load_b64 v[106:107], off, off offset:232
	s_mov_b32 s0, exec_lo
	s_wait_loadcnt 0x0
	ds_store_b64 v1, v[106:107]
	s_wait_storecnt_dscnt 0x0
	s_barrier_signal -1
	s_barrier_wait -1
	s_wait_xcnt 0x0
	v_cmpx_gt_u32_e32 29, v0
	s_cbranch_execz .LBB50_790
; %bb.781:
	v_cmp_ne_u32_e32 vcc_lo, 1, v108
	s_cbranch_vccnz .LBB50_783
; %bb.782:
	scratch_load_b64 v[106:107], v51, off
	ds_load_b64 v[110:111], v1
	s_wait_loadcnt_dscnt 0x0
	v_pk_mul_f32 v[112:113], v[110:111], v[106:107] op_sel:[1,1] op_sel_hi:[0,1]
	s_delay_alu instid0(VALU_DEP_1) | instskip(SKIP_1) | instid1(VALU_DEP_2)
	v_pk_fma_f32 v[114:115], v[110:111], v[106:107], v[112:113] op_sel_hi:[1,0,1]
	v_pk_fma_f32 v[106:107], v[110:111], v[106:107], v[112:113] neg_lo:[0,0,1] neg_hi:[0,0,1]
	v_mov_b32_e32 v107, v115
	s_cbranch_execz .LBB50_784
	s_branch .LBB50_785
.LBB50_783:
                                        ; implicit-def: $vgpr106_vgpr107
.LBB50_784:
	ds_load_b64 v[106:107], v1
.LBB50_785:
	s_mov_b32 s2, exec_lo
	v_cmpx_ne_u32_e32 28, v0
	s_cbranch_execz .LBB50_789
; %bb.786:
	v_add_nc_u32_e32 v109, 0x1a8, v50
	v_add3_u32 v110, 0, v50, 8
	v_mov_b32_e32 v111, v0
	s_mov_b32 s3, 0
.LBB50_787:                             ; =>This Inner Loop Header: Depth=1
	scratch_load_b64 v[112:113], v110, off
	ds_load_b64 v[114:115], v109
	s_wait_xcnt 0x0
	v_dual_add_nc_u32 v109, 8, v109 :: v_dual_add_nc_u32 v110, 8, v110
	s_wait_loadcnt_dscnt 0x0
	v_pk_mul_f32 v[116:117], v[114:115], v[112:113] op_sel:[1,1] op_sel_hi:[0,1]
	s_delay_alu instid0(VALU_DEP_1) | instskip(SKIP_2) | instid1(VALU_DEP_3)
	v_pk_fma_f32 v[118:119], v[114:115], v[112:113], v[116:117] op_sel_hi:[1,0,1]
	v_add_nc_u32_e32 v111, 1, v111
	v_pk_fma_f32 v[112:113], v[114:115], v[112:113], v[116:117] neg_lo:[0,0,1] neg_hi:[0,0,1]
	v_mov_b32_e32 v113, v119
	s_delay_alu instid0(VALU_DEP_3) | instskip(NEXT) | instid1(VALU_DEP_2)
	v_cmp_lt_u32_e32 vcc_lo, 27, v111
	v_pk_add_f32 v[106:107], v[106:107], v[112:113]
	s_or_b32 s3, vcc_lo, s3
	s_delay_alu instid0(SALU_CYCLE_1)
	s_and_not1_b32 exec_lo, exec_lo, s3
	s_cbranch_execnz .LBB50_787
; %bb.788:
	s_or_b32 exec_lo, exec_lo, s3
.LBB50_789:
	s_delay_alu instid0(SALU_CYCLE_1) | instskip(SKIP_4) | instid1(VALU_DEP_1)
	s_or_b32 exec_lo, exec_lo, s2
	v_mov_b32_e32 v109, 0
	ds_load_b64 v[110:111], v109 offset:232
	s_wait_dscnt 0x0
	v_pk_mul_f32 v[112:113], v[106:107], v[110:111] op_sel:[1,1] op_sel_hi:[0,1]
	v_pk_fma_f32 v[114:115], v[106:107], v[110:111], v[112:113] op_sel_hi:[1,0,1]
	v_pk_fma_f32 v[106:107], v[106:107], v[110:111], v[112:113] neg_lo:[0,0,1] neg_hi:[0,0,1]
	s_delay_alu instid0(VALU_DEP_2)
	v_mov_b32_e32 v107, v115
	scratch_store_b64 off, v[106:107], off offset:232
.LBB50_790:
	s_wait_xcnt 0x0
	s_or_b32 exec_lo, exec_lo, s0
	scratch_load_b64 v[106:107], off, off offset:240
	s_mov_b32 s0, exec_lo
	s_wait_loadcnt 0x0
	ds_store_b64 v1, v[106:107]
	s_wait_storecnt_dscnt 0x0
	s_barrier_signal -1
	s_barrier_wait -1
	s_wait_xcnt 0x0
	v_cmpx_gt_u32_e32 30, v0
	s_cbranch_execz .LBB50_800
; %bb.791:
	v_cmp_ne_u32_e32 vcc_lo, 1, v108
	s_cbranch_vccnz .LBB50_793
; %bb.792:
	scratch_load_b64 v[106:107], v51, off
	ds_load_b64 v[110:111], v1
	s_wait_loadcnt_dscnt 0x0
	v_pk_mul_f32 v[112:113], v[110:111], v[106:107] op_sel:[1,1] op_sel_hi:[0,1]
	s_delay_alu instid0(VALU_DEP_1) | instskip(SKIP_1) | instid1(VALU_DEP_2)
	v_pk_fma_f32 v[114:115], v[110:111], v[106:107], v[112:113] op_sel_hi:[1,0,1]
	v_pk_fma_f32 v[106:107], v[110:111], v[106:107], v[112:113] neg_lo:[0,0,1] neg_hi:[0,0,1]
	v_mov_b32_e32 v107, v115
	s_cbranch_execz .LBB50_794
	s_branch .LBB50_795
.LBB50_793:
                                        ; implicit-def: $vgpr106_vgpr107
.LBB50_794:
	ds_load_b64 v[106:107], v1
.LBB50_795:
	s_mov_b32 s2, exec_lo
	v_cmpx_ne_u32_e32 29, v0
	s_cbranch_execz .LBB50_799
; %bb.796:
	v_add_nc_u32_e32 v109, 0x1a8, v50
	v_add3_u32 v110, 0, v50, 8
	v_mov_b32_e32 v111, v0
	s_mov_b32 s3, 0
.LBB50_797:                             ; =>This Inner Loop Header: Depth=1
	scratch_load_b64 v[112:113], v110, off
	ds_load_b64 v[114:115], v109
	s_wait_xcnt 0x0
	v_dual_add_nc_u32 v109, 8, v109 :: v_dual_add_nc_u32 v110, 8, v110
	s_wait_loadcnt_dscnt 0x0
	v_pk_mul_f32 v[116:117], v[114:115], v[112:113] op_sel:[1,1] op_sel_hi:[0,1]
	s_delay_alu instid0(VALU_DEP_1) | instskip(SKIP_2) | instid1(VALU_DEP_3)
	v_pk_fma_f32 v[118:119], v[114:115], v[112:113], v[116:117] op_sel_hi:[1,0,1]
	v_add_nc_u32_e32 v111, 1, v111
	v_pk_fma_f32 v[112:113], v[114:115], v[112:113], v[116:117] neg_lo:[0,0,1] neg_hi:[0,0,1]
	v_mov_b32_e32 v113, v119
	s_delay_alu instid0(VALU_DEP_3) | instskip(NEXT) | instid1(VALU_DEP_2)
	v_cmp_lt_u32_e32 vcc_lo, 28, v111
	v_pk_add_f32 v[106:107], v[106:107], v[112:113]
	s_or_b32 s3, vcc_lo, s3
	s_delay_alu instid0(SALU_CYCLE_1)
	s_and_not1_b32 exec_lo, exec_lo, s3
	s_cbranch_execnz .LBB50_797
; %bb.798:
	s_or_b32 exec_lo, exec_lo, s3
.LBB50_799:
	s_delay_alu instid0(SALU_CYCLE_1) | instskip(SKIP_4) | instid1(VALU_DEP_1)
	s_or_b32 exec_lo, exec_lo, s2
	v_mov_b32_e32 v109, 0
	ds_load_b64 v[110:111], v109 offset:240
	s_wait_dscnt 0x0
	v_pk_mul_f32 v[112:113], v[106:107], v[110:111] op_sel:[1,1] op_sel_hi:[0,1]
	v_pk_fma_f32 v[114:115], v[106:107], v[110:111], v[112:113] op_sel_hi:[1,0,1]
	v_pk_fma_f32 v[106:107], v[106:107], v[110:111], v[112:113] neg_lo:[0,0,1] neg_hi:[0,0,1]
	s_delay_alu instid0(VALU_DEP_2)
	v_mov_b32_e32 v107, v115
	scratch_store_b64 off, v[106:107], off offset:240
.LBB50_800:
	s_wait_xcnt 0x0
	s_or_b32 exec_lo, exec_lo, s0
	scratch_load_b64 v[106:107], off, off offset:248
	s_mov_b32 s0, exec_lo
	s_wait_loadcnt 0x0
	ds_store_b64 v1, v[106:107]
	s_wait_storecnt_dscnt 0x0
	s_barrier_signal -1
	s_barrier_wait -1
	s_wait_xcnt 0x0
	v_cmpx_gt_u32_e32 31, v0
	s_cbranch_execz .LBB50_810
; %bb.801:
	v_cmp_ne_u32_e32 vcc_lo, 1, v108
	s_cbranch_vccnz .LBB50_803
; %bb.802:
	scratch_load_b64 v[106:107], v51, off
	ds_load_b64 v[110:111], v1
	s_wait_loadcnt_dscnt 0x0
	v_pk_mul_f32 v[112:113], v[110:111], v[106:107] op_sel:[1,1] op_sel_hi:[0,1]
	s_delay_alu instid0(VALU_DEP_1) | instskip(SKIP_1) | instid1(VALU_DEP_2)
	v_pk_fma_f32 v[114:115], v[110:111], v[106:107], v[112:113] op_sel_hi:[1,0,1]
	v_pk_fma_f32 v[106:107], v[110:111], v[106:107], v[112:113] neg_lo:[0,0,1] neg_hi:[0,0,1]
	v_mov_b32_e32 v107, v115
	s_cbranch_execz .LBB50_804
	s_branch .LBB50_805
.LBB50_803:
                                        ; implicit-def: $vgpr106_vgpr107
.LBB50_804:
	ds_load_b64 v[106:107], v1
.LBB50_805:
	s_mov_b32 s2, exec_lo
	v_cmpx_ne_u32_e32 30, v0
	s_cbranch_execz .LBB50_809
; %bb.806:
	v_add_nc_u32_e32 v109, 0x1a8, v50
	v_add3_u32 v110, 0, v50, 8
	v_mov_b32_e32 v111, v0
	s_mov_b32 s3, 0
.LBB50_807:                             ; =>This Inner Loop Header: Depth=1
	scratch_load_b64 v[112:113], v110, off
	ds_load_b64 v[114:115], v109
	s_wait_xcnt 0x0
	v_dual_add_nc_u32 v109, 8, v109 :: v_dual_add_nc_u32 v110, 8, v110
	s_wait_loadcnt_dscnt 0x0
	v_pk_mul_f32 v[116:117], v[114:115], v[112:113] op_sel:[1,1] op_sel_hi:[0,1]
	s_delay_alu instid0(VALU_DEP_1) | instskip(SKIP_2) | instid1(VALU_DEP_3)
	v_pk_fma_f32 v[118:119], v[114:115], v[112:113], v[116:117] op_sel_hi:[1,0,1]
	v_add_nc_u32_e32 v111, 1, v111
	v_pk_fma_f32 v[112:113], v[114:115], v[112:113], v[116:117] neg_lo:[0,0,1] neg_hi:[0,0,1]
	v_mov_b32_e32 v113, v119
	s_delay_alu instid0(VALU_DEP_3) | instskip(NEXT) | instid1(VALU_DEP_2)
	v_cmp_lt_u32_e32 vcc_lo, 29, v111
	v_pk_add_f32 v[106:107], v[106:107], v[112:113]
	s_or_b32 s3, vcc_lo, s3
	s_delay_alu instid0(SALU_CYCLE_1)
	s_and_not1_b32 exec_lo, exec_lo, s3
	s_cbranch_execnz .LBB50_807
; %bb.808:
	s_or_b32 exec_lo, exec_lo, s3
.LBB50_809:
	s_delay_alu instid0(SALU_CYCLE_1) | instskip(SKIP_4) | instid1(VALU_DEP_1)
	s_or_b32 exec_lo, exec_lo, s2
	v_mov_b32_e32 v109, 0
	ds_load_b64 v[110:111], v109 offset:248
	s_wait_dscnt 0x0
	v_pk_mul_f32 v[112:113], v[106:107], v[110:111] op_sel:[1,1] op_sel_hi:[0,1]
	v_pk_fma_f32 v[114:115], v[106:107], v[110:111], v[112:113] op_sel_hi:[1,0,1]
	v_pk_fma_f32 v[106:107], v[106:107], v[110:111], v[112:113] neg_lo:[0,0,1] neg_hi:[0,0,1]
	s_delay_alu instid0(VALU_DEP_2)
	v_mov_b32_e32 v107, v115
	scratch_store_b64 off, v[106:107], off offset:248
.LBB50_810:
	s_wait_xcnt 0x0
	s_or_b32 exec_lo, exec_lo, s0
	scratch_load_b64 v[106:107], off, off offset:256
	s_mov_b32 s0, exec_lo
	s_wait_loadcnt 0x0
	ds_store_b64 v1, v[106:107]
	s_wait_storecnt_dscnt 0x0
	s_barrier_signal -1
	s_barrier_wait -1
	s_wait_xcnt 0x0
	v_cmpx_gt_u32_e32 32, v0
	s_cbranch_execz .LBB50_820
; %bb.811:
	v_cmp_ne_u32_e32 vcc_lo, 1, v108
	s_cbranch_vccnz .LBB50_813
; %bb.812:
	scratch_load_b64 v[106:107], v51, off
	ds_load_b64 v[110:111], v1
	s_wait_loadcnt_dscnt 0x0
	v_pk_mul_f32 v[112:113], v[110:111], v[106:107] op_sel:[1,1] op_sel_hi:[0,1]
	s_delay_alu instid0(VALU_DEP_1) | instskip(SKIP_1) | instid1(VALU_DEP_2)
	v_pk_fma_f32 v[114:115], v[110:111], v[106:107], v[112:113] op_sel_hi:[1,0,1]
	v_pk_fma_f32 v[106:107], v[110:111], v[106:107], v[112:113] neg_lo:[0,0,1] neg_hi:[0,0,1]
	v_mov_b32_e32 v107, v115
	s_cbranch_execz .LBB50_814
	s_branch .LBB50_815
.LBB50_813:
                                        ; implicit-def: $vgpr106_vgpr107
.LBB50_814:
	ds_load_b64 v[106:107], v1
.LBB50_815:
	s_mov_b32 s2, exec_lo
	v_cmpx_ne_u32_e32 31, v0
	s_cbranch_execz .LBB50_819
; %bb.816:
	v_add_nc_u32_e32 v109, 0x1a8, v50
	v_add3_u32 v110, 0, v50, 8
	v_mov_b32_e32 v111, v0
	s_mov_b32 s3, 0
.LBB50_817:                             ; =>This Inner Loop Header: Depth=1
	scratch_load_b64 v[112:113], v110, off
	ds_load_b64 v[114:115], v109
	s_wait_xcnt 0x0
	v_dual_add_nc_u32 v109, 8, v109 :: v_dual_add_nc_u32 v110, 8, v110
	s_wait_loadcnt_dscnt 0x0
	v_pk_mul_f32 v[116:117], v[114:115], v[112:113] op_sel:[1,1] op_sel_hi:[0,1]
	s_delay_alu instid0(VALU_DEP_1) | instskip(SKIP_2) | instid1(VALU_DEP_3)
	v_pk_fma_f32 v[118:119], v[114:115], v[112:113], v[116:117] op_sel_hi:[1,0,1]
	v_add_nc_u32_e32 v111, 1, v111
	v_pk_fma_f32 v[112:113], v[114:115], v[112:113], v[116:117] neg_lo:[0,0,1] neg_hi:[0,0,1]
	v_mov_b32_e32 v113, v119
	s_delay_alu instid0(VALU_DEP_3) | instskip(NEXT) | instid1(VALU_DEP_2)
	v_cmp_lt_u32_e32 vcc_lo, 30, v111
	v_pk_add_f32 v[106:107], v[106:107], v[112:113]
	s_or_b32 s3, vcc_lo, s3
	s_delay_alu instid0(SALU_CYCLE_1)
	s_and_not1_b32 exec_lo, exec_lo, s3
	s_cbranch_execnz .LBB50_817
; %bb.818:
	s_or_b32 exec_lo, exec_lo, s3
.LBB50_819:
	s_delay_alu instid0(SALU_CYCLE_1) | instskip(SKIP_4) | instid1(VALU_DEP_1)
	s_or_b32 exec_lo, exec_lo, s2
	v_mov_b32_e32 v109, 0
	ds_load_b64 v[110:111], v109 offset:256
	s_wait_dscnt 0x0
	v_pk_mul_f32 v[112:113], v[106:107], v[110:111] op_sel:[1,1] op_sel_hi:[0,1]
	v_pk_fma_f32 v[114:115], v[106:107], v[110:111], v[112:113] op_sel_hi:[1,0,1]
	v_pk_fma_f32 v[106:107], v[106:107], v[110:111], v[112:113] neg_lo:[0,0,1] neg_hi:[0,0,1]
	s_delay_alu instid0(VALU_DEP_2)
	v_mov_b32_e32 v107, v115
	scratch_store_b64 off, v[106:107], off offset:256
.LBB50_820:
	s_wait_xcnt 0x0
	s_or_b32 exec_lo, exec_lo, s0
	scratch_load_b64 v[106:107], off, off offset:264
	s_mov_b32 s0, exec_lo
	s_wait_loadcnt 0x0
	ds_store_b64 v1, v[106:107]
	s_wait_storecnt_dscnt 0x0
	s_barrier_signal -1
	s_barrier_wait -1
	s_wait_xcnt 0x0
	v_cmpx_gt_u32_e32 33, v0
	s_cbranch_execz .LBB50_830
; %bb.821:
	v_cmp_ne_u32_e32 vcc_lo, 1, v108
	s_cbranch_vccnz .LBB50_823
; %bb.822:
	scratch_load_b64 v[106:107], v51, off
	ds_load_b64 v[110:111], v1
	s_wait_loadcnt_dscnt 0x0
	v_pk_mul_f32 v[112:113], v[110:111], v[106:107] op_sel:[1,1] op_sel_hi:[0,1]
	s_delay_alu instid0(VALU_DEP_1) | instskip(SKIP_1) | instid1(VALU_DEP_2)
	v_pk_fma_f32 v[114:115], v[110:111], v[106:107], v[112:113] op_sel_hi:[1,0,1]
	v_pk_fma_f32 v[106:107], v[110:111], v[106:107], v[112:113] neg_lo:[0,0,1] neg_hi:[0,0,1]
	v_mov_b32_e32 v107, v115
	s_cbranch_execz .LBB50_824
	s_branch .LBB50_825
.LBB50_823:
                                        ; implicit-def: $vgpr106_vgpr107
.LBB50_824:
	ds_load_b64 v[106:107], v1
.LBB50_825:
	s_mov_b32 s2, exec_lo
	v_cmpx_ne_u32_e32 32, v0
	s_cbranch_execz .LBB50_829
; %bb.826:
	v_add_nc_u32_e32 v109, 0x1a8, v50
	v_add3_u32 v110, 0, v50, 8
	v_mov_b32_e32 v111, v0
	s_mov_b32 s3, 0
.LBB50_827:                             ; =>This Inner Loop Header: Depth=1
	scratch_load_b64 v[112:113], v110, off
	ds_load_b64 v[114:115], v109
	s_wait_xcnt 0x0
	v_dual_add_nc_u32 v109, 8, v109 :: v_dual_add_nc_u32 v110, 8, v110
	s_wait_loadcnt_dscnt 0x0
	v_pk_mul_f32 v[116:117], v[114:115], v[112:113] op_sel:[1,1] op_sel_hi:[0,1]
	s_delay_alu instid0(VALU_DEP_1) | instskip(SKIP_2) | instid1(VALU_DEP_3)
	v_pk_fma_f32 v[118:119], v[114:115], v[112:113], v[116:117] op_sel_hi:[1,0,1]
	v_add_nc_u32_e32 v111, 1, v111
	v_pk_fma_f32 v[112:113], v[114:115], v[112:113], v[116:117] neg_lo:[0,0,1] neg_hi:[0,0,1]
	v_mov_b32_e32 v113, v119
	s_delay_alu instid0(VALU_DEP_3) | instskip(NEXT) | instid1(VALU_DEP_2)
	v_cmp_lt_u32_e32 vcc_lo, 31, v111
	v_pk_add_f32 v[106:107], v[106:107], v[112:113]
	s_or_b32 s3, vcc_lo, s3
	s_delay_alu instid0(SALU_CYCLE_1)
	s_and_not1_b32 exec_lo, exec_lo, s3
	s_cbranch_execnz .LBB50_827
; %bb.828:
	s_or_b32 exec_lo, exec_lo, s3
.LBB50_829:
	s_delay_alu instid0(SALU_CYCLE_1) | instskip(SKIP_4) | instid1(VALU_DEP_1)
	s_or_b32 exec_lo, exec_lo, s2
	v_mov_b32_e32 v109, 0
	ds_load_b64 v[110:111], v109 offset:264
	s_wait_dscnt 0x0
	v_pk_mul_f32 v[112:113], v[106:107], v[110:111] op_sel:[1,1] op_sel_hi:[0,1]
	v_pk_fma_f32 v[114:115], v[106:107], v[110:111], v[112:113] op_sel_hi:[1,0,1]
	v_pk_fma_f32 v[106:107], v[106:107], v[110:111], v[112:113] neg_lo:[0,0,1] neg_hi:[0,0,1]
	s_delay_alu instid0(VALU_DEP_2)
	v_mov_b32_e32 v107, v115
	scratch_store_b64 off, v[106:107], off offset:264
.LBB50_830:
	s_wait_xcnt 0x0
	s_or_b32 exec_lo, exec_lo, s0
	scratch_load_b64 v[106:107], off, off offset:272
	s_mov_b32 s0, exec_lo
	s_wait_loadcnt 0x0
	ds_store_b64 v1, v[106:107]
	s_wait_storecnt_dscnt 0x0
	s_barrier_signal -1
	s_barrier_wait -1
	s_wait_xcnt 0x0
	v_cmpx_gt_u32_e32 34, v0
	s_cbranch_execz .LBB50_840
; %bb.831:
	v_cmp_ne_u32_e32 vcc_lo, 1, v108
	s_cbranch_vccnz .LBB50_833
; %bb.832:
	scratch_load_b64 v[106:107], v51, off
	ds_load_b64 v[110:111], v1
	s_wait_loadcnt_dscnt 0x0
	v_pk_mul_f32 v[112:113], v[110:111], v[106:107] op_sel:[1,1] op_sel_hi:[0,1]
	s_delay_alu instid0(VALU_DEP_1) | instskip(SKIP_1) | instid1(VALU_DEP_2)
	v_pk_fma_f32 v[114:115], v[110:111], v[106:107], v[112:113] op_sel_hi:[1,0,1]
	v_pk_fma_f32 v[106:107], v[110:111], v[106:107], v[112:113] neg_lo:[0,0,1] neg_hi:[0,0,1]
	v_mov_b32_e32 v107, v115
	s_cbranch_execz .LBB50_834
	s_branch .LBB50_835
.LBB50_833:
                                        ; implicit-def: $vgpr106_vgpr107
.LBB50_834:
	ds_load_b64 v[106:107], v1
.LBB50_835:
	s_mov_b32 s2, exec_lo
	v_cmpx_ne_u32_e32 33, v0
	s_cbranch_execz .LBB50_839
; %bb.836:
	v_add_nc_u32_e32 v109, 0x1a8, v50
	v_add3_u32 v110, 0, v50, 8
	v_mov_b32_e32 v111, v0
	s_mov_b32 s3, 0
.LBB50_837:                             ; =>This Inner Loop Header: Depth=1
	scratch_load_b64 v[112:113], v110, off
	ds_load_b64 v[114:115], v109
	s_wait_xcnt 0x0
	v_dual_add_nc_u32 v109, 8, v109 :: v_dual_add_nc_u32 v110, 8, v110
	s_wait_loadcnt_dscnt 0x0
	v_pk_mul_f32 v[116:117], v[114:115], v[112:113] op_sel:[1,1] op_sel_hi:[0,1]
	s_delay_alu instid0(VALU_DEP_1) | instskip(SKIP_2) | instid1(VALU_DEP_3)
	v_pk_fma_f32 v[118:119], v[114:115], v[112:113], v[116:117] op_sel_hi:[1,0,1]
	v_add_nc_u32_e32 v111, 1, v111
	v_pk_fma_f32 v[112:113], v[114:115], v[112:113], v[116:117] neg_lo:[0,0,1] neg_hi:[0,0,1]
	v_mov_b32_e32 v113, v119
	s_delay_alu instid0(VALU_DEP_3) | instskip(NEXT) | instid1(VALU_DEP_2)
	v_cmp_lt_u32_e32 vcc_lo, 32, v111
	v_pk_add_f32 v[106:107], v[106:107], v[112:113]
	s_or_b32 s3, vcc_lo, s3
	s_delay_alu instid0(SALU_CYCLE_1)
	s_and_not1_b32 exec_lo, exec_lo, s3
	s_cbranch_execnz .LBB50_837
; %bb.838:
	s_or_b32 exec_lo, exec_lo, s3
.LBB50_839:
	s_delay_alu instid0(SALU_CYCLE_1) | instskip(SKIP_4) | instid1(VALU_DEP_1)
	s_or_b32 exec_lo, exec_lo, s2
	v_mov_b32_e32 v109, 0
	ds_load_b64 v[110:111], v109 offset:272
	s_wait_dscnt 0x0
	v_pk_mul_f32 v[112:113], v[106:107], v[110:111] op_sel:[1,1] op_sel_hi:[0,1]
	v_pk_fma_f32 v[114:115], v[106:107], v[110:111], v[112:113] op_sel_hi:[1,0,1]
	v_pk_fma_f32 v[106:107], v[106:107], v[110:111], v[112:113] neg_lo:[0,0,1] neg_hi:[0,0,1]
	s_delay_alu instid0(VALU_DEP_2)
	v_mov_b32_e32 v107, v115
	scratch_store_b64 off, v[106:107], off offset:272
.LBB50_840:
	s_wait_xcnt 0x0
	s_or_b32 exec_lo, exec_lo, s0
	scratch_load_b64 v[106:107], off, off offset:280
	s_mov_b32 s0, exec_lo
	s_wait_loadcnt 0x0
	ds_store_b64 v1, v[106:107]
	s_wait_storecnt_dscnt 0x0
	s_barrier_signal -1
	s_barrier_wait -1
	s_wait_xcnt 0x0
	v_cmpx_gt_u32_e32 35, v0
	s_cbranch_execz .LBB50_850
; %bb.841:
	v_cmp_ne_u32_e32 vcc_lo, 1, v108
	s_cbranch_vccnz .LBB50_843
; %bb.842:
	scratch_load_b64 v[106:107], v51, off
	ds_load_b64 v[110:111], v1
	s_wait_loadcnt_dscnt 0x0
	v_pk_mul_f32 v[112:113], v[110:111], v[106:107] op_sel:[1,1] op_sel_hi:[0,1]
	s_delay_alu instid0(VALU_DEP_1) | instskip(SKIP_1) | instid1(VALU_DEP_2)
	v_pk_fma_f32 v[114:115], v[110:111], v[106:107], v[112:113] op_sel_hi:[1,0,1]
	v_pk_fma_f32 v[106:107], v[110:111], v[106:107], v[112:113] neg_lo:[0,0,1] neg_hi:[0,0,1]
	v_mov_b32_e32 v107, v115
	s_cbranch_execz .LBB50_844
	s_branch .LBB50_845
.LBB50_843:
                                        ; implicit-def: $vgpr106_vgpr107
.LBB50_844:
	ds_load_b64 v[106:107], v1
.LBB50_845:
	s_mov_b32 s2, exec_lo
	v_cmpx_ne_u32_e32 34, v0
	s_cbranch_execz .LBB50_849
; %bb.846:
	v_add_nc_u32_e32 v109, 0x1a8, v50
	v_add3_u32 v110, 0, v50, 8
	v_mov_b32_e32 v111, v0
	s_mov_b32 s3, 0
.LBB50_847:                             ; =>This Inner Loop Header: Depth=1
	scratch_load_b64 v[112:113], v110, off
	ds_load_b64 v[114:115], v109
	s_wait_xcnt 0x0
	v_dual_add_nc_u32 v109, 8, v109 :: v_dual_add_nc_u32 v110, 8, v110
	s_wait_loadcnt_dscnt 0x0
	v_pk_mul_f32 v[116:117], v[114:115], v[112:113] op_sel:[1,1] op_sel_hi:[0,1]
	s_delay_alu instid0(VALU_DEP_1) | instskip(SKIP_2) | instid1(VALU_DEP_3)
	v_pk_fma_f32 v[118:119], v[114:115], v[112:113], v[116:117] op_sel_hi:[1,0,1]
	v_add_nc_u32_e32 v111, 1, v111
	v_pk_fma_f32 v[112:113], v[114:115], v[112:113], v[116:117] neg_lo:[0,0,1] neg_hi:[0,0,1]
	v_mov_b32_e32 v113, v119
	s_delay_alu instid0(VALU_DEP_3) | instskip(NEXT) | instid1(VALU_DEP_2)
	v_cmp_lt_u32_e32 vcc_lo, 33, v111
	v_pk_add_f32 v[106:107], v[106:107], v[112:113]
	s_or_b32 s3, vcc_lo, s3
	s_delay_alu instid0(SALU_CYCLE_1)
	s_and_not1_b32 exec_lo, exec_lo, s3
	s_cbranch_execnz .LBB50_847
; %bb.848:
	s_or_b32 exec_lo, exec_lo, s3
.LBB50_849:
	s_delay_alu instid0(SALU_CYCLE_1) | instskip(SKIP_4) | instid1(VALU_DEP_1)
	s_or_b32 exec_lo, exec_lo, s2
	v_mov_b32_e32 v109, 0
	ds_load_b64 v[110:111], v109 offset:280
	s_wait_dscnt 0x0
	v_pk_mul_f32 v[112:113], v[106:107], v[110:111] op_sel:[1,1] op_sel_hi:[0,1]
	v_pk_fma_f32 v[114:115], v[106:107], v[110:111], v[112:113] op_sel_hi:[1,0,1]
	v_pk_fma_f32 v[106:107], v[106:107], v[110:111], v[112:113] neg_lo:[0,0,1] neg_hi:[0,0,1]
	s_delay_alu instid0(VALU_DEP_2)
	v_mov_b32_e32 v107, v115
	scratch_store_b64 off, v[106:107], off offset:280
.LBB50_850:
	s_wait_xcnt 0x0
	s_or_b32 exec_lo, exec_lo, s0
	scratch_load_b64 v[106:107], off, off offset:288
	s_mov_b32 s0, exec_lo
	s_wait_loadcnt 0x0
	ds_store_b64 v1, v[106:107]
	s_wait_storecnt_dscnt 0x0
	s_barrier_signal -1
	s_barrier_wait -1
	s_wait_xcnt 0x0
	v_cmpx_gt_u32_e32 36, v0
	s_cbranch_execz .LBB50_860
; %bb.851:
	v_cmp_ne_u32_e32 vcc_lo, 1, v108
	s_cbranch_vccnz .LBB50_853
; %bb.852:
	scratch_load_b64 v[106:107], v51, off
	ds_load_b64 v[110:111], v1
	s_wait_loadcnt_dscnt 0x0
	v_pk_mul_f32 v[112:113], v[110:111], v[106:107] op_sel:[1,1] op_sel_hi:[0,1]
	s_delay_alu instid0(VALU_DEP_1) | instskip(SKIP_1) | instid1(VALU_DEP_2)
	v_pk_fma_f32 v[114:115], v[110:111], v[106:107], v[112:113] op_sel_hi:[1,0,1]
	v_pk_fma_f32 v[106:107], v[110:111], v[106:107], v[112:113] neg_lo:[0,0,1] neg_hi:[0,0,1]
	v_mov_b32_e32 v107, v115
	s_cbranch_execz .LBB50_854
	s_branch .LBB50_855
.LBB50_853:
                                        ; implicit-def: $vgpr106_vgpr107
.LBB50_854:
	ds_load_b64 v[106:107], v1
.LBB50_855:
	s_mov_b32 s2, exec_lo
	v_cmpx_ne_u32_e32 35, v0
	s_cbranch_execz .LBB50_859
; %bb.856:
	v_add_nc_u32_e32 v109, 0x1a8, v50
	v_add3_u32 v110, 0, v50, 8
	v_mov_b32_e32 v111, v0
	s_mov_b32 s3, 0
.LBB50_857:                             ; =>This Inner Loop Header: Depth=1
	scratch_load_b64 v[112:113], v110, off
	ds_load_b64 v[114:115], v109
	s_wait_xcnt 0x0
	v_dual_add_nc_u32 v109, 8, v109 :: v_dual_add_nc_u32 v110, 8, v110
	s_wait_loadcnt_dscnt 0x0
	v_pk_mul_f32 v[116:117], v[114:115], v[112:113] op_sel:[1,1] op_sel_hi:[0,1]
	s_delay_alu instid0(VALU_DEP_1) | instskip(SKIP_2) | instid1(VALU_DEP_3)
	v_pk_fma_f32 v[118:119], v[114:115], v[112:113], v[116:117] op_sel_hi:[1,0,1]
	v_add_nc_u32_e32 v111, 1, v111
	v_pk_fma_f32 v[112:113], v[114:115], v[112:113], v[116:117] neg_lo:[0,0,1] neg_hi:[0,0,1]
	v_mov_b32_e32 v113, v119
	s_delay_alu instid0(VALU_DEP_3) | instskip(NEXT) | instid1(VALU_DEP_2)
	v_cmp_lt_u32_e32 vcc_lo, 34, v111
	v_pk_add_f32 v[106:107], v[106:107], v[112:113]
	s_or_b32 s3, vcc_lo, s3
	s_delay_alu instid0(SALU_CYCLE_1)
	s_and_not1_b32 exec_lo, exec_lo, s3
	s_cbranch_execnz .LBB50_857
; %bb.858:
	s_or_b32 exec_lo, exec_lo, s3
.LBB50_859:
	s_delay_alu instid0(SALU_CYCLE_1) | instskip(SKIP_4) | instid1(VALU_DEP_1)
	s_or_b32 exec_lo, exec_lo, s2
	v_mov_b32_e32 v109, 0
	ds_load_b64 v[110:111], v109 offset:288
	s_wait_dscnt 0x0
	v_pk_mul_f32 v[112:113], v[106:107], v[110:111] op_sel:[1,1] op_sel_hi:[0,1]
	v_pk_fma_f32 v[114:115], v[106:107], v[110:111], v[112:113] op_sel_hi:[1,0,1]
	v_pk_fma_f32 v[106:107], v[106:107], v[110:111], v[112:113] neg_lo:[0,0,1] neg_hi:[0,0,1]
	s_delay_alu instid0(VALU_DEP_2)
	v_mov_b32_e32 v107, v115
	scratch_store_b64 off, v[106:107], off offset:288
.LBB50_860:
	s_wait_xcnt 0x0
	s_or_b32 exec_lo, exec_lo, s0
	scratch_load_b64 v[106:107], off, off offset:296
	s_mov_b32 s0, exec_lo
	s_wait_loadcnt 0x0
	ds_store_b64 v1, v[106:107]
	s_wait_storecnt_dscnt 0x0
	s_barrier_signal -1
	s_barrier_wait -1
	s_wait_xcnt 0x0
	v_cmpx_gt_u32_e32 37, v0
	s_cbranch_execz .LBB50_870
; %bb.861:
	v_cmp_ne_u32_e32 vcc_lo, 1, v108
	s_cbranch_vccnz .LBB50_863
; %bb.862:
	scratch_load_b64 v[106:107], v51, off
	ds_load_b64 v[110:111], v1
	s_wait_loadcnt_dscnt 0x0
	v_pk_mul_f32 v[112:113], v[110:111], v[106:107] op_sel:[1,1] op_sel_hi:[0,1]
	s_delay_alu instid0(VALU_DEP_1) | instskip(SKIP_1) | instid1(VALU_DEP_2)
	v_pk_fma_f32 v[114:115], v[110:111], v[106:107], v[112:113] op_sel_hi:[1,0,1]
	v_pk_fma_f32 v[106:107], v[110:111], v[106:107], v[112:113] neg_lo:[0,0,1] neg_hi:[0,0,1]
	v_mov_b32_e32 v107, v115
	s_cbranch_execz .LBB50_864
	s_branch .LBB50_865
.LBB50_863:
                                        ; implicit-def: $vgpr106_vgpr107
.LBB50_864:
	ds_load_b64 v[106:107], v1
.LBB50_865:
	s_mov_b32 s2, exec_lo
	v_cmpx_ne_u32_e32 36, v0
	s_cbranch_execz .LBB50_869
; %bb.866:
	v_add_nc_u32_e32 v109, 0x1a8, v50
	v_add3_u32 v110, 0, v50, 8
	v_mov_b32_e32 v111, v0
	s_mov_b32 s3, 0
.LBB50_867:                             ; =>This Inner Loop Header: Depth=1
	scratch_load_b64 v[112:113], v110, off
	ds_load_b64 v[114:115], v109
	s_wait_xcnt 0x0
	v_dual_add_nc_u32 v109, 8, v109 :: v_dual_add_nc_u32 v110, 8, v110
	s_wait_loadcnt_dscnt 0x0
	v_pk_mul_f32 v[116:117], v[114:115], v[112:113] op_sel:[1,1] op_sel_hi:[0,1]
	s_delay_alu instid0(VALU_DEP_1) | instskip(SKIP_2) | instid1(VALU_DEP_3)
	v_pk_fma_f32 v[118:119], v[114:115], v[112:113], v[116:117] op_sel_hi:[1,0,1]
	v_add_nc_u32_e32 v111, 1, v111
	v_pk_fma_f32 v[112:113], v[114:115], v[112:113], v[116:117] neg_lo:[0,0,1] neg_hi:[0,0,1]
	v_mov_b32_e32 v113, v119
	s_delay_alu instid0(VALU_DEP_3) | instskip(NEXT) | instid1(VALU_DEP_2)
	v_cmp_lt_u32_e32 vcc_lo, 35, v111
	v_pk_add_f32 v[106:107], v[106:107], v[112:113]
	s_or_b32 s3, vcc_lo, s3
	s_delay_alu instid0(SALU_CYCLE_1)
	s_and_not1_b32 exec_lo, exec_lo, s3
	s_cbranch_execnz .LBB50_867
; %bb.868:
	s_or_b32 exec_lo, exec_lo, s3
.LBB50_869:
	s_delay_alu instid0(SALU_CYCLE_1) | instskip(SKIP_4) | instid1(VALU_DEP_1)
	s_or_b32 exec_lo, exec_lo, s2
	v_mov_b32_e32 v109, 0
	ds_load_b64 v[110:111], v109 offset:296
	s_wait_dscnt 0x0
	v_pk_mul_f32 v[112:113], v[106:107], v[110:111] op_sel:[1,1] op_sel_hi:[0,1]
	v_pk_fma_f32 v[114:115], v[106:107], v[110:111], v[112:113] op_sel_hi:[1,0,1]
	v_pk_fma_f32 v[106:107], v[106:107], v[110:111], v[112:113] neg_lo:[0,0,1] neg_hi:[0,0,1]
	s_delay_alu instid0(VALU_DEP_2)
	v_mov_b32_e32 v107, v115
	scratch_store_b64 off, v[106:107], off offset:296
.LBB50_870:
	s_wait_xcnt 0x0
	s_or_b32 exec_lo, exec_lo, s0
	scratch_load_b64 v[106:107], off, off offset:304
	s_mov_b32 s0, exec_lo
	s_wait_loadcnt 0x0
	ds_store_b64 v1, v[106:107]
	s_wait_storecnt_dscnt 0x0
	s_barrier_signal -1
	s_barrier_wait -1
	s_wait_xcnt 0x0
	v_cmpx_gt_u32_e32 38, v0
	s_cbranch_execz .LBB50_880
; %bb.871:
	v_cmp_ne_u32_e32 vcc_lo, 1, v108
	s_cbranch_vccnz .LBB50_873
; %bb.872:
	scratch_load_b64 v[106:107], v51, off
	ds_load_b64 v[110:111], v1
	s_wait_loadcnt_dscnt 0x0
	v_pk_mul_f32 v[112:113], v[110:111], v[106:107] op_sel:[1,1] op_sel_hi:[0,1]
	s_delay_alu instid0(VALU_DEP_1) | instskip(SKIP_1) | instid1(VALU_DEP_2)
	v_pk_fma_f32 v[114:115], v[110:111], v[106:107], v[112:113] op_sel_hi:[1,0,1]
	v_pk_fma_f32 v[106:107], v[110:111], v[106:107], v[112:113] neg_lo:[0,0,1] neg_hi:[0,0,1]
	v_mov_b32_e32 v107, v115
	s_cbranch_execz .LBB50_874
	s_branch .LBB50_875
.LBB50_873:
                                        ; implicit-def: $vgpr106_vgpr107
.LBB50_874:
	ds_load_b64 v[106:107], v1
.LBB50_875:
	s_mov_b32 s2, exec_lo
	v_cmpx_ne_u32_e32 37, v0
	s_cbranch_execz .LBB50_879
; %bb.876:
	v_add_nc_u32_e32 v109, 0x1a8, v50
	v_add3_u32 v110, 0, v50, 8
	v_mov_b32_e32 v111, v0
	s_mov_b32 s3, 0
.LBB50_877:                             ; =>This Inner Loop Header: Depth=1
	scratch_load_b64 v[112:113], v110, off
	ds_load_b64 v[114:115], v109
	s_wait_xcnt 0x0
	v_dual_add_nc_u32 v109, 8, v109 :: v_dual_add_nc_u32 v110, 8, v110
	s_wait_loadcnt_dscnt 0x0
	v_pk_mul_f32 v[116:117], v[114:115], v[112:113] op_sel:[1,1] op_sel_hi:[0,1]
	s_delay_alu instid0(VALU_DEP_1) | instskip(SKIP_2) | instid1(VALU_DEP_3)
	v_pk_fma_f32 v[118:119], v[114:115], v[112:113], v[116:117] op_sel_hi:[1,0,1]
	v_add_nc_u32_e32 v111, 1, v111
	v_pk_fma_f32 v[112:113], v[114:115], v[112:113], v[116:117] neg_lo:[0,0,1] neg_hi:[0,0,1]
	v_mov_b32_e32 v113, v119
	s_delay_alu instid0(VALU_DEP_3) | instskip(NEXT) | instid1(VALU_DEP_2)
	v_cmp_lt_u32_e32 vcc_lo, 36, v111
	v_pk_add_f32 v[106:107], v[106:107], v[112:113]
	s_or_b32 s3, vcc_lo, s3
	s_delay_alu instid0(SALU_CYCLE_1)
	s_and_not1_b32 exec_lo, exec_lo, s3
	s_cbranch_execnz .LBB50_877
; %bb.878:
	s_or_b32 exec_lo, exec_lo, s3
.LBB50_879:
	s_delay_alu instid0(SALU_CYCLE_1) | instskip(SKIP_4) | instid1(VALU_DEP_1)
	s_or_b32 exec_lo, exec_lo, s2
	v_mov_b32_e32 v109, 0
	ds_load_b64 v[110:111], v109 offset:304
	s_wait_dscnt 0x0
	v_pk_mul_f32 v[112:113], v[106:107], v[110:111] op_sel:[1,1] op_sel_hi:[0,1]
	v_pk_fma_f32 v[114:115], v[106:107], v[110:111], v[112:113] op_sel_hi:[1,0,1]
	v_pk_fma_f32 v[106:107], v[106:107], v[110:111], v[112:113] neg_lo:[0,0,1] neg_hi:[0,0,1]
	s_delay_alu instid0(VALU_DEP_2)
	v_mov_b32_e32 v107, v115
	scratch_store_b64 off, v[106:107], off offset:304
.LBB50_880:
	s_wait_xcnt 0x0
	s_or_b32 exec_lo, exec_lo, s0
	scratch_load_b64 v[106:107], off, off offset:312
	s_mov_b32 s0, exec_lo
	s_wait_loadcnt 0x0
	ds_store_b64 v1, v[106:107]
	s_wait_storecnt_dscnt 0x0
	s_barrier_signal -1
	s_barrier_wait -1
	s_wait_xcnt 0x0
	v_cmpx_gt_u32_e32 39, v0
	s_cbranch_execz .LBB50_890
; %bb.881:
	v_cmp_ne_u32_e32 vcc_lo, 1, v108
	s_cbranch_vccnz .LBB50_883
; %bb.882:
	scratch_load_b64 v[106:107], v51, off
	ds_load_b64 v[110:111], v1
	s_wait_loadcnt_dscnt 0x0
	v_pk_mul_f32 v[112:113], v[110:111], v[106:107] op_sel:[1,1] op_sel_hi:[0,1]
	s_delay_alu instid0(VALU_DEP_1) | instskip(SKIP_1) | instid1(VALU_DEP_2)
	v_pk_fma_f32 v[114:115], v[110:111], v[106:107], v[112:113] op_sel_hi:[1,0,1]
	v_pk_fma_f32 v[106:107], v[110:111], v[106:107], v[112:113] neg_lo:[0,0,1] neg_hi:[0,0,1]
	v_mov_b32_e32 v107, v115
	s_cbranch_execz .LBB50_884
	s_branch .LBB50_885
.LBB50_883:
                                        ; implicit-def: $vgpr106_vgpr107
.LBB50_884:
	ds_load_b64 v[106:107], v1
.LBB50_885:
	s_mov_b32 s2, exec_lo
	v_cmpx_ne_u32_e32 38, v0
	s_cbranch_execz .LBB50_889
; %bb.886:
	v_add_nc_u32_e32 v109, 0x1a8, v50
	v_add3_u32 v110, 0, v50, 8
	v_mov_b32_e32 v111, v0
	s_mov_b32 s3, 0
.LBB50_887:                             ; =>This Inner Loop Header: Depth=1
	scratch_load_b64 v[112:113], v110, off
	ds_load_b64 v[114:115], v109
	s_wait_xcnt 0x0
	v_dual_add_nc_u32 v109, 8, v109 :: v_dual_add_nc_u32 v110, 8, v110
	s_wait_loadcnt_dscnt 0x0
	v_pk_mul_f32 v[116:117], v[114:115], v[112:113] op_sel:[1,1] op_sel_hi:[0,1]
	s_delay_alu instid0(VALU_DEP_1) | instskip(SKIP_2) | instid1(VALU_DEP_3)
	v_pk_fma_f32 v[118:119], v[114:115], v[112:113], v[116:117] op_sel_hi:[1,0,1]
	v_add_nc_u32_e32 v111, 1, v111
	v_pk_fma_f32 v[112:113], v[114:115], v[112:113], v[116:117] neg_lo:[0,0,1] neg_hi:[0,0,1]
	v_mov_b32_e32 v113, v119
	s_delay_alu instid0(VALU_DEP_3) | instskip(NEXT) | instid1(VALU_DEP_2)
	v_cmp_lt_u32_e32 vcc_lo, 37, v111
	v_pk_add_f32 v[106:107], v[106:107], v[112:113]
	s_or_b32 s3, vcc_lo, s3
	s_delay_alu instid0(SALU_CYCLE_1)
	s_and_not1_b32 exec_lo, exec_lo, s3
	s_cbranch_execnz .LBB50_887
; %bb.888:
	s_or_b32 exec_lo, exec_lo, s3
.LBB50_889:
	s_delay_alu instid0(SALU_CYCLE_1) | instskip(SKIP_4) | instid1(VALU_DEP_1)
	s_or_b32 exec_lo, exec_lo, s2
	v_mov_b32_e32 v109, 0
	ds_load_b64 v[110:111], v109 offset:312
	s_wait_dscnt 0x0
	v_pk_mul_f32 v[112:113], v[106:107], v[110:111] op_sel:[1,1] op_sel_hi:[0,1]
	v_pk_fma_f32 v[114:115], v[106:107], v[110:111], v[112:113] op_sel_hi:[1,0,1]
	v_pk_fma_f32 v[106:107], v[106:107], v[110:111], v[112:113] neg_lo:[0,0,1] neg_hi:[0,0,1]
	s_delay_alu instid0(VALU_DEP_2)
	v_mov_b32_e32 v107, v115
	scratch_store_b64 off, v[106:107], off offset:312
.LBB50_890:
	s_wait_xcnt 0x0
	s_or_b32 exec_lo, exec_lo, s0
	scratch_load_b64 v[106:107], off, off offset:320
	s_mov_b32 s0, exec_lo
	s_wait_loadcnt 0x0
	ds_store_b64 v1, v[106:107]
	s_wait_storecnt_dscnt 0x0
	s_barrier_signal -1
	s_barrier_wait -1
	s_wait_xcnt 0x0
	v_cmpx_gt_u32_e32 40, v0
	s_cbranch_execz .LBB50_900
; %bb.891:
	v_cmp_ne_u32_e32 vcc_lo, 1, v108
	s_cbranch_vccnz .LBB50_893
; %bb.892:
	scratch_load_b64 v[106:107], v51, off
	ds_load_b64 v[110:111], v1
	s_wait_loadcnt_dscnt 0x0
	v_pk_mul_f32 v[112:113], v[110:111], v[106:107] op_sel:[1,1] op_sel_hi:[0,1]
	s_delay_alu instid0(VALU_DEP_1) | instskip(SKIP_1) | instid1(VALU_DEP_2)
	v_pk_fma_f32 v[114:115], v[110:111], v[106:107], v[112:113] op_sel_hi:[1,0,1]
	v_pk_fma_f32 v[106:107], v[110:111], v[106:107], v[112:113] neg_lo:[0,0,1] neg_hi:[0,0,1]
	v_mov_b32_e32 v107, v115
	s_cbranch_execz .LBB50_894
	s_branch .LBB50_895
.LBB50_893:
                                        ; implicit-def: $vgpr106_vgpr107
.LBB50_894:
	ds_load_b64 v[106:107], v1
.LBB50_895:
	s_mov_b32 s2, exec_lo
	v_cmpx_ne_u32_e32 39, v0
	s_cbranch_execz .LBB50_899
; %bb.896:
	v_add_nc_u32_e32 v109, 0x1a8, v50
	v_add3_u32 v110, 0, v50, 8
	v_mov_b32_e32 v111, v0
	s_mov_b32 s3, 0
.LBB50_897:                             ; =>This Inner Loop Header: Depth=1
	scratch_load_b64 v[112:113], v110, off
	ds_load_b64 v[114:115], v109
	s_wait_xcnt 0x0
	v_dual_add_nc_u32 v109, 8, v109 :: v_dual_add_nc_u32 v110, 8, v110
	s_wait_loadcnt_dscnt 0x0
	v_pk_mul_f32 v[116:117], v[114:115], v[112:113] op_sel:[1,1] op_sel_hi:[0,1]
	s_delay_alu instid0(VALU_DEP_1) | instskip(SKIP_2) | instid1(VALU_DEP_3)
	v_pk_fma_f32 v[118:119], v[114:115], v[112:113], v[116:117] op_sel_hi:[1,0,1]
	v_add_nc_u32_e32 v111, 1, v111
	v_pk_fma_f32 v[112:113], v[114:115], v[112:113], v[116:117] neg_lo:[0,0,1] neg_hi:[0,0,1]
	v_mov_b32_e32 v113, v119
	s_delay_alu instid0(VALU_DEP_3) | instskip(NEXT) | instid1(VALU_DEP_2)
	v_cmp_lt_u32_e32 vcc_lo, 38, v111
	v_pk_add_f32 v[106:107], v[106:107], v[112:113]
	s_or_b32 s3, vcc_lo, s3
	s_delay_alu instid0(SALU_CYCLE_1)
	s_and_not1_b32 exec_lo, exec_lo, s3
	s_cbranch_execnz .LBB50_897
; %bb.898:
	s_or_b32 exec_lo, exec_lo, s3
.LBB50_899:
	s_delay_alu instid0(SALU_CYCLE_1) | instskip(SKIP_4) | instid1(VALU_DEP_1)
	s_or_b32 exec_lo, exec_lo, s2
	v_mov_b32_e32 v109, 0
	ds_load_b64 v[110:111], v109 offset:320
	s_wait_dscnt 0x0
	v_pk_mul_f32 v[112:113], v[106:107], v[110:111] op_sel:[1,1] op_sel_hi:[0,1]
	v_pk_fma_f32 v[114:115], v[106:107], v[110:111], v[112:113] op_sel_hi:[1,0,1]
	v_pk_fma_f32 v[106:107], v[106:107], v[110:111], v[112:113] neg_lo:[0,0,1] neg_hi:[0,0,1]
	s_delay_alu instid0(VALU_DEP_2)
	v_mov_b32_e32 v107, v115
	scratch_store_b64 off, v[106:107], off offset:320
.LBB50_900:
	s_wait_xcnt 0x0
	s_or_b32 exec_lo, exec_lo, s0
	scratch_load_b64 v[106:107], off, off offset:328
	s_mov_b32 s0, exec_lo
	s_wait_loadcnt 0x0
	ds_store_b64 v1, v[106:107]
	s_wait_storecnt_dscnt 0x0
	s_barrier_signal -1
	s_barrier_wait -1
	s_wait_xcnt 0x0
	v_cmpx_gt_u32_e32 41, v0
	s_cbranch_execz .LBB50_910
; %bb.901:
	v_cmp_ne_u32_e32 vcc_lo, 1, v108
	s_cbranch_vccnz .LBB50_903
; %bb.902:
	scratch_load_b64 v[106:107], v51, off
	ds_load_b64 v[110:111], v1
	s_wait_loadcnt_dscnt 0x0
	v_pk_mul_f32 v[112:113], v[110:111], v[106:107] op_sel:[1,1] op_sel_hi:[0,1]
	s_delay_alu instid0(VALU_DEP_1) | instskip(SKIP_1) | instid1(VALU_DEP_2)
	v_pk_fma_f32 v[114:115], v[110:111], v[106:107], v[112:113] op_sel_hi:[1,0,1]
	v_pk_fma_f32 v[106:107], v[110:111], v[106:107], v[112:113] neg_lo:[0,0,1] neg_hi:[0,0,1]
	v_mov_b32_e32 v107, v115
	s_cbranch_execz .LBB50_904
	s_branch .LBB50_905
.LBB50_903:
                                        ; implicit-def: $vgpr106_vgpr107
.LBB50_904:
	ds_load_b64 v[106:107], v1
.LBB50_905:
	s_mov_b32 s2, exec_lo
	v_cmpx_ne_u32_e32 40, v0
	s_cbranch_execz .LBB50_909
; %bb.906:
	v_add_nc_u32_e32 v109, 0x1a8, v50
	v_add3_u32 v110, 0, v50, 8
	v_mov_b32_e32 v111, v0
	s_mov_b32 s3, 0
.LBB50_907:                             ; =>This Inner Loop Header: Depth=1
	scratch_load_b64 v[112:113], v110, off
	ds_load_b64 v[114:115], v109
	s_wait_xcnt 0x0
	v_dual_add_nc_u32 v109, 8, v109 :: v_dual_add_nc_u32 v110, 8, v110
	s_wait_loadcnt_dscnt 0x0
	v_pk_mul_f32 v[116:117], v[114:115], v[112:113] op_sel:[1,1] op_sel_hi:[0,1]
	s_delay_alu instid0(VALU_DEP_1) | instskip(SKIP_2) | instid1(VALU_DEP_3)
	v_pk_fma_f32 v[118:119], v[114:115], v[112:113], v[116:117] op_sel_hi:[1,0,1]
	v_add_nc_u32_e32 v111, 1, v111
	v_pk_fma_f32 v[112:113], v[114:115], v[112:113], v[116:117] neg_lo:[0,0,1] neg_hi:[0,0,1]
	v_mov_b32_e32 v113, v119
	s_delay_alu instid0(VALU_DEP_3) | instskip(NEXT) | instid1(VALU_DEP_2)
	v_cmp_lt_u32_e32 vcc_lo, 39, v111
	v_pk_add_f32 v[106:107], v[106:107], v[112:113]
	s_or_b32 s3, vcc_lo, s3
	s_delay_alu instid0(SALU_CYCLE_1)
	s_and_not1_b32 exec_lo, exec_lo, s3
	s_cbranch_execnz .LBB50_907
; %bb.908:
	s_or_b32 exec_lo, exec_lo, s3
.LBB50_909:
	s_delay_alu instid0(SALU_CYCLE_1) | instskip(SKIP_4) | instid1(VALU_DEP_1)
	s_or_b32 exec_lo, exec_lo, s2
	v_mov_b32_e32 v109, 0
	ds_load_b64 v[110:111], v109 offset:328
	s_wait_dscnt 0x0
	v_pk_mul_f32 v[112:113], v[106:107], v[110:111] op_sel:[1,1] op_sel_hi:[0,1]
	v_pk_fma_f32 v[114:115], v[106:107], v[110:111], v[112:113] op_sel_hi:[1,0,1]
	v_pk_fma_f32 v[106:107], v[106:107], v[110:111], v[112:113] neg_lo:[0,0,1] neg_hi:[0,0,1]
	s_delay_alu instid0(VALU_DEP_2)
	v_mov_b32_e32 v107, v115
	scratch_store_b64 off, v[106:107], off offset:328
.LBB50_910:
	s_wait_xcnt 0x0
	s_or_b32 exec_lo, exec_lo, s0
	scratch_load_b64 v[106:107], off, off offset:336
	s_mov_b32 s0, exec_lo
	s_wait_loadcnt 0x0
	ds_store_b64 v1, v[106:107]
	s_wait_storecnt_dscnt 0x0
	s_barrier_signal -1
	s_barrier_wait -1
	s_wait_xcnt 0x0
	v_cmpx_gt_u32_e32 42, v0
	s_cbranch_execz .LBB50_920
; %bb.911:
	v_cmp_ne_u32_e32 vcc_lo, 1, v108
	s_cbranch_vccnz .LBB50_913
; %bb.912:
	scratch_load_b64 v[106:107], v51, off
	ds_load_b64 v[110:111], v1
	s_wait_loadcnt_dscnt 0x0
	v_pk_mul_f32 v[112:113], v[110:111], v[106:107] op_sel:[1,1] op_sel_hi:[0,1]
	s_delay_alu instid0(VALU_DEP_1) | instskip(SKIP_1) | instid1(VALU_DEP_2)
	v_pk_fma_f32 v[114:115], v[110:111], v[106:107], v[112:113] op_sel_hi:[1,0,1]
	v_pk_fma_f32 v[106:107], v[110:111], v[106:107], v[112:113] neg_lo:[0,0,1] neg_hi:[0,0,1]
	v_mov_b32_e32 v107, v115
	s_cbranch_execz .LBB50_914
	s_branch .LBB50_915
.LBB50_913:
                                        ; implicit-def: $vgpr106_vgpr107
.LBB50_914:
	ds_load_b64 v[106:107], v1
.LBB50_915:
	s_mov_b32 s2, exec_lo
	v_cmpx_ne_u32_e32 41, v0
	s_cbranch_execz .LBB50_919
; %bb.916:
	v_add_nc_u32_e32 v109, 0x1a8, v50
	v_add3_u32 v110, 0, v50, 8
	v_mov_b32_e32 v111, v0
	s_mov_b32 s3, 0
.LBB50_917:                             ; =>This Inner Loop Header: Depth=1
	scratch_load_b64 v[112:113], v110, off
	ds_load_b64 v[114:115], v109
	s_wait_xcnt 0x0
	v_dual_add_nc_u32 v109, 8, v109 :: v_dual_add_nc_u32 v110, 8, v110
	s_wait_loadcnt_dscnt 0x0
	v_pk_mul_f32 v[116:117], v[114:115], v[112:113] op_sel:[1,1] op_sel_hi:[0,1]
	s_delay_alu instid0(VALU_DEP_1) | instskip(SKIP_2) | instid1(VALU_DEP_3)
	v_pk_fma_f32 v[118:119], v[114:115], v[112:113], v[116:117] op_sel_hi:[1,0,1]
	v_add_nc_u32_e32 v111, 1, v111
	v_pk_fma_f32 v[112:113], v[114:115], v[112:113], v[116:117] neg_lo:[0,0,1] neg_hi:[0,0,1]
	v_mov_b32_e32 v113, v119
	s_delay_alu instid0(VALU_DEP_3) | instskip(NEXT) | instid1(VALU_DEP_2)
	v_cmp_lt_u32_e32 vcc_lo, 40, v111
	v_pk_add_f32 v[106:107], v[106:107], v[112:113]
	s_or_b32 s3, vcc_lo, s3
	s_delay_alu instid0(SALU_CYCLE_1)
	s_and_not1_b32 exec_lo, exec_lo, s3
	s_cbranch_execnz .LBB50_917
; %bb.918:
	s_or_b32 exec_lo, exec_lo, s3
.LBB50_919:
	s_delay_alu instid0(SALU_CYCLE_1) | instskip(SKIP_4) | instid1(VALU_DEP_1)
	s_or_b32 exec_lo, exec_lo, s2
	v_mov_b32_e32 v109, 0
	ds_load_b64 v[110:111], v109 offset:336
	s_wait_dscnt 0x0
	v_pk_mul_f32 v[112:113], v[106:107], v[110:111] op_sel:[1,1] op_sel_hi:[0,1]
	v_pk_fma_f32 v[114:115], v[106:107], v[110:111], v[112:113] op_sel_hi:[1,0,1]
	v_pk_fma_f32 v[106:107], v[106:107], v[110:111], v[112:113] neg_lo:[0,0,1] neg_hi:[0,0,1]
	s_delay_alu instid0(VALU_DEP_2)
	v_mov_b32_e32 v107, v115
	scratch_store_b64 off, v[106:107], off offset:336
.LBB50_920:
	s_wait_xcnt 0x0
	s_or_b32 exec_lo, exec_lo, s0
	scratch_load_b64 v[106:107], off, off offset:344
	s_mov_b32 s0, exec_lo
	s_wait_loadcnt 0x0
	ds_store_b64 v1, v[106:107]
	s_wait_storecnt_dscnt 0x0
	s_barrier_signal -1
	s_barrier_wait -1
	s_wait_xcnt 0x0
	v_cmpx_gt_u32_e32 43, v0
	s_cbranch_execz .LBB50_930
; %bb.921:
	v_cmp_ne_u32_e32 vcc_lo, 1, v108
	s_cbranch_vccnz .LBB50_923
; %bb.922:
	scratch_load_b64 v[106:107], v51, off
	ds_load_b64 v[110:111], v1
	s_wait_loadcnt_dscnt 0x0
	v_pk_mul_f32 v[112:113], v[110:111], v[106:107] op_sel:[1,1] op_sel_hi:[0,1]
	s_delay_alu instid0(VALU_DEP_1) | instskip(SKIP_1) | instid1(VALU_DEP_2)
	v_pk_fma_f32 v[114:115], v[110:111], v[106:107], v[112:113] op_sel_hi:[1,0,1]
	v_pk_fma_f32 v[106:107], v[110:111], v[106:107], v[112:113] neg_lo:[0,0,1] neg_hi:[0,0,1]
	v_mov_b32_e32 v107, v115
	s_cbranch_execz .LBB50_924
	s_branch .LBB50_925
.LBB50_923:
                                        ; implicit-def: $vgpr106_vgpr107
.LBB50_924:
	ds_load_b64 v[106:107], v1
.LBB50_925:
	s_mov_b32 s2, exec_lo
	v_cmpx_ne_u32_e32 42, v0
	s_cbranch_execz .LBB50_929
; %bb.926:
	v_add_nc_u32_e32 v109, 0x1a8, v50
	v_add3_u32 v110, 0, v50, 8
	v_mov_b32_e32 v111, v0
	s_mov_b32 s3, 0
.LBB50_927:                             ; =>This Inner Loop Header: Depth=1
	scratch_load_b64 v[112:113], v110, off
	ds_load_b64 v[114:115], v109
	s_wait_xcnt 0x0
	v_dual_add_nc_u32 v109, 8, v109 :: v_dual_add_nc_u32 v110, 8, v110
	s_wait_loadcnt_dscnt 0x0
	v_pk_mul_f32 v[116:117], v[114:115], v[112:113] op_sel:[1,1] op_sel_hi:[0,1]
	s_delay_alu instid0(VALU_DEP_1) | instskip(SKIP_2) | instid1(VALU_DEP_3)
	v_pk_fma_f32 v[118:119], v[114:115], v[112:113], v[116:117] op_sel_hi:[1,0,1]
	v_add_nc_u32_e32 v111, 1, v111
	v_pk_fma_f32 v[112:113], v[114:115], v[112:113], v[116:117] neg_lo:[0,0,1] neg_hi:[0,0,1]
	v_mov_b32_e32 v113, v119
	s_delay_alu instid0(VALU_DEP_3) | instskip(NEXT) | instid1(VALU_DEP_2)
	v_cmp_lt_u32_e32 vcc_lo, 41, v111
	v_pk_add_f32 v[106:107], v[106:107], v[112:113]
	s_or_b32 s3, vcc_lo, s3
	s_delay_alu instid0(SALU_CYCLE_1)
	s_and_not1_b32 exec_lo, exec_lo, s3
	s_cbranch_execnz .LBB50_927
; %bb.928:
	s_or_b32 exec_lo, exec_lo, s3
.LBB50_929:
	s_delay_alu instid0(SALU_CYCLE_1) | instskip(SKIP_4) | instid1(VALU_DEP_1)
	s_or_b32 exec_lo, exec_lo, s2
	v_mov_b32_e32 v109, 0
	ds_load_b64 v[110:111], v109 offset:344
	s_wait_dscnt 0x0
	v_pk_mul_f32 v[112:113], v[106:107], v[110:111] op_sel:[1,1] op_sel_hi:[0,1]
	v_pk_fma_f32 v[114:115], v[106:107], v[110:111], v[112:113] op_sel_hi:[1,0,1]
	v_pk_fma_f32 v[106:107], v[106:107], v[110:111], v[112:113] neg_lo:[0,0,1] neg_hi:[0,0,1]
	s_delay_alu instid0(VALU_DEP_2)
	v_mov_b32_e32 v107, v115
	scratch_store_b64 off, v[106:107], off offset:344
.LBB50_930:
	s_wait_xcnt 0x0
	s_or_b32 exec_lo, exec_lo, s0
	scratch_load_b64 v[106:107], off, off offset:352
	s_mov_b32 s0, exec_lo
	s_wait_loadcnt 0x0
	ds_store_b64 v1, v[106:107]
	s_wait_storecnt_dscnt 0x0
	s_barrier_signal -1
	s_barrier_wait -1
	s_wait_xcnt 0x0
	v_cmpx_gt_u32_e32 44, v0
	s_cbranch_execz .LBB50_940
; %bb.931:
	v_cmp_ne_u32_e32 vcc_lo, 1, v108
	s_cbranch_vccnz .LBB50_933
; %bb.932:
	scratch_load_b64 v[106:107], v51, off
	ds_load_b64 v[110:111], v1
	s_wait_loadcnt_dscnt 0x0
	v_pk_mul_f32 v[112:113], v[110:111], v[106:107] op_sel:[1,1] op_sel_hi:[0,1]
	s_delay_alu instid0(VALU_DEP_1) | instskip(SKIP_1) | instid1(VALU_DEP_2)
	v_pk_fma_f32 v[114:115], v[110:111], v[106:107], v[112:113] op_sel_hi:[1,0,1]
	v_pk_fma_f32 v[106:107], v[110:111], v[106:107], v[112:113] neg_lo:[0,0,1] neg_hi:[0,0,1]
	v_mov_b32_e32 v107, v115
	s_cbranch_execz .LBB50_934
	s_branch .LBB50_935
.LBB50_933:
                                        ; implicit-def: $vgpr106_vgpr107
.LBB50_934:
	ds_load_b64 v[106:107], v1
.LBB50_935:
	s_mov_b32 s2, exec_lo
	v_cmpx_ne_u32_e32 43, v0
	s_cbranch_execz .LBB50_939
; %bb.936:
	v_add_nc_u32_e32 v109, 0x1a8, v50
	v_add3_u32 v110, 0, v50, 8
	v_mov_b32_e32 v111, v0
	s_mov_b32 s3, 0
.LBB50_937:                             ; =>This Inner Loop Header: Depth=1
	scratch_load_b64 v[112:113], v110, off
	ds_load_b64 v[114:115], v109
	s_wait_xcnt 0x0
	v_dual_add_nc_u32 v109, 8, v109 :: v_dual_add_nc_u32 v110, 8, v110
	s_wait_loadcnt_dscnt 0x0
	v_pk_mul_f32 v[116:117], v[114:115], v[112:113] op_sel:[1,1] op_sel_hi:[0,1]
	s_delay_alu instid0(VALU_DEP_1) | instskip(SKIP_2) | instid1(VALU_DEP_3)
	v_pk_fma_f32 v[118:119], v[114:115], v[112:113], v[116:117] op_sel_hi:[1,0,1]
	v_add_nc_u32_e32 v111, 1, v111
	v_pk_fma_f32 v[112:113], v[114:115], v[112:113], v[116:117] neg_lo:[0,0,1] neg_hi:[0,0,1]
	v_mov_b32_e32 v113, v119
	s_delay_alu instid0(VALU_DEP_3) | instskip(NEXT) | instid1(VALU_DEP_2)
	v_cmp_lt_u32_e32 vcc_lo, 42, v111
	v_pk_add_f32 v[106:107], v[106:107], v[112:113]
	s_or_b32 s3, vcc_lo, s3
	s_delay_alu instid0(SALU_CYCLE_1)
	s_and_not1_b32 exec_lo, exec_lo, s3
	s_cbranch_execnz .LBB50_937
; %bb.938:
	s_or_b32 exec_lo, exec_lo, s3
.LBB50_939:
	s_delay_alu instid0(SALU_CYCLE_1) | instskip(SKIP_4) | instid1(VALU_DEP_1)
	s_or_b32 exec_lo, exec_lo, s2
	v_mov_b32_e32 v109, 0
	ds_load_b64 v[110:111], v109 offset:352
	s_wait_dscnt 0x0
	v_pk_mul_f32 v[112:113], v[106:107], v[110:111] op_sel:[1,1] op_sel_hi:[0,1]
	v_pk_fma_f32 v[114:115], v[106:107], v[110:111], v[112:113] op_sel_hi:[1,0,1]
	v_pk_fma_f32 v[106:107], v[106:107], v[110:111], v[112:113] neg_lo:[0,0,1] neg_hi:[0,0,1]
	s_delay_alu instid0(VALU_DEP_2)
	v_mov_b32_e32 v107, v115
	scratch_store_b64 off, v[106:107], off offset:352
.LBB50_940:
	s_wait_xcnt 0x0
	s_or_b32 exec_lo, exec_lo, s0
	scratch_load_b64 v[106:107], off, off offset:360
	s_mov_b32 s0, exec_lo
	s_wait_loadcnt 0x0
	ds_store_b64 v1, v[106:107]
	s_wait_storecnt_dscnt 0x0
	s_barrier_signal -1
	s_barrier_wait -1
	s_wait_xcnt 0x0
	v_cmpx_gt_u32_e32 45, v0
	s_cbranch_execz .LBB50_950
; %bb.941:
	v_cmp_ne_u32_e32 vcc_lo, 1, v108
	s_cbranch_vccnz .LBB50_943
; %bb.942:
	scratch_load_b64 v[106:107], v51, off
	ds_load_b64 v[110:111], v1
	s_wait_loadcnt_dscnt 0x0
	v_pk_mul_f32 v[112:113], v[110:111], v[106:107] op_sel:[1,1] op_sel_hi:[0,1]
	s_delay_alu instid0(VALU_DEP_1) | instskip(SKIP_1) | instid1(VALU_DEP_2)
	v_pk_fma_f32 v[114:115], v[110:111], v[106:107], v[112:113] op_sel_hi:[1,0,1]
	v_pk_fma_f32 v[106:107], v[110:111], v[106:107], v[112:113] neg_lo:[0,0,1] neg_hi:[0,0,1]
	v_mov_b32_e32 v107, v115
	s_cbranch_execz .LBB50_944
	s_branch .LBB50_945
.LBB50_943:
                                        ; implicit-def: $vgpr106_vgpr107
.LBB50_944:
	ds_load_b64 v[106:107], v1
.LBB50_945:
	s_mov_b32 s2, exec_lo
	v_cmpx_ne_u32_e32 44, v0
	s_cbranch_execz .LBB50_949
; %bb.946:
	v_add_nc_u32_e32 v109, 0x1a8, v50
	v_add3_u32 v110, 0, v50, 8
	v_mov_b32_e32 v111, v0
	s_mov_b32 s3, 0
.LBB50_947:                             ; =>This Inner Loop Header: Depth=1
	scratch_load_b64 v[112:113], v110, off
	ds_load_b64 v[114:115], v109
	s_wait_xcnt 0x0
	v_dual_add_nc_u32 v109, 8, v109 :: v_dual_add_nc_u32 v110, 8, v110
	s_wait_loadcnt_dscnt 0x0
	v_pk_mul_f32 v[116:117], v[114:115], v[112:113] op_sel:[1,1] op_sel_hi:[0,1]
	s_delay_alu instid0(VALU_DEP_1) | instskip(SKIP_2) | instid1(VALU_DEP_3)
	v_pk_fma_f32 v[118:119], v[114:115], v[112:113], v[116:117] op_sel_hi:[1,0,1]
	v_add_nc_u32_e32 v111, 1, v111
	v_pk_fma_f32 v[112:113], v[114:115], v[112:113], v[116:117] neg_lo:[0,0,1] neg_hi:[0,0,1]
	v_mov_b32_e32 v113, v119
	s_delay_alu instid0(VALU_DEP_3) | instskip(NEXT) | instid1(VALU_DEP_2)
	v_cmp_lt_u32_e32 vcc_lo, 43, v111
	v_pk_add_f32 v[106:107], v[106:107], v[112:113]
	s_or_b32 s3, vcc_lo, s3
	s_delay_alu instid0(SALU_CYCLE_1)
	s_and_not1_b32 exec_lo, exec_lo, s3
	s_cbranch_execnz .LBB50_947
; %bb.948:
	s_or_b32 exec_lo, exec_lo, s3
.LBB50_949:
	s_delay_alu instid0(SALU_CYCLE_1) | instskip(SKIP_4) | instid1(VALU_DEP_1)
	s_or_b32 exec_lo, exec_lo, s2
	v_mov_b32_e32 v109, 0
	ds_load_b64 v[110:111], v109 offset:360
	s_wait_dscnt 0x0
	v_pk_mul_f32 v[112:113], v[106:107], v[110:111] op_sel:[1,1] op_sel_hi:[0,1]
	v_pk_fma_f32 v[114:115], v[106:107], v[110:111], v[112:113] op_sel_hi:[1,0,1]
	v_pk_fma_f32 v[106:107], v[106:107], v[110:111], v[112:113] neg_lo:[0,0,1] neg_hi:[0,0,1]
	s_delay_alu instid0(VALU_DEP_2)
	v_mov_b32_e32 v107, v115
	scratch_store_b64 off, v[106:107], off offset:360
.LBB50_950:
	s_wait_xcnt 0x0
	s_or_b32 exec_lo, exec_lo, s0
	scratch_load_b64 v[106:107], off, off offset:368
	s_mov_b32 s0, exec_lo
	s_wait_loadcnt 0x0
	ds_store_b64 v1, v[106:107]
	s_wait_storecnt_dscnt 0x0
	s_barrier_signal -1
	s_barrier_wait -1
	s_wait_xcnt 0x0
	v_cmpx_gt_u32_e32 46, v0
	s_cbranch_execz .LBB50_960
; %bb.951:
	v_cmp_ne_u32_e32 vcc_lo, 1, v108
	s_cbranch_vccnz .LBB50_953
; %bb.952:
	scratch_load_b64 v[106:107], v51, off
	ds_load_b64 v[110:111], v1
	s_wait_loadcnt_dscnt 0x0
	v_pk_mul_f32 v[112:113], v[110:111], v[106:107] op_sel:[1,1] op_sel_hi:[0,1]
	s_delay_alu instid0(VALU_DEP_1) | instskip(SKIP_1) | instid1(VALU_DEP_2)
	v_pk_fma_f32 v[114:115], v[110:111], v[106:107], v[112:113] op_sel_hi:[1,0,1]
	v_pk_fma_f32 v[106:107], v[110:111], v[106:107], v[112:113] neg_lo:[0,0,1] neg_hi:[0,0,1]
	v_mov_b32_e32 v107, v115
	s_cbranch_execz .LBB50_954
	s_branch .LBB50_955
.LBB50_953:
                                        ; implicit-def: $vgpr106_vgpr107
.LBB50_954:
	ds_load_b64 v[106:107], v1
.LBB50_955:
	s_mov_b32 s2, exec_lo
	v_cmpx_ne_u32_e32 45, v0
	s_cbranch_execz .LBB50_959
; %bb.956:
	v_add_nc_u32_e32 v109, 0x1a8, v50
	v_add3_u32 v110, 0, v50, 8
	v_mov_b32_e32 v111, v0
	s_mov_b32 s3, 0
.LBB50_957:                             ; =>This Inner Loop Header: Depth=1
	scratch_load_b64 v[112:113], v110, off
	ds_load_b64 v[114:115], v109
	s_wait_xcnt 0x0
	v_dual_add_nc_u32 v109, 8, v109 :: v_dual_add_nc_u32 v110, 8, v110
	s_wait_loadcnt_dscnt 0x0
	v_pk_mul_f32 v[116:117], v[114:115], v[112:113] op_sel:[1,1] op_sel_hi:[0,1]
	s_delay_alu instid0(VALU_DEP_1) | instskip(SKIP_2) | instid1(VALU_DEP_3)
	v_pk_fma_f32 v[118:119], v[114:115], v[112:113], v[116:117] op_sel_hi:[1,0,1]
	v_add_nc_u32_e32 v111, 1, v111
	v_pk_fma_f32 v[112:113], v[114:115], v[112:113], v[116:117] neg_lo:[0,0,1] neg_hi:[0,0,1]
	v_mov_b32_e32 v113, v119
	s_delay_alu instid0(VALU_DEP_3) | instskip(NEXT) | instid1(VALU_DEP_2)
	v_cmp_lt_u32_e32 vcc_lo, 44, v111
	v_pk_add_f32 v[106:107], v[106:107], v[112:113]
	s_or_b32 s3, vcc_lo, s3
	s_delay_alu instid0(SALU_CYCLE_1)
	s_and_not1_b32 exec_lo, exec_lo, s3
	s_cbranch_execnz .LBB50_957
; %bb.958:
	s_or_b32 exec_lo, exec_lo, s3
.LBB50_959:
	s_delay_alu instid0(SALU_CYCLE_1) | instskip(SKIP_4) | instid1(VALU_DEP_1)
	s_or_b32 exec_lo, exec_lo, s2
	v_mov_b32_e32 v109, 0
	ds_load_b64 v[110:111], v109 offset:368
	s_wait_dscnt 0x0
	v_pk_mul_f32 v[112:113], v[106:107], v[110:111] op_sel:[1,1] op_sel_hi:[0,1]
	v_pk_fma_f32 v[114:115], v[106:107], v[110:111], v[112:113] op_sel_hi:[1,0,1]
	v_pk_fma_f32 v[106:107], v[106:107], v[110:111], v[112:113] neg_lo:[0,0,1] neg_hi:[0,0,1]
	s_delay_alu instid0(VALU_DEP_2)
	v_mov_b32_e32 v107, v115
	scratch_store_b64 off, v[106:107], off offset:368
.LBB50_960:
	s_wait_xcnt 0x0
	s_or_b32 exec_lo, exec_lo, s0
	scratch_load_b64 v[106:107], off, off offset:376
	s_mov_b32 s0, exec_lo
	s_wait_loadcnt 0x0
	ds_store_b64 v1, v[106:107]
	s_wait_storecnt_dscnt 0x0
	s_barrier_signal -1
	s_barrier_wait -1
	s_wait_xcnt 0x0
	v_cmpx_gt_u32_e32 47, v0
	s_cbranch_execz .LBB50_970
; %bb.961:
	v_cmp_ne_u32_e32 vcc_lo, 1, v108
	s_cbranch_vccnz .LBB50_963
; %bb.962:
	scratch_load_b64 v[106:107], v51, off
	ds_load_b64 v[110:111], v1
	s_wait_loadcnt_dscnt 0x0
	v_pk_mul_f32 v[112:113], v[110:111], v[106:107] op_sel:[1,1] op_sel_hi:[0,1]
	s_delay_alu instid0(VALU_DEP_1) | instskip(SKIP_1) | instid1(VALU_DEP_2)
	v_pk_fma_f32 v[114:115], v[110:111], v[106:107], v[112:113] op_sel_hi:[1,0,1]
	v_pk_fma_f32 v[106:107], v[110:111], v[106:107], v[112:113] neg_lo:[0,0,1] neg_hi:[0,0,1]
	v_mov_b32_e32 v107, v115
	s_cbranch_execz .LBB50_964
	s_branch .LBB50_965
.LBB50_963:
                                        ; implicit-def: $vgpr106_vgpr107
.LBB50_964:
	ds_load_b64 v[106:107], v1
.LBB50_965:
	s_mov_b32 s2, exec_lo
	v_cmpx_ne_u32_e32 46, v0
	s_cbranch_execz .LBB50_969
; %bb.966:
	v_add_nc_u32_e32 v109, 0x1a8, v50
	v_add3_u32 v110, 0, v50, 8
	v_mov_b32_e32 v111, v0
	s_mov_b32 s3, 0
.LBB50_967:                             ; =>This Inner Loop Header: Depth=1
	scratch_load_b64 v[112:113], v110, off
	ds_load_b64 v[114:115], v109
	s_wait_xcnt 0x0
	v_dual_add_nc_u32 v109, 8, v109 :: v_dual_add_nc_u32 v110, 8, v110
	s_wait_loadcnt_dscnt 0x0
	v_pk_mul_f32 v[116:117], v[114:115], v[112:113] op_sel:[1,1] op_sel_hi:[0,1]
	s_delay_alu instid0(VALU_DEP_1) | instskip(SKIP_2) | instid1(VALU_DEP_3)
	v_pk_fma_f32 v[118:119], v[114:115], v[112:113], v[116:117] op_sel_hi:[1,0,1]
	v_add_nc_u32_e32 v111, 1, v111
	v_pk_fma_f32 v[112:113], v[114:115], v[112:113], v[116:117] neg_lo:[0,0,1] neg_hi:[0,0,1]
	v_mov_b32_e32 v113, v119
	s_delay_alu instid0(VALU_DEP_3) | instskip(NEXT) | instid1(VALU_DEP_2)
	v_cmp_lt_u32_e32 vcc_lo, 45, v111
	v_pk_add_f32 v[106:107], v[106:107], v[112:113]
	s_or_b32 s3, vcc_lo, s3
	s_delay_alu instid0(SALU_CYCLE_1)
	s_and_not1_b32 exec_lo, exec_lo, s3
	s_cbranch_execnz .LBB50_967
; %bb.968:
	s_or_b32 exec_lo, exec_lo, s3
.LBB50_969:
	s_delay_alu instid0(SALU_CYCLE_1) | instskip(SKIP_4) | instid1(VALU_DEP_1)
	s_or_b32 exec_lo, exec_lo, s2
	v_mov_b32_e32 v109, 0
	ds_load_b64 v[110:111], v109 offset:376
	s_wait_dscnt 0x0
	v_pk_mul_f32 v[112:113], v[106:107], v[110:111] op_sel:[1,1] op_sel_hi:[0,1]
	v_pk_fma_f32 v[114:115], v[106:107], v[110:111], v[112:113] op_sel_hi:[1,0,1]
	v_pk_fma_f32 v[106:107], v[106:107], v[110:111], v[112:113] neg_lo:[0,0,1] neg_hi:[0,0,1]
	s_delay_alu instid0(VALU_DEP_2)
	v_mov_b32_e32 v107, v115
	scratch_store_b64 off, v[106:107], off offset:376
.LBB50_970:
	s_wait_xcnt 0x0
	s_or_b32 exec_lo, exec_lo, s0
	scratch_load_b64 v[106:107], off, off offset:384
	s_mov_b32 s0, exec_lo
	s_wait_loadcnt 0x0
	ds_store_b64 v1, v[106:107]
	s_wait_storecnt_dscnt 0x0
	s_barrier_signal -1
	s_barrier_wait -1
	s_wait_xcnt 0x0
	v_cmpx_gt_u32_e32 48, v0
	s_cbranch_execz .LBB50_980
; %bb.971:
	v_cmp_ne_u32_e32 vcc_lo, 1, v108
	s_cbranch_vccnz .LBB50_973
; %bb.972:
	scratch_load_b64 v[106:107], v51, off
	ds_load_b64 v[110:111], v1
	s_wait_loadcnt_dscnt 0x0
	v_pk_mul_f32 v[112:113], v[110:111], v[106:107] op_sel:[1,1] op_sel_hi:[0,1]
	s_delay_alu instid0(VALU_DEP_1) | instskip(SKIP_1) | instid1(VALU_DEP_2)
	v_pk_fma_f32 v[114:115], v[110:111], v[106:107], v[112:113] op_sel_hi:[1,0,1]
	v_pk_fma_f32 v[106:107], v[110:111], v[106:107], v[112:113] neg_lo:[0,0,1] neg_hi:[0,0,1]
	v_mov_b32_e32 v107, v115
	s_cbranch_execz .LBB50_974
	s_branch .LBB50_975
.LBB50_973:
                                        ; implicit-def: $vgpr106_vgpr107
.LBB50_974:
	ds_load_b64 v[106:107], v1
.LBB50_975:
	s_mov_b32 s2, exec_lo
	v_cmpx_ne_u32_e32 47, v0
	s_cbranch_execz .LBB50_979
; %bb.976:
	v_add_nc_u32_e32 v109, 0x1a8, v50
	v_add3_u32 v110, 0, v50, 8
	v_mov_b32_e32 v111, v0
	s_mov_b32 s3, 0
.LBB50_977:                             ; =>This Inner Loop Header: Depth=1
	scratch_load_b64 v[112:113], v110, off
	ds_load_b64 v[114:115], v109
	s_wait_xcnt 0x0
	v_dual_add_nc_u32 v109, 8, v109 :: v_dual_add_nc_u32 v110, 8, v110
	s_wait_loadcnt_dscnt 0x0
	v_pk_mul_f32 v[116:117], v[114:115], v[112:113] op_sel:[1,1] op_sel_hi:[0,1]
	s_delay_alu instid0(VALU_DEP_1) | instskip(SKIP_2) | instid1(VALU_DEP_3)
	v_pk_fma_f32 v[118:119], v[114:115], v[112:113], v[116:117] op_sel_hi:[1,0,1]
	v_add_nc_u32_e32 v111, 1, v111
	v_pk_fma_f32 v[112:113], v[114:115], v[112:113], v[116:117] neg_lo:[0,0,1] neg_hi:[0,0,1]
	v_mov_b32_e32 v113, v119
	s_delay_alu instid0(VALU_DEP_3) | instskip(NEXT) | instid1(VALU_DEP_2)
	v_cmp_lt_u32_e32 vcc_lo, 46, v111
	v_pk_add_f32 v[106:107], v[106:107], v[112:113]
	s_or_b32 s3, vcc_lo, s3
	s_delay_alu instid0(SALU_CYCLE_1)
	s_and_not1_b32 exec_lo, exec_lo, s3
	s_cbranch_execnz .LBB50_977
; %bb.978:
	s_or_b32 exec_lo, exec_lo, s3
.LBB50_979:
	s_delay_alu instid0(SALU_CYCLE_1) | instskip(SKIP_4) | instid1(VALU_DEP_1)
	s_or_b32 exec_lo, exec_lo, s2
	v_mov_b32_e32 v109, 0
	ds_load_b64 v[110:111], v109 offset:384
	s_wait_dscnt 0x0
	v_pk_mul_f32 v[112:113], v[106:107], v[110:111] op_sel:[1,1] op_sel_hi:[0,1]
	v_pk_fma_f32 v[114:115], v[106:107], v[110:111], v[112:113] op_sel_hi:[1,0,1]
	v_pk_fma_f32 v[106:107], v[106:107], v[110:111], v[112:113] neg_lo:[0,0,1] neg_hi:[0,0,1]
	s_delay_alu instid0(VALU_DEP_2)
	v_mov_b32_e32 v107, v115
	scratch_store_b64 off, v[106:107], off offset:384
.LBB50_980:
	s_wait_xcnt 0x0
	s_or_b32 exec_lo, exec_lo, s0
	scratch_load_b64 v[106:107], off, off offset:392
	v_cmp_gt_u32_e64 s0, 49, v0
	s_wait_loadcnt 0x0
	ds_store_b64 v1, v[106:107]
	s_wait_storecnt_dscnt 0x0
	s_barrier_signal -1
	s_barrier_wait -1
	s_wait_xcnt 0x0
	s_and_saveexec_b32 s2, s0
	s_cbranch_execz .LBB50_990
; %bb.981:
	v_cmp_ne_u32_e32 vcc_lo, 1, v108
	s_cbranch_vccnz .LBB50_983
; %bb.982:
	scratch_load_b64 v[106:107], v51, off
	ds_load_b64 v[110:111], v1
	s_wait_loadcnt_dscnt 0x0
	v_pk_mul_f32 v[112:113], v[110:111], v[106:107] op_sel:[1,1] op_sel_hi:[0,1]
	s_delay_alu instid0(VALU_DEP_1) | instskip(SKIP_1) | instid1(VALU_DEP_2)
	v_pk_fma_f32 v[114:115], v[110:111], v[106:107], v[112:113] op_sel_hi:[1,0,1]
	v_pk_fma_f32 v[106:107], v[110:111], v[106:107], v[112:113] neg_lo:[0,0,1] neg_hi:[0,0,1]
	v_mov_b32_e32 v107, v115
	s_cbranch_execz .LBB50_984
	s_branch .LBB50_985
.LBB50_983:
                                        ; implicit-def: $vgpr106_vgpr107
.LBB50_984:
	ds_load_b64 v[106:107], v1
.LBB50_985:
	s_mov_b32 s3, exec_lo
	v_cmpx_ne_u32_e32 48, v0
	s_cbranch_execz .LBB50_989
; %bb.986:
	v_add_nc_u32_e32 v109, 0x1a8, v50
	v_add3_u32 v110, 0, v50, 8
	v_mov_b32_e32 v111, v0
	s_mov_b32 s4, 0
.LBB50_987:                             ; =>This Inner Loop Header: Depth=1
	scratch_load_b64 v[112:113], v110, off
	ds_load_b64 v[114:115], v109
	s_wait_xcnt 0x0
	v_dual_add_nc_u32 v109, 8, v109 :: v_dual_add_nc_u32 v110, 8, v110
	s_wait_loadcnt_dscnt 0x0
	v_pk_mul_f32 v[116:117], v[114:115], v[112:113] op_sel:[1,1] op_sel_hi:[0,1]
	s_delay_alu instid0(VALU_DEP_1) | instskip(SKIP_2) | instid1(VALU_DEP_3)
	v_pk_fma_f32 v[118:119], v[114:115], v[112:113], v[116:117] op_sel_hi:[1,0,1]
	v_add_nc_u32_e32 v111, 1, v111
	v_pk_fma_f32 v[112:113], v[114:115], v[112:113], v[116:117] neg_lo:[0,0,1] neg_hi:[0,0,1]
	v_mov_b32_e32 v113, v119
	s_delay_alu instid0(VALU_DEP_3) | instskip(NEXT) | instid1(VALU_DEP_2)
	v_cmp_lt_u32_e32 vcc_lo, 47, v111
	v_pk_add_f32 v[106:107], v[106:107], v[112:113]
	s_or_b32 s4, vcc_lo, s4
	s_delay_alu instid0(SALU_CYCLE_1)
	s_and_not1_b32 exec_lo, exec_lo, s4
	s_cbranch_execnz .LBB50_987
; %bb.988:
	s_or_b32 exec_lo, exec_lo, s4
.LBB50_989:
	s_delay_alu instid0(SALU_CYCLE_1) | instskip(SKIP_4) | instid1(VALU_DEP_1)
	s_or_b32 exec_lo, exec_lo, s3
	v_mov_b32_e32 v109, 0
	ds_load_b64 v[110:111], v109 offset:392
	s_wait_dscnt 0x0
	v_pk_mul_f32 v[112:113], v[106:107], v[110:111] op_sel:[1,1] op_sel_hi:[0,1]
	v_pk_fma_f32 v[114:115], v[106:107], v[110:111], v[112:113] op_sel_hi:[1,0,1]
	v_pk_fma_f32 v[106:107], v[106:107], v[110:111], v[112:113] neg_lo:[0,0,1] neg_hi:[0,0,1]
	s_delay_alu instid0(VALU_DEP_2)
	v_mov_b32_e32 v107, v115
	scratch_store_b64 off, v[106:107], off offset:392
.LBB50_990:
	s_wait_xcnt 0x0
	s_or_b32 exec_lo, exec_lo, s2
	scratch_load_b64 v[106:107], off, off offset:400
	s_mov_b32 s2, exec_lo
                                        ; implicit-def: $vgpr142
                                        ; implicit-def: $sgpr4
	s_wait_loadcnt 0x0
	ds_store_b64 v1, v[106:107]
	s_wait_storecnt_dscnt 0x0
	s_barrier_signal -1
	s_barrier_wait -1
	s_wait_xcnt 0x0
	v_cmpx_ne_u32_e32 50, v0
	s_cbranch_execz .LBB50_1000
; %bb.991:
	v_cmp_ne_u32_e32 vcc_lo, 1, v108
	s_cbranch_vccnz .LBB50_993
; %bb.992:
	scratch_load_b64 v[108:109], v51, off
	ds_load_b64 v[110:111], v1
	s_wait_loadcnt_dscnt 0x0
	v_dual_mul_f32 v51, v111, v109 :: v_dual_mul_f32 v107, v110, v109
	s_delay_alu instid0(VALU_DEP_1) | instskip(NEXT) | instid1(VALU_DEP_2)
	v_fma_f32 v106, v110, v108, -v51
	v_fmac_f32_e32 v107, v111, v108
	s_cbranch_execz .LBB50_994
	s_branch .LBB50_995
.LBB50_993:
                                        ; implicit-def: $vgpr107
.LBB50_994:
	ds_load_b64 v[106:107], v1
.LBB50_995:
	s_and_saveexec_b32 s3, s0
	s_cbranch_execz .LBB50_999
; %bb.996:
	v_add_nc_u32_e32 v1, 0x1a8, v50
	v_add3_u32 v50, 0, v50, 8
	s_mov_b32 s0, 0
.LBB50_997:                             ; =>This Inner Loop Header: Depth=1
	scratch_load_b64 v[108:109], v50, off
	ds_load_b64 v[110:111], v1
	v_dual_add_nc_u32 v0, 1, v0 :: v_dual_add_nc_u32 v1, 8, v1
	s_delay_alu instid0(VALU_DEP_1) | instskip(SKIP_3) | instid1(VALU_DEP_1)
	v_cmp_lt_u32_e32 vcc_lo, 48, v0
	s_or_b32 s0, vcc_lo, s0
	s_wait_loadcnt_dscnt 0x0
	v_dual_mul_f32 v51, v111, v109 :: v_dual_mul_f32 v109, v110, v109
	v_dual_fma_f32 v51, v110, v108, -v51 :: v_dual_fmac_f32 v109, v111, v108
	s_delay_alu instid0(VALU_DEP_1) | instskip(NEXT) | instid1(VALU_DEP_2)
	v_dual_add_nc_u32 v50, 8, v50 :: v_dual_add_f32 v106, v106, v51
	v_add_f32_e32 v107, v107, v109
	s_and_not1_b32 exec_lo, exec_lo, s0
	s_cbranch_execnz .LBB50_997
; %bb.998:
	s_or_b32 exec_lo, exec_lo, s0
.LBB50_999:
	s_delay_alu instid0(SALU_CYCLE_1)
	s_or_b32 exec_lo, exec_lo, s3
	v_mov_b32_e32 v0, 0
	s_movk_i32 s4, 0x194
	s_or_b32 s1, s1, exec_lo
	ds_load_b64 v[0:1], v0 offset:400
	s_wait_dscnt 0x0
	v_dual_mul_f32 v50, v107, v1 :: v_dual_mul_f32 v142, v106, v1
	s_delay_alu instid0(VALU_DEP_1) | instskip(NEXT) | instid1(VALU_DEP_2)
	v_fma_f32 v1, v106, v0, -v50
	v_fmac_f32_e32 v142, v107, v0
	scratch_store_b32 off, v1, off offset:400
.LBB50_1000:
	s_wait_xcnt 0x0
	s_or_b32 exec_lo, exec_lo, s2
.LBB50_1001:
	v_lshl_add_u64 v[140:141], v[2:3], 3, s[6:7]
	v_lshl_add_u64 v[138:139], v[4:5], 3, s[6:7]
	;; [unrolled: 1-line block ×49, first 2 shown]
	s_and_saveexec_b32 s0, s1
	s_cbranch_execz .LBB50_1003
; %bb.1002:
	scratch_store_b32 off, v142, s4
.LBB50_1003:
	s_wait_xcnt 0x0
	s_or_b32 exec_lo, exec_lo, s0
	s_clause 0x9
	scratch_load_b128 v[66:69], off, off
	scratch_load_b128 v[70:73], off, off offset:16
	scratch_load_b128 v[74:77], off, off offset:32
	;; [unrolled: 1-line block ×9, first 2 shown]
	s_wait_loadcnt 0x9
	s_clause 0x1
	global_store_b64 v[8:9], v[66:67], off
	global_store_b64 v[6:7], v[68:69], off
	scratch_load_b128 v[6:9], off, off offset:96
	s_wait_loadcnt 0x9
	global_store_b64 v[140:141], v[70:71], off
	scratch_load_b128 v[66:69], off, off offset:112
	global_store_b64 v[138:139], v[72:73], off
	scratch_load_b128 v[70:73], off, off offset:128
	s_wait_loadcnt 0xa
	s_clause 0x1
	global_store_b64 v[136:137], v[74:75], off
	global_store_b64 v[134:135], v[76:77], off
	scratch_load_b128 v[74:77], off, off offset:160
	s_wait_loadcnt 0xa
	s_clause 0x1
	global_store_b64 v[132:133], v[78:79], off
	global_store_b64 v[130:131], v[80:81], off
	s_wait_loadcnt 0x9
	s_clause 0x1
	global_store_b64 v[128:129], v[82:83], off
	global_store_b64 v[126:127], v[84:85], off
	;; [unrolled: 4-line block ×3, first 2 shown]
	s_clause 0x2
	scratch_load_b128 v[78:81], off, off offset:192
	scratch_load_b128 v[82:85], off, off offset:224
	;; [unrolled: 1-line block ×3, first 2 shown]
	s_wait_loadcnt 0x6
	s_clause 0x1
	global_store_b64 v[120:121], v[6:7], off
	global_store_b64 v[118:119], v[8:9], off
	s_wait_loadcnt 0x5
	s_clause 0x1
	global_store_b64 v[116:117], v[66:67], off
	global_store_b64 v[114:115], v[68:69], off
	;; [unrolled: 4-line block ×3, first 2 shown]
	global_store_b64 v[108:109], v[90:91], off
	global_store_b64 v[106:107], v[92:93], off
	s_clause 0x8
	scratch_load_b128 v[120:123], off, off offset:272
	scratch_load_b128 v[6:9], off, off offset:288
	;; [unrolled: 1-line block ×8, first 2 shown]
	scratch_load_b64 v[106:107], off, off offset:400
	s_wait_loadcnt 0xc
	s_clause 0x3
	global_store_b64 v[0:1], v[74:75], off
	global_store_b64 v[2:3], v[76:77], off
	global_store_b64 v[4:5], v[94:95], off
	global_store_b64 v[10:11], v[96:97], off
	s_wait_loadcnt 0xb
	s_clause 0x3
	global_store_b64 v[12:13], v[78:79], off
	global_store_b64 v[14:15], v[80:81], off
	global_store_b64 v[16:17], v[98:99], off
	global_store_b64 v[18:19], v[100:101], off
	;; [unrolled: 6-line block ×3, first 2 shown]
	s_wait_loadcnt 0x9
	s_clause 0x1
	global_store_b64 v[28:29], v[86:87], off
	global_store_b64 v[30:31], v[88:89], off
	s_wait_loadcnt 0x8
	s_clause 0x1
	global_store_b64 v[32:33], v[120:121], off
	global_store_b64 v[34:35], v[122:123], off
	;; [unrolled: 4-line block ×9, first 2 shown]
	s_wait_loadcnt 0x0
	global_store_b64 v[64:65], v[106:107], off
.LBB50_1004:
	s_sendmsg sendmsg(MSG_DEALLOC_VGPRS)
	s_endpgm
	.section	.rodata,"a",@progbits
	.p2align	6, 0x0
	.amdhsa_kernel _ZN9rocsolver6v33100L18trti2_kernel_smallILi51E19rocblas_complex_numIfEPS3_EEv13rocblas_fill_17rocblas_diagonal_T1_iil
		.amdhsa_group_segment_fixed_size 824
		.amdhsa_private_segment_fixed_size 416
		.amdhsa_kernarg_size 32
		.amdhsa_user_sgpr_count 2
		.amdhsa_user_sgpr_dispatch_ptr 0
		.amdhsa_user_sgpr_queue_ptr 0
		.amdhsa_user_sgpr_kernarg_segment_ptr 1
		.amdhsa_user_sgpr_dispatch_id 0
		.amdhsa_user_sgpr_kernarg_preload_length 0
		.amdhsa_user_sgpr_kernarg_preload_offset 0
		.amdhsa_user_sgpr_private_segment_size 0
		.amdhsa_wavefront_size32 1
		.amdhsa_uses_dynamic_stack 0
		.amdhsa_enable_private_segment 1
		.amdhsa_system_sgpr_workgroup_id_x 1
		.amdhsa_system_sgpr_workgroup_id_y 0
		.amdhsa_system_sgpr_workgroup_id_z 0
		.amdhsa_system_sgpr_workgroup_info 0
		.amdhsa_system_vgpr_workitem_id 0
		.amdhsa_next_free_vgpr 144
		.amdhsa_next_free_sgpr 32
		.amdhsa_named_barrier_count 0
		.amdhsa_reserve_vcc 1
		.amdhsa_float_round_mode_32 0
		.amdhsa_float_round_mode_16_64 0
		.amdhsa_float_denorm_mode_32 3
		.amdhsa_float_denorm_mode_16_64 3
		.amdhsa_fp16_overflow 0
		.amdhsa_memory_ordered 1
		.amdhsa_forward_progress 1
		.amdhsa_inst_pref_size 255
		.amdhsa_round_robin_scheduling 0
		.amdhsa_exception_fp_ieee_invalid_op 0
		.amdhsa_exception_fp_denorm_src 0
		.amdhsa_exception_fp_ieee_div_zero 0
		.amdhsa_exception_fp_ieee_overflow 0
		.amdhsa_exception_fp_ieee_underflow 0
		.amdhsa_exception_fp_ieee_inexact 0
		.amdhsa_exception_int_div_zero 0
	.end_amdhsa_kernel
	.section	.text._ZN9rocsolver6v33100L18trti2_kernel_smallILi51E19rocblas_complex_numIfEPS3_EEv13rocblas_fill_17rocblas_diagonal_T1_iil,"axG",@progbits,_ZN9rocsolver6v33100L18trti2_kernel_smallILi51E19rocblas_complex_numIfEPS3_EEv13rocblas_fill_17rocblas_diagonal_T1_iil,comdat
.Lfunc_end50:
	.size	_ZN9rocsolver6v33100L18trti2_kernel_smallILi51E19rocblas_complex_numIfEPS3_EEv13rocblas_fill_17rocblas_diagonal_T1_iil, .Lfunc_end50-_ZN9rocsolver6v33100L18trti2_kernel_smallILi51E19rocblas_complex_numIfEPS3_EEv13rocblas_fill_17rocblas_diagonal_T1_iil
                                        ; -- End function
	.set _ZN9rocsolver6v33100L18trti2_kernel_smallILi51E19rocblas_complex_numIfEPS3_EEv13rocblas_fill_17rocblas_diagonal_T1_iil.num_vgpr, 144
	.set _ZN9rocsolver6v33100L18trti2_kernel_smallILi51E19rocblas_complex_numIfEPS3_EEv13rocblas_fill_17rocblas_diagonal_T1_iil.num_agpr, 0
	.set _ZN9rocsolver6v33100L18trti2_kernel_smallILi51E19rocblas_complex_numIfEPS3_EEv13rocblas_fill_17rocblas_diagonal_T1_iil.numbered_sgpr, 32
	.set _ZN9rocsolver6v33100L18trti2_kernel_smallILi51E19rocblas_complex_numIfEPS3_EEv13rocblas_fill_17rocblas_diagonal_T1_iil.num_named_barrier, 0
	.set _ZN9rocsolver6v33100L18trti2_kernel_smallILi51E19rocblas_complex_numIfEPS3_EEv13rocblas_fill_17rocblas_diagonal_T1_iil.private_seg_size, 416
	.set _ZN9rocsolver6v33100L18trti2_kernel_smallILi51E19rocblas_complex_numIfEPS3_EEv13rocblas_fill_17rocblas_diagonal_T1_iil.uses_vcc, 1
	.set _ZN9rocsolver6v33100L18trti2_kernel_smallILi51E19rocblas_complex_numIfEPS3_EEv13rocblas_fill_17rocblas_diagonal_T1_iil.uses_flat_scratch, 1
	.set _ZN9rocsolver6v33100L18trti2_kernel_smallILi51E19rocblas_complex_numIfEPS3_EEv13rocblas_fill_17rocblas_diagonal_T1_iil.has_dyn_sized_stack, 0
	.set _ZN9rocsolver6v33100L18trti2_kernel_smallILi51E19rocblas_complex_numIfEPS3_EEv13rocblas_fill_17rocblas_diagonal_T1_iil.has_recursion, 0
	.set _ZN9rocsolver6v33100L18trti2_kernel_smallILi51E19rocblas_complex_numIfEPS3_EEv13rocblas_fill_17rocblas_diagonal_T1_iil.has_indirect_call, 0
	.section	.AMDGPU.csdata,"",@progbits
; Kernel info:
; codeLenInByte = 38620
; TotalNumSgprs: 34
; NumVgprs: 144
; ScratchSize: 416
; MemoryBound: 0
; FloatMode: 240
; IeeeMode: 1
; LDSByteSize: 824 bytes/workgroup (compile time only)
; SGPRBlocks: 0
; VGPRBlocks: 8
; NumSGPRsForWavesPerEU: 34
; NumVGPRsForWavesPerEU: 144
; NamedBarCnt: 0
; Occupancy: 7
; WaveLimiterHint : 0
; COMPUTE_PGM_RSRC2:SCRATCH_EN: 1
; COMPUTE_PGM_RSRC2:USER_SGPR: 2
; COMPUTE_PGM_RSRC2:TRAP_HANDLER: 0
; COMPUTE_PGM_RSRC2:TGID_X_EN: 1
; COMPUTE_PGM_RSRC2:TGID_Y_EN: 0
; COMPUTE_PGM_RSRC2:TGID_Z_EN: 0
; COMPUTE_PGM_RSRC2:TIDIG_COMP_CNT: 0
	.section	.text._ZN9rocsolver6v33100L18trti2_kernel_smallILi52E19rocblas_complex_numIfEPS3_EEv13rocblas_fill_17rocblas_diagonal_T1_iil,"axG",@progbits,_ZN9rocsolver6v33100L18trti2_kernel_smallILi52E19rocblas_complex_numIfEPS3_EEv13rocblas_fill_17rocblas_diagonal_T1_iil,comdat
	.globl	_ZN9rocsolver6v33100L18trti2_kernel_smallILi52E19rocblas_complex_numIfEPS3_EEv13rocblas_fill_17rocblas_diagonal_T1_iil ; -- Begin function _ZN9rocsolver6v33100L18trti2_kernel_smallILi52E19rocblas_complex_numIfEPS3_EEv13rocblas_fill_17rocblas_diagonal_T1_iil
	.p2align	8
	.type	_ZN9rocsolver6v33100L18trti2_kernel_smallILi52E19rocblas_complex_numIfEPS3_EEv13rocblas_fill_17rocblas_diagonal_T1_iil,@function
_ZN9rocsolver6v33100L18trti2_kernel_smallILi52E19rocblas_complex_numIfEPS3_EEv13rocblas_fill_17rocblas_diagonal_T1_iil: ; @_ZN9rocsolver6v33100L18trti2_kernel_smallILi52E19rocblas_complex_numIfEPS3_EEv13rocblas_fill_17rocblas_diagonal_T1_iil
; %bb.0:
	s_mov_b32 s2, exec_lo
	v_cmpx_gt_u32_e32 52, v0
	s_cbranch_execz .LBB51_1024
; %bb.1:
	s_load_b256 s[4:11], s[0:1], 0x0
	s_wait_xcnt 0x0
	s_bfe_u32 s0, ttmp6, 0x4000c
	s_and_b32 s1, ttmp6, 15
	s_add_co_i32 s0, s0, 1
	s_getreg_b32 s2, hwreg(HW_REG_IB_STS2, 6, 4)
	s_mul_i32 s0, ttmp9, s0
	v_mov_b32_e32 v55, 0
	s_add_co_i32 s0, s1, s0
	s_wait_kmcnt 0x0
	v_add3_u32 v2, s9, s9, v0
	s_ashr_i32 s1, s8, 31
	s_cmp_eq_u32 s2, 0
	s_cselect_b32 s2, ttmp9, s0
	s_delay_alu instid0(VALU_DEP_1)
	v_add_nc_u32_e32 v4, s9, v2
	s_ashr_i32 s3, s2, 31
	s_mov_b32 s0, s8
	s_mul_u64 s[2:3], s[10:11], s[2:3]
	s_lshl_b64 s[0:1], s[0:1], 3
	v_add_nc_u32_e32 v8, s9, v4
	s_lshl_b64 s[2:3], s[2:3], 3
	s_delay_alu instid0(SALU_CYCLE_1) | instskip(NEXT) | instid1(VALU_DEP_1)
	s_add_nc_u64 s[2:3], s[6:7], s[2:3]
	v_add_nc_u32_e32 v10, s9, v8
	s_add_nc_u64 s[6:7], s[2:3], s[0:1]
	s_mov_b32 s0, s9
	s_ashr_i32 s1, s9, 31
	s_cmp_lg_u32 s5, 0x84
	v_add_nc_u32_e32 v12, s9, v10
	s_clause 0x1
	global_load_b64 v[68:69], v8, s[6:7] scale_offset
	global_load_b64 v[70:71], v10, s[6:7] scale_offset
	s_cselect_b32 s3, -1, 0
	s_delay_alu instid0(SALU_CYCLE_1) | instskip(SKIP_1) | instid1(VALU_DEP_1)
	s_and_b32 vcc_lo, exec_lo, s3
	v_add_nc_u32_e32 v16, s9, v12
	v_add_nc_u32_e32 v18, s9, v16
	s_delay_alu instid0(VALU_DEP_1) | instskip(NEXT) | instid1(VALU_DEP_1)
	v_add_nc_u32_e32 v20, s9, v18
	v_add_nc_u32_e32 v22, s9, v20
	s_delay_alu instid0(VALU_DEP_1) | instskip(NEXT) | instid1(VALU_DEP_1)
	v_add_nc_u32_e32 v24, s9, v22
	v_add_nc_u32_e32 v26, s9, v24
	s_delay_alu instid0(VALU_DEP_1) | instskip(NEXT) | instid1(VALU_DEP_1)
	v_add_nc_u32_e32 v28, s9, v26
	v_add_nc_u32_e32 v30, s9, v28
	s_delay_alu instid0(VALU_DEP_1) | instskip(NEXT) | instid1(VALU_DEP_1)
	v_dual_lshlrev_b32 v54, 3, v0 :: v_dual_add_nc_u32 v32, s9, v30
	v_add_nc_u64_e32 v[6:7], s[6:7], v[54:55]
	s_delay_alu instid0(VALU_DEP_2) | instskip(NEXT) | instid1(VALU_DEP_2)
	v_add_nc_u32_e32 v34, s9, v32
	v_lshl_add_u64 v[14:15], s[0:1], 3, v[6:7]
	s_mov_b32 s0, -1
	s_delay_alu instid0(VALU_DEP_2)
	v_add_nc_u32_e32 v36, s9, v34
	s_clause 0x9
	global_load_b64 v[72:73], v0, s[6:7] scale_offset
	global_load_b64 v[74:75], v[14:15], off
	global_load_b64 v[76:77], v2, s[6:7] scale_offset
	global_load_b64 v[78:79], v4, s[6:7] scale_offset
	;; [unrolled: 1-line block ×8, first 2 shown]
	v_add_nc_u32_e32 v38, s9, v36
	s_clause 0x3
	global_load_b64 v[92:93], v26, s[6:7] scale_offset
	global_load_b64 v[94:95], v28, s[6:7] scale_offset
	;; [unrolled: 1-line block ×4, first 2 shown]
	v_add_nc_u32_e32 v40, s9, v38
	s_delay_alu instid0(VALU_DEP_1) | instskip(NEXT) | instid1(VALU_DEP_1)
	v_add_nc_u32_e32 v42, s9, v40
	v_add_nc_u32_e32 v44, s9, v42
	s_clause 0x3
	global_load_b64 v[100:101], v34, s[6:7] scale_offset
	global_load_b64 v[102:103], v36, s[6:7] scale_offset
	;; [unrolled: 1-line block ×4, first 2 shown]
	v_add_nc_u32_e32 v46, s9, v44
	s_delay_alu instid0(VALU_DEP_1) | instskip(NEXT) | instid1(VALU_DEP_1)
	v_add_nc_u32_e32 v48, s9, v46
	v_add_nc_u32_e32 v50, s9, v48
	s_delay_alu instid0(VALU_DEP_1)
	v_add_nc_u32_e32 v52, s9, v50
	s_clause 0x3
	global_load_b64 v[108:109], v42, s[6:7] scale_offset
	global_load_b64 v[110:111], v44, s[6:7] scale_offset
	;; [unrolled: 1-line block ×4, first 2 shown]
	v_add_nc_u32_e32 v56, s9, v52
	s_delay_alu instid0(VALU_DEP_1) | instskip(NEXT) | instid1(VALU_DEP_1)
	v_add_nc_u32_e32 v58, s9, v56
	v_add_nc_u32_e32 v60, s9, v58
	s_delay_alu instid0(VALU_DEP_1) | instskip(NEXT) | instid1(VALU_DEP_1)
	v_add_nc_u32_e32 v62, s9, v60
	v_add_nc_u32_e32 v64, s9, v62
	s_clause 0x3
	global_load_b64 v[116:117], v50, s[6:7] scale_offset
	global_load_b64 v[118:119], v52, s[6:7] scale_offset
	;; [unrolled: 1-line block ×4, first 2 shown]
	v_add_nc_u32_e32 v66, s9, v64
	s_wait_loadcnt 0x1a
	scratch_store_b128 off, v[68:71], off offset:32
	s_wait_xcnt 0x0
	v_add_nc_u32_e32 v68, s9, v66
	s_delay_alu instid0(VALU_DEP_1)
	v_add_nc_u32_e32 v70, s9, v68
	s_wait_loadcnt 0x16
	s_clause 0x1
	scratch_store_b128 off, v[76:79], off offset:16
	scratch_store_b128 off, v[72:75], off
	s_wait_xcnt 0x0
	v_add_nc_u32_e32 v72, s9, v70
	s_wait_loadcnt 0x14
	scratch_store_b128 off, v[80:83], off offset:48
	s_clause 0x1
	global_load_b64 v[124:125], v60, s[6:7] scale_offset
	global_load_b64 v[126:127], v62, s[6:7] scale_offset
	s_wait_loadcnt 0x14
	scratch_store_b128 off, v[84:87], off offset:64
	s_wait_loadcnt 0x12
	scratch_store_b128 off, v[88:91], off offset:80
	v_add_nc_u32_e32 v74, s9, v72
	s_delay_alu instid0(VALU_DEP_1)
	v_add_nc_u32_e32 v76, s9, v74
	s_clause 0x1
	global_load_b64 v[128:129], v64, s[6:7] scale_offset
	global_load_b64 v[130:131], v66, s[6:7] scale_offset
	s_wait_loadcnt 0x12
	scratch_store_b128 off, v[92:95], off offset:96
	s_wait_loadcnt 0x10
	scratch_store_b128 off, v[96:99], off offset:112
	v_add_nc_u32_e32 v78, s9, v76
	s_wait_xcnt 0x8
	s_delay_alu instid0(VALU_DEP_1)
	v_add_nc_u32_e32 v80, s9, v78
	s_clause 0x1
	global_load_b64 v[132:133], v68, s[6:7] scale_offset
	global_load_b64 v[134:135], v70, s[6:7] scale_offset
	s_wait_loadcnt 0x10
	scratch_store_b128 off, v[100:103], off offset:128
	v_add_nc_u32_e32 v82, s9, v80
	s_wait_xcnt 0x8
	s_delay_alu instid0(VALU_DEP_1)
	v_add_nc_u32_e32 v84, s9, v82
	s_clause 0x1
	global_load_b64 v[136:137], v72, s[6:7] scale_offset
	global_load_b64 v[138:139], v74, s[6:7] scale_offset
	s_wait_loadcnt 0x10
	scratch_store_b128 off, v[104:107], off offset:144
	s_wait_loadcnt 0xe
	scratch_store_b128 off, v[108:111], off offset:160
	;; [unrolled: 2-line block ×3, first 2 shown]
	v_add_nc_u32_e32 v86, s9, v84
	s_wait_xcnt 0xc
	s_delay_alu instid0(VALU_DEP_1) | instskip(NEXT) | instid1(VALU_DEP_1)
	v_add_nc_u32_e32 v88, s9, v86
	v_add_nc_u32_e32 v90, s9, v88
	s_wait_xcnt 0x9
	s_delay_alu instid0(VALU_DEP_1)
	v_add_nc_u32_e32 v92, s9, v90
	s_clause 0x3
	global_load_b64 v[106:107], v76, s[6:7] scale_offset
	global_load_b64 v[108:109], v78, s[6:7] scale_offset
	;; [unrolled: 1-line block ×4, first 2 shown]
	s_wait_loadcnt 0xe
	scratch_store_b128 off, v[116:119], off offset:192
	s_wait_loadcnt 0xc
	scratch_store_b128 off, v[120:123], off offset:208
	v_add_nc_u32_e32 v94, s9, v92
	s_delay_alu instid0(VALU_DEP_1) | instskip(NEXT) | instid1(VALU_DEP_1)
	v_add_nc_u32_e32 v96, s9, v94
	v_add_nc_u32_e32 v98, s9, v96
	s_delay_alu instid0(VALU_DEP_1)
	v_add_nc_u32_e32 v100, s9, v98
	s_clause 0x3
	global_load_b64 v[114:115], v84, s[6:7] scale_offset
	global_load_b64 v[116:117], v86, s[6:7] scale_offset
	;; [unrolled: 1-line block ×4, first 2 shown]
	v_add_nc_u32_e32 v102, s9, v100
	s_delay_alu instid0(VALU_DEP_1)
	v_add_nc_u32_e32 v104, s9, v102
	s_wait_loadcnt 0xe
	scratch_store_b128 off, v[124:127], off offset:224
	s_wait_loadcnt 0xc
	scratch_store_b128 off, v[128:131], off offset:240
	;; [unrolled: 2-line block ×6, first 2 shown]
	s_wait_xcnt 0x1
	v_add_nc_u32_e32 v106, s9, v104
	s_clause 0x3
	global_load_b64 v[108:109], v92, s[6:7] scale_offset
	global_load_b64 v[110:111], v94, s[6:7] scale_offset
	global_load_b64 v[122:123], v96, s[6:7] scale_offset
	global_load_b64 v[124:125], v98, s[6:7] scale_offset
	s_wait_loadcnt 0x6
	scratch_store_b128 off, v[114:117], off offset:320
	s_wait_loadcnt 0x4
	scratch_store_b128 off, v[118:121], off offset:336
	s_clause 0x3
	global_load_b64 v[112:113], v100, s[6:7] scale_offset
	global_load_b64 v[114:115], v102, s[6:7] scale_offset
	;; [unrolled: 1-line block ×4, first 2 shown]
	s_wait_loadcnt 0x6
	scratch_store_b128 off, v[108:111], off offset:352
	s_wait_loadcnt 0x4
	scratch_store_b128 off, v[122:125], off offset:368
	;; [unrolled: 2-line block ×4, first 2 shown]
	s_cbranch_vccz .LBB51_7
; %bb.2:
	scratch_load_b64 v[108:109], v0, off scale_offset
                                        ; implicit-def: $vgpr113
                                        ; implicit-def: $vgpr110
	s_wait_loadcnt 0x0
	v_cmp_ngt_f32_e64 s0, |v108|, |v109|
	s_wait_xcnt 0x0
	s_and_saveexec_b32 s1, s0
	s_delay_alu instid0(SALU_CYCLE_1)
	s_xor_b32 s0, exec_lo, s1
	s_cbranch_execz .LBB51_4
; %bb.3:
	v_div_scale_f32 v1, null, v109, v109, v108
	v_div_scale_f32 v9, vcc_lo, v108, v109, v108
	s_delay_alu instid0(VALU_DEP_2) | instskip(SKIP_1) | instid1(TRANS32_DEP_1)
	v_rcp_f32_e32 v3, v1
	v_nop
	v_fma_f32 v5, -v1, v3, 1.0
	s_delay_alu instid0(VALU_DEP_1) | instskip(NEXT) | instid1(VALU_DEP_1)
	v_fmac_f32_e32 v3, v5, v3
	v_mul_f32_e32 v5, v9, v3
	s_delay_alu instid0(VALU_DEP_1) | instskip(NEXT) | instid1(VALU_DEP_1)
	v_fma_f32 v11, -v1, v5, v9
	v_fmac_f32_e32 v5, v11, v3
	s_delay_alu instid0(VALU_DEP_1) | instskip(NEXT) | instid1(VALU_DEP_1)
	v_fma_f32 v1, -v1, v5, v9
	v_div_fmas_f32 v1, v1, v3, v5
	s_delay_alu instid0(VALU_DEP_1) | instskip(NEXT) | instid1(VALU_DEP_1)
	v_div_fixup_f32 v1, v1, v109, v108
	v_fmac_f32_e32 v109, v108, v1
	s_delay_alu instid0(VALU_DEP_1) | instskip(NEXT) | instid1(VALU_DEP_1)
	v_div_scale_f32 v3, null, v109, v109, -1.0
	v_rcp_f32_e32 v5, v3
	v_nop
	s_delay_alu instid0(TRANS32_DEP_1) | instskip(NEXT) | instid1(VALU_DEP_1)
	v_fma_f32 v9, -v3, v5, 1.0
	v_fmac_f32_e32 v5, v9, v5
	v_div_scale_f32 v9, vcc_lo, -1.0, v109, -1.0
	s_delay_alu instid0(VALU_DEP_1) | instskip(NEXT) | instid1(VALU_DEP_1)
	v_mul_f32_e32 v11, v9, v5
	v_fma_f32 v13, -v3, v11, v9
	s_delay_alu instid0(VALU_DEP_1) | instskip(NEXT) | instid1(VALU_DEP_1)
	v_fmac_f32_e32 v11, v13, v5
	v_fma_f32 v3, -v3, v11, v9
	s_delay_alu instid0(VALU_DEP_1) | instskip(NEXT) | instid1(VALU_DEP_1)
	v_div_fmas_f32 v3, v3, v5, v11
	v_div_fixup_f32 v113, v3, v109, -1.0
                                        ; implicit-def: $vgpr108_vgpr109
	s_delay_alu instid0(VALU_DEP_1) | instskip(NEXT) | instid1(VALU_DEP_1)
	v_mul_f32_e32 v110, v1, v113
	v_xor_b32_e32 v112, 0x80000000, v110
.LBB51_4:
	s_or_saveexec_b32 s0, s0
	v_lshl_add_u32 v1, v0, 3, 0
	s_xor_b32 exec_lo, exec_lo, s0
	s_cbranch_execz .LBB51_6
; %bb.5:
	v_div_scale_f32 v3, null, v108, v108, v109
	v_div_scale_f32 v11, vcc_lo, v109, v108, v109
	s_delay_alu instid0(VALU_DEP_2) | instskip(SKIP_1) | instid1(TRANS32_DEP_1)
	v_rcp_f32_e32 v5, v3
	v_nop
	v_fma_f32 v9, -v3, v5, 1.0
	s_delay_alu instid0(VALU_DEP_1) | instskip(NEXT) | instid1(VALU_DEP_1)
	v_fmac_f32_e32 v5, v9, v5
	v_mul_f32_e32 v9, v11, v5
	s_delay_alu instid0(VALU_DEP_1) | instskip(NEXT) | instid1(VALU_DEP_1)
	v_fma_f32 v13, -v3, v9, v11
	v_fmac_f32_e32 v9, v13, v5
	s_delay_alu instid0(VALU_DEP_1) | instskip(NEXT) | instid1(VALU_DEP_1)
	v_fma_f32 v3, -v3, v9, v11
	v_div_fmas_f32 v3, v3, v5, v9
	s_delay_alu instid0(VALU_DEP_1) | instskip(NEXT) | instid1(VALU_DEP_1)
	v_div_fixup_f32 v3, v3, v108, v109
	v_fmac_f32_e32 v108, v109, v3
	s_delay_alu instid0(VALU_DEP_1) | instskip(SKIP_1) | instid1(VALU_DEP_2)
	v_div_scale_f32 v5, null, v108, v108, 1.0
	v_div_scale_f32 v13, vcc_lo, 1.0, v108, 1.0
	v_rcp_f32_e32 v9, v5
	v_nop
	s_delay_alu instid0(TRANS32_DEP_1) | instskip(NEXT) | instid1(VALU_DEP_1)
	v_fma_f32 v11, -v5, v9, 1.0
	v_fmac_f32_e32 v9, v11, v9
	s_delay_alu instid0(VALU_DEP_1) | instskip(NEXT) | instid1(VALU_DEP_1)
	v_mul_f32_e32 v11, v13, v9
	v_fma_f32 v17, -v5, v11, v13
	s_delay_alu instid0(VALU_DEP_1) | instskip(NEXT) | instid1(VALU_DEP_1)
	v_fmac_f32_e32 v11, v17, v9
	v_fma_f32 v5, -v5, v11, v13
	s_delay_alu instid0(VALU_DEP_1) | instskip(NEXT) | instid1(VALU_DEP_1)
	v_div_fmas_f32 v5, v5, v9, v11
	v_div_fixup_f32 v112, v5, v108, 1.0
	s_delay_alu instid0(VALU_DEP_1)
	v_xor_b32_e32 v110, 0x80000000, v112
	v_mul_f32_e64 v113, v3, -v112
.LBB51_6:
	s_or_b32 exec_lo, exec_lo, s0
	s_delay_alu instid0(VALU_DEP_1)
	v_xor_b32_e32 v111, 0x80000000, v113
	s_mov_b32 s0, 0
	scratch_store_b64 v1, v[112:113], off
	ds_store_b64 v54, v[110:111]
.LBB51_7:
	s_and_b32 vcc_lo, exec_lo, s0
	s_cbranch_vccz .LBB51_9
; %bb.8:
	s_mov_b64 s[0:1], 0xbf800000
	s_wait_xcnt 0x3
	v_mov_b64_e32 v[108:109], s[0:1]
	ds_store_b64 v54, v[108:109]
.LBB51_9:
	v_dual_ashrrev_i32 v3, 31, v2 :: v_dual_ashrrev_i32 v5, 31, v4
	v_dual_ashrrev_i32 v9, 31, v8 :: v_dual_ashrrev_i32 v11, 31, v10
	;; [unrolled: 1-line block ×24, first 2 shown]
	v_dual_ashrrev_i32 v101, 31, v100 :: v_dual_mov_b32 v55, v54
	v_ashrrev_i32_e32 v105, 31, v104
	s_wait_xcnt 0x0
	v_add_nc_u32_e32 v1, 0x1a0, v54
	s_cmp_eq_u32 s4, 0x79
	s_cbranch_scc1 .LBB51_13
; %bb.10:
	scratch_load_b64 v[108:109], off, off offset:400
	v_cmp_eq_u32_e64 s0, 51, v0
	s_movk_i32 s1, 0x50
	s_movk_i32 s10, 0x60
	;; [unrolled: 1-line block ×20, first 2 shown]
	s_wait_loadcnt 0x0
	ds_store_b64 v1, v[108:109]
	s_wait_storecnt_dscnt 0x0
	s_barrier_signal -1
	s_barrier_wait -1
	s_wait_xcnt 0x0
	s_and_saveexec_b32 s2, s0
	s_cbranch_execz .LBB51_17
; %bb.11:
	s_and_b32 vcc_lo, exec_lo, s3
	s_cbranch_vccz .LBB51_14
; %bb.12:
	scratch_load_b64 v[108:109], v55, off
	ds_load_b64 v[110:111], v1
	s_wait_loadcnt_dscnt 0x0
	v_pk_mul_f32 v[112:113], v[110:111], v[108:109] op_sel:[1,1] op_sel_hi:[0,1]
	v_pk_mul_f32 v[114:115], v[110:111], v[108:109] op_sel_hi:[1,0]
	s_delay_alu instid0(VALU_DEP_2) | instskip(NEXT) | instid1(VALU_DEP_2)
	v_pk_fma_f32 v[108:109], v[110:111], v[108:109], v[112:113] op_sel_hi:[1,0,1]
	v_sub_f32_e32 v108, v114, v112
	s_cbranch_execz .LBB51_15
	s_branch .LBB51_16
.LBB51_13:
	s_mov_b32 s1, 0
                                        ; implicit-def: $vgpr148
                                        ; implicit-def: $sgpr4
	s_cbranch_execnz .LBB51_516
	s_branch .LBB51_1021
.LBB51_14:
                                        ; implicit-def: $vgpr109
.LBB51_15:
	ds_load_b64 v[108:109], v1
.LBB51_16:
	s_wait_dscnt 0x0
	v_dual_mov_b32 v110, 0 :: v_dual_mov_b32 v112, v109
	v_mov_b32_e32 v113, v108
	ds_load_b64 v[110:111], v110 offset:400
	s_wait_dscnt 0x0
	v_pk_mul_f32 v[112:113], v[112:113], v[110:111] op_sel:[0,1]
	s_delay_alu instid0(VALU_DEP_1) | instskip(SKIP_1) | instid1(VALU_DEP_2)
	v_pk_fma_f32 v[114:115], v[108:109], v[110:111], v[112:113] op_sel_hi:[1,0,1]
	v_pk_fma_f32 v[108:109], v[108:109], v[110:111], v[112:113] neg_lo:[0,0,1] neg_hi:[0,0,1]
	v_mov_b32_e32 v109, v115
	scratch_store_b64 off, v[108:109], off offset:400
.LBB51_17:
	s_wait_xcnt 0x0
	s_or_b32 exec_lo, exec_lo, s2
	scratch_load_b64 v[108:109], off, off offset:392
	s_mov_b32 s9, s1
	v_cmp_lt_u32_e64 s1, 49, v0
	s_mov_b32 s4, 16
	s_mov_b32 s5, 32
	;; [unrolled: 1-line block ×4, first 2 shown]
	s_wait_loadcnt 0x0
	ds_store_b64 v1, v[108:109]
	s_wait_storecnt_dscnt 0x0
	s_barrier_signal -1
	s_barrier_wait -1
	s_wait_xcnt 0x0
	s_and_saveexec_b32 s29, s1
	s_cbranch_execz .LBB51_25
; %bb.18:
	s_and_not1_b32 vcc_lo, exec_lo, s3
	s_cbranch_vccnz .LBB51_20
; %bb.19:
	scratch_load_b64 v[108:109], v55, off
	ds_load_b64 v[110:111], v1
	s_wait_loadcnt_dscnt 0x0
	v_pk_mul_f32 v[112:113], v[110:111], v[108:109] op_sel:[1,1] op_sel_hi:[0,1]
	s_delay_alu instid0(VALU_DEP_1) | instskip(SKIP_1) | instid1(VALU_DEP_2)
	v_pk_fma_f32 v[114:115], v[110:111], v[108:109], v[112:113] op_sel_hi:[1,0,1]
	v_pk_fma_f32 v[108:109], v[110:111], v[108:109], v[112:113] neg_lo:[0,0,1] neg_hi:[0,0,1]
	v_mov_b32_e32 v109, v115
	s_cbranch_execz .LBB51_21
	s_branch .LBB51_22
.LBB51_20:
                                        ; implicit-def: $vgpr108_vgpr109
.LBB51_21:
	ds_load_b64 v[108:109], v1
.LBB51_22:
	s_and_saveexec_b32 s30, s0
	s_cbranch_execz .LBB51_24
; %bb.23:
	scratch_load_b64 v[110:111], off, off offset:400
	v_mov_b32_e32 v112, 0
	ds_load_b64 v[112:113], v112 offset:816
	s_wait_loadcnt_dscnt 0x0
	v_pk_mul_f32 v[114:115], v[112:113], v[110:111] op_sel:[1,1] op_sel_hi:[0,1]
	s_delay_alu instid0(VALU_DEP_1) | instskip(SKIP_1) | instid1(VALU_DEP_2)
	v_pk_fma_f32 v[116:117], v[112:113], v[110:111], v[114:115] op_sel_hi:[1,0,1]
	v_pk_fma_f32 v[110:111], v[112:113], v[110:111], v[114:115] neg_lo:[0,0,1] neg_hi:[0,0,1]
	v_mov_b32_e32 v111, v117
	s_delay_alu instid0(VALU_DEP_1)
	v_pk_add_f32 v[108:109], v[108:109], v[110:111]
.LBB51_24:
	s_or_b32 exec_lo, exec_lo, s30
	v_mov_b32_e32 v110, 0
	ds_load_b64 v[110:111], v110 offset:392
	s_wait_dscnt 0x0
	v_pk_mul_f32 v[112:113], v[108:109], v[110:111] op_sel:[1,1] op_sel_hi:[0,1]
	s_delay_alu instid0(VALU_DEP_1) | instskip(SKIP_1) | instid1(VALU_DEP_2)
	v_pk_fma_f32 v[114:115], v[108:109], v[110:111], v[112:113] op_sel_hi:[1,0,1]
	v_pk_fma_f32 v[108:109], v[108:109], v[110:111], v[112:113] neg_lo:[0,0,1] neg_hi:[0,0,1]
	v_mov_b32_e32 v109, v115
	scratch_store_b64 off, v[108:109], off offset:392
.LBB51_25:
	s_wait_xcnt 0x0
	s_or_b32 exec_lo, exec_lo, s29
	scratch_load_b64 v[108:109], off, off offset:384
	v_cmp_lt_u32_e64 s0, 48, v0
	s_wait_loadcnt 0x0
	ds_store_b64 v1, v[108:109]
	s_wait_storecnt_dscnt 0x0
	s_barrier_signal -1
	s_barrier_wait -1
	s_wait_xcnt 0x0
	s_and_saveexec_b32 s29, s0
	s_cbranch_execz .LBB51_35
; %bb.26:
	s_and_not1_b32 vcc_lo, exec_lo, s3
	s_cbranch_vccnz .LBB51_28
; %bb.27:
	scratch_load_b64 v[108:109], v55, off
	ds_load_b64 v[110:111], v1
	s_wait_loadcnt_dscnt 0x0
	v_pk_mul_f32 v[112:113], v[110:111], v[108:109] op_sel:[1,1] op_sel_hi:[0,1]
	s_delay_alu instid0(VALU_DEP_1) | instskip(SKIP_1) | instid1(VALU_DEP_2)
	v_pk_fma_f32 v[114:115], v[110:111], v[108:109], v[112:113] op_sel_hi:[1,0,1]
	v_pk_fma_f32 v[108:109], v[110:111], v[108:109], v[112:113] neg_lo:[0,0,1] neg_hi:[0,0,1]
	v_mov_b32_e32 v109, v115
	s_cbranch_execz .LBB51_29
	s_branch .LBB51_30
.LBB51_28:
                                        ; implicit-def: $vgpr108_vgpr109
.LBB51_29:
	ds_load_b64 v[108:109], v1
.LBB51_30:
	s_and_saveexec_b32 s30, s1
	s_cbranch_execz .LBB51_34
; %bb.31:
	v_subrev_nc_u32_e32 v110, 49, v0
	s_movk_i32 s1, 0x188
	s_movk_i32 s33, 0x328
	s_mov_b32 s31, 0
.LBB51_32:                              ; =>This Inner Loop Header: Depth=1
	scratch_load_b64 v[112:113], off, s1
	v_dual_mov_b32 v111, s33 :: v_dual_add_nc_u32 v110, -1, v110
	s_add_co_i32 s33, s33, 8
	s_wait_xcnt 0x0
	s_add_co_i32 s1, s1, 8
	ds_load_b64 v[114:115], v111
	v_cmp_eq_u32_e32 vcc_lo, 0, v110
	s_or_b32 s31, vcc_lo, s31
	s_wait_loadcnt_dscnt 0x0
	v_pk_mul_f32 v[116:117], v[114:115], v[112:113] op_sel:[1,1] op_sel_hi:[0,1]
	s_delay_alu instid0(VALU_DEP_1) | instskip(SKIP_1) | instid1(VALU_DEP_2)
	v_pk_fma_f32 v[118:119], v[114:115], v[112:113], v[116:117] op_sel_hi:[1,0,1]
	v_pk_fma_f32 v[112:113], v[114:115], v[112:113], v[116:117] neg_lo:[0,0,1] neg_hi:[0,0,1]
	v_mov_b32_e32 v113, v119
	s_delay_alu instid0(VALU_DEP_1)
	v_pk_add_f32 v[108:109], v[108:109], v[112:113]
	s_and_not1_b32 exec_lo, exec_lo, s31
	s_cbranch_execnz .LBB51_32
; %bb.33:
	s_or_b32 exec_lo, exec_lo, s31
.LBB51_34:
	s_delay_alu instid0(SALU_CYCLE_1) | instskip(SKIP_4) | instid1(VALU_DEP_1)
	s_or_b32 exec_lo, exec_lo, s30
	v_mov_b32_e32 v110, 0
	ds_load_b64 v[110:111], v110 offset:384
	s_wait_dscnt 0x0
	v_pk_mul_f32 v[112:113], v[108:109], v[110:111] op_sel:[1,1] op_sel_hi:[0,1]
	v_pk_fma_f32 v[114:115], v[108:109], v[110:111], v[112:113] op_sel_hi:[1,0,1]
	v_pk_fma_f32 v[108:109], v[108:109], v[110:111], v[112:113] neg_lo:[0,0,1] neg_hi:[0,0,1]
	s_delay_alu instid0(VALU_DEP_2)
	v_mov_b32_e32 v109, v115
	scratch_store_b64 off, v[108:109], off offset:384
.LBB51_35:
	s_wait_xcnt 0x0
	s_or_b32 exec_lo, exec_lo, s29
	scratch_load_b64 v[108:109], off, off offset:376
	v_cmp_lt_u32_e64 s1, 47, v0
	s_wait_loadcnt 0x0
	ds_store_b64 v1, v[108:109]
	s_wait_storecnt_dscnt 0x0
	s_barrier_signal -1
	s_barrier_wait -1
	s_wait_xcnt 0x0
	s_and_saveexec_b32 s29, s1
	s_cbranch_execz .LBB51_45
; %bb.36:
	s_and_not1_b32 vcc_lo, exec_lo, s3
	s_cbranch_vccnz .LBB51_38
; %bb.37:
	scratch_load_b64 v[108:109], v55, off
	ds_load_b64 v[110:111], v1
	s_wait_loadcnt_dscnt 0x0
	v_pk_mul_f32 v[112:113], v[110:111], v[108:109] op_sel:[1,1] op_sel_hi:[0,1]
	s_delay_alu instid0(VALU_DEP_1) | instskip(SKIP_1) | instid1(VALU_DEP_2)
	v_pk_fma_f32 v[114:115], v[110:111], v[108:109], v[112:113] op_sel_hi:[1,0,1]
	v_pk_fma_f32 v[108:109], v[110:111], v[108:109], v[112:113] neg_lo:[0,0,1] neg_hi:[0,0,1]
	v_mov_b32_e32 v109, v115
	s_cbranch_execz .LBB51_39
	s_branch .LBB51_40
.LBB51_38:
                                        ; implicit-def: $vgpr108_vgpr109
.LBB51_39:
	ds_load_b64 v[108:109], v1
.LBB51_40:
	s_and_saveexec_b32 s30, s0
	s_cbranch_execz .LBB51_44
; %bb.41:
	v_subrev_nc_u32_e32 v110, 48, v0
	s_movk_i32 s31, 0x320
	s_mov_b32 s0, 0
.LBB51_42:                              ; =>This Inner Loop Header: Depth=1
	scratch_load_b64 v[112:113], off, s28
	v_dual_mov_b32 v111, s31 :: v_dual_add_nc_u32 v110, -1, v110
	s_add_co_i32 s31, s31, 8
	s_wait_xcnt 0x0
	s_add_co_i32 s28, s28, 8
	ds_load_b64 v[114:115], v111
	v_cmp_eq_u32_e32 vcc_lo, 0, v110
	s_or_b32 s0, vcc_lo, s0
	s_wait_loadcnt_dscnt 0x0
	v_pk_mul_f32 v[116:117], v[114:115], v[112:113] op_sel:[1,1] op_sel_hi:[0,1]
	s_delay_alu instid0(VALU_DEP_1) | instskip(SKIP_1) | instid1(VALU_DEP_2)
	v_pk_fma_f32 v[118:119], v[114:115], v[112:113], v[116:117] op_sel_hi:[1,0,1]
	v_pk_fma_f32 v[112:113], v[114:115], v[112:113], v[116:117] neg_lo:[0,0,1] neg_hi:[0,0,1]
	v_mov_b32_e32 v113, v119
	s_delay_alu instid0(VALU_DEP_1)
	v_pk_add_f32 v[108:109], v[108:109], v[112:113]
	s_and_not1_b32 exec_lo, exec_lo, s0
	s_cbranch_execnz .LBB51_42
; %bb.43:
	s_or_b32 exec_lo, exec_lo, s0
.LBB51_44:
	s_delay_alu instid0(SALU_CYCLE_1) | instskip(SKIP_4) | instid1(VALU_DEP_1)
	s_or_b32 exec_lo, exec_lo, s30
	v_mov_b32_e32 v110, 0
	ds_load_b64 v[110:111], v110 offset:376
	s_wait_dscnt 0x0
	v_pk_mul_f32 v[112:113], v[108:109], v[110:111] op_sel:[1,1] op_sel_hi:[0,1]
	v_pk_fma_f32 v[114:115], v[108:109], v[110:111], v[112:113] op_sel_hi:[1,0,1]
	v_pk_fma_f32 v[108:109], v[108:109], v[110:111], v[112:113] neg_lo:[0,0,1] neg_hi:[0,0,1]
	s_delay_alu instid0(VALU_DEP_2)
	v_mov_b32_e32 v109, v115
	scratch_store_b64 off, v[108:109], off offset:376
.LBB51_45:
	s_wait_xcnt 0x0
	s_or_b32 exec_lo, exec_lo, s29
	scratch_load_b64 v[108:109], off, off offset:368
	v_cmp_lt_u32_e64 s0, 46, v0
	s_wait_loadcnt 0x0
	ds_store_b64 v1, v[108:109]
	s_wait_storecnt_dscnt 0x0
	s_barrier_signal -1
	s_barrier_wait -1
	s_wait_xcnt 0x0
	s_and_saveexec_b32 s28, s0
	s_cbranch_execz .LBB51_55
; %bb.46:
	s_and_not1_b32 vcc_lo, exec_lo, s3
	s_cbranch_vccnz .LBB51_48
; %bb.47:
	scratch_load_b64 v[108:109], v55, off
	ds_load_b64 v[110:111], v1
	s_wait_loadcnt_dscnt 0x0
	v_pk_mul_f32 v[112:113], v[110:111], v[108:109] op_sel:[1,1] op_sel_hi:[0,1]
	s_delay_alu instid0(VALU_DEP_1) | instskip(SKIP_1) | instid1(VALU_DEP_2)
	v_pk_fma_f32 v[114:115], v[110:111], v[108:109], v[112:113] op_sel_hi:[1,0,1]
	v_pk_fma_f32 v[108:109], v[110:111], v[108:109], v[112:113] neg_lo:[0,0,1] neg_hi:[0,0,1]
	v_mov_b32_e32 v109, v115
	s_cbranch_execz .LBB51_49
	s_branch .LBB51_50
.LBB51_48:
                                        ; implicit-def: $vgpr108_vgpr109
.LBB51_49:
	ds_load_b64 v[108:109], v1
.LBB51_50:
	s_and_saveexec_b32 s29, s1
	s_cbranch_execz .LBB51_54
; %bb.51:
	v_subrev_nc_u32_e32 v110, 47, v0
	s_movk_i32 s1, 0x178
	s_movk_i32 s31, 0x318
	s_mov_b32 s30, 0
.LBB51_52:                              ; =>This Inner Loop Header: Depth=1
	scratch_load_b64 v[112:113], off, s1
	v_dual_mov_b32 v111, s31 :: v_dual_add_nc_u32 v110, -1, v110
	s_add_co_i32 s31, s31, 8
	s_wait_xcnt 0x0
	s_add_co_i32 s1, s1, 8
	ds_load_b64 v[114:115], v111
	v_cmp_eq_u32_e32 vcc_lo, 0, v110
	s_or_b32 s30, vcc_lo, s30
	s_wait_loadcnt_dscnt 0x0
	v_pk_mul_f32 v[116:117], v[114:115], v[112:113] op_sel:[1,1] op_sel_hi:[0,1]
	s_delay_alu instid0(VALU_DEP_1) | instskip(SKIP_1) | instid1(VALU_DEP_2)
	v_pk_fma_f32 v[118:119], v[114:115], v[112:113], v[116:117] op_sel_hi:[1,0,1]
	v_pk_fma_f32 v[112:113], v[114:115], v[112:113], v[116:117] neg_lo:[0,0,1] neg_hi:[0,0,1]
	v_mov_b32_e32 v113, v119
	s_delay_alu instid0(VALU_DEP_1)
	v_pk_add_f32 v[108:109], v[108:109], v[112:113]
	s_and_not1_b32 exec_lo, exec_lo, s30
	s_cbranch_execnz .LBB51_52
; %bb.53:
	s_or_b32 exec_lo, exec_lo, s30
.LBB51_54:
	s_delay_alu instid0(SALU_CYCLE_1) | instskip(SKIP_4) | instid1(VALU_DEP_1)
	s_or_b32 exec_lo, exec_lo, s29
	v_mov_b32_e32 v110, 0
	ds_load_b64 v[110:111], v110 offset:368
	s_wait_dscnt 0x0
	v_pk_mul_f32 v[112:113], v[108:109], v[110:111] op_sel:[1,1] op_sel_hi:[0,1]
	v_pk_fma_f32 v[114:115], v[108:109], v[110:111], v[112:113] op_sel_hi:[1,0,1]
	v_pk_fma_f32 v[108:109], v[108:109], v[110:111], v[112:113] neg_lo:[0,0,1] neg_hi:[0,0,1]
	s_delay_alu instid0(VALU_DEP_2)
	v_mov_b32_e32 v109, v115
	scratch_store_b64 off, v[108:109], off offset:368
.LBB51_55:
	s_wait_xcnt 0x0
	s_or_b32 exec_lo, exec_lo, s28
	scratch_load_b64 v[108:109], off, off offset:360
	v_cmp_lt_u32_e64 s1, 45, v0
	s_wait_loadcnt 0x0
	ds_store_b64 v1, v[108:109]
	s_wait_storecnt_dscnt 0x0
	s_barrier_signal -1
	s_barrier_wait -1
	s_wait_xcnt 0x0
	s_and_saveexec_b32 s28, s1
	s_cbranch_execz .LBB51_65
; %bb.56:
	s_and_not1_b32 vcc_lo, exec_lo, s3
	s_cbranch_vccnz .LBB51_58
; %bb.57:
	scratch_load_b64 v[108:109], v55, off
	ds_load_b64 v[110:111], v1
	s_wait_loadcnt_dscnt 0x0
	v_pk_mul_f32 v[112:113], v[110:111], v[108:109] op_sel:[1,1] op_sel_hi:[0,1]
	s_delay_alu instid0(VALU_DEP_1) | instskip(SKIP_1) | instid1(VALU_DEP_2)
	v_pk_fma_f32 v[114:115], v[110:111], v[108:109], v[112:113] op_sel_hi:[1,0,1]
	v_pk_fma_f32 v[108:109], v[110:111], v[108:109], v[112:113] neg_lo:[0,0,1] neg_hi:[0,0,1]
	v_mov_b32_e32 v109, v115
	s_cbranch_execz .LBB51_59
	s_branch .LBB51_60
.LBB51_58:
                                        ; implicit-def: $vgpr108_vgpr109
.LBB51_59:
	ds_load_b64 v[108:109], v1
.LBB51_60:
	s_and_saveexec_b32 s29, s0
	s_cbranch_execz .LBB51_64
; %bb.61:
	v_subrev_nc_u32_e32 v110, 46, v0
	s_movk_i32 s30, 0x310
	s_mov_b32 s0, 0
.LBB51_62:                              ; =>This Inner Loop Header: Depth=1
	scratch_load_b64 v[112:113], off, s27
	v_dual_mov_b32 v111, s30 :: v_dual_add_nc_u32 v110, -1, v110
	s_add_co_i32 s30, s30, 8
	s_wait_xcnt 0x0
	s_add_co_i32 s27, s27, 8
	ds_load_b64 v[114:115], v111
	v_cmp_eq_u32_e32 vcc_lo, 0, v110
	s_or_b32 s0, vcc_lo, s0
	s_wait_loadcnt_dscnt 0x0
	v_pk_mul_f32 v[116:117], v[114:115], v[112:113] op_sel:[1,1] op_sel_hi:[0,1]
	s_delay_alu instid0(VALU_DEP_1) | instskip(SKIP_1) | instid1(VALU_DEP_2)
	v_pk_fma_f32 v[118:119], v[114:115], v[112:113], v[116:117] op_sel_hi:[1,0,1]
	v_pk_fma_f32 v[112:113], v[114:115], v[112:113], v[116:117] neg_lo:[0,0,1] neg_hi:[0,0,1]
	v_mov_b32_e32 v113, v119
	s_delay_alu instid0(VALU_DEP_1)
	v_pk_add_f32 v[108:109], v[108:109], v[112:113]
	s_and_not1_b32 exec_lo, exec_lo, s0
	s_cbranch_execnz .LBB51_62
; %bb.63:
	s_or_b32 exec_lo, exec_lo, s0
.LBB51_64:
	s_delay_alu instid0(SALU_CYCLE_1) | instskip(SKIP_4) | instid1(VALU_DEP_1)
	s_or_b32 exec_lo, exec_lo, s29
	v_mov_b32_e32 v110, 0
	ds_load_b64 v[110:111], v110 offset:360
	s_wait_dscnt 0x0
	v_pk_mul_f32 v[112:113], v[108:109], v[110:111] op_sel:[1,1] op_sel_hi:[0,1]
	v_pk_fma_f32 v[114:115], v[108:109], v[110:111], v[112:113] op_sel_hi:[1,0,1]
	v_pk_fma_f32 v[108:109], v[108:109], v[110:111], v[112:113] neg_lo:[0,0,1] neg_hi:[0,0,1]
	s_delay_alu instid0(VALU_DEP_2)
	v_mov_b32_e32 v109, v115
	scratch_store_b64 off, v[108:109], off offset:360
.LBB51_65:
	s_wait_xcnt 0x0
	s_or_b32 exec_lo, exec_lo, s28
	scratch_load_b64 v[108:109], off, off offset:352
	v_cmp_lt_u32_e64 s0, 44, v0
	s_wait_loadcnt 0x0
	ds_store_b64 v1, v[108:109]
	s_wait_storecnt_dscnt 0x0
	s_barrier_signal -1
	s_barrier_wait -1
	s_wait_xcnt 0x0
	s_and_saveexec_b32 s27, s0
	s_cbranch_execz .LBB51_75
; %bb.66:
	s_and_not1_b32 vcc_lo, exec_lo, s3
	s_cbranch_vccnz .LBB51_68
; %bb.67:
	scratch_load_b64 v[108:109], v55, off
	ds_load_b64 v[110:111], v1
	s_wait_loadcnt_dscnt 0x0
	v_pk_mul_f32 v[112:113], v[110:111], v[108:109] op_sel:[1,1] op_sel_hi:[0,1]
	s_delay_alu instid0(VALU_DEP_1) | instskip(SKIP_1) | instid1(VALU_DEP_2)
	v_pk_fma_f32 v[114:115], v[110:111], v[108:109], v[112:113] op_sel_hi:[1,0,1]
	v_pk_fma_f32 v[108:109], v[110:111], v[108:109], v[112:113] neg_lo:[0,0,1] neg_hi:[0,0,1]
	v_mov_b32_e32 v109, v115
	s_cbranch_execz .LBB51_69
	s_branch .LBB51_70
.LBB51_68:
                                        ; implicit-def: $vgpr108_vgpr109
.LBB51_69:
	ds_load_b64 v[108:109], v1
.LBB51_70:
	s_and_saveexec_b32 s28, s1
	s_cbranch_execz .LBB51_74
; %bb.71:
	v_subrev_nc_u32_e32 v110, 45, v0
	s_movk_i32 s1, 0x168
	s_movk_i32 s30, 0x308
	s_mov_b32 s29, 0
.LBB51_72:                              ; =>This Inner Loop Header: Depth=1
	scratch_load_b64 v[112:113], off, s1
	v_dual_mov_b32 v111, s30 :: v_dual_add_nc_u32 v110, -1, v110
	s_add_co_i32 s30, s30, 8
	s_wait_xcnt 0x0
	s_add_co_i32 s1, s1, 8
	ds_load_b64 v[114:115], v111
	v_cmp_eq_u32_e32 vcc_lo, 0, v110
	s_or_b32 s29, vcc_lo, s29
	s_wait_loadcnt_dscnt 0x0
	v_pk_mul_f32 v[116:117], v[114:115], v[112:113] op_sel:[1,1] op_sel_hi:[0,1]
	s_delay_alu instid0(VALU_DEP_1) | instskip(SKIP_1) | instid1(VALU_DEP_2)
	v_pk_fma_f32 v[118:119], v[114:115], v[112:113], v[116:117] op_sel_hi:[1,0,1]
	v_pk_fma_f32 v[112:113], v[114:115], v[112:113], v[116:117] neg_lo:[0,0,1] neg_hi:[0,0,1]
	v_mov_b32_e32 v113, v119
	s_delay_alu instid0(VALU_DEP_1)
	v_pk_add_f32 v[108:109], v[108:109], v[112:113]
	s_and_not1_b32 exec_lo, exec_lo, s29
	s_cbranch_execnz .LBB51_72
; %bb.73:
	s_or_b32 exec_lo, exec_lo, s29
.LBB51_74:
	s_delay_alu instid0(SALU_CYCLE_1) | instskip(SKIP_4) | instid1(VALU_DEP_1)
	s_or_b32 exec_lo, exec_lo, s28
	v_mov_b32_e32 v110, 0
	ds_load_b64 v[110:111], v110 offset:352
	s_wait_dscnt 0x0
	v_pk_mul_f32 v[112:113], v[108:109], v[110:111] op_sel:[1,1] op_sel_hi:[0,1]
	v_pk_fma_f32 v[114:115], v[108:109], v[110:111], v[112:113] op_sel_hi:[1,0,1]
	v_pk_fma_f32 v[108:109], v[108:109], v[110:111], v[112:113] neg_lo:[0,0,1] neg_hi:[0,0,1]
	s_delay_alu instid0(VALU_DEP_2)
	v_mov_b32_e32 v109, v115
	scratch_store_b64 off, v[108:109], off offset:352
.LBB51_75:
	s_wait_xcnt 0x0
	s_or_b32 exec_lo, exec_lo, s27
	scratch_load_b64 v[108:109], off, off offset:344
	v_cmp_lt_u32_e64 s1, 43, v0
	s_wait_loadcnt 0x0
	ds_store_b64 v1, v[108:109]
	s_wait_storecnt_dscnt 0x0
	s_barrier_signal -1
	s_barrier_wait -1
	s_wait_xcnt 0x0
	s_and_saveexec_b32 s27, s1
	s_cbranch_execz .LBB51_85
; %bb.76:
	s_and_not1_b32 vcc_lo, exec_lo, s3
	s_cbranch_vccnz .LBB51_78
; %bb.77:
	scratch_load_b64 v[108:109], v55, off
	ds_load_b64 v[110:111], v1
	s_wait_loadcnt_dscnt 0x0
	v_pk_mul_f32 v[112:113], v[110:111], v[108:109] op_sel:[1,1] op_sel_hi:[0,1]
	s_delay_alu instid0(VALU_DEP_1) | instskip(SKIP_1) | instid1(VALU_DEP_2)
	v_pk_fma_f32 v[114:115], v[110:111], v[108:109], v[112:113] op_sel_hi:[1,0,1]
	v_pk_fma_f32 v[108:109], v[110:111], v[108:109], v[112:113] neg_lo:[0,0,1] neg_hi:[0,0,1]
	v_mov_b32_e32 v109, v115
	s_cbranch_execz .LBB51_79
	s_branch .LBB51_80
.LBB51_78:
                                        ; implicit-def: $vgpr108_vgpr109
.LBB51_79:
	ds_load_b64 v[108:109], v1
.LBB51_80:
	s_and_saveexec_b32 s28, s0
	s_cbranch_execz .LBB51_84
; %bb.81:
	v_subrev_nc_u32_e32 v110, 44, v0
	s_movk_i32 s29, 0x300
	s_mov_b32 s0, 0
.LBB51_82:                              ; =>This Inner Loop Header: Depth=1
	scratch_load_b64 v[112:113], off, s26
	v_dual_mov_b32 v111, s29 :: v_dual_add_nc_u32 v110, -1, v110
	s_add_co_i32 s29, s29, 8
	s_wait_xcnt 0x0
	s_add_co_i32 s26, s26, 8
	ds_load_b64 v[114:115], v111
	v_cmp_eq_u32_e32 vcc_lo, 0, v110
	s_or_b32 s0, vcc_lo, s0
	s_wait_loadcnt_dscnt 0x0
	v_pk_mul_f32 v[116:117], v[114:115], v[112:113] op_sel:[1,1] op_sel_hi:[0,1]
	s_delay_alu instid0(VALU_DEP_1) | instskip(SKIP_1) | instid1(VALU_DEP_2)
	v_pk_fma_f32 v[118:119], v[114:115], v[112:113], v[116:117] op_sel_hi:[1,0,1]
	v_pk_fma_f32 v[112:113], v[114:115], v[112:113], v[116:117] neg_lo:[0,0,1] neg_hi:[0,0,1]
	v_mov_b32_e32 v113, v119
	s_delay_alu instid0(VALU_DEP_1)
	v_pk_add_f32 v[108:109], v[108:109], v[112:113]
	s_and_not1_b32 exec_lo, exec_lo, s0
	s_cbranch_execnz .LBB51_82
; %bb.83:
	s_or_b32 exec_lo, exec_lo, s0
.LBB51_84:
	s_delay_alu instid0(SALU_CYCLE_1) | instskip(SKIP_4) | instid1(VALU_DEP_1)
	s_or_b32 exec_lo, exec_lo, s28
	v_mov_b32_e32 v110, 0
	ds_load_b64 v[110:111], v110 offset:344
	s_wait_dscnt 0x0
	v_pk_mul_f32 v[112:113], v[108:109], v[110:111] op_sel:[1,1] op_sel_hi:[0,1]
	v_pk_fma_f32 v[114:115], v[108:109], v[110:111], v[112:113] op_sel_hi:[1,0,1]
	v_pk_fma_f32 v[108:109], v[108:109], v[110:111], v[112:113] neg_lo:[0,0,1] neg_hi:[0,0,1]
	s_delay_alu instid0(VALU_DEP_2)
	v_mov_b32_e32 v109, v115
	scratch_store_b64 off, v[108:109], off offset:344
.LBB51_85:
	s_wait_xcnt 0x0
	s_or_b32 exec_lo, exec_lo, s27
	scratch_load_b64 v[108:109], off, off offset:336
	v_cmp_lt_u32_e64 s0, 42, v0
	s_wait_loadcnt 0x0
	ds_store_b64 v1, v[108:109]
	s_wait_storecnt_dscnt 0x0
	s_barrier_signal -1
	s_barrier_wait -1
	s_wait_xcnt 0x0
	s_and_saveexec_b32 s26, s0
	s_cbranch_execz .LBB51_95
; %bb.86:
	s_and_not1_b32 vcc_lo, exec_lo, s3
	s_cbranch_vccnz .LBB51_88
; %bb.87:
	scratch_load_b64 v[108:109], v55, off
	ds_load_b64 v[110:111], v1
	s_wait_loadcnt_dscnt 0x0
	v_pk_mul_f32 v[112:113], v[110:111], v[108:109] op_sel:[1,1] op_sel_hi:[0,1]
	s_delay_alu instid0(VALU_DEP_1) | instskip(SKIP_1) | instid1(VALU_DEP_2)
	v_pk_fma_f32 v[114:115], v[110:111], v[108:109], v[112:113] op_sel_hi:[1,0,1]
	v_pk_fma_f32 v[108:109], v[110:111], v[108:109], v[112:113] neg_lo:[0,0,1] neg_hi:[0,0,1]
	v_mov_b32_e32 v109, v115
	s_cbranch_execz .LBB51_89
	s_branch .LBB51_90
.LBB51_88:
                                        ; implicit-def: $vgpr108_vgpr109
.LBB51_89:
	ds_load_b64 v[108:109], v1
.LBB51_90:
	s_and_saveexec_b32 s27, s1
	s_cbranch_execz .LBB51_94
; %bb.91:
	v_subrev_nc_u32_e32 v110, 43, v0
	s_movk_i32 s1, 0x158
	s_movk_i32 s29, 0x2f8
	s_mov_b32 s28, 0
.LBB51_92:                              ; =>This Inner Loop Header: Depth=1
	scratch_load_b64 v[112:113], off, s1
	v_dual_mov_b32 v111, s29 :: v_dual_add_nc_u32 v110, -1, v110
	s_add_co_i32 s29, s29, 8
	s_wait_xcnt 0x0
	s_add_co_i32 s1, s1, 8
	ds_load_b64 v[114:115], v111
	v_cmp_eq_u32_e32 vcc_lo, 0, v110
	s_or_b32 s28, vcc_lo, s28
	s_wait_loadcnt_dscnt 0x0
	v_pk_mul_f32 v[116:117], v[114:115], v[112:113] op_sel:[1,1] op_sel_hi:[0,1]
	s_delay_alu instid0(VALU_DEP_1) | instskip(SKIP_1) | instid1(VALU_DEP_2)
	v_pk_fma_f32 v[118:119], v[114:115], v[112:113], v[116:117] op_sel_hi:[1,0,1]
	v_pk_fma_f32 v[112:113], v[114:115], v[112:113], v[116:117] neg_lo:[0,0,1] neg_hi:[0,0,1]
	v_mov_b32_e32 v113, v119
	s_delay_alu instid0(VALU_DEP_1)
	v_pk_add_f32 v[108:109], v[108:109], v[112:113]
	s_and_not1_b32 exec_lo, exec_lo, s28
	s_cbranch_execnz .LBB51_92
; %bb.93:
	s_or_b32 exec_lo, exec_lo, s28
.LBB51_94:
	s_delay_alu instid0(SALU_CYCLE_1) | instskip(SKIP_4) | instid1(VALU_DEP_1)
	s_or_b32 exec_lo, exec_lo, s27
	v_mov_b32_e32 v110, 0
	ds_load_b64 v[110:111], v110 offset:336
	s_wait_dscnt 0x0
	v_pk_mul_f32 v[112:113], v[108:109], v[110:111] op_sel:[1,1] op_sel_hi:[0,1]
	v_pk_fma_f32 v[114:115], v[108:109], v[110:111], v[112:113] op_sel_hi:[1,0,1]
	v_pk_fma_f32 v[108:109], v[108:109], v[110:111], v[112:113] neg_lo:[0,0,1] neg_hi:[0,0,1]
	s_delay_alu instid0(VALU_DEP_2)
	v_mov_b32_e32 v109, v115
	scratch_store_b64 off, v[108:109], off offset:336
.LBB51_95:
	s_wait_xcnt 0x0
	s_or_b32 exec_lo, exec_lo, s26
	scratch_load_b64 v[108:109], off, off offset:328
	v_cmp_lt_u32_e64 s1, 41, v0
	s_wait_loadcnt 0x0
	ds_store_b64 v1, v[108:109]
	s_wait_storecnt_dscnt 0x0
	s_barrier_signal -1
	s_barrier_wait -1
	s_wait_xcnt 0x0
	s_and_saveexec_b32 s26, s1
	s_cbranch_execz .LBB51_105
; %bb.96:
	s_and_not1_b32 vcc_lo, exec_lo, s3
	s_cbranch_vccnz .LBB51_98
; %bb.97:
	scratch_load_b64 v[108:109], v55, off
	ds_load_b64 v[110:111], v1
	s_wait_loadcnt_dscnt 0x0
	v_pk_mul_f32 v[112:113], v[110:111], v[108:109] op_sel:[1,1] op_sel_hi:[0,1]
	s_delay_alu instid0(VALU_DEP_1) | instskip(SKIP_1) | instid1(VALU_DEP_2)
	v_pk_fma_f32 v[114:115], v[110:111], v[108:109], v[112:113] op_sel_hi:[1,0,1]
	v_pk_fma_f32 v[108:109], v[110:111], v[108:109], v[112:113] neg_lo:[0,0,1] neg_hi:[0,0,1]
	v_mov_b32_e32 v109, v115
	s_cbranch_execz .LBB51_99
	s_branch .LBB51_100
.LBB51_98:
                                        ; implicit-def: $vgpr108_vgpr109
.LBB51_99:
	ds_load_b64 v[108:109], v1
.LBB51_100:
	s_and_saveexec_b32 s27, s0
	s_cbranch_execz .LBB51_104
; %bb.101:
	v_subrev_nc_u32_e32 v110, 42, v0
	s_movk_i32 s28, 0x2f0
	s_mov_b32 s0, 0
.LBB51_102:                             ; =>This Inner Loop Header: Depth=1
	scratch_load_b64 v[112:113], off, s25
	v_dual_mov_b32 v111, s28 :: v_dual_add_nc_u32 v110, -1, v110
	s_add_co_i32 s28, s28, 8
	s_wait_xcnt 0x0
	s_add_co_i32 s25, s25, 8
	ds_load_b64 v[114:115], v111
	v_cmp_eq_u32_e32 vcc_lo, 0, v110
	s_or_b32 s0, vcc_lo, s0
	s_wait_loadcnt_dscnt 0x0
	v_pk_mul_f32 v[116:117], v[114:115], v[112:113] op_sel:[1,1] op_sel_hi:[0,1]
	s_delay_alu instid0(VALU_DEP_1) | instskip(SKIP_1) | instid1(VALU_DEP_2)
	v_pk_fma_f32 v[118:119], v[114:115], v[112:113], v[116:117] op_sel_hi:[1,0,1]
	v_pk_fma_f32 v[112:113], v[114:115], v[112:113], v[116:117] neg_lo:[0,0,1] neg_hi:[0,0,1]
	v_mov_b32_e32 v113, v119
	s_delay_alu instid0(VALU_DEP_1)
	v_pk_add_f32 v[108:109], v[108:109], v[112:113]
	s_and_not1_b32 exec_lo, exec_lo, s0
	s_cbranch_execnz .LBB51_102
; %bb.103:
	s_or_b32 exec_lo, exec_lo, s0
.LBB51_104:
	s_delay_alu instid0(SALU_CYCLE_1) | instskip(SKIP_4) | instid1(VALU_DEP_1)
	s_or_b32 exec_lo, exec_lo, s27
	v_mov_b32_e32 v110, 0
	ds_load_b64 v[110:111], v110 offset:328
	s_wait_dscnt 0x0
	v_pk_mul_f32 v[112:113], v[108:109], v[110:111] op_sel:[1,1] op_sel_hi:[0,1]
	v_pk_fma_f32 v[114:115], v[108:109], v[110:111], v[112:113] op_sel_hi:[1,0,1]
	v_pk_fma_f32 v[108:109], v[108:109], v[110:111], v[112:113] neg_lo:[0,0,1] neg_hi:[0,0,1]
	s_delay_alu instid0(VALU_DEP_2)
	v_mov_b32_e32 v109, v115
	scratch_store_b64 off, v[108:109], off offset:328
.LBB51_105:
	s_wait_xcnt 0x0
	s_or_b32 exec_lo, exec_lo, s26
	scratch_load_b64 v[108:109], off, off offset:320
	v_cmp_lt_u32_e64 s0, 40, v0
	s_wait_loadcnt 0x0
	ds_store_b64 v1, v[108:109]
	s_wait_storecnt_dscnt 0x0
	s_barrier_signal -1
	s_barrier_wait -1
	s_wait_xcnt 0x0
	s_and_saveexec_b32 s25, s0
	s_cbranch_execz .LBB51_115
; %bb.106:
	s_and_not1_b32 vcc_lo, exec_lo, s3
	s_cbranch_vccnz .LBB51_108
; %bb.107:
	scratch_load_b64 v[108:109], v55, off
	ds_load_b64 v[110:111], v1
	s_wait_loadcnt_dscnt 0x0
	v_pk_mul_f32 v[112:113], v[110:111], v[108:109] op_sel:[1,1] op_sel_hi:[0,1]
	s_delay_alu instid0(VALU_DEP_1) | instskip(SKIP_1) | instid1(VALU_DEP_2)
	v_pk_fma_f32 v[114:115], v[110:111], v[108:109], v[112:113] op_sel_hi:[1,0,1]
	v_pk_fma_f32 v[108:109], v[110:111], v[108:109], v[112:113] neg_lo:[0,0,1] neg_hi:[0,0,1]
	v_mov_b32_e32 v109, v115
	s_cbranch_execz .LBB51_109
	s_branch .LBB51_110
.LBB51_108:
                                        ; implicit-def: $vgpr108_vgpr109
.LBB51_109:
	ds_load_b64 v[108:109], v1
.LBB51_110:
	s_and_saveexec_b32 s26, s1
	s_cbranch_execz .LBB51_114
; %bb.111:
	v_subrev_nc_u32_e32 v110, 41, v0
	s_movk_i32 s1, 0x148
	s_movk_i32 s28, 0x2e8
	s_mov_b32 s27, 0
.LBB51_112:                             ; =>This Inner Loop Header: Depth=1
	scratch_load_b64 v[112:113], off, s1
	v_dual_mov_b32 v111, s28 :: v_dual_add_nc_u32 v110, -1, v110
	s_add_co_i32 s28, s28, 8
	s_wait_xcnt 0x0
	s_add_co_i32 s1, s1, 8
	ds_load_b64 v[114:115], v111
	v_cmp_eq_u32_e32 vcc_lo, 0, v110
	s_or_b32 s27, vcc_lo, s27
	s_wait_loadcnt_dscnt 0x0
	v_pk_mul_f32 v[116:117], v[114:115], v[112:113] op_sel:[1,1] op_sel_hi:[0,1]
	s_delay_alu instid0(VALU_DEP_1) | instskip(SKIP_1) | instid1(VALU_DEP_2)
	v_pk_fma_f32 v[118:119], v[114:115], v[112:113], v[116:117] op_sel_hi:[1,0,1]
	v_pk_fma_f32 v[112:113], v[114:115], v[112:113], v[116:117] neg_lo:[0,0,1] neg_hi:[0,0,1]
	v_mov_b32_e32 v113, v119
	s_delay_alu instid0(VALU_DEP_1)
	v_pk_add_f32 v[108:109], v[108:109], v[112:113]
	s_and_not1_b32 exec_lo, exec_lo, s27
	s_cbranch_execnz .LBB51_112
; %bb.113:
	s_or_b32 exec_lo, exec_lo, s27
.LBB51_114:
	s_delay_alu instid0(SALU_CYCLE_1) | instskip(SKIP_4) | instid1(VALU_DEP_1)
	s_or_b32 exec_lo, exec_lo, s26
	v_mov_b32_e32 v110, 0
	ds_load_b64 v[110:111], v110 offset:320
	s_wait_dscnt 0x0
	v_pk_mul_f32 v[112:113], v[108:109], v[110:111] op_sel:[1,1] op_sel_hi:[0,1]
	v_pk_fma_f32 v[114:115], v[108:109], v[110:111], v[112:113] op_sel_hi:[1,0,1]
	v_pk_fma_f32 v[108:109], v[108:109], v[110:111], v[112:113] neg_lo:[0,0,1] neg_hi:[0,0,1]
	s_delay_alu instid0(VALU_DEP_2)
	v_mov_b32_e32 v109, v115
	scratch_store_b64 off, v[108:109], off offset:320
.LBB51_115:
	s_wait_xcnt 0x0
	s_or_b32 exec_lo, exec_lo, s25
	scratch_load_b64 v[108:109], off, off offset:312
	v_cmp_lt_u32_e64 s1, 39, v0
	s_wait_loadcnt 0x0
	ds_store_b64 v1, v[108:109]
	s_wait_storecnt_dscnt 0x0
	s_barrier_signal -1
	s_barrier_wait -1
	s_wait_xcnt 0x0
	s_and_saveexec_b32 s25, s1
	s_cbranch_execz .LBB51_125
; %bb.116:
	s_and_not1_b32 vcc_lo, exec_lo, s3
	s_cbranch_vccnz .LBB51_118
; %bb.117:
	scratch_load_b64 v[108:109], v55, off
	ds_load_b64 v[110:111], v1
	s_wait_loadcnt_dscnt 0x0
	v_pk_mul_f32 v[112:113], v[110:111], v[108:109] op_sel:[1,1] op_sel_hi:[0,1]
	s_delay_alu instid0(VALU_DEP_1) | instskip(SKIP_1) | instid1(VALU_DEP_2)
	v_pk_fma_f32 v[114:115], v[110:111], v[108:109], v[112:113] op_sel_hi:[1,0,1]
	v_pk_fma_f32 v[108:109], v[110:111], v[108:109], v[112:113] neg_lo:[0,0,1] neg_hi:[0,0,1]
	v_mov_b32_e32 v109, v115
	s_cbranch_execz .LBB51_119
	s_branch .LBB51_120
.LBB51_118:
                                        ; implicit-def: $vgpr108_vgpr109
.LBB51_119:
	ds_load_b64 v[108:109], v1
.LBB51_120:
	s_and_saveexec_b32 s26, s0
	s_cbranch_execz .LBB51_124
; %bb.121:
	v_subrev_nc_u32_e32 v110, 40, v0
	s_movk_i32 s27, 0x2e0
	s_mov_b32 s0, 0
.LBB51_122:                             ; =>This Inner Loop Header: Depth=1
	scratch_load_b64 v[112:113], off, s24
	v_dual_mov_b32 v111, s27 :: v_dual_add_nc_u32 v110, -1, v110
	s_add_co_i32 s27, s27, 8
	s_wait_xcnt 0x0
	s_add_co_i32 s24, s24, 8
	ds_load_b64 v[114:115], v111
	v_cmp_eq_u32_e32 vcc_lo, 0, v110
	s_or_b32 s0, vcc_lo, s0
	s_wait_loadcnt_dscnt 0x0
	v_pk_mul_f32 v[116:117], v[114:115], v[112:113] op_sel:[1,1] op_sel_hi:[0,1]
	s_delay_alu instid0(VALU_DEP_1) | instskip(SKIP_1) | instid1(VALU_DEP_2)
	v_pk_fma_f32 v[118:119], v[114:115], v[112:113], v[116:117] op_sel_hi:[1,0,1]
	v_pk_fma_f32 v[112:113], v[114:115], v[112:113], v[116:117] neg_lo:[0,0,1] neg_hi:[0,0,1]
	v_mov_b32_e32 v113, v119
	s_delay_alu instid0(VALU_DEP_1)
	v_pk_add_f32 v[108:109], v[108:109], v[112:113]
	s_and_not1_b32 exec_lo, exec_lo, s0
	s_cbranch_execnz .LBB51_122
; %bb.123:
	s_or_b32 exec_lo, exec_lo, s0
.LBB51_124:
	s_delay_alu instid0(SALU_CYCLE_1) | instskip(SKIP_4) | instid1(VALU_DEP_1)
	s_or_b32 exec_lo, exec_lo, s26
	v_mov_b32_e32 v110, 0
	ds_load_b64 v[110:111], v110 offset:312
	s_wait_dscnt 0x0
	v_pk_mul_f32 v[112:113], v[108:109], v[110:111] op_sel:[1,1] op_sel_hi:[0,1]
	v_pk_fma_f32 v[114:115], v[108:109], v[110:111], v[112:113] op_sel_hi:[1,0,1]
	v_pk_fma_f32 v[108:109], v[108:109], v[110:111], v[112:113] neg_lo:[0,0,1] neg_hi:[0,0,1]
	s_delay_alu instid0(VALU_DEP_2)
	v_mov_b32_e32 v109, v115
	scratch_store_b64 off, v[108:109], off offset:312
.LBB51_125:
	s_wait_xcnt 0x0
	s_or_b32 exec_lo, exec_lo, s25
	scratch_load_b64 v[108:109], off, off offset:304
	v_cmp_lt_u32_e64 s0, 38, v0
	s_wait_loadcnt 0x0
	ds_store_b64 v1, v[108:109]
	s_wait_storecnt_dscnt 0x0
	s_barrier_signal -1
	s_barrier_wait -1
	s_wait_xcnt 0x0
	s_and_saveexec_b32 s24, s0
	s_cbranch_execz .LBB51_135
; %bb.126:
	s_and_not1_b32 vcc_lo, exec_lo, s3
	s_cbranch_vccnz .LBB51_128
; %bb.127:
	scratch_load_b64 v[108:109], v55, off
	ds_load_b64 v[110:111], v1
	s_wait_loadcnt_dscnt 0x0
	v_pk_mul_f32 v[112:113], v[110:111], v[108:109] op_sel:[1,1] op_sel_hi:[0,1]
	s_delay_alu instid0(VALU_DEP_1) | instskip(SKIP_1) | instid1(VALU_DEP_2)
	v_pk_fma_f32 v[114:115], v[110:111], v[108:109], v[112:113] op_sel_hi:[1,0,1]
	v_pk_fma_f32 v[108:109], v[110:111], v[108:109], v[112:113] neg_lo:[0,0,1] neg_hi:[0,0,1]
	v_mov_b32_e32 v109, v115
	s_cbranch_execz .LBB51_129
	s_branch .LBB51_130
.LBB51_128:
                                        ; implicit-def: $vgpr108_vgpr109
.LBB51_129:
	ds_load_b64 v[108:109], v1
.LBB51_130:
	s_and_saveexec_b32 s25, s1
	s_cbranch_execz .LBB51_134
; %bb.131:
	v_subrev_nc_u32_e32 v110, 39, v0
	s_movk_i32 s1, 0x138
	s_movk_i32 s27, 0x2d8
	s_mov_b32 s26, 0
.LBB51_132:                             ; =>This Inner Loop Header: Depth=1
	scratch_load_b64 v[112:113], off, s1
	v_dual_mov_b32 v111, s27 :: v_dual_add_nc_u32 v110, -1, v110
	s_add_co_i32 s27, s27, 8
	s_wait_xcnt 0x0
	s_add_co_i32 s1, s1, 8
	ds_load_b64 v[114:115], v111
	v_cmp_eq_u32_e32 vcc_lo, 0, v110
	s_or_b32 s26, vcc_lo, s26
	s_wait_loadcnt_dscnt 0x0
	v_pk_mul_f32 v[116:117], v[114:115], v[112:113] op_sel:[1,1] op_sel_hi:[0,1]
	s_delay_alu instid0(VALU_DEP_1) | instskip(SKIP_1) | instid1(VALU_DEP_2)
	v_pk_fma_f32 v[118:119], v[114:115], v[112:113], v[116:117] op_sel_hi:[1,0,1]
	v_pk_fma_f32 v[112:113], v[114:115], v[112:113], v[116:117] neg_lo:[0,0,1] neg_hi:[0,0,1]
	v_mov_b32_e32 v113, v119
	s_delay_alu instid0(VALU_DEP_1)
	v_pk_add_f32 v[108:109], v[108:109], v[112:113]
	s_and_not1_b32 exec_lo, exec_lo, s26
	s_cbranch_execnz .LBB51_132
; %bb.133:
	s_or_b32 exec_lo, exec_lo, s26
.LBB51_134:
	s_delay_alu instid0(SALU_CYCLE_1) | instskip(SKIP_4) | instid1(VALU_DEP_1)
	s_or_b32 exec_lo, exec_lo, s25
	v_mov_b32_e32 v110, 0
	ds_load_b64 v[110:111], v110 offset:304
	s_wait_dscnt 0x0
	v_pk_mul_f32 v[112:113], v[108:109], v[110:111] op_sel:[1,1] op_sel_hi:[0,1]
	v_pk_fma_f32 v[114:115], v[108:109], v[110:111], v[112:113] op_sel_hi:[1,0,1]
	v_pk_fma_f32 v[108:109], v[108:109], v[110:111], v[112:113] neg_lo:[0,0,1] neg_hi:[0,0,1]
	s_delay_alu instid0(VALU_DEP_2)
	v_mov_b32_e32 v109, v115
	scratch_store_b64 off, v[108:109], off offset:304
.LBB51_135:
	s_wait_xcnt 0x0
	s_or_b32 exec_lo, exec_lo, s24
	scratch_load_b64 v[108:109], off, off offset:296
	v_cmp_lt_u32_e64 s1, 37, v0
	s_wait_loadcnt 0x0
	ds_store_b64 v1, v[108:109]
	s_wait_storecnt_dscnt 0x0
	s_barrier_signal -1
	s_barrier_wait -1
	s_wait_xcnt 0x0
	s_and_saveexec_b32 s24, s1
	s_cbranch_execz .LBB51_145
; %bb.136:
	s_and_not1_b32 vcc_lo, exec_lo, s3
	s_cbranch_vccnz .LBB51_138
; %bb.137:
	scratch_load_b64 v[108:109], v55, off
	ds_load_b64 v[110:111], v1
	s_wait_loadcnt_dscnt 0x0
	v_pk_mul_f32 v[112:113], v[110:111], v[108:109] op_sel:[1,1] op_sel_hi:[0,1]
	s_delay_alu instid0(VALU_DEP_1) | instskip(SKIP_1) | instid1(VALU_DEP_2)
	v_pk_fma_f32 v[114:115], v[110:111], v[108:109], v[112:113] op_sel_hi:[1,0,1]
	v_pk_fma_f32 v[108:109], v[110:111], v[108:109], v[112:113] neg_lo:[0,0,1] neg_hi:[0,0,1]
	v_mov_b32_e32 v109, v115
	s_cbranch_execz .LBB51_139
	s_branch .LBB51_140
.LBB51_138:
                                        ; implicit-def: $vgpr108_vgpr109
.LBB51_139:
	ds_load_b64 v[108:109], v1
.LBB51_140:
	s_and_saveexec_b32 s25, s0
	s_cbranch_execz .LBB51_144
; %bb.141:
	v_subrev_nc_u32_e32 v110, 38, v0
	s_movk_i32 s26, 0x2d0
	s_mov_b32 s0, 0
.LBB51_142:                             ; =>This Inner Loop Header: Depth=1
	scratch_load_b64 v[112:113], off, s23
	v_dual_mov_b32 v111, s26 :: v_dual_add_nc_u32 v110, -1, v110
	s_add_co_i32 s26, s26, 8
	s_wait_xcnt 0x0
	s_add_co_i32 s23, s23, 8
	ds_load_b64 v[114:115], v111
	v_cmp_eq_u32_e32 vcc_lo, 0, v110
	s_or_b32 s0, vcc_lo, s0
	s_wait_loadcnt_dscnt 0x0
	v_pk_mul_f32 v[116:117], v[114:115], v[112:113] op_sel:[1,1] op_sel_hi:[0,1]
	s_delay_alu instid0(VALU_DEP_1) | instskip(SKIP_1) | instid1(VALU_DEP_2)
	v_pk_fma_f32 v[118:119], v[114:115], v[112:113], v[116:117] op_sel_hi:[1,0,1]
	v_pk_fma_f32 v[112:113], v[114:115], v[112:113], v[116:117] neg_lo:[0,0,1] neg_hi:[0,0,1]
	v_mov_b32_e32 v113, v119
	s_delay_alu instid0(VALU_DEP_1)
	v_pk_add_f32 v[108:109], v[108:109], v[112:113]
	s_and_not1_b32 exec_lo, exec_lo, s0
	s_cbranch_execnz .LBB51_142
; %bb.143:
	s_or_b32 exec_lo, exec_lo, s0
.LBB51_144:
	s_delay_alu instid0(SALU_CYCLE_1) | instskip(SKIP_4) | instid1(VALU_DEP_1)
	s_or_b32 exec_lo, exec_lo, s25
	v_mov_b32_e32 v110, 0
	ds_load_b64 v[110:111], v110 offset:296
	s_wait_dscnt 0x0
	v_pk_mul_f32 v[112:113], v[108:109], v[110:111] op_sel:[1,1] op_sel_hi:[0,1]
	v_pk_fma_f32 v[114:115], v[108:109], v[110:111], v[112:113] op_sel_hi:[1,0,1]
	v_pk_fma_f32 v[108:109], v[108:109], v[110:111], v[112:113] neg_lo:[0,0,1] neg_hi:[0,0,1]
	s_delay_alu instid0(VALU_DEP_2)
	v_mov_b32_e32 v109, v115
	scratch_store_b64 off, v[108:109], off offset:296
.LBB51_145:
	s_wait_xcnt 0x0
	s_or_b32 exec_lo, exec_lo, s24
	scratch_load_b64 v[108:109], off, off offset:288
	v_cmp_lt_u32_e64 s0, 36, v0
	s_wait_loadcnt 0x0
	ds_store_b64 v1, v[108:109]
	s_wait_storecnt_dscnt 0x0
	s_barrier_signal -1
	s_barrier_wait -1
	s_wait_xcnt 0x0
	s_and_saveexec_b32 s23, s0
	s_cbranch_execz .LBB51_155
; %bb.146:
	s_and_not1_b32 vcc_lo, exec_lo, s3
	s_cbranch_vccnz .LBB51_148
; %bb.147:
	scratch_load_b64 v[108:109], v55, off
	ds_load_b64 v[110:111], v1
	s_wait_loadcnt_dscnt 0x0
	v_pk_mul_f32 v[112:113], v[110:111], v[108:109] op_sel:[1,1] op_sel_hi:[0,1]
	s_delay_alu instid0(VALU_DEP_1) | instskip(SKIP_1) | instid1(VALU_DEP_2)
	v_pk_fma_f32 v[114:115], v[110:111], v[108:109], v[112:113] op_sel_hi:[1,0,1]
	v_pk_fma_f32 v[108:109], v[110:111], v[108:109], v[112:113] neg_lo:[0,0,1] neg_hi:[0,0,1]
	v_mov_b32_e32 v109, v115
	s_cbranch_execz .LBB51_149
	s_branch .LBB51_150
.LBB51_148:
                                        ; implicit-def: $vgpr108_vgpr109
.LBB51_149:
	ds_load_b64 v[108:109], v1
.LBB51_150:
	s_and_saveexec_b32 s24, s1
	s_cbranch_execz .LBB51_154
; %bb.151:
	v_subrev_nc_u32_e32 v110, 37, v0
	s_movk_i32 s1, 0x128
	s_movk_i32 s26, 0x2c8
	s_mov_b32 s25, 0
.LBB51_152:                             ; =>This Inner Loop Header: Depth=1
	scratch_load_b64 v[112:113], off, s1
	v_dual_mov_b32 v111, s26 :: v_dual_add_nc_u32 v110, -1, v110
	s_add_co_i32 s26, s26, 8
	s_wait_xcnt 0x0
	s_add_co_i32 s1, s1, 8
	ds_load_b64 v[114:115], v111
	v_cmp_eq_u32_e32 vcc_lo, 0, v110
	s_or_b32 s25, vcc_lo, s25
	s_wait_loadcnt_dscnt 0x0
	v_pk_mul_f32 v[116:117], v[114:115], v[112:113] op_sel:[1,1] op_sel_hi:[0,1]
	s_delay_alu instid0(VALU_DEP_1) | instskip(SKIP_1) | instid1(VALU_DEP_2)
	v_pk_fma_f32 v[118:119], v[114:115], v[112:113], v[116:117] op_sel_hi:[1,0,1]
	v_pk_fma_f32 v[112:113], v[114:115], v[112:113], v[116:117] neg_lo:[0,0,1] neg_hi:[0,0,1]
	v_mov_b32_e32 v113, v119
	s_delay_alu instid0(VALU_DEP_1)
	v_pk_add_f32 v[108:109], v[108:109], v[112:113]
	s_and_not1_b32 exec_lo, exec_lo, s25
	s_cbranch_execnz .LBB51_152
; %bb.153:
	s_or_b32 exec_lo, exec_lo, s25
.LBB51_154:
	s_delay_alu instid0(SALU_CYCLE_1) | instskip(SKIP_4) | instid1(VALU_DEP_1)
	s_or_b32 exec_lo, exec_lo, s24
	v_mov_b32_e32 v110, 0
	ds_load_b64 v[110:111], v110 offset:288
	s_wait_dscnt 0x0
	v_pk_mul_f32 v[112:113], v[108:109], v[110:111] op_sel:[1,1] op_sel_hi:[0,1]
	v_pk_fma_f32 v[114:115], v[108:109], v[110:111], v[112:113] op_sel_hi:[1,0,1]
	v_pk_fma_f32 v[108:109], v[108:109], v[110:111], v[112:113] neg_lo:[0,0,1] neg_hi:[0,0,1]
	s_delay_alu instid0(VALU_DEP_2)
	v_mov_b32_e32 v109, v115
	scratch_store_b64 off, v[108:109], off offset:288
.LBB51_155:
	s_wait_xcnt 0x0
	s_or_b32 exec_lo, exec_lo, s23
	scratch_load_b64 v[108:109], off, off offset:280
	v_cmp_lt_u32_e64 s1, 35, v0
	s_wait_loadcnt 0x0
	ds_store_b64 v1, v[108:109]
	s_wait_storecnt_dscnt 0x0
	s_barrier_signal -1
	s_barrier_wait -1
	s_wait_xcnt 0x0
	s_and_saveexec_b32 s23, s1
	s_cbranch_execz .LBB51_165
; %bb.156:
	s_and_not1_b32 vcc_lo, exec_lo, s3
	s_cbranch_vccnz .LBB51_158
; %bb.157:
	scratch_load_b64 v[108:109], v55, off
	ds_load_b64 v[110:111], v1
	s_wait_loadcnt_dscnt 0x0
	v_pk_mul_f32 v[112:113], v[110:111], v[108:109] op_sel:[1,1] op_sel_hi:[0,1]
	s_delay_alu instid0(VALU_DEP_1) | instskip(SKIP_1) | instid1(VALU_DEP_2)
	v_pk_fma_f32 v[114:115], v[110:111], v[108:109], v[112:113] op_sel_hi:[1,0,1]
	v_pk_fma_f32 v[108:109], v[110:111], v[108:109], v[112:113] neg_lo:[0,0,1] neg_hi:[0,0,1]
	v_mov_b32_e32 v109, v115
	s_cbranch_execz .LBB51_159
	s_branch .LBB51_160
.LBB51_158:
                                        ; implicit-def: $vgpr108_vgpr109
.LBB51_159:
	ds_load_b64 v[108:109], v1
.LBB51_160:
	s_and_saveexec_b32 s24, s0
	s_cbranch_execz .LBB51_164
; %bb.161:
	v_subrev_nc_u32_e32 v110, 36, v0
	s_movk_i32 s25, 0x2c0
	s_mov_b32 s0, 0
.LBB51_162:                             ; =>This Inner Loop Header: Depth=1
	scratch_load_b64 v[112:113], off, s22
	v_dual_mov_b32 v111, s25 :: v_dual_add_nc_u32 v110, -1, v110
	s_add_co_i32 s25, s25, 8
	s_wait_xcnt 0x0
	s_add_co_i32 s22, s22, 8
	ds_load_b64 v[114:115], v111
	v_cmp_eq_u32_e32 vcc_lo, 0, v110
	s_or_b32 s0, vcc_lo, s0
	s_wait_loadcnt_dscnt 0x0
	v_pk_mul_f32 v[116:117], v[114:115], v[112:113] op_sel:[1,1] op_sel_hi:[0,1]
	s_delay_alu instid0(VALU_DEP_1) | instskip(SKIP_1) | instid1(VALU_DEP_2)
	v_pk_fma_f32 v[118:119], v[114:115], v[112:113], v[116:117] op_sel_hi:[1,0,1]
	v_pk_fma_f32 v[112:113], v[114:115], v[112:113], v[116:117] neg_lo:[0,0,1] neg_hi:[0,0,1]
	v_mov_b32_e32 v113, v119
	s_delay_alu instid0(VALU_DEP_1)
	v_pk_add_f32 v[108:109], v[108:109], v[112:113]
	s_and_not1_b32 exec_lo, exec_lo, s0
	s_cbranch_execnz .LBB51_162
; %bb.163:
	s_or_b32 exec_lo, exec_lo, s0
.LBB51_164:
	s_delay_alu instid0(SALU_CYCLE_1) | instskip(SKIP_4) | instid1(VALU_DEP_1)
	s_or_b32 exec_lo, exec_lo, s24
	v_mov_b32_e32 v110, 0
	ds_load_b64 v[110:111], v110 offset:280
	s_wait_dscnt 0x0
	v_pk_mul_f32 v[112:113], v[108:109], v[110:111] op_sel:[1,1] op_sel_hi:[0,1]
	v_pk_fma_f32 v[114:115], v[108:109], v[110:111], v[112:113] op_sel_hi:[1,0,1]
	v_pk_fma_f32 v[108:109], v[108:109], v[110:111], v[112:113] neg_lo:[0,0,1] neg_hi:[0,0,1]
	s_delay_alu instid0(VALU_DEP_2)
	v_mov_b32_e32 v109, v115
	scratch_store_b64 off, v[108:109], off offset:280
.LBB51_165:
	s_wait_xcnt 0x0
	s_or_b32 exec_lo, exec_lo, s23
	scratch_load_b64 v[108:109], off, off offset:272
	v_cmp_lt_u32_e64 s0, 34, v0
	s_wait_loadcnt 0x0
	ds_store_b64 v1, v[108:109]
	s_wait_storecnt_dscnt 0x0
	s_barrier_signal -1
	s_barrier_wait -1
	s_wait_xcnt 0x0
	s_and_saveexec_b32 s22, s0
	s_cbranch_execz .LBB51_175
; %bb.166:
	s_and_not1_b32 vcc_lo, exec_lo, s3
	s_cbranch_vccnz .LBB51_168
; %bb.167:
	scratch_load_b64 v[108:109], v55, off
	ds_load_b64 v[110:111], v1
	s_wait_loadcnt_dscnt 0x0
	v_pk_mul_f32 v[112:113], v[110:111], v[108:109] op_sel:[1,1] op_sel_hi:[0,1]
	s_delay_alu instid0(VALU_DEP_1) | instskip(SKIP_1) | instid1(VALU_DEP_2)
	v_pk_fma_f32 v[114:115], v[110:111], v[108:109], v[112:113] op_sel_hi:[1,0,1]
	v_pk_fma_f32 v[108:109], v[110:111], v[108:109], v[112:113] neg_lo:[0,0,1] neg_hi:[0,0,1]
	v_mov_b32_e32 v109, v115
	s_cbranch_execz .LBB51_169
	s_branch .LBB51_170
.LBB51_168:
                                        ; implicit-def: $vgpr108_vgpr109
.LBB51_169:
	ds_load_b64 v[108:109], v1
.LBB51_170:
	s_and_saveexec_b32 s23, s1
	s_cbranch_execz .LBB51_174
; %bb.171:
	v_subrev_nc_u32_e32 v110, 35, v0
	s_movk_i32 s1, 0x118
	s_movk_i32 s25, 0x2b8
	s_mov_b32 s24, 0
.LBB51_172:                             ; =>This Inner Loop Header: Depth=1
	scratch_load_b64 v[112:113], off, s1
	v_dual_mov_b32 v111, s25 :: v_dual_add_nc_u32 v110, -1, v110
	s_add_co_i32 s25, s25, 8
	s_wait_xcnt 0x0
	s_add_co_i32 s1, s1, 8
	ds_load_b64 v[114:115], v111
	v_cmp_eq_u32_e32 vcc_lo, 0, v110
	s_or_b32 s24, vcc_lo, s24
	s_wait_loadcnt_dscnt 0x0
	v_pk_mul_f32 v[116:117], v[114:115], v[112:113] op_sel:[1,1] op_sel_hi:[0,1]
	s_delay_alu instid0(VALU_DEP_1) | instskip(SKIP_1) | instid1(VALU_DEP_2)
	v_pk_fma_f32 v[118:119], v[114:115], v[112:113], v[116:117] op_sel_hi:[1,0,1]
	v_pk_fma_f32 v[112:113], v[114:115], v[112:113], v[116:117] neg_lo:[0,0,1] neg_hi:[0,0,1]
	v_mov_b32_e32 v113, v119
	s_delay_alu instid0(VALU_DEP_1)
	v_pk_add_f32 v[108:109], v[108:109], v[112:113]
	s_and_not1_b32 exec_lo, exec_lo, s24
	s_cbranch_execnz .LBB51_172
; %bb.173:
	s_or_b32 exec_lo, exec_lo, s24
.LBB51_174:
	s_delay_alu instid0(SALU_CYCLE_1) | instskip(SKIP_4) | instid1(VALU_DEP_1)
	s_or_b32 exec_lo, exec_lo, s23
	v_mov_b32_e32 v110, 0
	ds_load_b64 v[110:111], v110 offset:272
	s_wait_dscnt 0x0
	v_pk_mul_f32 v[112:113], v[108:109], v[110:111] op_sel:[1,1] op_sel_hi:[0,1]
	v_pk_fma_f32 v[114:115], v[108:109], v[110:111], v[112:113] op_sel_hi:[1,0,1]
	v_pk_fma_f32 v[108:109], v[108:109], v[110:111], v[112:113] neg_lo:[0,0,1] neg_hi:[0,0,1]
	s_delay_alu instid0(VALU_DEP_2)
	v_mov_b32_e32 v109, v115
	scratch_store_b64 off, v[108:109], off offset:272
.LBB51_175:
	s_wait_xcnt 0x0
	s_or_b32 exec_lo, exec_lo, s22
	scratch_load_b64 v[108:109], off, off offset:264
	v_cmp_lt_u32_e64 s1, 33, v0
	s_wait_loadcnt 0x0
	ds_store_b64 v1, v[108:109]
	s_wait_storecnt_dscnt 0x0
	s_barrier_signal -1
	s_barrier_wait -1
	s_wait_xcnt 0x0
	s_and_saveexec_b32 s22, s1
	s_cbranch_execz .LBB51_185
; %bb.176:
	s_and_not1_b32 vcc_lo, exec_lo, s3
	s_cbranch_vccnz .LBB51_178
; %bb.177:
	scratch_load_b64 v[108:109], v55, off
	ds_load_b64 v[110:111], v1
	s_wait_loadcnt_dscnt 0x0
	v_pk_mul_f32 v[112:113], v[110:111], v[108:109] op_sel:[1,1] op_sel_hi:[0,1]
	s_delay_alu instid0(VALU_DEP_1) | instskip(SKIP_1) | instid1(VALU_DEP_2)
	v_pk_fma_f32 v[114:115], v[110:111], v[108:109], v[112:113] op_sel_hi:[1,0,1]
	v_pk_fma_f32 v[108:109], v[110:111], v[108:109], v[112:113] neg_lo:[0,0,1] neg_hi:[0,0,1]
	v_mov_b32_e32 v109, v115
	s_cbranch_execz .LBB51_179
	s_branch .LBB51_180
.LBB51_178:
                                        ; implicit-def: $vgpr108_vgpr109
.LBB51_179:
	ds_load_b64 v[108:109], v1
.LBB51_180:
	s_and_saveexec_b32 s23, s0
	s_cbranch_execz .LBB51_184
; %bb.181:
	v_subrev_nc_u32_e32 v110, 34, v0
	s_movk_i32 s24, 0x2b0
	s_mov_b32 s0, 0
.LBB51_182:                             ; =>This Inner Loop Header: Depth=1
	scratch_load_b64 v[112:113], off, s21
	v_dual_mov_b32 v111, s24 :: v_dual_add_nc_u32 v110, -1, v110
	s_add_co_i32 s24, s24, 8
	s_wait_xcnt 0x0
	s_add_co_i32 s21, s21, 8
	ds_load_b64 v[114:115], v111
	v_cmp_eq_u32_e32 vcc_lo, 0, v110
	s_or_b32 s0, vcc_lo, s0
	s_wait_loadcnt_dscnt 0x0
	v_pk_mul_f32 v[116:117], v[114:115], v[112:113] op_sel:[1,1] op_sel_hi:[0,1]
	s_delay_alu instid0(VALU_DEP_1) | instskip(SKIP_1) | instid1(VALU_DEP_2)
	v_pk_fma_f32 v[118:119], v[114:115], v[112:113], v[116:117] op_sel_hi:[1,0,1]
	v_pk_fma_f32 v[112:113], v[114:115], v[112:113], v[116:117] neg_lo:[0,0,1] neg_hi:[0,0,1]
	v_mov_b32_e32 v113, v119
	s_delay_alu instid0(VALU_DEP_1)
	v_pk_add_f32 v[108:109], v[108:109], v[112:113]
	s_and_not1_b32 exec_lo, exec_lo, s0
	s_cbranch_execnz .LBB51_182
; %bb.183:
	s_or_b32 exec_lo, exec_lo, s0
.LBB51_184:
	s_delay_alu instid0(SALU_CYCLE_1) | instskip(SKIP_4) | instid1(VALU_DEP_1)
	s_or_b32 exec_lo, exec_lo, s23
	v_mov_b32_e32 v110, 0
	ds_load_b64 v[110:111], v110 offset:264
	s_wait_dscnt 0x0
	v_pk_mul_f32 v[112:113], v[108:109], v[110:111] op_sel:[1,1] op_sel_hi:[0,1]
	v_pk_fma_f32 v[114:115], v[108:109], v[110:111], v[112:113] op_sel_hi:[1,0,1]
	v_pk_fma_f32 v[108:109], v[108:109], v[110:111], v[112:113] neg_lo:[0,0,1] neg_hi:[0,0,1]
	s_delay_alu instid0(VALU_DEP_2)
	v_mov_b32_e32 v109, v115
	scratch_store_b64 off, v[108:109], off offset:264
.LBB51_185:
	s_wait_xcnt 0x0
	s_or_b32 exec_lo, exec_lo, s22
	scratch_load_b64 v[108:109], off, off offset:256
	v_cmp_lt_u32_e64 s0, 32, v0
	s_wait_loadcnt 0x0
	ds_store_b64 v1, v[108:109]
	s_wait_storecnt_dscnt 0x0
	s_barrier_signal -1
	s_barrier_wait -1
	s_wait_xcnt 0x0
	s_and_saveexec_b32 s21, s0
	s_cbranch_execz .LBB51_195
; %bb.186:
	s_and_not1_b32 vcc_lo, exec_lo, s3
	s_cbranch_vccnz .LBB51_188
; %bb.187:
	scratch_load_b64 v[108:109], v55, off
	ds_load_b64 v[110:111], v1
	s_wait_loadcnt_dscnt 0x0
	v_pk_mul_f32 v[112:113], v[110:111], v[108:109] op_sel:[1,1] op_sel_hi:[0,1]
	s_delay_alu instid0(VALU_DEP_1) | instskip(SKIP_1) | instid1(VALU_DEP_2)
	v_pk_fma_f32 v[114:115], v[110:111], v[108:109], v[112:113] op_sel_hi:[1,0,1]
	v_pk_fma_f32 v[108:109], v[110:111], v[108:109], v[112:113] neg_lo:[0,0,1] neg_hi:[0,0,1]
	v_mov_b32_e32 v109, v115
	s_cbranch_execz .LBB51_189
	s_branch .LBB51_190
.LBB51_188:
                                        ; implicit-def: $vgpr108_vgpr109
.LBB51_189:
	ds_load_b64 v[108:109], v1
.LBB51_190:
	s_and_saveexec_b32 s22, s1
	s_cbranch_execz .LBB51_194
; %bb.191:
	v_subrev_nc_u32_e32 v110, 33, v0
	s_movk_i32 s1, 0x108
	s_movk_i32 s24, 0x2a8
	s_mov_b32 s23, 0
.LBB51_192:                             ; =>This Inner Loop Header: Depth=1
	scratch_load_b64 v[112:113], off, s1
	v_dual_mov_b32 v111, s24 :: v_dual_add_nc_u32 v110, -1, v110
	s_add_co_i32 s24, s24, 8
	s_wait_xcnt 0x0
	s_add_co_i32 s1, s1, 8
	ds_load_b64 v[114:115], v111
	v_cmp_eq_u32_e32 vcc_lo, 0, v110
	s_or_b32 s23, vcc_lo, s23
	s_wait_loadcnt_dscnt 0x0
	v_pk_mul_f32 v[116:117], v[114:115], v[112:113] op_sel:[1,1] op_sel_hi:[0,1]
	s_delay_alu instid0(VALU_DEP_1) | instskip(SKIP_1) | instid1(VALU_DEP_2)
	v_pk_fma_f32 v[118:119], v[114:115], v[112:113], v[116:117] op_sel_hi:[1,0,1]
	v_pk_fma_f32 v[112:113], v[114:115], v[112:113], v[116:117] neg_lo:[0,0,1] neg_hi:[0,0,1]
	v_mov_b32_e32 v113, v119
	s_delay_alu instid0(VALU_DEP_1)
	v_pk_add_f32 v[108:109], v[108:109], v[112:113]
	s_and_not1_b32 exec_lo, exec_lo, s23
	s_cbranch_execnz .LBB51_192
; %bb.193:
	s_or_b32 exec_lo, exec_lo, s23
.LBB51_194:
	s_delay_alu instid0(SALU_CYCLE_1) | instskip(SKIP_4) | instid1(VALU_DEP_1)
	s_or_b32 exec_lo, exec_lo, s22
	v_mov_b32_e32 v110, 0
	ds_load_b64 v[110:111], v110 offset:256
	s_wait_dscnt 0x0
	v_pk_mul_f32 v[112:113], v[108:109], v[110:111] op_sel:[1,1] op_sel_hi:[0,1]
	v_pk_fma_f32 v[114:115], v[108:109], v[110:111], v[112:113] op_sel_hi:[1,0,1]
	v_pk_fma_f32 v[108:109], v[108:109], v[110:111], v[112:113] neg_lo:[0,0,1] neg_hi:[0,0,1]
	s_delay_alu instid0(VALU_DEP_2)
	v_mov_b32_e32 v109, v115
	scratch_store_b64 off, v[108:109], off offset:256
.LBB51_195:
	s_wait_xcnt 0x0
	s_or_b32 exec_lo, exec_lo, s21
	scratch_load_b64 v[108:109], off, off offset:248
	v_cmp_lt_u32_e64 s1, 31, v0
	s_wait_loadcnt 0x0
	ds_store_b64 v1, v[108:109]
	s_wait_storecnt_dscnt 0x0
	s_barrier_signal -1
	s_barrier_wait -1
	s_wait_xcnt 0x0
	s_and_saveexec_b32 s21, s1
	s_cbranch_execz .LBB51_205
; %bb.196:
	s_and_not1_b32 vcc_lo, exec_lo, s3
	s_cbranch_vccnz .LBB51_198
; %bb.197:
	scratch_load_b64 v[108:109], v55, off
	ds_load_b64 v[110:111], v1
	s_wait_loadcnt_dscnt 0x0
	v_pk_mul_f32 v[112:113], v[110:111], v[108:109] op_sel:[1,1] op_sel_hi:[0,1]
	s_delay_alu instid0(VALU_DEP_1) | instskip(SKIP_1) | instid1(VALU_DEP_2)
	v_pk_fma_f32 v[114:115], v[110:111], v[108:109], v[112:113] op_sel_hi:[1,0,1]
	v_pk_fma_f32 v[108:109], v[110:111], v[108:109], v[112:113] neg_lo:[0,0,1] neg_hi:[0,0,1]
	v_mov_b32_e32 v109, v115
	s_cbranch_execz .LBB51_199
	s_branch .LBB51_200
.LBB51_198:
                                        ; implicit-def: $vgpr108_vgpr109
.LBB51_199:
	ds_load_b64 v[108:109], v1
.LBB51_200:
	s_and_saveexec_b32 s22, s0
	s_cbranch_execz .LBB51_204
; %bb.201:
	v_subrev_nc_u32_e32 v110, 32, v0
	s_movk_i32 s23, 0x2a0
	s_mov_b32 s0, 0
.LBB51_202:                             ; =>This Inner Loop Header: Depth=1
	scratch_load_b64 v[112:113], off, s20
	v_dual_mov_b32 v111, s23 :: v_dual_add_nc_u32 v110, -1, v110
	s_add_co_i32 s23, s23, 8
	s_wait_xcnt 0x0
	s_add_co_i32 s20, s20, 8
	ds_load_b64 v[114:115], v111
	v_cmp_eq_u32_e32 vcc_lo, 0, v110
	s_or_b32 s0, vcc_lo, s0
	s_wait_loadcnt_dscnt 0x0
	v_pk_mul_f32 v[116:117], v[114:115], v[112:113] op_sel:[1,1] op_sel_hi:[0,1]
	s_delay_alu instid0(VALU_DEP_1) | instskip(SKIP_1) | instid1(VALU_DEP_2)
	v_pk_fma_f32 v[118:119], v[114:115], v[112:113], v[116:117] op_sel_hi:[1,0,1]
	v_pk_fma_f32 v[112:113], v[114:115], v[112:113], v[116:117] neg_lo:[0,0,1] neg_hi:[0,0,1]
	v_mov_b32_e32 v113, v119
	s_delay_alu instid0(VALU_DEP_1)
	v_pk_add_f32 v[108:109], v[108:109], v[112:113]
	s_and_not1_b32 exec_lo, exec_lo, s0
	s_cbranch_execnz .LBB51_202
; %bb.203:
	s_or_b32 exec_lo, exec_lo, s0
.LBB51_204:
	s_delay_alu instid0(SALU_CYCLE_1) | instskip(SKIP_4) | instid1(VALU_DEP_1)
	s_or_b32 exec_lo, exec_lo, s22
	v_mov_b32_e32 v110, 0
	ds_load_b64 v[110:111], v110 offset:248
	s_wait_dscnt 0x0
	v_pk_mul_f32 v[112:113], v[108:109], v[110:111] op_sel:[1,1] op_sel_hi:[0,1]
	v_pk_fma_f32 v[114:115], v[108:109], v[110:111], v[112:113] op_sel_hi:[1,0,1]
	v_pk_fma_f32 v[108:109], v[108:109], v[110:111], v[112:113] neg_lo:[0,0,1] neg_hi:[0,0,1]
	s_delay_alu instid0(VALU_DEP_2)
	v_mov_b32_e32 v109, v115
	scratch_store_b64 off, v[108:109], off offset:248
.LBB51_205:
	s_wait_xcnt 0x0
	s_or_b32 exec_lo, exec_lo, s21
	scratch_load_b64 v[108:109], off, off offset:240
	v_cmp_lt_u32_e64 s0, 30, v0
	s_wait_loadcnt 0x0
	ds_store_b64 v1, v[108:109]
	s_wait_storecnt_dscnt 0x0
	s_barrier_signal -1
	s_barrier_wait -1
	s_wait_xcnt 0x0
	s_and_saveexec_b32 s20, s0
	s_cbranch_execz .LBB51_215
; %bb.206:
	s_and_not1_b32 vcc_lo, exec_lo, s3
	s_cbranch_vccnz .LBB51_208
; %bb.207:
	scratch_load_b64 v[108:109], v55, off
	ds_load_b64 v[110:111], v1
	s_wait_loadcnt_dscnt 0x0
	v_pk_mul_f32 v[112:113], v[110:111], v[108:109] op_sel:[1,1] op_sel_hi:[0,1]
	s_delay_alu instid0(VALU_DEP_1) | instskip(SKIP_1) | instid1(VALU_DEP_2)
	v_pk_fma_f32 v[114:115], v[110:111], v[108:109], v[112:113] op_sel_hi:[1,0,1]
	v_pk_fma_f32 v[108:109], v[110:111], v[108:109], v[112:113] neg_lo:[0,0,1] neg_hi:[0,0,1]
	v_mov_b32_e32 v109, v115
	s_cbranch_execz .LBB51_209
	s_branch .LBB51_210
.LBB51_208:
                                        ; implicit-def: $vgpr108_vgpr109
.LBB51_209:
	ds_load_b64 v[108:109], v1
.LBB51_210:
	s_and_saveexec_b32 s21, s1
	s_cbranch_execz .LBB51_214
; %bb.211:
	v_subrev_nc_u32_e32 v110, 31, v0
	s_movk_i32 s1, 0xf8
	s_movk_i32 s23, 0x298
	s_mov_b32 s22, 0
.LBB51_212:                             ; =>This Inner Loop Header: Depth=1
	scratch_load_b64 v[112:113], off, s1
	v_dual_mov_b32 v111, s23 :: v_dual_add_nc_u32 v110, -1, v110
	s_add_co_i32 s23, s23, 8
	s_wait_xcnt 0x0
	s_add_co_i32 s1, s1, 8
	ds_load_b64 v[114:115], v111
	v_cmp_eq_u32_e32 vcc_lo, 0, v110
	s_or_b32 s22, vcc_lo, s22
	s_wait_loadcnt_dscnt 0x0
	v_pk_mul_f32 v[116:117], v[114:115], v[112:113] op_sel:[1,1] op_sel_hi:[0,1]
	s_delay_alu instid0(VALU_DEP_1) | instskip(SKIP_1) | instid1(VALU_DEP_2)
	v_pk_fma_f32 v[118:119], v[114:115], v[112:113], v[116:117] op_sel_hi:[1,0,1]
	v_pk_fma_f32 v[112:113], v[114:115], v[112:113], v[116:117] neg_lo:[0,0,1] neg_hi:[0,0,1]
	v_mov_b32_e32 v113, v119
	s_delay_alu instid0(VALU_DEP_1)
	v_pk_add_f32 v[108:109], v[108:109], v[112:113]
	s_and_not1_b32 exec_lo, exec_lo, s22
	s_cbranch_execnz .LBB51_212
; %bb.213:
	s_or_b32 exec_lo, exec_lo, s22
.LBB51_214:
	s_delay_alu instid0(SALU_CYCLE_1) | instskip(SKIP_4) | instid1(VALU_DEP_1)
	s_or_b32 exec_lo, exec_lo, s21
	v_mov_b32_e32 v110, 0
	ds_load_b64 v[110:111], v110 offset:240
	s_wait_dscnt 0x0
	v_pk_mul_f32 v[112:113], v[108:109], v[110:111] op_sel:[1,1] op_sel_hi:[0,1]
	v_pk_fma_f32 v[114:115], v[108:109], v[110:111], v[112:113] op_sel_hi:[1,0,1]
	v_pk_fma_f32 v[108:109], v[108:109], v[110:111], v[112:113] neg_lo:[0,0,1] neg_hi:[0,0,1]
	s_delay_alu instid0(VALU_DEP_2)
	v_mov_b32_e32 v109, v115
	scratch_store_b64 off, v[108:109], off offset:240
.LBB51_215:
	s_wait_xcnt 0x0
	s_or_b32 exec_lo, exec_lo, s20
	scratch_load_b64 v[108:109], off, off offset:232
	v_cmp_lt_u32_e64 s1, 29, v0
	s_wait_loadcnt 0x0
	ds_store_b64 v1, v[108:109]
	s_wait_storecnt_dscnt 0x0
	s_barrier_signal -1
	s_barrier_wait -1
	s_wait_xcnt 0x0
	s_and_saveexec_b32 s20, s1
	s_cbranch_execz .LBB51_225
; %bb.216:
	s_and_not1_b32 vcc_lo, exec_lo, s3
	s_cbranch_vccnz .LBB51_218
; %bb.217:
	scratch_load_b64 v[108:109], v55, off
	ds_load_b64 v[110:111], v1
	s_wait_loadcnt_dscnt 0x0
	v_pk_mul_f32 v[112:113], v[110:111], v[108:109] op_sel:[1,1] op_sel_hi:[0,1]
	s_delay_alu instid0(VALU_DEP_1) | instskip(SKIP_1) | instid1(VALU_DEP_2)
	v_pk_fma_f32 v[114:115], v[110:111], v[108:109], v[112:113] op_sel_hi:[1,0,1]
	v_pk_fma_f32 v[108:109], v[110:111], v[108:109], v[112:113] neg_lo:[0,0,1] neg_hi:[0,0,1]
	v_mov_b32_e32 v109, v115
	s_cbranch_execz .LBB51_219
	s_branch .LBB51_220
.LBB51_218:
                                        ; implicit-def: $vgpr108_vgpr109
.LBB51_219:
	ds_load_b64 v[108:109], v1
.LBB51_220:
	s_and_saveexec_b32 s21, s0
	s_cbranch_execz .LBB51_224
; %bb.221:
	v_subrev_nc_u32_e32 v110, 30, v0
	s_movk_i32 s22, 0x290
	s_mov_b32 s0, 0
.LBB51_222:                             ; =>This Inner Loop Header: Depth=1
	scratch_load_b64 v[112:113], off, s19
	v_dual_mov_b32 v111, s22 :: v_dual_add_nc_u32 v110, -1, v110
	s_add_co_i32 s22, s22, 8
	s_wait_xcnt 0x0
	s_add_co_i32 s19, s19, 8
	ds_load_b64 v[114:115], v111
	v_cmp_eq_u32_e32 vcc_lo, 0, v110
	s_or_b32 s0, vcc_lo, s0
	s_wait_loadcnt_dscnt 0x0
	v_pk_mul_f32 v[116:117], v[114:115], v[112:113] op_sel:[1,1] op_sel_hi:[0,1]
	s_delay_alu instid0(VALU_DEP_1) | instskip(SKIP_1) | instid1(VALU_DEP_2)
	v_pk_fma_f32 v[118:119], v[114:115], v[112:113], v[116:117] op_sel_hi:[1,0,1]
	v_pk_fma_f32 v[112:113], v[114:115], v[112:113], v[116:117] neg_lo:[0,0,1] neg_hi:[0,0,1]
	v_mov_b32_e32 v113, v119
	s_delay_alu instid0(VALU_DEP_1)
	v_pk_add_f32 v[108:109], v[108:109], v[112:113]
	s_and_not1_b32 exec_lo, exec_lo, s0
	s_cbranch_execnz .LBB51_222
; %bb.223:
	s_or_b32 exec_lo, exec_lo, s0
.LBB51_224:
	s_delay_alu instid0(SALU_CYCLE_1) | instskip(SKIP_4) | instid1(VALU_DEP_1)
	s_or_b32 exec_lo, exec_lo, s21
	v_mov_b32_e32 v110, 0
	ds_load_b64 v[110:111], v110 offset:232
	s_wait_dscnt 0x0
	v_pk_mul_f32 v[112:113], v[108:109], v[110:111] op_sel:[1,1] op_sel_hi:[0,1]
	v_pk_fma_f32 v[114:115], v[108:109], v[110:111], v[112:113] op_sel_hi:[1,0,1]
	v_pk_fma_f32 v[108:109], v[108:109], v[110:111], v[112:113] neg_lo:[0,0,1] neg_hi:[0,0,1]
	s_delay_alu instid0(VALU_DEP_2)
	v_mov_b32_e32 v109, v115
	scratch_store_b64 off, v[108:109], off offset:232
.LBB51_225:
	s_wait_xcnt 0x0
	s_or_b32 exec_lo, exec_lo, s20
	scratch_load_b64 v[108:109], off, off offset:224
	v_cmp_lt_u32_e64 s0, 28, v0
	s_wait_loadcnt 0x0
	ds_store_b64 v1, v[108:109]
	s_wait_storecnt_dscnt 0x0
	s_barrier_signal -1
	s_barrier_wait -1
	s_wait_xcnt 0x0
	s_and_saveexec_b32 s19, s0
	s_cbranch_execz .LBB51_235
; %bb.226:
	s_and_not1_b32 vcc_lo, exec_lo, s3
	s_cbranch_vccnz .LBB51_228
; %bb.227:
	scratch_load_b64 v[108:109], v55, off
	ds_load_b64 v[110:111], v1
	s_wait_loadcnt_dscnt 0x0
	v_pk_mul_f32 v[112:113], v[110:111], v[108:109] op_sel:[1,1] op_sel_hi:[0,1]
	s_delay_alu instid0(VALU_DEP_1) | instskip(SKIP_1) | instid1(VALU_DEP_2)
	v_pk_fma_f32 v[114:115], v[110:111], v[108:109], v[112:113] op_sel_hi:[1,0,1]
	v_pk_fma_f32 v[108:109], v[110:111], v[108:109], v[112:113] neg_lo:[0,0,1] neg_hi:[0,0,1]
	v_mov_b32_e32 v109, v115
	s_cbranch_execz .LBB51_229
	s_branch .LBB51_230
.LBB51_228:
                                        ; implicit-def: $vgpr108_vgpr109
.LBB51_229:
	ds_load_b64 v[108:109], v1
.LBB51_230:
	s_and_saveexec_b32 s20, s1
	s_cbranch_execz .LBB51_234
; %bb.231:
	v_subrev_nc_u32_e32 v110, 29, v0
	s_movk_i32 s1, 0xe8
	s_movk_i32 s22, 0x288
	s_mov_b32 s21, 0
.LBB51_232:                             ; =>This Inner Loop Header: Depth=1
	scratch_load_b64 v[112:113], off, s1
	v_dual_mov_b32 v111, s22 :: v_dual_add_nc_u32 v110, -1, v110
	s_add_co_i32 s22, s22, 8
	s_wait_xcnt 0x0
	s_add_co_i32 s1, s1, 8
	ds_load_b64 v[114:115], v111
	v_cmp_eq_u32_e32 vcc_lo, 0, v110
	s_or_b32 s21, vcc_lo, s21
	s_wait_loadcnt_dscnt 0x0
	v_pk_mul_f32 v[116:117], v[114:115], v[112:113] op_sel:[1,1] op_sel_hi:[0,1]
	s_delay_alu instid0(VALU_DEP_1) | instskip(SKIP_1) | instid1(VALU_DEP_2)
	v_pk_fma_f32 v[118:119], v[114:115], v[112:113], v[116:117] op_sel_hi:[1,0,1]
	v_pk_fma_f32 v[112:113], v[114:115], v[112:113], v[116:117] neg_lo:[0,0,1] neg_hi:[0,0,1]
	v_mov_b32_e32 v113, v119
	s_delay_alu instid0(VALU_DEP_1)
	v_pk_add_f32 v[108:109], v[108:109], v[112:113]
	s_and_not1_b32 exec_lo, exec_lo, s21
	s_cbranch_execnz .LBB51_232
; %bb.233:
	s_or_b32 exec_lo, exec_lo, s21
.LBB51_234:
	s_delay_alu instid0(SALU_CYCLE_1) | instskip(SKIP_4) | instid1(VALU_DEP_1)
	s_or_b32 exec_lo, exec_lo, s20
	v_mov_b32_e32 v110, 0
	ds_load_b64 v[110:111], v110 offset:224
	s_wait_dscnt 0x0
	v_pk_mul_f32 v[112:113], v[108:109], v[110:111] op_sel:[1,1] op_sel_hi:[0,1]
	v_pk_fma_f32 v[114:115], v[108:109], v[110:111], v[112:113] op_sel_hi:[1,0,1]
	v_pk_fma_f32 v[108:109], v[108:109], v[110:111], v[112:113] neg_lo:[0,0,1] neg_hi:[0,0,1]
	s_delay_alu instid0(VALU_DEP_2)
	v_mov_b32_e32 v109, v115
	scratch_store_b64 off, v[108:109], off offset:224
.LBB51_235:
	s_wait_xcnt 0x0
	s_or_b32 exec_lo, exec_lo, s19
	scratch_load_b64 v[108:109], off, off offset:216
	v_cmp_lt_u32_e64 s1, 27, v0
	s_wait_loadcnt 0x0
	ds_store_b64 v1, v[108:109]
	s_wait_storecnt_dscnt 0x0
	s_barrier_signal -1
	s_barrier_wait -1
	s_wait_xcnt 0x0
	s_and_saveexec_b32 s19, s1
	s_cbranch_execz .LBB51_245
; %bb.236:
	s_and_not1_b32 vcc_lo, exec_lo, s3
	s_cbranch_vccnz .LBB51_238
; %bb.237:
	scratch_load_b64 v[108:109], v55, off
	ds_load_b64 v[110:111], v1
	s_wait_loadcnt_dscnt 0x0
	v_pk_mul_f32 v[112:113], v[110:111], v[108:109] op_sel:[1,1] op_sel_hi:[0,1]
	s_delay_alu instid0(VALU_DEP_1) | instskip(SKIP_1) | instid1(VALU_DEP_2)
	v_pk_fma_f32 v[114:115], v[110:111], v[108:109], v[112:113] op_sel_hi:[1,0,1]
	v_pk_fma_f32 v[108:109], v[110:111], v[108:109], v[112:113] neg_lo:[0,0,1] neg_hi:[0,0,1]
	v_mov_b32_e32 v109, v115
	s_cbranch_execz .LBB51_239
	s_branch .LBB51_240
.LBB51_238:
                                        ; implicit-def: $vgpr108_vgpr109
.LBB51_239:
	ds_load_b64 v[108:109], v1
.LBB51_240:
	s_and_saveexec_b32 s20, s0
	s_cbranch_execz .LBB51_244
; %bb.241:
	v_subrev_nc_u32_e32 v110, 28, v0
	s_movk_i32 s21, 0x280
	s_mov_b32 s0, 0
.LBB51_242:                             ; =>This Inner Loop Header: Depth=1
	scratch_load_b64 v[112:113], off, s18
	v_dual_mov_b32 v111, s21 :: v_dual_add_nc_u32 v110, -1, v110
	s_add_co_i32 s21, s21, 8
	s_wait_xcnt 0x0
	s_add_co_i32 s18, s18, 8
	ds_load_b64 v[114:115], v111
	v_cmp_eq_u32_e32 vcc_lo, 0, v110
	s_or_b32 s0, vcc_lo, s0
	s_wait_loadcnt_dscnt 0x0
	v_pk_mul_f32 v[116:117], v[114:115], v[112:113] op_sel:[1,1] op_sel_hi:[0,1]
	s_delay_alu instid0(VALU_DEP_1) | instskip(SKIP_1) | instid1(VALU_DEP_2)
	v_pk_fma_f32 v[118:119], v[114:115], v[112:113], v[116:117] op_sel_hi:[1,0,1]
	v_pk_fma_f32 v[112:113], v[114:115], v[112:113], v[116:117] neg_lo:[0,0,1] neg_hi:[0,0,1]
	v_mov_b32_e32 v113, v119
	s_delay_alu instid0(VALU_DEP_1)
	v_pk_add_f32 v[108:109], v[108:109], v[112:113]
	s_and_not1_b32 exec_lo, exec_lo, s0
	s_cbranch_execnz .LBB51_242
; %bb.243:
	s_or_b32 exec_lo, exec_lo, s0
.LBB51_244:
	s_delay_alu instid0(SALU_CYCLE_1) | instskip(SKIP_4) | instid1(VALU_DEP_1)
	s_or_b32 exec_lo, exec_lo, s20
	v_mov_b32_e32 v110, 0
	ds_load_b64 v[110:111], v110 offset:216
	s_wait_dscnt 0x0
	v_pk_mul_f32 v[112:113], v[108:109], v[110:111] op_sel:[1,1] op_sel_hi:[0,1]
	v_pk_fma_f32 v[114:115], v[108:109], v[110:111], v[112:113] op_sel_hi:[1,0,1]
	v_pk_fma_f32 v[108:109], v[108:109], v[110:111], v[112:113] neg_lo:[0,0,1] neg_hi:[0,0,1]
	s_delay_alu instid0(VALU_DEP_2)
	v_mov_b32_e32 v109, v115
	scratch_store_b64 off, v[108:109], off offset:216
.LBB51_245:
	s_wait_xcnt 0x0
	s_or_b32 exec_lo, exec_lo, s19
	scratch_load_b64 v[108:109], off, off offset:208
	v_cmp_lt_u32_e64 s0, 26, v0
	s_wait_loadcnt 0x0
	ds_store_b64 v1, v[108:109]
	s_wait_storecnt_dscnt 0x0
	s_barrier_signal -1
	s_barrier_wait -1
	s_wait_xcnt 0x0
	s_and_saveexec_b32 s18, s0
	s_cbranch_execz .LBB51_255
; %bb.246:
	s_and_not1_b32 vcc_lo, exec_lo, s3
	s_cbranch_vccnz .LBB51_248
; %bb.247:
	scratch_load_b64 v[108:109], v55, off
	ds_load_b64 v[110:111], v1
	s_wait_loadcnt_dscnt 0x0
	v_pk_mul_f32 v[112:113], v[110:111], v[108:109] op_sel:[1,1] op_sel_hi:[0,1]
	s_delay_alu instid0(VALU_DEP_1) | instskip(SKIP_1) | instid1(VALU_DEP_2)
	v_pk_fma_f32 v[114:115], v[110:111], v[108:109], v[112:113] op_sel_hi:[1,0,1]
	v_pk_fma_f32 v[108:109], v[110:111], v[108:109], v[112:113] neg_lo:[0,0,1] neg_hi:[0,0,1]
	v_mov_b32_e32 v109, v115
	s_cbranch_execz .LBB51_249
	s_branch .LBB51_250
.LBB51_248:
                                        ; implicit-def: $vgpr108_vgpr109
.LBB51_249:
	ds_load_b64 v[108:109], v1
.LBB51_250:
	s_and_saveexec_b32 s19, s1
	s_cbranch_execz .LBB51_254
; %bb.251:
	v_subrev_nc_u32_e32 v110, 27, v0
	s_movk_i32 s1, 0xd8
	s_movk_i32 s21, 0x278
	s_mov_b32 s20, 0
.LBB51_252:                             ; =>This Inner Loop Header: Depth=1
	scratch_load_b64 v[112:113], off, s1
	v_dual_mov_b32 v111, s21 :: v_dual_add_nc_u32 v110, -1, v110
	s_add_co_i32 s21, s21, 8
	s_wait_xcnt 0x0
	s_add_co_i32 s1, s1, 8
	ds_load_b64 v[114:115], v111
	v_cmp_eq_u32_e32 vcc_lo, 0, v110
	s_or_b32 s20, vcc_lo, s20
	s_wait_loadcnt_dscnt 0x0
	v_pk_mul_f32 v[116:117], v[114:115], v[112:113] op_sel:[1,1] op_sel_hi:[0,1]
	s_delay_alu instid0(VALU_DEP_1) | instskip(SKIP_1) | instid1(VALU_DEP_2)
	v_pk_fma_f32 v[118:119], v[114:115], v[112:113], v[116:117] op_sel_hi:[1,0,1]
	v_pk_fma_f32 v[112:113], v[114:115], v[112:113], v[116:117] neg_lo:[0,0,1] neg_hi:[0,0,1]
	v_mov_b32_e32 v113, v119
	s_delay_alu instid0(VALU_DEP_1)
	v_pk_add_f32 v[108:109], v[108:109], v[112:113]
	s_and_not1_b32 exec_lo, exec_lo, s20
	s_cbranch_execnz .LBB51_252
; %bb.253:
	s_or_b32 exec_lo, exec_lo, s20
.LBB51_254:
	s_delay_alu instid0(SALU_CYCLE_1) | instskip(SKIP_4) | instid1(VALU_DEP_1)
	s_or_b32 exec_lo, exec_lo, s19
	v_mov_b32_e32 v110, 0
	ds_load_b64 v[110:111], v110 offset:208
	s_wait_dscnt 0x0
	v_pk_mul_f32 v[112:113], v[108:109], v[110:111] op_sel:[1,1] op_sel_hi:[0,1]
	v_pk_fma_f32 v[114:115], v[108:109], v[110:111], v[112:113] op_sel_hi:[1,0,1]
	v_pk_fma_f32 v[108:109], v[108:109], v[110:111], v[112:113] neg_lo:[0,0,1] neg_hi:[0,0,1]
	s_delay_alu instid0(VALU_DEP_2)
	v_mov_b32_e32 v109, v115
	scratch_store_b64 off, v[108:109], off offset:208
.LBB51_255:
	s_wait_xcnt 0x0
	s_or_b32 exec_lo, exec_lo, s18
	scratch_load_b64 v[108:109], off, off offset:200
	v_cmp_lt_u32_e64 s1, 25, v0
	s_wait_loadcnt 0x0
	ds_store_b64 v1, v[108:109]
	s_wait_storecnt_dscnt 0x0
	s_barrier_signal -1
	s_barrier_wait -1
	s_wait_xcnt 0x0
	s_and_saveexec_b32 s18, s1
	s_cbranch_execz .LBB51_265
; %bb.256:
	s_and_not1_b32 vcc_lo, exec_lo, s3
	s_cbranch_vccnz .LBB51_258
; %bb.257:
	scratch_load_b64 v[108:109], v55, off
	ds_load_b64 v[110:111], v1
	s_wait_loadcnt_dscnt 0x0
	v_pk_mul_f32 v[112:113], v[110:111], v[108:109] op_sel:[1,1] op_sel_hi:[0,1]
	s_delay_alu instid0(VALU_DEP_1) | instskip(SKIP_1) | instid1(VALU_DEP_2)
	v_pk_fma_f32 v[114:115], v[110:111], v[108:109], v[112:113] op_sel_hi:[1,0,1]
	v_pk_fma_f32 v[108:109], v[110:111], v[108:109], v[112:113] neg_lo:[0,0,1] neg_hi:[0,0,1]
	v_mov_b32_e32 v109, v115
	s_cbranch_execz .LBB51_259
	s_branch .LBB51_260
.LBB51_258:
                                        ; implicit-def: $vgpr108_vgpr109
.LBB51_259:
	ds_load_b64 v[108:109], v1
.LBB51_260:
	s_and_saveexec_b32 s19, s0
	s_cbranch_execz .LBB51_264
; %bb.261:
	v_subrev_nc_u32_e32 v110, 26, v0
	s_movk_i32 s20, 0x270
	s_mov_b32 s0, 0
.LBB51_262:                             ; =>This Inner Loop Header: Depth=1
	scratch_load_b64 v[112:113], off, s17
	v_dual_mov_b32 v111, s20 :: v_dual_add_nc_u32 v110, -1, v110
	s_add_co_i32 s20, s20, 8
	s_wait_xcnt 0x0
	s_add_co_i32 s17, s17, 8
	ds_load_b64 v[114:115], v111
	v_cmp_eq_u32_e32 vcc_lo, 0, v110
	s_or_b32 s0, vcc_lo, s0
	s_wait_loadcnt_dscnt 0x0
	v_pk_mul_f32 v[116:117], v[114:115], v[112:113] op_sel:[1,1] op_sel_hi:[0,1]
	s_delay_alu instid0(VALU_DEP_1) | instskip(SKIP_1) | instid1(VALU_DEP_2)
	v_pk_fma_f32 v[118:119], v[114:115], v[112:113], v[116:117] op_sel_hi:[1,0,1]
	v_pk_fma_f32 v[112:113], v[114:115], v[112:113], v[116:117] neg_lo:[0,0,1] neg_hi:[0,0,1]
	v_mov_b32_e32 v113, v119
	s_delay_alu instid0(VALU_DEP_1)
	v_pk_add_f32 v[108:109], v[108:109], v[112:113]
	s_and_not1_b32 exec_lo, exec_lo, s0
	s_cbranch_execnz .LBB51_262
; %bb.263:
	s_or_b32 exec_lo, exec_lo, s0
.LBB51_264:
	s_delay_alu instid0(SALU_CYCLE_1) | instskip(SKIP_4) | instid1(VALU_DEP_1)
	s_or_b32 exec_lo, exec_lo, s19
	v_mov_b32_e32 v110, 0
	ds_load_b64 v[110:111], v110 offset:200
	s_wait_dscnt 0x0
	v_pk_mul_f32 v[112:113], v[108:109], v[110:111] op_sel:[1,1] op_sel_hi:[0,1]
	v_pk_fma_f32 v[114:115], v[108:109], v[110:111], v[112:113] op_sel_hi:[1,0,1]
	v_pk_fma_f32 v[108:109], v[108:109], v[110:111], v[112:113] neg_lo:[0,0,1] neg_hi:[0,0,1]
	s_delay_alu instid0(VALU_DEP_2)
	v_mov_b32_e32 v109, v115
	scratch_store_b64 off, v[108:109], off offset:200
.LBB51_265:
	s_wait_xcnt 0x0
	s_or_b32 exec_lo, exec_lo, s18
	scratch_load_b64 v[108:109], off, off offset:192
	v_cmp_lt_u32_e64 s0, 24, v0
	s_wait_loadcnt 0x0
	ds_store_b64 v1, v[108:109]
	s_wait_storecnt_dscnt 0x0
	s_barrier_signal -1
	s_barrier_wait -1
	s_wait_xcnt 0x0
	s_and_saveexec_b32 s17, s0
	s_cbranch_execz .LBB51_275
; %bb.266:
	s_and_not1_b32 vcc_lo, exec_lo, s3
	s_cbranch_vccnz .LBB51_268
; %bb.267:
	scratch_load_b64 v[108:109], v55, off
	ds_load_b64 v[110:111], v1
	s_wait_loadcnt_dscnt 0x0
	v_pk_mul_f32 v[112:113], v[110:111], v[108:109] op_sel:[1,1] op_sel_hi:[0,1]
	s_delay_alu instid0(VALU_DEP_1) | instskip(SKIP_1) | instid1(VALU_DEP_2)
	v_pk_fma_f32 v[114:115], v[110:111], v[108:109], v[112:113] op_sel_hi:[1,0,1]
	v_pk_fma_f32 v[108:109], v[110:111], v[108:109], v[112:113] neg_lo:[0,0,1] neg_hi:[0,0,1]
	v_mov_b32_e32 v109, v115
	s_cbranch_execz .LBB51_269
	s_branch .LBB51_270
.LBB51_268:
                                        ; implicit-def: $vgpr108_vgpr109
.LBB51_269:
	ds_load_b64 v[108:109], v1
.LBB51_270:
	s_and_saveexec_b32 s18, s1
	s_cbranch_execz .LBB51_274
; %bb.271:
	v_subrev_nc_u32_e32 v110, 25, v0
	s_movk_i32 s1, 0xc8
	s_movk_i32 s20, 0x268
	s_mov_b32 s19, 0
.LBB51_272:                             ; =>This Inner Loop Header: Depth=1
	scratch_load_b64 v[112:113], off, s1
	v_dual_mov_b32 v111, s20 :: v_dual_add_nc_u32 v110, -1, v110
	s_add_co_i32 s20, s20, 8
	s_wait_xcnt 0x0
	s_add_co_i32 s1, s1, 8
	ds_load_b64 v[114:115], v111
	v_cmp_eq_u32_e32 vcc_lo, 0, v110
	s_or_b32 s19, vcc_lo, s19
	s_wait_loadcnt_dscnt 0x0
	v_pk_mul_f32 v[116:117], v[114:115], v[112:113] op_sel:[1,1] op_sel_hi:[0,1]
	s_delay_alu instid0(VALU_DEP_1) | instskip(SKIP_1) | instid1(VALU_DEP_2)
	v_pk_fma_f32 v[118:119], v[114:115], v[112:113], v[116:117] op_sel_hi:[1,0,1]
	v_pk_fma_f32 v[112:113], v[114:115], v[112:113], v[116:117] neg_lo:[0,0,1] neg_hi:[0,0,1]
	v_mov_b32_e32 v113, v119
	s_delay_alu instid0(VALU_DEP_1)
	v_pk_add_f32 v[108:109], v[108:109], v[112:113]
	s_and_not1_b32 exec_lo, exec_lo, s19
	s_cbranch_execnz .LBB51_272
; %bb.273:
	s_or_b32 exec_lo, exec_lo, s19
.LBB51_274:
	s_delay_alu instid0(SALU_CYCLE_1) | instskip(SKIP_4) | instid1(VALU_DEP_1)
	s_or_b32 exec_lo, exec_lo, s18
	v_mov_b32_e32 v110, 0
	ds_load_b64 v[110:111], v110 offset:192
	s_wait_dscnt 0x0
	v_pk_mul_f32 v[112:113], v[108:109], v[110:111] op_sel:[1,1] op_sel_hi:[0,1]
	v_pk_fma_f32 v[114:115], v[108:109], v[110:111], v[112:113] op_sel_hi:[1,0,1]
	v_pk_fma_f32 v[108:109], v[108:109], v[110:111], v[112:113] neg_lo:[0,0,1] neg_hi:[0,0,1]
	s_delay_alu instid0(VALU_DEP_2)
	v_mov_b32_e32 v109, v115
	scratch_store_b64 off, v[108:109], off offset:192
.LBB51_275:
	s_wait_xcnt 0x0
	s_or_b32 exec_lo, exec_lo, s17
	scratch_load_b64 v[108:109], off, off offset:184
	v_cmp_lt_u32_e64 s1, 23, v0
	s_wait_loadcnt 0x0
	ds_store_b64 v1, v[108:109]
	s_wait_storecnt_dscnt 0x0
	s_barrier_signal -1
	s_barrier_wait -1
	s_wait_xcnt 0x0
	s_and_saveexec_b32 s17, s1
	s_cbranch_execz .LBB51_285
; %bb.276:
	s_and_not1_b32 vcc_lo, exec_lo, s3
	s_cbranch_vccnz .LBB51_278
; %bb.277:
	scratch_load_b64 v[108:109], v55, off
	ds_load_b64 v[110:111], v1
	s_wait_loadcnt_dscnt 0x0
	v_pk_mul_f32 v[112:113], v[110:111], v[108:109] op_sel:[1,1] op_sel_hi:[0,1]
	s_delay_alu instid0(VALU_DEP_1) | instskip(SKIP_1) | instid1(VALU_DEP_2)
	v_pk_fma_f32 v[114:115], v[110:111], v[108:109], v[112:113] op_sel_hi:[1,0,1]
	v_pk_fma_f32 v[108:109], v[110:111], v[108:109], v[112:113] neg_lo:[0,0,1] neg_hi:[0,0,1]
	v_mov_b32_e32 v109, v115
	s_cbranch_execz .LBB51_279
	s_branch .LBB51_280
.LBB51_278:
                                        ; implicit-def: $vgpr108_vgpr109
.LBB51_279:
	ds_load_b64 v[108:109], v1
.LBB51_280:
	s_and_saveexec_b32 s18, s0
	s_cbranch_execz .LBB51_284
; %bb.281:
	v_subrev_nc_u32_e32 v110, 24, v0
	s_movk_i32 s19, 0x260
	s_mov_b32 s0, 0
.LBB51_282:                             ; =>This Inner Loop Header: Depth=1
	scratch_load_b64 v[112:113], off, s16
	v_dual_mov_b32 v111, s19 :: v_dual_add_nc_u32 v110, -1, v110
	s_add_co_i32 s19, s19, 8
	s_wait_xcnt 0x0
	s_add_co_i32 s16, s16, 8
	ds_load_b64 v[114:115], v111
	v_cmp_eq_u32_e32 vcc_lo, 0, v110
	s_or_b32 s0, vcc_lo, s0
	s_wait_loadcnt_dscnt 0x0
	v_pk_mul_f32 v[116:117], v[114:115], v[112:113] op_sel:[1,1] op_sel_hi:[0,1]
	s_delay_alu instid0(VALU_DEP_1) | instskip(SKIP_1) | instid1(VALU_DEP_2)
	v_pk_fma_f32 v[118:119], v[114:115], v[112:113], v[116:117] op_sel_hi:[1,0,1]
	v_pk_fma_f32 v[112:113], v[114:115], v[112:113], v[116:117] neg_lo:[0,0,1] neg_hi:[0,0,1]
	v_mov_b32_e32 v113, v119
	s_delay_alu instid0(VALU_DEP_1)
	v_pk_add_f32 v[108:109], v[108:109], v[112:113]
	s_and_not1_b32 exec_lo, exec_lo, s0
	s_cbranch_execnz .LBB51_282
; %bb.283:
	s_or_b32 exec_lo, exec_lo, s0
.LBB51_284:
	s_delay_alu instid0(SALU_CYCLE_1) | instskip(SKIP_4) | instid1(VALU_DEP_1)
	s_or_b32 exec_lo, exec_lo, s18
	v_mov_b32_e32 v110, 0
	ds_load_b64 v[110:111], v110 offset:184
	s_wait_dscnt 0x0
	v_pk_mul_f32 v[112:113], v[108:109], v[110:111] op_sel:[1,1] op_sel_hi:[0,1]
	v_pk_fma_f32 v[114:115], v[108:109], v[110:111], v[112:113] op_sel_hi:[1,0,1]
	v_pk_fma_f32 v[108:109], v[108:109], v[110:111], v[112:113] neg_lo:[0,0,1] neg_hi:[0,0,1]
	s_delay_alu instid0(VALU_DEP_2)
	v_mov_b32_e32 v109, v115
	scratch_store_b64 off, v[108:109], off offset:184
.LBB51_285:
	s_wait_xcnt 0x0
	s_or_b32 exec_lo, exec_lo, s17
	scratch_load_b64 v[108:109], off, off offset:176
	v_cmp_lt_u32_e64 s0, 22, v0
	s_wait_loadcnt 0x0
	ds_store_b64 v1, v[108:109]
	s_wait_storecnt_dscnt 0x0
	s_barrier_signal -1
	s_barrier_wait -1
	s_wait_xcnt 0x0
	s_and_saveexec_b32 s16, s0
	s_cbranch_execz .LBB51_295
; %bb.286:
	s_and_not1_b32 vcc_lo, exec_lo, s3
	s_cbranch_vccnz .LBB51_288
; %bb.287:
	scratch_load_b64 v[108:109], v55, off
	ds_load_b64 v[110:111], v1
	s_wait_loadcnt_dscnt 0x0
	v_pk_mul_f32 v[112:113], v[110:111], v[108:109] op_sel:[1,1] op_sel_hi:[0,1]
	s_delay_alu instid0(VALU_DEP_1) | instskip(SKIP_1) | instid1(VALU_DEP_2)
	v_pk_fma_f32 v[114:115], v[110:111], v[108:109], v[112:113] op_sel_hi:[1,0,1]
	v_pk_fma_f32 v[108:109], v[110:111], v[108:109], v[112:113] neg_lo:[0,0,1] neg_hi:[0,0,1]
	v_mov_b32_e32 v109, v115
	s_cbranch_execz .LBB51_289
	s_branch .LBB51_290
.LBB51_288:
                                        ; implicit-def: $vgpr108_vgpr109
.LBB51_289:
	ds_load_b64 v[108:109], v1
.LBB51_290:
	s_and_saveexec_b32 s17, s1
	s_cbranch_execz .LBB51_294
; %bb.291:
	v_subrev_nc_u32_e32 v110, 23, v0
	s_movk_i32 s1, 0xb8
	s_movk_i32 s19, 0x258
	s_mov_b32 s18, 0
.LBB51_292:                             ; =>This Inner Loop Header: Depth=1
	scratch_load_b64 v[112:113], off, s1
	v_dual_mov_b32 v111, s19 :: v_dual_add_nc_u32 v110, -1, v110
	s_add_co_i32 s19, s19, 8
	s_wait_xcnt 0x0
	s_add_co_i32 s1, s1, 8
	ds_load_b64 v[114:115], v111
	v_cmp_eq_u32_e32 vcc_lo, 0, v110
	s_or_b32 s18, vcc_lo, s18
	s_wait_loadcnt_dscnt 0x0
	v_pk_mul_f32 v[116:117], v[114:115], v[112:113] op_sel:[1,1] op_sel_hi:[0,1]
	s_delay_alu instid0(VALU_DEP_1) | instskip(SKIP_1) | instid1(VALU_DEP_2)
	v_pk_fma_f32 v[118:119], v[114:115], v[112:113], v[116:117] op_sel_hi:[1,0,1]
	v_pk_fma_f32 v[112:113], v[114:115], v[112:113], v[116:117] neg_lo:[0,0,1] neg_hi:[0,0,1]
	v_mov_b32_e32 v113, v119
	s_delay_alu instid0(VALU_DEP_1)
	v_pk_add_f32 v[108:109], v[108:109], v[112:113]
	s_and_not1_b32 exec_lo, exec_lo, s18
	s_cbranch_execnz .LBB51_292
; %bb.293:
	s_or_b32 exec_lo, exec_lo, s18
.LBB51_294:
	s_delay_alu instid0(SALU_CYCLE_1) | instskip(SKIP_4) | instid1(VALU_DEP_1)
	s_or_b32 exec_lo, exec_lo, s17
	v_mov_b32_e32 v110, 0
	ds_load_b64 v[110:111], v110 offset:176
	s_wait_dscnt 0x0
	v_pk_mul_f32 v[112:113], v[108:109], v[110:111] op_sel:[1,1] op_sel_hi:[0,1]
	v_pk_fma_f32 v[114:115], v[108:109], v[110:111], v[112:113] op_sel_hi:[1,0,1]
	v_pk_fma_f32 v[108:109], v[108:109], v[110:111], v[112:113] neg_lo:[0,0,1] neg_hi:[0,0,1]
	s_delay_alu instid0(VALU_DEP_2)
	v_mov_b32_e32 v109, v115
	scratch_store_b64 off, v[108:109], off offset:176
.LBB51_295:
	s_wait_xcnt 0x0
	s_or_b32 exec_lo, exec_lo, s16
	scratch_load_b64 v[108:109], off, off offset:168
	v_cmp_lt_u32_e64 s1, 21, v0
	s_wait_loadcnt 0x0
	ds_store_b64 v1, v[108:109]
	s_wait_storecnt_dscnt 0x0
	s_barrier_signal -1
	s_barrier_wait -1
	s_wait_xcnt 0x0
	s_and_saveexec_b32 s16, s1
	s_cbranch_execz .LBB51_305
; %bb.296:
	s_and_not1_b32 vcc_lo, exec_lo, s3
	s_cbranch_vccnz .LBB51_298
; %bb.297:
	scratch_load_b64 v[108:109], v55, off
	ds_load_b64 v[110:111], v1
	s_wait_loadcnt_dscnt 0x0
	v_pk_mul_f32 v[112:113], v[110:111], v[108:109] op_sel:[1,1] op_sel_hi:[0,1]
	s_delay_alu instid0(VALU_DEP_1) | instskip(SKIP_1) | instid1(VALU_DEP_2)
	v_pk_fma_f32 v[114:115], v[110:111], v[108:109], v[112:113] op_sel_hi:[1,0,1]
	v_pk_fma_f32 v[108:109], v[110:111], v[108:109], v[112:113] neg_lo:[0,0,1] neg_hi:[0,0,1]
	v_mov_b32_e32 v109, v115
	s_cbranch_execz .LBB51_299
	s_branch .LBB51_300
.LBB51_298:
                                        ; implicit-def: $vgpr108_vgpr109
.LBB51_299:
	ds_load_b64 v[108:109], v1
.LBB51_300:
	s_and_saveexec_b32 s17, s0
	s_cbranch_execz .LBB51_304
; %bb.301:
	v_subrev_nc_u32_e32 v110, 22, v0
	s_movk_i32 s18, 0x250
	s_mov_b32 s0, 0
.LBB51_302:                             ; =>This Inner Loop Header: Depth=1
	scratch_load_b64 v[112:113], off, s15
	v_dual_mov_b32 v111, s18 :: v_dual_add_nc_u32 v110, -1, v110
	s_add_co_i32 s18, s18, 8
	s_wait_xcnt 0x0
	s_add_co_i32 s15, s15, 8
	ds_load_b64 v[114:115], v111
	v_cmp_eq_u32_e32 vcc_lo, 0, v110
	s_or_b32 s0, vcc_lo, s0
	s_wait_loadcnt_dscnt 0x0
	v_pk_mul_f32 v[116:117], v[114:115], v[112:113] op_sel:[1,1] op_sel_hi:[0,1]
	s_delay_alu instid0(VALU_DEP_1) | instskip(SKIP_1) | instid1(VALU_DEP_2)
	v_pk_fma_f32 v[118:119], v[114:115], v[112:113], v[116:117] op_sel_hi:[1,0,1]
	v_pk_fma_f32 v[112:113], v[114:115], v[112:113], v[116:117] neg_lo:[0,0,1] neg_hi:[0,0,1]
	v_mov_b32_e32 v113, v119
	s_delay_alu instid0(VALU_DEP_1)
	v_pk_add_f32 v[108:109], v[108:109], v[112:113]
	s_and_not1_b32 exec_lo, exec_lo, s0
	s_cbranch_execnz .LBB51_302
; %bb.303:
	s_or_b32 exec_lo, exec_lo, s0
.LBB51_304:
	s_delay_alu instid0(SALU_CYCLE_1) | instskip(SKIP_4) | instid1(VALU_DEP_1)
	s_or_b32 exec_lo, exec_lo, s17
	v_mov_b32_e32 v110, 0
	ds_load_b64 v[110:111], v110 offset:168
	s_wait_dscnt 0x0
	v_pk_mul_f32 v[112:113], v[108:109], v[110:111] op_sel:[1,1] op_sel_hi:[0,1]
	v_pk_fma_f32 v[114:115], v[108:109], v[110:111], v[112:113] op_sel_hi:[1,0,1]
	v_pk_fma_f32 v[108:109], v[108:109], v[110:111], v[112:113] neg_lo:[0,0,1] neg_hi:[0,0,1]
	s_delay_alu instid0(VALU_DEP_2)
	v_mov_b32_e32 v109, v115
	scratch_store_b64 off, v[108:109], off offset:168
.LBB51_305:
	s_wait_xcnt 0x0
	s_or_b32 exec_lo, exec_lo, s16
	scratch_load_b64 v[108:109], off, off offset:160
	v_cmp_lt_u32_e64 s0, 20, v0
	s_wait_loadcnt 0x0
	ds_store_b64 v1, v[108:109]
	s_wait_storecnt_dscnt 0x0
	s_barrier_signal -1
	s_barrier_wait -1
	s_wait_xcnt 0x0
	s_and_saveexec_b32 s15, s0
	s_cbranch_execz .LBB51_315
; %bb.306:
	s_and_not1_b32 vcc_lo, exec_lo, s3
	s_cbranch_vccnz .LBB51_308
; %bb.307:
	scratch_load_b64 v[108:109], v55, off
	ds_load_b64 v[110:111], v1
	s_wait_loadcnt_dscnt 0x0
	v_pk_mul_f32 v[112:113], v[110:111], v[108:109] op_sel:[1,1] op_sel_hi:[0,1]
	s_delay_alu instid0(VALU_DEP_1) | instskip(SKIP_1) | instid1(VALU_DEP_2)
	v_pk_fma_f32 v[114:115], v[110:111], v[108:109], v[112:113] op_sel_hi:[1,0,1]
	v_pk_fma_f32 v[108:109], v[110:111], v[108:109], v[112:113] neg_lo:[0,0,1] neg_hi:[0,0,1]
	v_mov_b32_e32 v109, v115
	s_cbranch_execz .LBB51_309
	s_branch .LBB51_310
.LBB51_308:
                                        ; implicit-def: $vgpr108_vgpr109
.LBB51_309:
	ds_load_b64 v[108:109], v1
.LBB51_310:
	s_and_saveexec_b32 s16, s1
	s_cbranch_execz .LBB51_314
; %bb.311:
	v_subrev_nc_u32_e32 v110, 21, v0
	s_movk_i32 s1, 0xa8
	s_movk_i32 s18, 0x248
	s_mov_b32 s17, 0
.LBB51_312:                             ; =>This Inner Loop Header: Depth=1
	scratch_load_b64 v[112:113], off, s1
	v_dual_mov_b32 v111, s18 :: v_dual_add_nc_u32 v110, -1, v110
	s_add_co_i32 s18, s18, 8
	s_wait_xcnt 0x0
	s_add_co_i32 s1, s1, 8
	ds_load_b64 v[114:115], v111
	v_cmp_eq_u32_e32 vcc_lo, 0, v110
	s_or_b32 s17, vcc_lo, s17
	s_wait_loadcnt_dscnt 0x0
	v_pk_mul_f32 v[116:117], v[114:115], v[112:113] op_sel:[1,1] op_sel_hi:[0,1]
	s_delay_alu instid0(VALU_DEP_1) | instskip(SKIP_1) | instid1(VALU_DEP_2)
	v_pk_fma_f32 v[118:119], v[114:115], v[112:113], v[116:117] op_sel_hi:[1,0,1]
	v_pk_fma_f32 v[112:113], v[114:115], v[112:113], v[116:117] neg_lo:[0,0,1] neg_hi:[0,0,1]
	v_mov_b32_e32 v113, v119
	s_delay_alu instid0(VALU_DEP_1)
	v_pk_add_f32 v[108:109], v[108:109], v[112:113]
	s_and_not1_b32 exec_lo, exec_lo, s17
	s_cbranch_execnz .LBB51_312
; %bb.313:
	s_or_b32 exec_lo, exec_lo, s17
.LBB51_314:
	s_delay_alu instid0(SALU_CYCLE_1) | instskip(SKIP_4) | instid1(VALU_DEP_1)
	s_or_b32 exec_lo, exec_lo, s16
	v_mov_b32_e32 v110, 0
	ds_load_b64 v[110:111], v110 offset:160
	s_wait_dscnt 0x0
	v_pk_mul_f32 v[112:113], v[108:109], v[110:111] op_sel:[1,1] op_sel_hi:[0,1]
	v_pk_fma_f32 v[114:115], v[108:109], v[110:111], v[112:113] op_sel_hi:[1,0,1]
	v_pk_fma_f32 v[108:109], v[108:109], v[110:111], v[112:113] neg_lo:[0,0,1] neg_hi:[0,0,1]
	s_delay_alu instid0(VALU_DEP_2)
	v_mov_b32_e32 v109, v115
	scratch_store_b64 off, v[108:109], off offset:160
.LBB51_315:
	s_wait_xcnt 0x0
	s_or_b32 exec_lo, exec_lo, s15
	scratch_load_b64 v[108:109], off, off offset:152
	v_cmp_lt_u32_e64 s1, 19, v0
	s_wait_loadcnt 0x0
	ds_store_b64 v1, v[108:109]
	s_wait_storecnt_dscnt 0x0
	s_barrier_signal -1
	s_barrier_wait -1
	s_wait_xcnt 0x0
	s_and_saveexec_b32 s15, s1
	s_cbranch_execz .LBB51_325
; %bb.316:
	s_and_not1_b32 vcc_lo, exec_lo, s3
	s_cbranch_vccnz .LBB51_318
; %bb.317:
	scratch_load_b64 v[108:109], v55, off
	ds_load_b64 v[110:111], v1
	s_wait_loadcnt_dscnt 0x0
	v_pk_mul_f32 v[112:113], v[110:111], v[108:109] op_sel:[1,1] op_sel_hi:[0,1]
	s_delay_alu instid0(VALU_DEP_1) | instskip(SKIP_1) | instid1(VALU_DEP_2)
	v_pk_fma_f32 v[114:115], v[110:111], v[108:109], v[112:113] op_sel_hi:[1,0,1]
	v_pk_fma_f32 v[108:109], v[110:111], v[108:109], v[112:113] neg_lo:[0,0,1] neg_hi:[0,0,1]
	v_mov_b32_e32 v109, v115
	s_cbranch_execz .LBB51_319
	s_branch .LBB51_320
.LBB51_318:
                                        ; implicit-def: $vgpr108_vgpr109
.LBB51_319:
	ds_load_b64 v[108:109], v1
.LBB51_320:
	s_and_saveexec_b32 s16, s0
	s_cbranch_execz .LBB51_324
; %bb.321:
	v_subrev_nc_u32_e32 v110, 20, v0
	s_movk_i32 s17, 0x240
	s_mov_b32 s0, 0
.LBB51_322:                             ; =>This Inner Loop Header: Depth=1
	scratch_load_b64 v[112:113], off, s14
	v_dual_mov_b32 v111, s17 :: v_dual_add_nc_u32 v110, -1, v110
	s_add_co_i32 s17, s17, 8
	s_wait_xcnt 0x0
	s_add_co_i32 s14, s14, 8
	ds_load_b64 v[114:115], v111
	v_cmp_eq_u32_e32 vcc_lo, 0, v110
	s_or_b32 s0, vcc_lo, s0
	s_wait_loadcnt_dscnt 0x0
	v_pk_mul_f32 v[116:117], v[114:115], v[112:113] op_sel:[1,1] op_sel_hi:[0,1]
	s_delay_alu instid0(VALU_DEP_1) | instskip(SKIP_1) | instid1(VALU_DEP_2)
	v_pk_fma_f32 v[118:119], v[114:115], v[112:113], v[116:117] op_sel_hi:[1,0,1]
	v_pk_fma_f32 v[112:113], v[114:115], v[112:113], v[116:117] neg_lo:[0,0,1] neg_hi:[0,0,1]
	v_mov_b32_e32 v113, v119
	s_delay_alu instid0(VALU_DEP_1)
	v_pk_add_f32 v[108:109], v[108:109], v[112:113]
	s_and_not1_b32 exec_lo, exec_lo, s0
	s_cbranch_execnz .LBB51_322
; %bb.323:
	s_or_b32 exec_lo, exec_lo, s0
.LBB51_324:
	s_delay_alu instid0(SALU_CYCLE_1) | instskip(SKIP_4) | instid1(VALU_DEP_1)
	s_or_b32 exec_lo, exec_lo, s16
	v_mov_b32_e32 v110, 0
	ds_load_b64 v[110:111], v110 offset:152
	s_wait_dscnt 0x0
	v_pk_mul_f32 v[112:113], v[108:109], v[110:111] op_sel:[1,1] op_sel_hi:[0,1]
	v_pk_fma_f32 v[114:115], v[108:109], v[110:111], v[112:113] op_sel_hi:[1,0,1]
	v_pk_fma_f32 v[108:109], v[108:109], v[110:111], v[112:113] neg_lo:[0,0,1] neg_hi:[0,0,1]
	s_delay_alu instid0(VALU_DEP_2)
	v_mov_b32_e32 v109, v115
	scratch_store_b64 off, v[108:109], off offset:152
.LBB51_325:
	s_wait_xcnt 0x0
	s_or_b32 exec_lo, exec_lo, s15
	scratch_load_b64 v[108:109], off, off offset:144
	v_cmp_lt_u32_e64 s0, 18, v0
	s_wait_loadcnt 0x0
	ds_store_b64 v1, v[108:109]
	s_wait_storecnt_dscnt 0x0
	s_barrier_signal -1
	s_barrier_wait -1
	s_wait_xcnt 0x0
	s_and_saveexec_b32 s14, s0
	s_cbranch_execz .LBB51_335
; %bb.326:
	s_and_not1_b32 vcc_lo, exec_lo, s3
	s_cbranch_vccnz .LBB51_328
; %bb.327:
	scratch_load_b64 v[108:109], v55, off
	ds_load_b64 v[110:111], v1
	s_wait_loadcnt_dscnt 0x0
	v_pk_mul_f32 v[112:113], v[110:111], v[108:109] op_sel:[1,1] op_sel_hi:[0,1]
	s_delay_alu instid0(VALU_DEP_1) | instskip(SKIP_1) | instid1(VALU_DEP_2)
	v_pk_fma_f32 v[114:115], v[110:111], v[108:109], v[112:113] op_sel_hi:[1,0,1]
	v_pk_fma_f32 v[108:109], v[110:111], v[108:109], v[112:113] neg_lo:[0,0,1] neg_hi:[0,0,1]
	v_mov_b32_e32 v109, v115
	s_cbranch_execz .LBB51_329
	s_branch .LBB51_330
.LBB51_328:
                                        ; implicit-def: $vgpr108_vgpr109
.LBB51_329:
	ds_load_b64 v[108:109], v1
.LBB51_330:
	s_and_saveexec_b32 s15, s1
	s_cbranch_execz .LBB51_334
; %bb.331:
	v_subrev_nc_u32_e32 v110, 19, v0
	s_movk_i32 s1, 0x98
	s_movk_i32 s17, 0x238
	s_mov_b32 s16, 0
.LBB51_332:                             ; =>This Inner Loop Header: Depth=1
	scratch_load_b64 v[112:113], off, s1
	v_dual_mov_b32 v111, s17 :: v_dual_add_nc_u32 v110, -1, v110
	s_add_co_i32 s17, s17, 8
	s_wait_xcnt 0x0
	s_add_co_i32 s1, s1, 8
	ds_load_b64 v[114:115], v111
	v_cmp_eq_u32_e32 vcc_lo, 0, v110
	s_or_b32 s16, vcc_lo, s16
	s_wait_loadcnt_dscnt 0x0
	v_pk_mul_f32 v[116:117], v[114:115], v[112:113] op_sel:[1,1] op_sel_hi:[0,1]
	s_delay_alu instid0(VALU_DEP_1) | instskip(SKIP_1) | instid1(VALU_DEP_2)
	v_pk_fma_f32 v[118:119], v[114:115], v[112:113], v[116:117] op_sel_hi:[1,0,1]
	v_pk_fma_f32 v[112:113], v[114:115], v[112:113], v[116:117] neg_lo:[0,0,1] neg_hi:[0,0,1]
	v_mov_b32_e32 v113, v119
	s_delay_alu instid0(VALU_DEP_1)
	v_pk_add_f32 v[108:109], v[108:109], v[112:113]
	s_and_not1_b32 exec_lo, exec_lo, s16
	s_cbranch_execnz .LBB51_332
; %bb.333:
	s_or_b32 exec_lo, exec_lo, s16
.LBB51_334:
	s_delay_alu instid0(SALU_CYCLE_1) | instskip(SKIP_4) | instid1(VALU_DEP_1)
	s_or_b32 exec_lo, exec_lo, s15
	v_mov_b32_e32 v110, 0
	ds_load_b64 v[110:111], v110 offset:144
	s_wait_dscnt 0x0
	v_pk_mul_f32 v[112:113], v[108:109], v[110:111] op_sel:[1,1] op_sel_hi:[0,1]
	v_pk_fma_f32 v[114:115], v[108:109], v[110:111], v[112:113] op_sel_hi:[1,0,1]
	v_pk_fma_f32 v[108:109], v[108:109], v[110:111], v[112:113] neg_lo:[0,0,1] neg_hi:[0,0,1]
	s_delay_alu instid0(VALU_DEP_2)
	v_mov_b32_e32 v109, v115
	scratch_store_b64 off, v[108:109], off offset:144
.LBB51_335:
	s_wait_xcnt 0x0
	s_or_b32 exec_lo, exec_lo, s14
	scratch_load_b64 v[108:109], off, off offset:136
	v_cmp_lt_u32_e64 s1, 17, v0
	s_wait_loadcnt 0x0
	ds_store_b64 v1, v[108:109]
	s_wait_storecnt_dscnt 0x0
	s_barrier_signal -1
	s_barrier_wait -1
	s_wait_xcnt 0x0
	s_and_saveexec_b32 s14, s1
	s_cbranch_execz .LBB51_345
; %bb.336:
	s_and_not1_b32 vcc_lo, exec_lo, s3
	s_cbranch_vccnz .LBB51_338
; %bb.337:
	scratch_load_b64 v[108:109], v55, off
	ds_load_b64 v[110:111], v1
	s_wait_loadcnt_dscnt 0x0
	v_pk_mul_f32 v[112:113], v[110:111], v[108:109] op_sel:[1,1] op_sel_hi:[0,1]
	s_delay_alu instid0(VALU_DEP_1) | instskip(SKIP_1) | instid1(VALU_DEP_2)
	v_pk_fma_f32 v[114:115], v[110:111], v[108:109], v[112:113] op_sel_hi:[1,0,1]
	v_pk_fma_f32 v[108:109], v[110:111], v[108:109], v[112:113] neg_lo:[0,0,1] neg_hi:[0,0,1]
	v_mov_b32_e32 v109, v115
	s_cbranch_execz .LBB51_339
	s_branch .LBB51_340
.LBB51_338:
                                        ; implicit-def: $vgpr108_vgpr109
.LBB51_339:
	ds_load_b64 v[108:109], v1
.LBB51_340:
	s_and_saveexec_b32 s15, s0
	s_cbranch_execz .LBB51_344
; %bb.341:
	v_subrev_nc_u32_e32 v110, 18, v0
	s_movk_i32 s16, 0x230
	s_mov_b32 s0, 0
.LBB51_342:                             ; =>This Inner Loop Header: Depth=1
	scratch_load_b64 v[112:113], off, s13
	v_dual_mov_b32 v111, s16 :: v_dual_add_nc_u32 v110, -1, v110
	s_add_co_i32 s16, s16, 8
	s_wait_xcnt 0x0
	s_add_co_i32 s13, s13, 8
	ds_load_b64 v[114:115], v111
	v_cmp_eq_u32_e32 vcc_lo, 0, v110
	s_or_b32 s0, vcc_lo, s0
	s_wait_loadcnt_dscnt 0x0
	v_pk_mul_f32 v[116:117], v[114:115], v[112:113] op_sel:[1,1] op_sel_hi:[0,1]
	s_delay_alu instid0(VALU_DEP_1) | instskip(SKIP_1) | instid1(VALU_DEP_2)
	v_pk_fma_f32 v[118:119], v[114:115], v[112:113], v[116:117] op_sel_hi:[1,0,1]
	v_pk_fma_f32 v[112:113], v[114:115], v[112:113], v[116:117] neg_lo:[0,0,1] neg_hi:[0,0,1]
	v_mov_b32_e32 v113, v119
	s_delay_alu instid0(VALU_DEP_1)
	v_pk_add_f32 v[108:109], v[108:109], v[112:113]
	s_and_not1_b32 exec_lo, exec_lo, s0
	s_cbranch_execnz .LBB51_342
; %bb.343:
	s_or_b32 exec_lo, exec_lo, s0
.LBB51_344:
	s_delay_alu instid0(SALU_CYCLE_1) | instskip(SKIP_4) | instid1(VALU_DEP_1)
	s_or_b32 exec_lo, exec_lo, s15
	v_mov_b32_e32 v110, 0
	ds_load_b64 v[110:111], v110 offset:136
	s_wait_dscnt 0x0
	v_pk_mul_f32 v[112:113], v[108:109], v[110:111] op_sel:[1,1] op_sel_hi:[0,1]
	v_pk_fma_f32 v[114:115], v[108:109], v[110:111], v[112:113] op_sel_hi:[1,0,1]
	v_pk_fma_f32 v[108:109], v[108:109], v[110:111], v[112:113] neg_lo:[0,0,1] neg_hi:[0,0,1]
	s_delay_alu instid0(VALU_DEP_2)
	v_mov_b32_e32 v109, v115
	scratch_store_b64 off, v[108:109], off offset:136
.LBB51_345:
	s_wait_xcnt 0x0
	s_or_b32 exec_lo, exec_lo, s14
	scratch_load_b64 v[108:109], off, off offset:128
	v_cmp_lt_u32_e64 s0, 16, v0
	s_wait_loadcnt 0x0
	ds_store_b64 v1, v[108:109]
	s_wait_storecnt_dscnt 0x0
	s_barrier_signal -1
	s_barrier_wait -1
	s_wait_xcnt 0x0
	s_and_saveexec_b32 s13, s0
	s_cbranch_execz .LBB51_355
; %bb.346:
	s_and_not1_b32 vcc_lo, exec_lo, s3
	s_cbranch_vccnz .LBB51_348
; %bb.347:
	scratch_load_b64 v[108:109], v55, off
	ds_load_b64 v[110:111], v1
	s_wait_loadcnt_dscnt 0x0
	v_pk_mul_f32 v[112:113], v[110:111], v[108:109] op_sel:[1,1] op_sel_hi:[0,1]
	s_delay_alu instid0(VALU_DEP_1) | instskip(SKIP_1) | instid1(VALU_DEP_2)
	v_pk_fma_f32 v[114:115], v[110:111], v[108:109], v[112:113] op_sel_hi:[1,0,1]
	v_pk_fma_f32 v[108:109], v[110:111], v[108:109], v[112:113] neg_lo:[0,0,1] neg_hi:[0,0,1]
	v_mov_b32_e32 v109, v115
	s_cbranch_execz .LBB51_349
	s_branch .LBB51_350
.LBB51_348:
                                        ; implicit-def: $vgpr108_vgpr109
.LBB51_349:
	ds_load_b64 v[108:109], v1
.LBB51_350:
	s_and_saveexec_b32 s14, s1
	s_cbranch_execz .LBB51_354
; %bb.351:
	v_subrev_nc_u32_e32 v110, 17, v0
	s_movk_i32 s1, 0x88
	s_movk_i32 s16, 0x228
	s_mov_b32 s15, 0
.LBB51_352:                             ; =>This Inner Loop Header: Depth=1
	scratch_load_b64 v[112:113], off, s1
	v_dual_mov_b32 v111, s16 :: v_dual_add_nc_u32 v110, -1, v110
	s_add_co_i32 s16, s16, 8
	s_wait_xcnt 0x0
	s_add_co_i32 s1, s1, 8
	ds_load_b64 v[114:115], v111
	v_cmp_eq_u32_e32 vcc_lo, 0, v110
	s_or_b32 s15, vcc_lo, s15
	s_wait_loadcnt_dscnt 0x0
	v_pk_mul_f32 v[116:117], v[114:115], v[112:113] op_sel:[1,1] op_sel_hi:[0,1]
	s_delay_alu instid0(VALU_DEP_1) | instskip(SKIP_1) | instid1(VALU_DEP_2)
	v_pk_fma_f32 v[118:119], v[114:115], v[112:113], v[116:117] op_sel_hi:[1,0,1]
	v_pk_fma_f32 v[112:113], v[114:115], v[112:113], v[116:117] neg_lo:[0,0,1] neg_hi:[0,0,1]
	v_mov_b32_e32 v113, v119
	s_delay_alu instid0(VALU_DEP_1)
	v_pk_add_f32 v[108:109], v[108:109], v[112:113]
	s_and_not1_b32 exec_lo, exec_lo, s15
	s_cbranch_execnz .LBB51_352
; %bb.353:
	s_or_b32 exec_lo, exec_lo, s15
.LBB51_354:
	s_delay_alu instid0(SALU_CYCLE_1) | instskip(SKIP_4) | instid1(VALU_DEP_1)
	s_or_b32 exec_lo, exec_lo, s14
	v_mov_b32_e32 v110, 0
	ds_load_b64 v[110:111], v110 offset:128
	s_wait_dscnt 0x0
	v_pk_mul_f32 v[112:113], v[108:109], v[110:111] op_sel:[1,1] op_sel_hi:[0,1]
	v_pk_fma_f32 v[114:115], v[108:109], v[110:111], v[112:113] op_sel_hi:[1,0,1]
	v_pk_fma_f32 v[108:109], v[108:109], v[110:111], v[112:113] neg_lo:[0,0,1] neg_hi:[0,0,1]
	s_delay_alu instid0(VALU_DEP_2)
	v_mov_b32_e32 v109, v115
	scratch_store_b64 off, v[108:109], off offset:128
.LBB51_355:
	s_wait_xcnt 0x0
	s_or_b32 exec_lo, exec_lo, s13
	scratch_load_b64 v[108:109], off, off offset:120
	v_cmp_lt_u32_e64 s1, 15, v0
	s_wait_loadcnt 0x0
	ds_store_b64 v1, v[108:109]
	s_wait_storecnt_dscnt 0x0
	s_barrier_signal -1
	s_barrier_wait -1
	s_wait_xcnt 0x0
	s_and_saveexec_b32 s13, s1
	s_cbranch_execz .LBB51_365
; %bb.356:
	s_and_not1_b32 vcc_lo, exec_lo, s3
	s_cbranch_vccnz .LBB51_358
; %bb.357:
	scratch_load_b64 v[108:109], v55, off
	ds_load_b64 v[110:111], v1
	s_wait_loadcnt_dscnt 0x0
	v_pk_mul_f32 v[112:113], v[110:111], v[108:109] op_sel:[1,1] op_sel_hi:[0,1]
	s_delay_alu instid0(VALU_DEP_1) | instskip(SKIP_1) | instid1(VALU_DEP_2)
	v_pk_fma_f32 v[114:115], v[110:111], v[108:109], v[112:113] op_sel_hi:[1,0,1]
	v_pk_fma_f32 v[108:109], v[110:111], v[108:109], v[112:113] neg_lo:[0,0,1] neg_hi:[0,0,1]
	v_mov_b32_e32 v109, v115
	s_cbranch_execz .LBB51_359
	s_branch .LBB51_360
.LBB51_358:
                                        ; implicit-def: $vgpr108_vgpr109
.LBB51_359:
	ds_load_b64 v[108:109], v1
.LBB51_360:
	s_and_saveexec_b32 s14, s0
	s_cbranch_execz .LBB51_364
; %bb.361:
	v_add_nc_u32_e32 v110, -16, v0
	s_movk_i32 s15, 0x220
	s_mov_b32 s0, 0
.LBB51_362:                             ; =>This Inner Loop Header: Depth=1
	scratch_load_b64 v[112:113], off, s12
	v_dual_mov_b32 v111, s15 :: v_dual_add_nc_u32 v110, -1, v110
	s_add_co_i32 s15, s15, 8
	s_wait_xcnt 0x0
	s_add_co_i32 s12, s12, 8
	ds_load_b64 v[114:115], v111
	v_cmp_eq_u32_e32 vcc_lo, 0, v110
	s_or_b32 s0, vcc_lo, s0
	s_wait_loadcnt_dscnt 0x0
	v_pk_mul_f32 v[116:117], v[114:115], v[112:113] op_sel:[1,1] op_sel_hi:[0,1]
	s_delay_alu instid0(VALU_DEP_1) | instskip(SKIP_1) | instid1(VALU_DEP_2)
	v_pk_fma_f32 v[118:119], v[114:115], v[112:113], v[116:117] op_sel_hi:[1,0,1]
	v_pk_fma_f32 v[112:113], v[114:115], v[112:113], v[116:117] neg_lo:[0,0,1] neg_hi:[0,0,1]
	v_mov_b32_e32 v113, v119
	s_delay_alu instid0(VALU_DEP_1)
	v_pk_add_f32 v[108:109], v[108:109], v[112:113]
	s_and_not1_b32 exec_lo, exec_lo, s0
	s_cbranch_execnz .LBB51_362
; %bb.363:
	s_or_b32 exec_lo, exec_lo, s0
.LBB51_364:
	s_delay_alu instid0(SALU_CYCLE_1) | instskip(SKIP_4) | instid1(VALU_DEP_1)
	s_or_b32 exec_lo, exec_lo, s14
	v_mov_b32_e32 v110, 0
	ds_load_b64 v[110:111], v110 offset:120
	s_wait_dscnt 0x0
	v_pk_mul_f32 v[112:113], v[108:109], v[110:111] op_sel:[1,1] op_sel_hi:[0,1]
	v_pk_fma_f32 v[114:115], v[108:109], v[110:111], v[112:113] op_sel_hi:[1,0,1]
	v_pk_fma_f32 v[108:109], v[108:109], v[110:111], v[112:113] neg_lo:[0,0,1] neg_hi:[0,0,1]
	s_delay_alu instid0(VALU_DEP_2)
	v_mov_b32_e32 v109, v115
	scratch_store_b64 off, v[108:109], off offset:120
.LBB51_365:
	s_wait_xcnt 0x0
	s_or_b32 exec_lo, exec_lo, s13
	scratch_load_b64 v[108:109], off, off offset:112
	v_cmp_lt_u32_e64 s0, 14, v0
	s_wait_loadcnt 0x0
	ds_store_b64 v1, v[108:109]
	s_wait_storecnt_dscnt 0x0
	s_barrier_signal -1
	s_barrier_wait -1
	s_wait_xcnt 0x0
	s_and_saveexec_b32 s12, s0
	s_cbranch_execz .LBB51_375
; %bb.366:
	s_and_not1_b32 vcc_lo, exec_lo, s3
	s_cbranch_vccnz .LBB51_368
; %bb.367:
	scratch_load_b64 v[108:109], v55, off
	ds_load_b64 v[110:111], v1
	s_wait_loadcnt_dscnt 0x0
	v_pk_mul_f32 v[112:113], v[110:111], v[108:109] op_sel:[1,1] op_sel_hi:[0,1]
	s_delay_alu instid0(VALU_DEP_1) | instskip(SKIP_1) | instid1(VALU_DEP_2)
	v_pk_fma_f32 v[114:115], v[110:111], v[108:109], v[112:113] op_sel_hi:[1,0,1]
	v_pk_fma_f32 v[108:109], v[110:111], v[108:109], v[112:113] neg_lo:[0,0,1] neg_hi:[0,0,1]
	v_mov_b32_e32 v109, v115
	s_cbranch_execz .LBB51_369
	s_branch .LBB51_370
.LBB51_368:
                                        ; implicit-def: $vgpr108_vgpr109
.LBB51_369:
	ds_load_b64 v[108:109], v1
.LBB51_370:
	s_and_saveexec_b32 s13, s1
	s_cbranch_execz .LBB51_374
; %bb.371:
	v_add_nc_u32_e32 v110, -15, v0
	s_movk_i32 s1, 0x78
	s_movk_i32 s15, 0x218
	s_mov_b32 s14, 0
.LBB51_372:                             ; =>This Inner Loop Header: Depth=1
	scratch_load_b64 v[112:113], off, s1
	v_dual_mov_b32 v111, s15 :: v_dual_add_nc_u32 v110, -1, v110
	s_add_co_i32 s15, s15, 8
	s_wait_xcnt 0x0
	s_add_co_i32 s1, s1, 8
	ds_load_b64 v[114:115], v111
	v_cmp_eq_u32_e32 vcc_lo, 0, v110
	s_or_b32 s14, vcc_lo, s14
	s_wait_loadcnt_dscnt 0x0
	v_pk_mul_f32 v[116:117], v[114:115], v[112:113] op_sel:[1,1] op_sel_hi:[0,1]
	s_delay_alu instid0(VALU_DEP_1) | instskip(SKIP_1) | instid1(VALU_DEP_2)
	v_pk_fma_f32 v[118:119], v[114:115], v[112:113], v[116:117] op_sel_hi:[1,0,1]
	v_pk_fma_f32 v[112:113], v[114:115], v[112:113], v[116:117] neg_lo:[0,0,1] neg_hi:[0,0,1]
	v_mov_b32_e32 v113, v119
	s_delay_alu instid0(VALU_DEP_1)
	v_pk_add_f32 v[108:109], v[108:109], v[112:113]
	s_and_not1_b32 exec_lo, exec_lo, s14
	s_cbranch_execnz .LBB51_372
; %bb.373:
	s_or_b32 exec_lo, exec_lo, s14
.LBB51_374:
	s_delay_alu instid0(SALU_CYCLE_1) | instskip(SKIP_4) | instid1(VALU_DEP_1)
	s_or_b32 exec_lo, exec_lo, s13
	v_mov_b32_e32 v110, 0
	ds_load_b64 v[110:111], v110 offset:112
	s_wait_dscnt 0x0
	v_pk_mul_f32 v[112:113], v[108:109], v[110:111] op_sel:[1,1] op_sel_hi:[0,1]
	v_pk_fma_f32 v[114:115], v[108:109], v[110:111], v[112:113] op_sel_hi:[1,0,1]
	v_pk_fma_f32 v[108:109], v[108:109], v[110:111], v[112:113] neg_lo:[0,0,1] neg_hi:[0,0,1]
	s_delay_alu instid0(VALU_DEP_2)
	v_mov_b32_e32 v109, v115
	scratch_store_b64 off, v[108:109], off offset:112
.LBB51_375:
	s_wait_xcnt 0x0
	s_or_b32 exec_lo, exec_lo, s12
	scratch_load_b64 v[108:109], off, off offset:104
	v_cmp_lt_u32_e64 s1, 13, v0
	s_wait_loadcnt 0x0
	ds_store_b64 v1, v[108:109]
	s_wait_storecnt_dscnt 0x0
	s_barrier_signal -1
	s_barrier_wait -1
	s_wait_xcnt 0x0
	s_and_saveexec_b32 s12, s1
	s_cbranch_execz .LBB51_385
; %bb.376:
	s_and_not1_b32 vcc_lo, exec_lo, s3
	s_cbranch_vccnz .LBB51_378
; %bb.377:
	scratch_load_b64 v[108:109], v55, off
	ds_load_b64 v[110:111], v1
	s_wait_loadcnt_dscnt 0x0
	v_pk_mul_f32 v[112:113], v[110:111], v[108:109] op_sel:[1,1] op_sel_hi:[0,1]
	s_delay_alu instid0(VALU_DEP_1) | instskip(SKIP_1) | instid1(VALU_DEP_2)
	v_pk_fma_f32 v[114:115], v[110:111], v[108:109], v[112:113] op_sel_hi:[1,0,1]
	v_pk_fma_f32 v[108:109], v[110:111], v[108:109], v[112:113] neg_lo:[0,0,1] neg_hi:[0,0,1]
	v_mov_b32_e32 v109, v115
	s_cbranch_execz .LBB51_379
	s_branch .LBB51_380
.LBB51_378:
                                        ; implicit-def: $vgpr108_vgpr109
.LBB51_379:
	ds_load_b64 v[108:109], v1
.LBB51_380:
	s_and_saveexec_b32 s13, s0
	s_cbranch_execz .LBB51_384
; %bb.381:
	v_add_nc_u32_e32 v110, -14, v0
	s_movk_i32 s14, 0x210
	s_mov_b32 s0, 0
.LBB51_382:                             ; =>This Inner Loop Header: Depth=1
	scratch_load_b64 v[112:113], off, s11
	v_dual_mov_b32 v111, s14 :: v_dual_add_nc_u32 v110, -1, v110
	s_add_co_i32 s14, s14, 8
	s_wait_xcnt 0x0
	s_add_co_i32 s11, s11, 8
	ds_load_b64 v[114:115], v111
	v_cmp_eq_u32_e32 vcc_lo, 0, v110
	s_or_b32 s0, vcc_lo, s0
	s_wait_loadcnt_dscnt 0x0
	v_pk_mul_f32 v[116:117], v[114:115], v[112:113] op_sel:[1,1] op_sel_hi:[0,1]
	s_delay_alu instid0(VALU_DEP_1) | instskip(SKIP_1) | instid1(VALU_DEP_2)
	v_pk_fma_f32 v[118:119], v[114:115], v[112:113], v[116:117] op_sel_hi:[1,0,1]
	v_pk_fma_f32 v[112:113], v[114:115], v[112:113], v[116:117] neg_lo:[0,0,1] neg_hi:[0,0,1]
	v_mov_b32_e32 v113, v119
	s_delay_alu instid0(VALU_DEP_1)
	v_pk_add_f32 v[108:109], v[108:109], v[112:113]
	s_and_not1_b32 exec_lo, exec_lo, s0
	s_cbranch_execnz .LBB51_382
; %bb.383:
	s_or_b32 exec_lo, exec_lo, s0
.LBB51_384:
	s_delay_alu instid0(SALU_CYCLE_1) | instskip(SKIP_4) | instid1(VALU_DEP_1)
	s_or_b32 exec_lo, exec_lo, s13
	v_mov_b32_e32 v110, 0
	ds_load_b64 v[110:111], v110 offset:104
	s_wait_dscnt 0x0
	v_pk_mul_f32 v[112:113], v[108:109], v[110:111] op_sel:[1,1] op_sel_hi:[0,1]
	v_pk_fma_f32 v[114:115], v[108:109], v[110:111], v[112:113] op_sel_hi:[1,0,1]
	v_pk_fma_f32 v[108:109], v[108:109], v[110:111], v[112:113] neg_lo:[0,0,1] neg_hi:[0,0,1]
	s_delay_alu instid0(VALU_DEP_2)
	v_mov_b32_e32 v109, v115
	scratch_store_b64 off, v[108:109], off offset:104
.LBB51_385:
	s_wait_xcnt 0x0
	s_or_b32 exec_lo, exec_lo, s12
	scratch_load_b64 v[108:109], off, off offset:96
	v_cmp_lt_u32_e64 s0, 12, v0
	s_wait_loadcnt 0x0
	ds_store_b64 v1, v[108:109]
	s_wait_storecnt_dscnt 0x0
	s_barrier_signal -1
	s_barrier_wait -1
	s_wait_xcnt 0x0
	s_and_saveexec_b32 s11, s0
	s_cbranch_execz .LBB51_395
; %bb.386:
	s_and_not1_b32 vcc_lo, exec_lo, s3
	s_cbranch_vccnz .LBB51_388
; %bb.387:
	scratch_load_b64 v[108:109], v55, off
	ds_load_b64 v[110:111], v1
	s_wait_loadcnt_dscnt 0x0
	v_pk_mul_f32 v[112:113], v[110:111], v[108:109] op_sel:[1,1] op_sel_hi:[0,1]
	s_delay_alu instid0(VALU_DEP_1) | instskip(SKIP_1) | instid1(VALU_DEP_2)
	v_pk_fma_f32 v[114:115], v[110:111], v[108:109], v[112:113] op_sel_hi:[1,0,1]
	v_pk_fma_f32 v[108:109], v[110:111], v[108:109], v[112:113] neg_lo:[0,0,1] neg_hi:[0,0,1]
	v_mov_b32_e32 v109, v115
	s_cbranch_execz .LBB51_389
	s_branch .LBB51_390
.LBB51_388:
                                        ; implicit-def: $vgpr108_vgpr109
.LBB51_389:
	ds_load_b64 v[108:109], v1
.LBB51_390:
	s_and_saveexec_b32 s12, s1
	s_cbranch_execz .LBB51_394
; %bb.391:
	v_add_nc_u32_e32 v110, -13, v0
	s_movk_i32 s1, 0x68
	s_movk_i32 s14, 0x208
	s_mov_b32 s13, 0
.LBB51_392:                             ; =>This Inner Loop Header: Depth=1
	scratch_load_b64 v[112:113], off, s1
	v_dual_mov_b32 v111, s14 :: v_dual_add_nc_u32 v110, -1, v110
	s_add_co_i32 s14, s14, 8
	s_wait_xcnt 0x0
	s_add_co_i32 s1, s1, 8
	ds_load_b64 v[114:115], v111
	v_cmp_eq_u32_e32 vcc_lo, 0, v110
	s_or_b32 s13, vcc_lo, s13
	s_wait_loadcnt_dscnt 0x0
	v_pk_mul_f32 v[116:117], v[114:115], v[112:113] op_sel:[1,1] op_sel_hi:[0,1]
	s_delay_alu instid0(VALU_DEP_1) | instskip(SKIP_1) | instid1(VALU_DEP_2)
	v_pk_fma_f32 v[118:119], v[114:115], v[112:113], v[116:117] op_sel_hi:[1,0,1]
	v_pk_fma_f32 v[112:113], v[114:115], v[112:113], v[116:117] neg_lo:[0,0,1] neg_hi:[0,0,1]
	v_mov_b32_e32 v113, v119
	s_delay_alu instid0(VALU_DEP_1)
	v_pk_add_f32 v[108:109], v[108:109], v[112:113]
	s_and_not1_b32 exec_lo, exec_lo, s13
	s_cbranch_execnz .LBB51_392
; %bb.393:
	s_or_b32 exec_lo, exec_lo, s13
.LBB51_394:
	s_delay_alu instid0(SALU_CYCLE_1) | instskip(SKIP_4) | instid1(VALU_DEP_1)
	s_or_b32 exec_lo, exec_lo, s12
	v_mov_b32_e32 v110, 0
	ds_load_b64 v[110:111], v110 offset:96
	s_wait_dscnt 0x0
	v_pk_mul_f32 v[112:113], v[108:109], v[110:111] op_sel:[1,1] op_sel_hi:[0,1]
	v_pk_fma_f32 v[114:115], v[108:109], v[110:111], v[112:113] op_sel_hi:[1,0,1]
	v_pk_fma_f32 v[108:109], v[108:109], v[110:111], v[112:113] neg_lo:[0,0,1] neg_hi:[0,0,1]
	s_delay_alu instid0(VALU_DEP_2)
	v_mov_b32_e32 v109, v115
	scratch_store_b64 off, v[108:109], off offset:96
.LBB51_395:
	s_wait_xcnt 0x0
	s_or_b32 exec_lo, exec_lo, s11
	scratch_load_b64 v[108:109], off, off offset:88
	v_cmp_lt_u32_e64 s1, 11, v0
	s_wait_loadcnt 0x0
	ds_store_b64 v1, v[108:109]
	s_wait_storecnt_dscnt 0x0
	s_barrier_signal -1
	s_barrier_wait -1
	s_wait_xcnt 0x0
	s_and_saveexec_b32 s11, s1
	s_cbranch_execz .LBB51_405
; %bb.396:
	s_and_not1_b32 vcc_lo, exec_lo, s3
	s_cbranch_vccnz .LBB51_398
; %bb.397:
	scratch_load_b64 v[108:109], v55, off
	ds_load_b64 v[110:111], v1
	s_wait_loadcnt_dscnt 0x0
	v_pk_mul_f32 v[112:113], v[110:111], v[108:109] op_sel:[1,1] op_sel_hi:[0,1]
	s_delay_alu instid0(VALU_DEP_1) | instskip(SKIP_1) | instid1(VALU_DEP_2)
	v_pk_fma_f32 v[114:115], v[110:111], v[108:109], v[112:113] op_sel_hi:[1,0,1]
	v_pk_fma_f32 v[108:109], v[110:111], v[108:109], v[112:113] neg_lo:[0,0,1] neg_hi:[0,0,1]
	v_mov_b32_e32 v109, v115
	s_cbranch_execz .LBB51_399
	s_branch .LBB51_400
.LBB51_398:
                                        ; implicit-def: $vgpr108_vgpr109
.LBB51_399:
	ds_load_b64 v[108:109], v1
.LBB51_400:
	s_and_saveexec_b32 s12, s0
	s_cbranch_execz .LBB51_404
; %bb.401:
	v_add_nc_u32_e32 v110, -12, v0
	s_movk_i32 s13, 0x200
	s_mov_b32 s0, 0
.LBB51_402:                             ; =>This Inner Loop Header: Depth=1
	scratch_load_b64 v[112:113], off, s10
	v_dual_mov_b32 v111, s13 :: v_dual_add_nc_u32 v110, -1, v110
	s_add_co_i32 s13, s13, 8
	s_wait_xcnt 0x0
	s_add_co_i32 s10, s10, 8
	ds_load_b64 v[114:115], v111
	v_cmp_eq_u32_e32 vcc_lo, 0, v110
	s_or_b32 s0, vcc_lo, s0
	s_wait_loadcnt_dscnt 0x0
	v_pk_mul_f32 v[116:117], v[114:115], v[112:113] op_sel:[1,1] op_sel_hi:[0,1]
	s_delay_alu instid0(VALU_DEP_1) | instskip(SKIP_1) | instid1(VALU_DEP_2)
	v_pk_fma_f32 v[118:119], v[114:115], v[112:113], v[116:117] op_sel_hi:[1,0,1]
	v_pk_fma_f32 v[112:113], v[114:115], v[112:113], v[116:117] neg_lo:[0,0,1] neg_hi:[0,0,1]
	v_mov_b32_e32 v113, v119
	s_delay_alu instid0(VALU_DEP_1)
	v_pk_add_f32 v[108:109], v[108:109], v[112:113]
	s_and_not1_b32 exec_lo, exec_lo, s0
	s_cbranch_execnz .LBB51_402
; %bb.403:
	s_or_b32 exec_lo, exec_lo, s0
.LBB51_404:
	s_delay_alu instid0(SALU_CYCLE_1) | instskip(SKIP_4) | instid1(VALU_DEP_1)
	s_or_b32 exec_lo, exec_lo, s12
	v_mov_b32_e32 v110, 0
	ds_load_b64 v[110:111], v110 offset:88
	s_wait_dscnt 0x0
	v_pk_mul_f32 v[112:113], v[108:109], v[110:111] op_sel:[1,1] op_sel_hi:[0,1]
	v_pk_fma_f32 v[114:115], v[108:109], v[110:111], v[112:113] op_sel_hi:[1,0,1]
	v_pk_fma_f32 v[108:109], v[108:109], v[110:111], v[112:113] neg_lo:[0,0,1] neg_hi:[0,0,1]
	s_delay_alu instid0(VALU_DEP_2)
	v_mov_b32_e32 v109, v115
	scratch_store_b64 off, v[108:109], off offset:88
.LBB51_405:
	s_wait_xcnt 0x0
	s_or_b32 exec_lo, exec_lo, s11
	scratch_load_b64 v[108:109], off, off offset:80
	v_cmp_lt_u32_e64 s0, 10, v0
	s_wait_loadcnt 0x0
	ds_store_b64 v1, v[108:109]
	s_wait_storecnt_dscnt 0x0
	s_barrier_signal -1
	s_barrier_wait -1
	s_wait_xcnt 0x0
	s_and_saveexec_b32 s10, s0
	s_cbranch_execz .LBB51_415
; %bb.406:
	s_and_not1_b32 vcc_lo, exec_lo, s3
	s_cbranch_vccnz .LBB51_408
; %bb.407:
	scratch_load_b64 v[108:109], v55, off
	ds_load_b64 v[110:111], v1
	s_wait_loadcnt_dscnt 0x0
	v_pk_mul_f32 v[112:113], v[110:111], v[108:109] op_sel:[1,1] op_sel_hi:[0,1]
	s_delay_alu instid0(VALU_DEP_1) | instskip(SKIP_1) | instid1(VALU_DEP_2)
	v_pk_fma_f32 v[114:115], v[110:111], v[108:109], v[112:113] op_sel_hi:[1,0,1]
	v_pk_fma_f32 v[108:109], v[110:111], v[108:109], v[112:113] neg_lo:[0,0,1] neg_hi:[0,0,1]
	v_mov_b32_e32 v109, v115
	s_cbranch_execz .LBB51_409
	s_branch .LBB51_410
.LBB51_408:
                                        ; implicit-def: $vgpr108_vgpr109
.LBB51_409:
	ds_load_b64 v[108:109], v1
.LBB51_410:
	s_and_saveexec_b32 s11, s1
	s_cbranch_execz .LBB51_414
; %bb.411:
	v_add_nc_u32_e32 v110, -11, v0
	s_movk_i32 s1, 0x58
	s_movk_i32 s13, 0x1f8
	s_mov_b32 s12, 0
.LBB51_412:                             ; =>This Inner Loop Header: Depth=1
	scratch_load_b64 v[112:113], off, s1
	v_dual_mov_b32 v111, s13 :: v_dual_add_nc_u32 v110, -1, v110
	s_add_co_i32 s13, s13, 8
	s_wait_xcnt 0x0
	s_add_co_i32 s1, s1, 8
	ds_load_b64 v[114:115], v111
	v_cmp_eq_u32_e32 vcc_lo, 0, v110
	s_or_b32 s12, vcc_lo, s12
	s_wait_loadcnt_dscnt 0x0
	v_pk_mul_f32 v[116:117], v[114:115], v[112:113] op_sel:[1,1] op_sel_hi:[0,1]
	s_delay_alu instid0(VALU_DEP_1) | instskip(SKIP_1) | instid1(VALU_DEP_2)
	v_pk_fma_f32 v[118:119], v[114:115], v[112:113], v[116:117] op_sel_hi:[1,0,1]
	v_pk_fma_f32 v[112:113], v[114:115], v[112:113], v[116:117] neg_lo:[0,0,1] neg_hi:[0,0,1]
	v_mov_b32_e32 v113, v119
	s_delay_alu instid0(VALU_DEP_1)
	v_pk_add_f32 v[108:109], v[108:109], v[112:113]
	s_and_not1_b32 exec_lo, exec_lo, s12
	s_cbranch_execnz .LBB51_412
; %bb.413:
	s_or_b32 exec_lo, exec_lo, s12
.LBB51_414:
	s_delay_alu instid0(SALU_CYCLE_1) | instskip(SKIP_4) | instid1(VALU_DEP_1)
	s_or_b32 exec_lo, exec_lo, s11
	v_mov_b32_e32 v110, 0
	ds_load_b64 v[110:111], v110 offset:80
	s_wait_dscnt 0x0
	v_pk_mul_f32 v[112:113], v[108:109], v[110:111] op_sel:[1,1] op_sel_hi:[0,1]
	v_pk_fma_f32 v[114:115], v[108:109], v[110:111], v[112:113] op_sel_hi:[1,0,1]
	v_pk_fma_f32 v[108:109], v[108:109], v[110:111], v[112:113] neg_lo:[0,0,1] neg_hi:[0,0,1]
	s_delay_alu instid0(VALU_DEP_2)
	v_mov_b32_e32 v109, v115
	scratch_store_b64 off, v[108:109], off offset:80
.LBB51_415:
	s_wait_xcnt 0x0
	s_or_b32 exec_lo, exec_lo, s10
	scratch_load_b64 v[108:109], off, off offset:72
	v_cmp_lt_u32_e64 s1, 9, v0
	s_wait_loadcnt 0x0
	ds_store_b64 v1, v[108:109]
	s_wait_storecnt_dscnt 0x0
	s_barrier_signal -1
	s_barrier_wait -1
	s_wait_xcnt 0x0
	s_and_saveexec_b32 s10, s1
	s_cbranch_execz .LBB51_425
; %bb.416:
	s_and_not1_b32 vcc_lo, exec_lo, s3
	s_cbranch_vccnz .LBB51_418
; %bb.417:
	scratch_load_b64 v[108:109], v55, off
	ds_load_b64 v[110:111], v1
	s_wait_loadcnt_dscnt 0x0
	v_pk_mul_f32 v[112:113], v[110:111], v[108:109] op_sel:[1,1] op_sel_hi:[0,1]
	s_delay_alu instid0(VALU_DEP_1) | instskip(SKIP_1) | instid1(VALU_DEP_2)
	v_pk_fma_f32 v[114:115], v[110:111], v[108:109], v[112:113] op_sel_hi:[1,0,1]
	v_pk_fma_f32 v[108:109], v[110:111], v[108:109], v[112:113] neg_lo:[0,0,1] neg_hi:[0,0,1]
	v_mov_b32_e32 v109, v115
	s_cbranch_execz .LBB51_419
	s_branch .LBB51_420
.LBB51_418:
                                        ; implicit-def: $vgpr108_vgpr109
.LBB51_419:
	ds_load_b64 v[108:109], v1
.LBB51_420:
	s_and_saveexec_b32 s11, s0
	s_cbranch_execz .LBB51_424
; %bb.421:
	v_add_nc_u32_e32 v110, -10, v0
	s_movk_i32 s12, 0x1f0
	s_mov_b32 s0, 0
.LBB51_422:                             ; =>This Inner Loop Header: Depth=1
	scratch_load_b64 v[112:113], off, s9
	v_dual_mov_b32 v111, s12 :: v_dual_add_nc_u32 v110, -1, v110
	s_add_co_i32 s12, s12, 8
	s_wait_xcnt 0x0
	s_add_co_i32 s9, s9, 8
	ds_load_b64 v[114:115], v111
	v_cmp_eq_u32_e32 vcc_lo, 0, v110
	s_or_b32 s0, vcc_lo, s0
	s_wait_loadcnt_dscnt 0x0
	v_pk_mul_f32 v[116:117], v[114:115], v[112:113] op_sel:[1,1] op_sel_hi:[0,1]
	s_delay_alu instid0(VALU_DEP_1) | instskip(SKIP_1) | instid1(VALU_DEP_2)
	v_pk_fma_f32 v[118:119], v[114:115], v[112:113], v[116:117] op_sel_hi:[1,0,1]
	v_pk_fma_f32 v[112:113], v[114:115], v[112:113], v[116:117] neg_lo:[0,0,1] neg_hi:[0,0,1]
	v_mov_b32_e32 v113, v119
	s_delay_alu instid0(VALU_DEP_1)
	v_pk_add_f32 v[108:109], v[108:109], v[112:113]
	s_and_not1_b32 exec_lo, exec_lo, s0
	s_cbranch_execnz .LBB51_422
; %bb.423:
	s_or_b32 exec_lo, exec_lo, s0
.LBB51_424:
	s_delay_alu instid0(SALU_CYCLE_1) | instskip(SKIP_4) | instid1(VALU_DEP_1)
	s_or_b32 exec_lo, exec_lo, s11
	v_mov_b32_e32 v110, 0
	ds_load_b64 v[110:111], v110 offset:72
	s_wait_dscnt 0x0
	v_pk_mul_f32 v[112:113], v[108:109], v[110:111] op_sel:[1,1] op_sel_hi:[0,1]
	v_pk_fma_f32 v[114:115], v[108:109], v[110:111], v[112:113] op_sel_hi:[1,0,1]
	v_pk_fma_f32 v[108:109], v[108:109], v[110:111], v[112:113] neg_lo:[0,0,1] neg_hi:[0,0,1]
	s_delay_alu instid0(VALU_DEP_2)
	v_mov_b32_e32 v109, v115
	scratch_store_b64 off, v[108:109], off offset:72
.LBB51_425:
	s_wait_xcnt 0x0
	s_or_b32 exec_lo, exec_lo, s10
	scratch_load_b64 v[108:109], off, off offset:64
	v_cmp_lt_u32_e64 s0, 8, v0
	s_wait_loadcnt 0x0
	ds_store_b64 v1, v[108:109]
	s_wait_storecnt_dscnt 0x0
	s_barrier_signal -1
	s_barrier_wait -1
	s_wait_xcnt 0x0
	s_and_saveexec_b32 s9, s0
	s_cbranch_execz .LBB51_435
; %bb.426:
	s_and_not1_b32 vcc_lo, exec_lo, s3
	s_cbranch_vccnz .LBB51_428
; %bb.427:
	scratch_load_b64 v[108:109], v55, off
	ds_load_b64 v[110:111], v1
	s_wait_loadcnt_dscnt 0x0
	v_pk_mul_f32 v[112:113], v[110:111], v[108:109] op_sel:[1,1] op_sel_hi:[0,1]
	s_delay_alu instid0(VALU_DEP_1) | instskip(SKIP_1) | instid1(VALU_DEP_2)
	v_pk_fma_f32 v[114:115], v[110:111], v[108:109], v[112:113] op_sel_hi:[1,0,1]
	v_pk_fma_f32 v[108:109], v[110:111], v[108:109], v[112:113] neg_lo:[0,0,1] neg_hi:[0,0,1]
	v_mov_b32_e32 v109, v115
	s_cbranch_execz .LBB51_429
	s_branch .LBB51_430
.LBB51_428:
                                        ; implicit-def: $vgpr108_vgpr109
.LBB51_429:
	ds_load_b64 v[108:109], v1
.LBB51_430:
	s_and_saveexec_b32 s10, s1
	s_cbranch_execz .LBB51_434
; %bb.431:
	v_add_nc_u32_e32 v110, -9, v0
	s_movk_i32 s1, 0x48
	s_movk_i32 s12, 0x1e8
	s_mov_b32 s11, 0
.LBB51_432:                             ; =>This Inner Loop Header: Depth=1
	scratch_load_b64 v[112:113], off, s1
	v_dual_mov_b32 v111, s12 :: v_dual_add_nc_u32 v110, -1, v110
	s_add_co_i32 s12, s12, 8
	s_wait_xcnt 0x0
	s_add_co_i32 s1, s1, 8
	ds_load_b64 v[114:115], v111
	v_cmp_eq_u32_e32 vcc_lo, 0, v110
	s_or_b32 s11, vcc_lo, s11
	s_wait_loadcnt_dscnt 0x0
	v_pk_mul_f32 v[116:117], v[114:115], v[112:113] op_sel:[1,1] op_sel_hi:[0,1]
	s_delay_alu instid0(VALU_DEP_1) | instskip(SKIP_1) | instid1(VALU_DEP_2)
	v_pk_fma_f32 v[118:119], v[114:115], v[112:113], v[116:117] op_sel_hi:[1,0,1]
	v_pk_fma_f32 v[112:113], v[114:115], v[112:113], v[116:117] neg_lo:[0,0,1] neg_hi:[0,0,1]
	v_mov_b32_e32 v113, v119
	s_delay_alu instid0(VALU_DEP_1)
	v_pk_add_f32 v[108:109], v[108:109], v[112:113]
	s_and_not1_b32 exec_lo, exec_lo, s11
	s_cbranch_execnz .LBB51_432
; %bb.433:
	s_or_b32 exec_lo, exec_lo, s11
.LBB51_434:
	s_delay_alu instid0(SALU_CYCLE_1) | instskip(SKIP_4) | instid1(VALU_DEP_1)
	s_or_b32 exec_lo, exec_lo, s10
	v_mov_b32_e32 v110, 0
	ds_load_b64 v[110:111], v110 offset:64
	s_wait_dscnt 0x0
	v_pk_mul_f32 v[112:113], v[108:109], v[110:111] op_sel:[1,1] op_sel_hi:[0,1]
	v_pk_fma_f32 v[114:115], v[108:109], v[110:111], v[112:113] op_sel_hi:[1,0,1]
	v_pk_fma_f32 v[108:109], v[108:109], v[110:111], v[112:113] neg_lo:[0,0,1] neg_hi:[0,0,1]
	s_delay_alu instid0(VALU_DEP_2)
	v_mov_b32_e32 v109, v115
	scratch_store_b64 off, v[108:109], off offset:64
.LBB51_435:
	s_wait_xcnt 0x0
	s_or_b32 exec_lo, exec_lo, s9
	scratch_load_b64 v[108:109], off, off offset:56
	v_cmp_lt_u32_e64 s1, 7, v0
	s_wait_loadcnt 0x0
	ds_store_b64 v1, v[108:109]
	s_wait_storecnt_dscnt 0x0
	s_barrier_signal -1
	s_barrier_wait -1
	s_wait_xcnt 0x0
	s_and_saveexec_b32 s9, s1
	s_cbranch_execz .LBB51_445
; %bb.436:
	s_and_not1_b32 vcc_lo, exec_lo, s3
	s_cbranch_vccnz .LBB51_438
; %bb.437:
	scratch_load_b64 v[108:109], v55, off
	ds_load_b64 v[110:111], v1
	s_wait_loadcnt_dscnt 0x0
	v_pk_mul_f32 v[112:113], v[110:111], v[108:109] op_sel:[1,1] op_sel_hi:[0,1]
	s_delay_alu instid0(VALU_DEP_1) | instskip(SKIP_1) | instid1(VALU_DEP_2)
	v_pk_fma_f32 v[114:115], v[110:111], v[108:109], v[112:113] op_sel_hi:[1,0,1]
	v_pk_fma_f32 v[108:109], v[110:111], v[108:109], v[112:113] neg_lo:[0,0,1] neg_hi:[0,0,1]
	v_mov_b32_e32 v109, v115
	s_cbranch_execz .LBB51_439
	s_branch .LBB51_440
.LBB51_438:
                                        ; implicit-def: $vgpr108_vgpr109
.LBB51_439:
	ds_load_b64 v[108:109], v1
.LBB51_440:
	s_and_saveexec_b32 s10, s0
	s_cbranch_execz .LBB51_444
; %bb.441:
	v_add_nc_u32_e32 v110, -8, v0
	s_movk_i32 s11, 0x1e0
	s_mov_b32 s0, 0
.LBB51_442:                             ; =>This Inner Loop Header: Depth=1
	scratch_load_b64 v[112:113], off, s8
	v_dual_mov_b32 v111, s11 :: v_dual_add_nc_u32 v110, -1, v110
	s_add_co_i32 s11, s11, 8
	s_wait_xcnt 0x0
	s_add_co_i32 s8, s8, 8
	ds_load_b64 v[114:115], v111
	v_cmp_eq_u32_e32 vcc_lo, 0, v110
	s_or_b32 s0, vcc_lo, s0
	s_wait_loadcnt_dscnt 0x0
	v_pk_mul_f32 v[116:117], v[114:115], v[112:113] op_sel:[1,1] op_sel_hi:[0,1]
	s_delay_alu instid0(VALU_DEP_1) | instskip(SKIP_1) | instid1(VALU_DEP_2)
	v_pk_fma_f32 v[118:119], v[114:115], v[112:113], v[116:117] op_sel_hi:[1,0,1]
	v_pk_fma_f32 v[112:113], v[114:115], v[112:113], v[116:117] neg_lo:[0,0,1] neg_hi:[0,0,1]
	v_mov_b32_e32 v113, v119
	s_delay_alu instid0(VALU_DEP_1)
	v_pk_add_f32 v[108:109], v[108:109], v[112:113]
	s_and_not1_b32 exec_lo, exec_lo, s0
	s_cbranch_execnz .LBB51_442
; %bb.443:
	s_or_b32 exec_lo, exec_lo, s0
.LBB51_444:
	s_delay_alu instid0(SALU_CYCLE_1) | instskip(SKIP_4) | instid1(VALU_DEP_1)
	s_or_b32 exec_lo, exec_lo, s10
	v_mov_b32_e32 v110, 0
	ds_load_b64 v[110:111], v110 offset:56
	s_wait_dscnt 0x0
	v_pk_mul_f32 v[112:113], v[108:109], v[110:111] op_sel:[1,1] op_sel_hi:[0,1]
	v_pk_fma_f32 v[114:115], v[108:109], v[110:111], v[112:113] op_sel_hi:[1,0,1]
	v_pk_fma_f32 v[108:109], v[108:109], v[110:111], v[112:113] neg_lo:[0,0,1] neg_hi:[0,0,1]
	s_delay_alu instid0(VALU_DEP_2)
	v_mov_b32_e32 v109, v115
	scratch_store_b64 off, v[108:109], off offset:56
.LBB51_445:
	s_wait_xcnt 0x0
	s_or_b32 exec_lo, exec_lo, s9
	scratch_load_b64 v[108:109], off, off offset:48
	v_cmp_lt_u32_e64 s0, 6, v0
	s_wait_loadcnt 0x0
	ds_store_b64 v1, v[108:109]
	s_wait_storecnt_dscnt 0x0
	s_barrier_signal -1
	s_barrier_wait -1
	s_wait_xcnt 0x0
	s_and_saveexec_b32 s8, s0
	s_cbranch_execz .LBB51_455
; %bb.446:
	s_and_not1_b32 vcc_lo, exec_lo, s3
	s_cbranch_vccnz .LBB51_448
; %bb.447:
	scratch_load_b64 v[108:109], v55, off
	ds_load_b64 v[110:111], v1
	s_wait_loadcnt_dscnt 0x0
	v_pk_mul_f32 v[112:113], v[110:111], v[108:109] op_sel:[1,1] op_sel_hi:[0,1]
	s_delay_alu instid0(VALU_DEP_1) | instskip(SKIP_1) | instid1(VALU_DEP_2)
	v_pk_fma_f32 v[114:115], v[110:111], v[108:109], v[112:113] op_sel_hi:[1,0,1]
	v_pk_fma_f32 v[108:109], v[110:111], v[108:109], v[112:113] neg_lo:[0,0,1] neg_hi:[0,0,1]
	v_mov_b32_e32 v109, v115
	s_cbranch_execz .LBB51_449
	s_branch .LBB51_450
.LBB51_448:
                                        ; implicit-def: $vgpr108_vgpr109
.LBB51_449:
	ds_load_b64 v[108:109], v1
.LBB51_450:
	s_and_saveexec_b32 s9, s1
	s_cbranch_execz .LBB51_454
; %bb.451:
	v_add_nc_u32_e32 v110, -7, v0
	s_mov_b32 s1, 56
	s_movk_i32 s11, 0x1d8
	s_mov_b32 s10, 0
.LBB51_452:                             ; =>This Inner Loop Header: Depth=1
	scratch_load_b64 v[112:113], off, s1
	v_dual_mov_b32 v111, s11 :: v_dual_add_nc_u32 v110, -1, v110
	s_add_co_i32 s11, s11, 8
	s_wait_xcnt 0x0
	s_add_co_i32 s1, s1, 8
	ds_load_b64 v[114:115], v111
	v_cmp_eq_u32_e32 vcc_lo, 0, v110
	s_or_b32 s10, vcc_lo, s10
	s_wait_loadcnt_dscnt 0x0
	v_pk_mul_f32 v[116:117], v[114:115], v[112:113] op_sel:[1,1] op_sel_hi:[0,1]
	s_delay_alu instid0(VALU_DEP_1) | instskip(SKIP_1) | instid1(VALU_DEP_2)
	v_pk_fma_f32 v[118:119], v[114:115], v[112:113], v[116:117] op_sel_hi:[1,0,1]
	v_pk_fma_f32 v[112:113], v[114:115], v[112:113], v[116:117] neg_lo:[0,0,1] neg_hi:[0,0,1]
	v_mov_b32_e32 v113, v119
	s_delay_alu instid0(VALU_DEP_1)
	v_pk_add_f32 v[108:109], v[108:109], v[112:113]
	s_and_not1_b32 exec_lo, exec_lo, s10
	s_cbranch_execnz .LBB51_452
; %bb.453:
	s_or_b32 exec_lo, exec_lo, s10
.LBB51_454:
	s_delay_alu instid0(SALU_CYCLE_1) | instskip(SKIP_4) | instid1(VALU_DEP_1)
	s_or_b32 exec_lo, exec_lo, s9
	v_mov_b32_e32 v110, 0
	ds_load_b64 v[110:111], v110 offset:48
	s_wait_dscnt 0x0
	v_pk_mul_f32 v[112:113], v[108:109], v[110:111] op_sel:[1,1] op_sel_hi:[0,1]
	v_pk_fma_f32 v[114:115], v[108:109], v[110:111], v[112:113] op_sel_hi:[1,0,1]
	v_pk_fma_f32 v[108:109], v[108:109], v[110:111], v[112:113] neg_lo:[0,0,1] neg_hi:[0,0,1]
	s_delay_alu instid0(VALU_DEP_2)
	v_mov_b32_e32 v109, v115
	scratch_store_b64 off, v[108:109], off offset:48
.LBB51_455:
	s_wait_xcnt 0x0
	s_or_b32 exec_lo, exec_lo, s8
	scratch_load_b64 v[108:109], off, off offset:40
	v_cmp_lt_u32_e64 s1, 5, v0
	s_wait_loadcnt 0x0
	ds_store_b64 v1, v[108:109]
	s_wait_storecnt_dscnt 0x0
	s_barrier_signal -1
	s_barrier_wait -1
	s_wait_xcnt 0x0
	s_and_saveexec_b32 s8, s1
	s_cbranch_execz .LBB51_465
; %bb.456:
	s_and_not1_b32 vcc_lo, exec_lo, s3
	s_cbranch_vccnz .LBB51_458
; %bb.457:
	scratch_load_b64 v[108:109], v55, off
	ds_load_b64 v[110:111], v1
	s_wait_loadcnt_dscnt 0x0
	v_pk_mul_f32 v[112:113], v[110:111], v[108:109] op_sel:[1,1] op_sel_hi:[0,1]
	s_delay_alu instid0(VALU_DEP_1) | instskip(SKIP_1) | instid1(VALU_DEP_2)
	v_pk_fma_f32 v[114:115], v[110:111], v[108:109], v[112:113] op_sel_hi:[1,0,1]
	v_pk_fma_f32 v[108:109], v[110:111], v[108:109], v[112:113] neg_lo:[0,0,1] neg_hi:[0,0,1]
	v_mov_b32_e32 v109, v115
	s_cbranch_execz .LBB51_459
	s_branch .LBB51_460
.LBB51_458:
                                        ; implicit-def: $vgpr108_vgpr109
.LBB51_459:
	ds_load_b64 v[108:109], v1
.LBB51_460:
	s_and_saveexec_b32 s9, s0
	s_cbranch_execz .LBB51_464
; %bb.461:
	v_add_nc_u32_e32 v110, -6, v0
	s_movk_i32 s10, 0x1d0
	s_mov_b32 s0, 0
.LBB51_462:                             ; =>This Inner Loop Header: Depth=1
	scratch_load_b64 v[112:113], off, s2
	v_dual_mov_b32 v111, s10 :: v_dual_add_nc_u32 v110, -1, v110
	s_add_co_i32 s10, s10, 8
	s_wait_xcnt 0x0
	s_add_co_i32 s2, s2, 8
	ds_load_b64 v[114:115], v111
	v_cmp_eq_u32_e32 vcc_lo, 0, v110
	s_or_b32 s0, vcc_lo, s0
	s_wait_loadcnt_dscnt 0x0
	v_pk_mul_f32 v[116:117], v[114:115], v[112:113] op_sel:[1,1] op_sel_hi:[0,1]
	s_delay_alu instid0(VALU_DEP_1) | instskip(SKIP_1) | instid1(VALU_DEP_2)
	v_pk_fma_f32 v[118:119], v[114:115], v[112:113], v[116:117] op_sel_hi:[1,0,1]
	v_pk_fma_f32 v[112:113], v[114:115], v[112:113], v[116:117] neg_lo:[0,0,1] neg_hi:[0,0,1]
	v_mov_b32_e32 v113, v119
	s_delay_alu instid0(VALU_DEP_1)
	v_pk_add_f32 v[108:109], v[108:109], v[112:113]
	s_and_not1_b32 exec_lo, exec_lo, s0
	s_cbranch_execnz .LBB51_462
; %bb.463:
	s_or_b32 exec_lo, exec_lo, s0
.LBB51_464:
	s_delay_alu instid0(SALU_CYCLE_1) | instskip(SKIP_4) | instid1(VALU_DEP_1)
	s_or_b32 exec_lo, exec_lo, s9
	v_mov_b32_e32 v110, 0
	ds_load_b64 v[110:111], v110 offset:40
	s_wait_dscnt 0x0
	v_pk_mul_f32 v[112:113], v[108:109], v[110:111] op_sel:[1,1] op_sel_hi:[0,1]
	v_pk_fma_f32 v[114:115], v[108:109], v[110:111], v[112:113] op_sel_hi:[1,0,1]
	v_pk_fma_f32 v[108:109], v[108:109], v[110:111], v[112:113] neg_lo:[0,0,1] neg_hi:[0,0,1]
	s_delay_alu instid0(VALU_DEP_2)
	v_mov_b32_e32 v109, v115
	scratch_store_b64 off, v[108:109], off offset:40
.LBB51_465:
	s_wait_xcnt 0x0
	s_or_b32 exec_lo, exec_lo, s8
	scratch_load_b64 v[108:109], off, off offset:32
	v_cmp_lt_u32_e64 s0, 4, v0
	s_wait_loadcnt 0x0
	ds_store_b64 v1, v[108:109]
	s_wait_storecnt_dscnt 0x0
	s_barrier_signal -1
	s_barrier_wait -1
	s_wait_xcnt 0x0
	s_and_saveexec_b32 s2, s0
	s_cbranch_execz .LBB51_475
; %bb.466:
	s_and_not1_b32 vcc_lo, exec_lo, s3
	s_cbranch_vccnz .LBB51_468
; %bb.467:
	scratch_load_b64 v[108:109], v55, off
	ds_load_b64 v[110:111], v1
	s_wait_loadcnt_dscnt 0x0
	v_pk_mul_f32 v[112:113], v[110:111], v[108:109] op_sel:[1,1] op_sel_hi:[0,1]
	s_delay_alu instid0(VALU_DEP_1) | instskip(SKIP_1) | instid1(VALU_DEP_2)
	v_pk_fma_f32 v[114:115], v[110:111], v[108:109], v[112:113] op_sel_hi:[1,0,1]
	v_pk_fma_f32 v[108:109], v[110:111], v[108:109], v[112:113] neg_lo:[0,0,1] neg_hi:[0,0,1]
	v_mov_b32_e32 v109, v115
	s_cbranch_execz .LBB51_469
	s_branch .LBB51_470
.LBB51_468:
                                        ; implicit-def: $vgpr108_vgpr109
.LBB51_469:
	ds_load_b64 v[108:109], v1
.LBB51_470:
	s_and_saveexec_b32 s8, s1
	s_cbranch_execz .LBB51_474
; %bb.471:
	v_add_nc_u32_e32 v110, -5, v0
	s_mov_b32 s1, 40
	s_movk_i32 s10, 0x1c8
	s_mov_b32 s9, 0
.LBB51_472:                             ; =>This Inner Loop Header: Depth=1
	scratch_load_b64 v[112:113], off, s1
	v_dual_mov_b32 v111, s10 :: v_dual_add_nc_u32 v110, -1, v110
	s_add_co_i32 s10, s10, 8
	s_wait_xcnt 0x0
	s_add_co_i32 s1, s1, 8
	ds_load_b64 v[114:115], v111
	v_cmp_eq_u32_e32 vcc_lo, 0, v110
	s_or_b32 s9, vcc_lo, s9
	s_wait_loadcnt_dscnt 0x0
	v_pk_mul_f32 v[116:117], v[114:115], v[112:113] op_sel:[1,1] op_sel_hi:[0,1]
	s_delay_alu instid0(VALU_DEP_1) | instskip(SKIP_1) | instid1(VALU_DEP_2)
	v_pk_fma_f32 v[118:119], v[114:115], v[112:113], v[116:117] op_sel_hi:[1,0,1]
	v_pk_fma_f32 v[112:113], v[114:115], v[112:113], v[116:117] neg_lo:[0,0,1] neg_hi:[0,0,1]
	v_mov_b32_e32 v113, v119
	s_delay_alu instid0(VALU_DEP_1)
	v_pk_add_f32 v[108:109], v[108:109], v[112:113]
	s_and_not1_b32 exec_lo, exec_lo, s9
	s_cbranch_execnz .LBB51_472
; %bb.473:
	s_or_b32 exec_lo, exec_lo, s9
.LBB51_474:
	s_delay_alu instid0(SALU_CYCLE_1) | instskip(SKIP_4) | instid1(VALU_DEP_1)
	s_or_b32 exec_lo, exec_lo, s8
	v_mov_b32_e32 v110, 0
	ds_load_b64 v[110:111], v110 offset:32
	s_wait_dscnt 0x0
	v_pk_mul_f32 v[112:113], v[108:109], v[110:111] op_sel:[1,1] op_sel_hi:[0,1]
	v_pk_fma_f32 v[114:115], v[108:109], v[110:111], v[112:113] op_sel_hi:[1,0,1]
	v_pk_fma_f32 v[108:109], v[108:109], v[110:111], v[112:113] neg_lo:[0,0,1] neg_hi:[0,0,1]
	s_delay_alu instid0(VALU_DEP_2)
	v_mov_b32_e32 v109, v115
	scratch_store_b64 off, v[108:109], off offset:32
.LBB51_475:
	s_wait_xcnt 0x0
	s_or_b32 exec_lo, exec_lo, s2
	scratch_load_b64 v[108:109], off, off offset:24
	v_cmp_lt_u32_e64 s2, 3, v0
	s_wait_loadcnt 0x0
	ds_store_b64 v1, v[108:109]
	s_wait_storecnt_dscnt 0x0
	s_barrier_signal -1
	s_barrier_wait -1
	s_wait_xcnt 0x0
	s_and_saveexec_b32 s1, s2
	s_cbranch_execz .LBB51_485
; %bb.476:
	s_and_not1_b32 vcc_lo, exec_lo, s3
	s_cbranch_vccnz .LBB51_478
; %bb.477:
	scratch_load_b64 v[108:109], v55, off
	ds_load_b64 v[110:111], v1
	s_wait_loadcnt_dscnt 0x0
	v_pk_mul_f32 v[112:113], v[110:111], v[108:109] op_sel:[1,1] op_sel_hi:[0,1]
	s_delay_alu instid0(VALU_DEP_1) | instskip(SKIP_1) | instid1(VALU_DEP_2)
	v_pk_fma_f32 v[114:115], v[110:111], v[108:109], v[112:113] op_sel_hi:[1,0,1]
	v_pk_fma_f32 v[108:109], v[110:111], v[108:109], v[112:113] neg_lo:[0,0,1] neg_hi:[0,0,1]
	v_mov_b32_e32 v109, v115
	s_cbranch_execz .LBB51_479
	s_branch .LBB51_480
.LBB51_478:
                                        ; implicit-def: $vgpr108_vgpr109
.LBB51_479:
	ds_load_b64 v[108:109], v1
.LBB51_480:
	s_and_saveexec_b32 s8, s0
	s_cbranch_execz .LBB51_484
; %bb.481:
	v_add_nc_u32_e32 v110, -4, v0
	s_movk_i32 s9, 0x1c0
	s_mov_b32 s0, 0
.LBB51_482:                             ; =>This Inner Loop Header: Depth=1
	scratch_load_b64 v[112:113], off, s5
	v_dual_mov_b32 v111, s9 :: v_dual_add_nc_u32 v110, -1, v110
	s_add_co_i32 s9, s9, 8
	s_wait_xcnt 0x0
	s_add_co_i32 s5, s5, 8
	ds_load_b64 v[114:115], v111
	v_cmp_eq_u32_e32 vcc_lo, 0, v110
	s_or_b32 s0, vcc_lo, s0
	s_wait_loadcnt_dscnt 0x0
	v_pk_mul_f32 v[116:117], v[114:115], v[112:113] op_sel:[1,1] op_sel_hi:[0,1]
	s_delay_alu instid0(VALU_DEP_1) | instskip(SKIP_1) | instid1(VALU_DEP_2)
	v_pk_fma_f32 v[118:119], v[114:115], v[112:113], v[116:117] op_sel_hi:[1,0,1]
	v_pk_fma_f32 v[112:113], v[114:115], v[112:113], v[116:117] neg_lo:[0,0,1] neg_hi:[0,0,1]
	v_mov_b32_e32 v113, v119
	s_delay_alu instid0(VALU_DEP_1)
	v_pk_add_f32 v[108:109], v[108:109], v[112:113]
	s_and_not1_b32 exec_lo, exec_lo, s0
	s_cbranch_execnz .LBB51_482
; %bb.483:
	s_or_b32 exec_lo, exec_lo, s0
.LBB51_484:
	s_delay_alu instid0(SALU_CYCLE_1) | instskip(SKIP_4) | instid1(VALU_DEP_1)
	s_or_b32 exec_lo, exec_lo, s8
	v_mov_b32_e32 v110, 0
	ds_load_b64 v[110:111], v110 offset:24
	s_wait_dscnt 0x0
	v_pk_mul_f32 v[112:113], v[108:109], v[110:111] op_sel:[1,1] op_sel_hi:[0,1]
	v_pk_fma_f32 v[114:115], v[108:109], v[110:111], v[112:113] op_sel_hi:[1,0,1]
	v_pk_fma_f32 v[108:109], v[108:109], v[110:111], v[112:113] neg_lo:[0,0,1] neg_hi:[0,0,1]
	s_delay_alu instid0(VALU_DEP_2)
	v_mov_b32_e32 v109, v115
	scratch_store_b64 off, v[108:109], off offset:24
.LBB51_485:
	s_wait_xcnt 0x0
	s_or_b32 exec_lo, exec_lo, s1
	scratch_load_b64 v[108:109], off, off offset:16
	v_cmp_lt_u32_e64 s1, 2, v0
	s_wait_loadcnt 0x0
	ds_store_b64 v1, v[108:109]
	s_wait_storecnt_dscnt 0x0
	s_barrier_signal -1
	s_barrier_wait -1
	s_wait_xcnt 0x0
	s_and_saveexec_b32 s0, s1
	s_cbranch_execz .LBB51_495
; %bb.486:
	s_and_not1_b32 vcc_lo, exec_lo, s3
	s_cbranch_vccnz .LBB51_488
; %bb.487:
	scratch_load_b64 v[108:109], v55, off
	ds_load_b64 v[110:111], v1
	s_wait_loadcnt_dscnt 0x0
	v_pk_mul_f32 v[112:113], v[110:111], v[108:109] op_sel:[1,1] op_sel_hi:[0,1]
	s_delay_alu instid0(VALU_DEP_1) | instskip(SKIP_1) | instid1(VALU_DEP_2)
	v_pk_fma_f32 v[114:115], v[110:111], v[108:109], v[112:113] op_sel_hi:[1,0,1]
	v_pk_fma_f32 v[108:109], v[110:111], v[108:109], v[112:113] neg_lo:[0,0,1] neg_hi:[0,0,1]
	v_mov_b32_e32 v109, v115
	s_cbranch_execz .LBB51_489
	s_branch .LBB51_490
.LBB51_488:
                                        ; implicit-def: $vgpr108_vgpr109
.LBB51_489:
	ds_load_b64 v[108:109], v1
.LBB51_490:
	s_and_saveexec_b32 s5, s2
	s_cbranch_execz .LBB51_494
; %bb.491:
	v_add_nc_u32_e32 v110, -3, v0
	s_mov_b32 s2, 24
	s_movk_i32 s9, 0x1b8
	s_mov_b32 s8, 0
.LBB51_492:                             ; =>This Inner Loop Header: Depth=1
	scratch_load_b64 v[112:113], off, s2
	v_dual_mov_b32 v111, s9 :: v_dual_add_nc_u32 v110, -1, v110
	s_add_co_i32 s9, s9, 8
	s_wait_xcnt 0x0
	s_add_co_i32 s2, s2, 8
	ds_load_b64 v[114:115], v111
	v_cmp_eq_u32_e32 vcc_lo, 0, v110
	s_or_b32 s8, vcc_lo, s8
	s_wait_loadcnt_dscnt 0x0
	v_pk_mul_f32 v[116:117], v[114:115], v[112:113] op_sel:[1,1] op_sel_hi:[0,1]
	s_delay_alu instid0(VALU_DEP_1) | instskip(SKIP_1) | instid1(VALU_DEP_2)
	v_pk_fma_f32 v[118:119], v[114:115], v[112:113], v[116:117] op_sel_hi:[1,0,1]
	v_pk_fma_f32 v[112:113], v[114:115], v[112:113], v[116:117] neg_lo:[0,0,1] neg_hi:[0,0,1]
	v_mov_b32_e32 v113, v119
	s_delay_alu instid0(VALU_DEP_1)
	v_pk_add_f32 v[108:109], v[108:109], v[112:113]
	s_and_not1_b32 exec_lo, exec_lo, s8
	s_cbranch_execnz .LBB51_492
; %bb.493:
	s_or_b32 exec_lo, exec_lo, s8
.LBB51_494:
	s_delay_alu instid0(SALU_CYCLE_1) | instskip(SKIP_4) | instid1(VALU_DEP_1)
	s_or_b32 exec_lo, exec_lo, s5
	v_mov_b32_e32 v110, 0
	ds_load_b64 v[110:111], v110 offset:16
	s_wait_dscnt 0x0
	v_pk_mul_f32 v[112:113], v[108:109], v[110:111] op_sel:[1,1] op_sel_hi:[0,1]
	v_pk_fma_f32 v[114:115], v[108:109], v[110:111], v[112:113] op_sel_hi:[1,0,1]
	v_pk_fma_f32 v[108:109], v[108:109], v[110:111], v[112:113] neg_lo:[0,0,1] neg_hi:[0,0,1]
	s_delay_alu instid0(VALU_DEP_2)
	v_mov_b32_e32 v109, v115
	scratch_store_b64 off, v[108:109], off offset:16
.LBB51_495:
	s_wait_xcnt 0x0
	s_or_b32 exec_lo, exec_lo, s0
	scratch_load_b64 v[108:109], off, off offset:8
	v_cmp_lt_u32_e64 s0, 1, v0
	s_wait_loadcnt 0x0
	ds_store_b64 v1, v[108:109]
	s_wait_storecnt_dscnt 0x0
	s_barrier_signal -1
	s_barrier_wait -1
	s_wait_xcnt 0x0
	s_and_saveexec_b32 s2, s0
	s_cbranch_execz .LBB51_505
; %bb.496:
	s_and_not1_b32 vcc_lo, exec_lo, s3
	s_cbranch_vccnz .LBB51_498
; %bb.497:
	scratch_load_b64 v[108:109], v55, off
	ds_load_b64 v[110:111], v1
	s_wait_loadcnt_dscnt 0x0
	v_pk_mul_f32 v[112:113], v[110:111], v[108:109] op_sel:[1,1] op_sel_hi:[0,1]
	s_delay_alu instid0(VALU_DEP_1) | instskip(SKIP_1) | instid1(VALU_DEP_2)
	v_pk_fma_f32 v[114:115], v[110:111], v[108:109], v[112:113] op_sel_hi:[1,0,1]
	v_pk_fma_f32 v[108:109], v[110:111], v[108:109], v[112:113] neg_lo:[0,0,1] neg_hi:[0,0,1]
	v_mov_b32_e32 v109, v115
	s_cbranch_execz .LBB51_499
	s_branch .LBB51_500
.LBB51_498:
                                        ; implicit-def: $vgpr108_vgpr109
.LBB51_499:
	ds_load_b64 v[108:109], v1
.LBB51_500:
	s_and_saveexec_b32 s5, s1
	s_cbranch_execz .LBB51_504
; %bb.501:
	v_add_nc_u32_e32 v110, -2, v0
	s_movk_i32 s8, 0x1b0
	s_mov_b32 s1, 0
.LBB51_502:                             ; =>This Inner Loop Header: Depth=1
	scratch_load_b64 v[112:113], off, s4
	v_dual_mov_b32 v111, s8 :: v_dual_add_nc_u32 v110, -1, v110
	s_add_co_i32 s8, s8, 8
	s_wait_xcnt 0x0
	s_add_co_i32 s4, s4, 8
	ds_load_b64 v[114:115], v111
	v_cmp_eq_u32_e32 vcc_lo, 0, v110
	s_or_b32 s1, vcc_lo, s1
	s_wait_loadcnt_dscnt 0x0
	v_pk_mul_f32 v[116:117], v[114:115], v[112:113] op_sel:[1,1] op_sel_hi:[0,1]
	s_delay_alu instid0(VALU_DEP_1) | instskip(SKIP_1) | instid1(VALU_DEP_2)
	v_pk_fma_f32 v[118:119], v[114:115], v[112:113], v[116:117] op_sel_hi:[1,0,1]
	v_pk_fma_f32 v[112:113], v[114:115], v[112:113], v[116:117] neg_lo:[0,0,1] neg_hi:[0,0,1]
	v_mov_b32_e32 v113, v119
	s_delay_alu instid0(VALU_DEP_1)
	v_pk_add_f32 v[108:109], v[108:109], v[112:113]
	s_and_not1_b32 exec_lo, exec_lo, s1
	s_cbranch_execnz .LBB51_502
; %bb.503:
	s_or_b32 exec_lo, exec_lo, s1
.LBB51_504:
	s_delay_alu instid0(SALU_CYCLE_1) | instskip(SKIP_4) | instid1(VALU_DEP_1)
	s_or_b32 exec_lo, exec_lo, s5
	v_mov_b32_e32 v110, 0
	ds_load_b64 v[110:111], v110 offset:8
	s_wait_dscnt 0x0
	v_pk_mul_f32 v[112:113], v[108:109], v[110:111] op_sel:[1,1] op_sel_hi:[0,1]
	v_pk_fma_f32 v[114:115], v[108:109], v[110:111], v[112:113] op_sel_hi:[1,0,1]
	v_pk_fma_f32 v[108:109], v[108:109], v[110:111], v[112:113] neg_lo:[0,0,1] neg_hi:[0,0,1]
	s_delay_alu instid0(VALU_DEP_2)
	v_mov_b32_e32 v109, v115
	scratch_store_b64 off, v[108:109], off offset:8
.LBB51_505:
	s_wait_xcnt 0x0
	s_or_b32 exec_lo, exec_lo, s2
	scratch_load_b64 v[108:109], off, off
	s_mov_b32 s2, 0
	s_mov_b32 s1, 0
	s_mov_b32 s5, exec_lo
                                        ; implicit-def: $vgpr148
                                        ; implicit-def: $sgpr4
	s_wait_loadcnt 0x0
	ds_store_b64 v1, v[108:109]
	s_wait_storecnt_dscnt 0x0
	s_barrier_signal -1
	s_barrier_wait -1
	s_wait_xcnt 0x0
	v_cmpx_ne_u32_e32 0, v0
	s_cbranch_execz .LBB51_515
; %bb.506:
	s_and_not1_b32 vcc_lo, exec_lo, s3
	s_cbranch_vccnz .LBB51_508
; %bb.507:
	scratch_load_b64 v[110:111], v55, off
	ds_load_b64 v[112:113], v1
	s_wait_loadcnt_dscnt 0x0
	v_dual_mul_f32 v108, v113, v111 :: v_dual_mul_f32 v109, v112, v111
	s_delay_alu instid0(VALU_DEP_1)
	v_dual_fma_f32 v108, v112, v110, -v108 :: v_dual_fmac_f32 v109, v113, v110
	s_and_not1_b32 vcc_lo, exec_lo, s1
	s_cbranch_vccz .LBB51_509
	s_branch .LBB51_510
.LBB51_508:
                                        ; implicit-def: $vgpr108
.LBB51_509:
	ds_load_b64 v[108:109], v1
.LBB51_510:
	s_and_saveexec_b32 s1, s0
	s_cbranch_execz .LBB51_514
; %bb.511:
	v_add_nc_u32_e32 v110, -1, v0
	s_or_b32 s0, 0, 8
	s_movk_i32 s8, 0x1a8
	s_mov_b32 s4, 0
.LBB51_512:                             ; =>This Inner Loop Header: Depth=1
	scratch_load_b64 v[112:113], off, s0
	v_mov_b32_e32 v111, s8
	s_add_co_i32 s8, s8, 8
	s_wait_xcnt 0x0
	s_add_co_i32 s0, s0, 8
	v_add_nc_u32_e32 v110, -1, v110
	ds_load_b64 v[114:115], v111
	v_cmp_eq_u32_e32 vcc_lo, 0, v110
	s_or_b32 s4, vcc_lo, s4
	s_wait_loadcnt_dscnt 0x0
	v_dual_mul_f32 v111, v115, v113 :: v_dual_mul_f32 v113, v114, v113
	s_delay_alu instid0(VALU_DEP_1) | instskip(NEXT) | instid1(VALU_DEP_1)
	v_dual_fma_f32 v111, v114, v112, -v111 :: v_dual_fmac_f32 v113, v115, v112
	v_dual_add_f32 v108, v108, v111 :: v_dual_add_f32 v109, v109, v113
	s_and_not1_b32 exec_lo, exec_lo, s4
	s_cbranch_execnz .LBB51_512
; %bb.513:
	s_or_b32 exec_lo, exec_lo, s4
.LBB51_514:
	s_delay_alu instid0(SALU_CYCLE_1)
	s_or_b32 exec_lo, exec_lo, s1
	v_mov_b32_e32 v110, 0
	s_mov_b32 s1, exec_lo
	s_or_b32 s4, 0, 4
	ds_load_b64 v[110:111], v110
	s_wait_dscnt 0x0
	v_dual_mul_f32 v112, v109, v111 :: v_dual_mul_f32 v148, v108, v111
	s_delay_alu instid0(VALU_DEP_1) | instskip(NEXT) | instid1(VALU_DEP_2)
	v_fma_f32 v108, v108, v110, -v112
	v_fmac_f32_e32 v148, v109, v110
	scratch_store_b32 off, v108, off
.LBB51_515:
	s_wait_xcnt 0x0
	s_or_b32 exec_lo, exec_lo, s5
	s_delay_alu instid0(SALU_CYCLE_1)
	s_and_b32 vcc_lo, exec_lo, s2
	s_cbranch_vccz .LBB51_1021
.LBB51_516:
	scratch_load_b64 v[108:109], off, off offset:8
	v_cmp_eq_u32_e64 s0, 0, v0
	s_wait_loadcnt 0x0
	ds_store_b64 v1, v[108:109]
	s_wait_storecnt_dscnt 0x0
	s_barrier_signal -1
	s_barrier_wait -1
	s_wait_xcnt 0x0
	s_and_saveexec_b32 s2, s0
	s_cbranch_execz .LBB51_522
; %bb.517:
	s_and_b32 vcc_lo, exec_lo, s3
	s_cbranch_vccz .LBB51_519
; %bb.518:
	scratch_load_b64 v[108:109], v55, off
	ds_load_b64 v[110:111], v1
	s_wait_loadcnt_dscnt 0x0
	v_pk_mul_f32 v[112:113], v[110:111], v[108:109] op_sel:[1,1] op_sel_hi:[0,1]
	v_pk_mul_f32 v[114:115], v[110:111], v[108:109] op_sel_hi:[1,0]
	s_delay_alu instid0(VALU_DEP_2) | instskip(NEXT) | instid1(VALU_DEP_2)
	v_pk_fma_f32 v[108:109], v[110:111], v[108:109], v[112:113] op_sel_hi:[1,0,1]
	v_sub_f32_e32 v108, v114, v112
	s_cbranch_execz .LBB51_520
	s_branch .LBB51_521
.LBB51_519:
                                        ; implicit-def: $vgpr109
.LBB51_520:
	ds_load_b64 v[108:109], v1
.LBB51_521:
	s_wait_dscnt 0x0
	v_dual_mov_b32 v110, 0 :: v_dual_mov_b32 v112, v109
	v_mov_b32_e32 v113, v108
	ds_load_b64 v[110:111], v110 offset:8
	s_wait_dscnt 0x0
	v_pk_mul_f32 v[112:113], v[112:113], v[110:111] op_sel:[0,1]
	s_delay_alu instid0(VALU_DEP_1) | instskip(SKIP_1) | instid1(VALU_DEP_2)
	v_pk_fma_f32 v[114:115], v[108:109], v[110:111], v[112:113] op_sel_hi:[1,0,1]
	v_pk_fma_f32 v[108:109], v[108:109], v[110:111], v[112:113] neg_lo:[0,0,1] neg_hi:[0,0,1]
	v_mov_b32_e32 v109, v115
	scratch_store_b64 off, v[108:109], off offset:8
.LBB51_522:
	s_wait_xcnt 0x0
	s_or_b32 exec_lo, exec_lo, s2
	scratch_load_b64 v[108:109], off, off offset:16
	v_cndmask_b32_e64 v110, 0, 1, s3
	s_mov_b32 s2, exec_lo
	s_wait_loadcnt 0x0
	ds_store_b64 v1, v[108:109]
	s_wait_storecnt_dscnt 0x0
	s_barrier_signal -1
	s_barrier_wait -1
	s_wait_xcnt 0x0
	v_cmpx_gt_u32_e32 2, v0
	s_cbranch_execz .LBB51_530
; %bb.523:
	s_and_not1_b32 vcc_lo, exec_lo, s3
	s_cbranch_vccnz .LBB51_525
; %bb.524:
	scratch_load_b64 v[108:109], v55, off
	ds_load_b64 v[112:113], v1
	s_wait_loadcnt_dscnt 0x0
	v_pk_mul_f32 v[114:115], v[112:113], v[108:109] op_sel:[1,1] op_sel_hi:[0,1]
	s_delay_alu instid0(VALU_DEP_1) | instskip(SKIP_1) | instid1(VALU_DEP_2)
	v_pk_fma_f32 v[116:117], v[112:113], v[108:109], v[114:115] op_sel_hi:[1,0,1]
	v_pk_fma_f32 v[108:109], v[112:113], v[108:109], v[114:115] neg_lo:[0,0,1] neg_hi:[0,0,1]
	v_mov_b32_e32 v109, v117
	s_cbranch_execz .LBB51_526
	s_branch .LBB51_527
.LBB51_525:
                                        ; implicit-def: $vgpr108_vgpr109
.LBB51_526:
	ds_load_b64 v[108:109], v1
.LBB51_527:
	s_and_saveexec_b32 s3, s0
	s_cbranch_execz .LBB51_529
; %bb.528:
	scratch_load_b64 v[112:113], off, off offset:8
	v_mov_b32_e32 v111, 0
	ds_load_b64 v[114:115], v111 offset:424
	s_wait_loadcnt_dscnt 0x0
	v_pk_mul_f32 v[116:117], v[114:115], v[112:113] op_sel:[1,1] op_sel_hi:[0,1]
	s_delay_alu instid0(VALU_DEP_1) | instskip(SKIP_1) | instid1(VALU_DEP_2)
	v_pk_fma_f32 v[118:119], v[114:115], v[112:113], v[116:117] op_sel_hi:[1,0,1]
	v_pk_fma_f32 v[112:113], v[114:115], v[112:113], v[116:117] neg_lo:[0,0,1] neg_hi:[0,0,1]
	v_mov_b32_e32 v113, v119
	s_delay_alu instid0(VALU_DEP_1)
	v_pk_add_f32 v[108:109], v[108:109], v[112:113]
.LBB51_529:
	s_or_b32 exec_lo, exec_lo, s3
	v_mov_b32_e32 v111, 0
	ds_load_b64 v[112:113], v111 offset:16
	s_wait_dscnt 0x0
	v_pk_mul_f32 v[114:115], v[108:109], v[112:113] op_sel:[1,1] op_sel_hi:[0,1]
	s_delay_alu instid0(VALU_DEP_1) | instskip(SKIP_1) | instid1(VALU_DEP_2)
	v_pk_fma_f32 v[116:117], v[108:109], v[112:113], v[114:115] op_sel_hi:[1,0,1]
	v_pk_fma_f32 v[108:109], v[108:109], v[112:113], v[114:115] neg_lo:[0,0,1] neg_hi:[0,0,1]
	v_mov_b32_e32 v109, v117
	scratch_store_b64 off, v[108:109], off offset:16
.LBB51_530:
	s_wait_xcnt 0x0
	s_or_b32 exec_lo, exec_lo, s2
	scratch_load_b64 v[108:109], off, off offset:24
	s_mov_b32 s2, exec_lo
	s_wait_loadcnt 0x0
	ds_store_b64 v1, v[108:109]
	s_wait_storecnt_dscnt 0x0
	s_barrier_signal -1
	s_barrier_wait -1
	s_wait_xcnt 0x0
	v_cmpx_gt_u32_e32 3, v0
	s_cbranch_execz .LBB51_540
; %bb.531:
	v_cmp_ne_u32_e32 vcc_lo, 1, v110
	s_cbranch_vccnz .LBB51_533
; %bb.532:
	scratch_load_b64 v[108:109], v55, off
	ds_load_b64 v[112:113], v1
	s_wait_loadcnt_dscnt 0x0
	v_pk_mul_f32 v[114:115], v[112:113], v[108:109] op_sel:[1,1] op_sel_hi:[0,1]
	s_delay_alu instid0(VALU_DEP_1) | instskip(SKIP_1) | instid1(VALU_DEP_2)
	v_pk_fma_f32 v[116:117], v[112:113], v[108:109], v[114:115] op_sel_hi:[1,0,1]
	v_pk_fma_f32 v[108:109], v[112:113], v[108:109], v[114:115] neg_lo:[0,0,1] neg_hi:[0,0,1]
	v_mov_b32_e32 v109, v117
	s_cbranch_execz .LBB51_534
	s_branch .LBB51_535
.LBB51_533:
                                        ; implicit-def: $vgpr108_vgpr109
.LBB51_534:
	ds_load_b64 v[108:109], v1
.LBB51_535:
	s_mov_b32 s3, exec_lo
	v_cmpx_ne_u32_e32 2, v0
	s_cbranch_execz .LBB51_539
; %bb.536:
	scratch_load_b64 v[112:113], v55, off offset:8
	ds_load_b64 v[114:115], v1 offset:8
	s_wait_loadcnt_dscnt 0x0
	v_pk_mul_f32 v[116:117], v[114:115], v[112:113] op_sel:[1,1] op_sel_hi:[0,1]
	s_delay_alu instid0(VALU_DEP_1) | instskip(SKIP_1) | instid1(VALU_DEP_2)
	v_pk_fma_f32 v[118:119], v[114:115], v[112:113], v[116:117] op_sel_hi:[1,0,1]
	v_pk_fma_f32 v[112:113], v[114:115], v[112:113], v[116:117] neg_lo:[0,0,1] neg_hi:[0,0,1]
	v_mov_b32_e32 v113, v119
	s_delay_alu instid0(VALU_DEP_1)
	v_pk_add_f32 v[108:109], v[108:109], v[112:113]
	s_and_saveexec_b32 s4, s0
	s_cbranch_execz .LBB51_538
; %bb.537:
	scratch_load_b64 v[112:113], off, off offset:16
	v_mov_b32_e32 v111, 0
	ds_load_b64 v[114:115], v111 offset:432
	s_wait_loadcnt_dscnt 0x0
	v_pk_mul_f32 v[116:117], v[114:115], v[112:113] op_sel:[1,1] op_sel_hi:[0,1]
	s_delay_alu instid0(VALU_DEP_1) | instskip(SKIP_1) | instid1(VALU_DEP_2)
	v_pk_fma_f32 v[118:119], v[114:115], v[112:113], v[116:117] op_sel_hi:[1,0,1]
	v_pk_fma_f32 v[112:113], v[114:115], v[112:113], v[116:117] neg_lo:[0,0,1] neg_hi:[0,0,1]
	v_mov_b32_e32 v113, v119
	s_delay_alu instid0(VALU_DEP_1)
	v_pk_add_f32 v[108:109], v[108:109], v[112:113]
.LBB51_538:
	s_or_b32 exec_lo, exec_lo, s4
.LBB51_539:
	s_delay_alu instid0(SALU_CYCLE_1) | instskip(SKIP_4) | instid1(VALU_DEP_1)
	s_or_b32 exec_lo, exec_lo, s3
	v_mov_b32_e32 v111, 0
	ds_load_b64 v[112:113], v111 offset:24
	s_wait_dscnt 0x0
	v_pk_mul_f32 v[114:115], v[108:109], v[112:113] op_sel:[1,1] op_sel_hi:[0,1]
	v_pk_fma_f32 v[116:117], v[108:109], v[112:113], v[114:115] op_sel_hi:[1,0,1]
	v_pk_fma_f32 v[108:109], v[108:109], v[112:113], v[114:115] neg_lo:[0,0,1] neg_hi:[0,0,1]
	s_delay_alu instid0(VALU_DEP_2)
	v_mov_b32_e32 v109, v117
	scratch_store_b64 off, v[108:109], off offset:24
.LBB51_540:
	s_wait_xcnt 0x0
	s_or_b32 exec_lo, exec_lo, s2
	scratch_load_b64 v[108:109], off, off offset:32
	s_mov_b32 s0, exec_lo
	s_wait_loadcnt 0x0
	ds_store_b64 v1, v[108:109]
	s_wait_storecnt_dscnt 0x0
	s_barrier_signal -1
	s_barrier_wait -1
	s_wait_xcnt 0x0
	v_cmpx_gt_u32_e32 4, v0
	s_cbranch_execz .LBB51_550
; %bb.541:
	v_cmp_ne_u32_e32 vcc_lo, 1, v110
	s_cbranch_vccnz .LBB51_543
; %bb.542:
	scratch_load_b64 v[108:109], v55, off
	ds_load_b64 v[112:113], v1
	s_wait_loadcnt_dscnt 0x0
	v_pk_mul_f32 v[114:115], v[112:113], v[108:109] op_sel:[1,1] op_sel_hi:[0,1]
	s_delay_alu instid0(VALU_DEP_1) | instskip(SKIP_1) | instid1(VALU_DEP_2)
	v_pk_fma_f32 v[116:117], v[112:113], v[108:109], v[114:115] op_sel_hi:[1,0,1]
	v_pk_fma_f32 v[108:109], v[112:113], v[108:109], v[114:115] neg_lo:[0,0,1] neg_hi:[0,0,1]
	v_mov_b32_e32 v109, v117
	s_cbranch_execz .LBB51_544
	s_branch .LBB51_545
.LBB51_543:
                                        ; implicit-def: $vgpr108_vgpr109
.LBB51_544:
	ds_load_b64 v[108:109], v1
.LBB51_545:
	s_mov_b32 s2, exec_lo
	v_cmpx_ne_u32_e32 3, v0
	s_cbranch_execz .LBB51_549
; %bb.546:
	v_add_nc_u32_e32 v111, 0x1a8, v54
	v_add3_u32 v112, 0, v54, 8
	v_mov_b32_e32 v113, v0
	s_mov_b32 s3, 0
.LBB51_547:                             ; =>This Inner Loop Header: Depth=1
	scratch_load_b64 v[114:115], v112, off
	ds_load_b64 v[116:117], v111
	s_wait_xcnt 0x0
	v_dual_add_nc_u32 v111, 8, v111 :: v_dual_add_nc_u32 v112, 8, v112
	s_wait_loadcnt_dscnt 0x0
	v_pk_mul_f32 v[118:119], v[116:117], v[114:115] op_sel:[1,1] op_sel_hi:[0,1]
	s_delay_alu instid0(VALU_DEP_1) | instskip(SKIP_2) | instid1(VALU_DEP_3)
	v_pk_fma_f32 v[120:121], v[116:117], v[114:115], v[118:119] op_sel_hi:[1,0,1]
	v_add_nc_u32_e32 v113, 1, v113
	v_pk_fma_f32 v[114:115], v[116:117], v[114:115], v[118:119] neg_lo:[0,0,1] neg_hi:[0,0,1]
	v_mov_b32_e32 v115, v121
	s_delay_alu instid0(VALU_DEP_3) | instskip(NEXT) | instid1(VALU_DEP_2)
	v_cmp_lt_u32_e32 vcc_lo, 2, v113
	v_pk_add_f32 v[108:109], v[108:109], v[114:115]
	s_or_b32 s3, vcc_lo, s3
	s_delay_alu instid0(SALU_CYCLE_1)
	s_and_not1_b32 exec_lo, exec_lo, s3
	s_cbranch_execnz .LBB51_547
; %bb.548:
	s_or_b32 exec_lo, exec_lo, s3
.LBB51_549:
	s_delay_alu instid0(SALU_CYCLE_1) | instskip(SKIP_4) | instid1(VALU_DEP_1)
	s_or_b32 exec_lo, exec_lo, s2
	v_mov_b32_e32 v111, 0
	ds_load_b64 v[112:113], v111 offset:32
	s_wait_dscnt 0x0
	v_pk_mul_f32 v[114:115], v[108:109], v[112:113] op_sel:[1,1] op_sel_hi:[0,1]
	v_pk_fma_f32 v[116:117], v[108:109], v[112:113], v[114:115] op_sel_hi:[1,0,1]
	v_pk_fma_f32 v[108:109], v[108:109], v[112:113], v[114:115] neg_lo:[0,0,1] neg_hi:[0,0,1]
	s_delay_alu instid0(VALU_DEP_2)
	v_mov_b32_e32 v109, v117
	scratch_store_b64 off, v[108:109], off offset:32
.LBB51_550:
	s_wait_xcnt 0x0
	s_or_b32 exec_lo, exec_lo, s0
	scratch_load_b64 v[108:109], off, off offset:40
	s_mov_b32 s0, exec_lo
	s_wait_loadcnt 0x0
	ds_store_b64 v1, v[108:109]
	s_wait_storecnt_dscnt 0x0
	s_barrier_signal -1
	s_barrier_wait -1
	s_wait_xcnt 0x0
	v_cmpx_gt_u32_e32 5, v0
	s_cbranch_execz .LBB51_560
; %bb.551:
	v_cmp_ne_u32_e32 vcc_lo, 1, v110
	s_cbranch_vccnz .LBB51_553
; %bb.552:
	scratch_load_b64 v[108:109], v55, off
	ds_load_b64 v[112:113], v1
	s_wait_loadcnt_dscnt 0x0
	v_pk_mul_f32 v[114:115], v[112:113], v[108:109] op_sel:[1,1] op_sel_hi:[0,1]
	s_delay_alu instid0(VALU_DEP_1) | instskip(SKIP_1) | instid1(VALU_DEP_2)
	v_pk_fma_f32 v[116:117], v[112:113], v[108:109], v[114:115] op_sel_hi:[1,0,1]
	v_pk_fma_f32 v[108:109], v[112:113], v[108:109], v[114:115] neg_lo:[0,0,1] neg_hi:[0,0,1]
	v_mov_b32_e32 v109, v117
	s_cbranch_execz .LBB51_554
	s_branch .LBB51_555
.LBB51_553:
                                        ; implicit-def: $vgpr108_vgpr109
.LBB51_554:
	ds_load_b64 v[108:109], v1
.LBB51_555:
	s_mov_b32 s2, exec_lo
	v_cmpx_ne_u32_e32 4, v0
	s_cbranch_execz .LBB51_559
; %bb.556:
	v_add_nc_u32_e32 v111, 0x1a8, v54
	v_add3_u32 v112, 0, v54, 8
	v_mov_b32_e32 v113, v0
	s_mov_b32 s3, 0
.LBB51_557:                             ; =>This Inner Loop Header: Depth=1
	scratch_load_b64 v[114:115], v112, off
	ds_load_b64 v[116:117], v111
	s_wait_xcnt 0x0
	v_dual_add_nc_u32 v111, 8, v111 :: v_dual_add_nc_u32 v112, 8, v112
	s_wait_loadcnt_dscnt 0x0
	v_pk_mul_f32 v[118:119], v[116:117], v[114:115] op_sel:[1,1] op_sel_hi:[0,1]
	s_delay_alu instid0(VALU_DEP_1) | instskip(SKIP_2) | instid1(VALU_DEP_3)
	v_pk_fma_f32 v[120:121], v[116:117], v[114:115], v[118:119] op_sel_hi:[1,0,1]
	v_add_nc_u32_e32 v113, 1, v113
	v_pk_fma_f32 v[114:115], v[116:117], v[114:115], v[118:119] neg_lo:[0,0,1] neg_hi:[0,0,1]
	v_mov_b32_e32 v115, v121
	s_delay_alu instid0(VALU_DEP_3) | instskip(NEXT) | instid1(VALU_DEP_2)
	v_cmp_lt_u32_e32 vcc_lo, 3, v113
	v_pk_add_f32 v[108:109], v[108:109], v[114:115]
	s_or_b32 s3, vcc_lo, s3
	s_delay_alu instid0(SALU_CYCLE_1)
	s_and_not1_b32 exec_lo, exec_lo, s3
	s_cbranch_execnz .LBB51_557
; %bb.558:
	s_or_b32 exec_lo, exec_lo, s3
.LBB51_559:
	s_delay_alu instid0(SALU_CYCLE_1) | instskip(SKIP_4) | instid1(VALU_DEP_1)
	s_or_b32 exec_lo, exec_lo, s2
	v_mov_b32_e32 v111, 0
	ds_load_b64 v[112:113], v111 offset:40
	s_wait_dscnt 0x0
	v_pk_mul_f32 v[114:115], v[108:109], v[112:113] op_sel:[1,1] op_sel_hi:[0,1]
	v_pk_fma_f32 v[116:117], v[108:109], v[112:113], v[114:115] op_sel_hi:[1,0,1]
	v_pk_fma_f32 v[108:109], v[108:109], v[112:113], v[114:115] neg_lo:[0,0,1] neg_hi:[0,0,1]
	s_delay_alu instid0(VALU_DEP_2)
	v_mov_b32_e32 v109, v117
	scratch_store_b64 off, v[108:109], off offset:40
.LBB51_560:
	s_wait_xcnt 0x0
	s_or_b32 exec_lo, exec_lo, s0
	scratch_load_b64 v[108:109], off, off offset:48
	s_mov_b32 s0, exec_lo
	s_wait_loadcnt 0x0
	ds_store_b64 v1, v[108:109]
	s_wait_storecnt_dscnt 0x0
	s_barrier_signal -1
	s_barrier_wait -1
	s_wait_xcnt 0x0
	v_cmpx_gt_u32_e32 6, v0
	s_cbranch_execz .LBB51_570
; %bb.561:
	v_cmp_ne_u32_e32 vcc_lo, 1, v110
	s_cbranch_vccnz .LBB51_563
; %bb.562:
	scratch_load_b64 v[108:109], v55, off
	ds_load_b64 v[112:113], v1
	s_wait_loadcnt_dscnt 0x0
	v_pk_mul_f32 v[114:115], v[112:113], v[108:109] op_sel:[1,1] op_sel_hi:[0,1]
	s_delay_alu instid0(VALU_DEP_1) | instskip(SKIP_1) | instid1(VALU_DEP_2)
	v_pk_fma_f32 v[116:117], v[112:113], v[108:109], v[114:115] op_sel_hi:[1,0,1]
	v_pk_fma_f32 v[108:109], v[112:113], v[108:109], v[114:115] neg_lo:[0,0,1] neg_hi:[0,0,1]
	v_mov_b32_e32 v109, v117
	s_cbranch_execz .LBB51_564
	s_branch .LBB51_565
.LBB51_563:
                                        ; implicit-def: $vgpr108_vgpr109
.LBB51_564:
	ds_load_b64 v[108:109], v1
.LBB51_565:
	s_mov_b32 s2, exec_lo
	v_cmpx_ne_u32_e32 5, v0
	s_cbranch_execz .LBB51_569
; %bb.566:
	v_add_nc_u32_e32 v111, 0x1a8, v54
	v_add3_u32 v112, 0, v54, 8
	v_mov_b32_e32 v113, v0
	s_mov_b32 s3, 0
.LBB51_567:                             ; =>This Inner Loop Header: Depth=1
	scratch_load_b64 v[114:115], v112, off
	ds_load_b64 v[116:117], v111
	s_wait_xcnt 0x0
	v_dual_add_nc_u32 v111, 8, v111 :: v_dual_add_nc_u32 v112, 8, v112
	s_wait_loadcnt_dscnt 0x0
	v_pk_mul_f32 v[118:119], v[116:117], v[114:115] op_sel:[1,1] op_sel_hi:[0,1]
	s_delay_alu instid0(VALU_DEP_1) | instskip(SKIP_2) | instid1(VALU_DEP_3)
	v_pk_fma_f32 v[120:121], v[116:117], v[114:115], v[118:119] op_sel_hi:[1,0,1]
	v_add_nc_u32_e32 v113, 1, v113
	v_pk_fma_f32 v[114:115], v[116:117], v[114:115], v[118:119] neg_lo:[0,0,1] neg_hi:[0,0,1]
	v_mov_b32_e32 v115, v121
	s_delay_alu instid0(VALU_DEP_3) | instskip(NEXT) | instid1(VALU_DEP_2)
	v_cmp_lt_u32_e32 vcc_lo, 4, v113
	v_pk_add_f32 v[108:109], v[108:109], v[114:115]
	s_or_b32 s3, vcc_lo, s3
	s_delay_alu instid0(SALU_CYCLE_1)
	s_and_not1_b32 exec_lo, exec_lo, s3
	s_cbranch_execnz .LBB51_567
; %bb.568:
	s_or_b32 exec_lo, exec_lo, s3
.LBB51_569:
	s_delay_alu instid0(SALU_CYCLE_1) | instskip(SKIP_4) | instid1(VALU_DEP_1)
	s_or_b32 exec_lo, exec_lo, s2
	v_mov_b32_e32 v111, 0
	ds_load_b64 v[112:113], v111 offset:48
	s_wait_dscnt 0x0
	v_pk_mul_f32 v[114:115], v[108:109], v[112:113] op_sel:[1,1] op_sel_hi:[0,1]
	v_pk_fma_f32 v[116:117], v[108:109], v[112:113], v[114:115] op_sel_hi:[1,0,1]
	v_pk_fma_f32 v[108:109], v[108:109], v[112:113], v[114:115] neg_lo:[0,0,1] neg_hi:[0,0,1]
	s_delay_alu instid0(VALU_DEP_2)
	v_mov_b32_e32 v109, v117
	scratch_store_b64 off, v[108:109], off offset:48
.LBB51_570:
	s_wait_xcnt 0x0
	s_or_b32 exec_lo, exec_lo, s0
	scratch_load_b64 v[108:109], off, off offset:56
	s_mov_b32 s0, exec_lo
	s_wait_loadcnt 0x0
	ds_store_b64 v1, v[108:109]
	s_wait_storecnt_dscnt 0x0
	s_barrier_signal -1
	s_barrier_wait -1
	s_wait_xcnt 0x0
	v_cmpx_gt_u32_e32 7, v0
	s_cbranch_execz .LBB51_580
; %bb.571:
	v_cmp_ne_u32_e32 vcc_lo, 1, v110
	s_cbranch_vccnz .LBB51_573
; %bb.572:
	scratch_load_b64 v[108:109], v55, off
	ds_load_b64 v[112:113], v1
	s_wait_loadcnt_dscnt 0x0
	v_pk_mul_f32 v[114:115], v[112:113], v[108:109] op_sel:[1,1] op_sel_hi:[0,1]
	s_delay_alu instid0(VALU_DEP_1) | instskip(SKIP_1) | instid1(VALU_DEP_2)
	v_pk_fma_f32 v[116:117], v[112:113], v[108:109], v[114:115] op_sel_hi:[1,0,1]
	v_pk_fma_f32 v[108:109], v[112:113], v[108:109], v[114:115] neg_lo:[0,0,1] neg_hi:[0,0,1]
	v_mov_b32_e32 v109, v117
	s_cbranch_execz .LBB51_574
	s_branch .LBB51_575
.LBB51_573:
                                        ; implicit-def: $vgpr108_vgpr109
.LBB51_574:
	ds_load_b64 v[108:109], v1
.LBB51_575:
	s_mov_b32 s2, exec_lo
	v_cmpx_ne_u32_e32 6, v0
	s_cbranch_execz .LBB51_579
; %bb.576:
	v_add_nc_u32_e32 v111, 0x1a8, v54
	v_add3_u32 v112, 0, v54, 8
	v_mov_b32_e32 v113, v0
	s_mov_b32 s3, 0
.LBB51_577:                             ; =>This Inner Loop Header: Depth=1
	scratch_load_b64 v[114:115], v112, off
	ds_load_b64 v[116:117], v111
	s_wait_xcnt 0x0
	v_dual_add_nc_u32 v111, 8, v111 :: v_dual_add_nc_u32 v112, 8, v112
	s_wait_loadcnt_dscnt 0x0
	v_pk_mul_f32 v[118:119], v[116:117], v[114:115] op_sel:[1,1] op_sel_hi:[0,1]
	s_delay_alu instid0(VALU_DEP_1) | instskip(SKIP_2) | instid1(VALU_DEP_3)
	v_pk_fma_f32 v[120:121], v[116:117], v[114:115], v[118:119] op_sel_hi:[1,0,1]
	v_add_nc_u32_e32 v113, 1, v113
	v_pk_fma_f32 v[114:115], v[116:117], v[114:115], v[118:119] neg_lo:[0,0,1] neg_hi:[0,0,1]
	v_mov_b32_e32 v115, v121
	s_delay_alu instid0(VALU_DEP_3) | instskip(NEXT) | instid1(VALU_DEP_2)
	v_cmp_lt_u32_e32 vcc_lo, 5, v113
	v_pk_add_f32 v[108:109], v[108:109], v[114:115]
	s_or_b32 s3, vcc_lo, s3
	s_delay_alu instid0(SALU_CYCLE_1)
	s_and_not1_b32 exec_lo, exec_lo, s3
	s_cbranch_execnz .LBB51_577
; %bb.578:
	s_or_b32 exec_lo, exec_lo, s3
.LBB51_579:
	s_delay_alu instid0(SALU_CYCLE_1) | instskip(SKIP_4) | instid1(VALU_DEP_1)
	s_or_b32 exec_lo, exec_lo, s2
	v_mov_b32_e32 v111, 0
	ds_load_b64 v[112:113], v111 offset:56
	s_wait_dscnt 0x0
	v_pk_mul_f32 v[114:115], v[108:109], v[112:113] op_sel:[1,1] op_sel_hi:[0,1]
	v_pk_fma_f32 v[116:117], v[108:109], v[112:113], v[114:115] op_sel_hi:[1,0,1]
	v_pk_fma_f32 v[108:109], v[108:109], v[112:113], v[114:115] neg_lo:[0,0,1] neg_hi:[0,0,1]
	s_delay_alu instid0(VALU_DEP_2)
	v_mov_b32_e32 v109, v117
	scratch_store_b64 off, v[108:109], off offset:56
.LBB51_580:
	s_wait_xcnt 0x0
	s_or_b32 exec_lo, exec_lo, s0
	scratch_load_b64 v[108:109], off, off offset:64
	s_mov_b32 s0, exec_lo
	s_wait_loadcnt 0x0
	ds_store_b64 v1, v[108:109]
	s_wait_storecnt_dscnt 0x0
	s_barrier_signal -1
	s_barrier_wait -1
	s_wait_xcnt 0x0
	v_cmpx_gt_u32_e32 8, v0
	s_cbranch_execz .LBB51_590
; %bb.581:
	v_cmp_ne_u32_e32 vcc_lo, 1, v110
	s_cbranch_vccnz .LBB51_583
; %bb.582:
	scratch_load_b64 v[108:109], v55, off
	ds_load_b64 v[112:113], v1
	s_wait_loadcnt_dscnt 0x0
	v_pk_mul_f32 v[114:115], v[112:113], v[108:109] op_sel:[1,1] op_sel_hi:[0,1]
	s_delay_alu instid0(VALU_DEP_1) | instskip(SKIP_1) | instid1(VALU_DEP_2)
	v_pk_fma_f32 v[116:117], v[112:113], v[108:109], v[114:115] op_sel_hi:[1,0,1]
	v_pk_fma_f32 v[108:109], v[112:113], v[108:109], v[114:115] neg_lo:[0,0,1] neg_hi:[0,0,1]
	v_mov_b32_e32 v109, v117
	s_cbranch_execz .LBB51_584
	s_branch .LBB51_585
.LBB51_583:
                                        ; implicit-def: $vgpr108_vgpr109
.LBB51_584:
	ds_load_b64 v[108:109], v1
.LBB51_585:
	s_mov_b32 s2, exec_lo
	v_cmpx_ne_u32_e32 7, v0
	s_cbranch_execz .LBB51_589
; %bb.586:
	v_add_nc_u32_e32 v111, 0x1a8, v54
	v_add3_u32 v112, 0, v54, 8
	v_mov_b32_e32 v113, v0
	s_mov_b32 s3, 0
.LBB51_587:                             ; =>This Inner Loop Header: Depth=1
	scratch_load_b64 v[114:115], v112, off
	ds_load_b64 v[116:117], v111
	s_wait_xcnt 0x0
	v_dual_add_nc_u32 v111, 8, v111 :: v_dual_add_nc_u32 v112, 8, v112
	s_wait_loadcnt_dscnt 0x0
	v_pk_mul_f32 v[118:119], v[116:117], v[114:115] op_sel:[1,1] op_sel_hi:[0,1]
	s_delay_alu instid0(VALU_DEP_1) | instskip(SKIP_2) | instid1(VALU_DEP_3)
	v_pk_fma_f32 v[120:121], v[116:117], v[114:115], v[118:119] op_sel_hi:[1,0,1]
	v_add_nc_u32_e32 v113, 1, v113
	v_pk_fma_f32 v[114:115], v[116:117], v[114:115], v[118:119] neg_lo:[0,0,1] neg_hi:[0,0,1]
	v_mov_b32_e32 v115, v121
	s_delay_alu instid0(VALU_DEP_3) | instskip(NEXT) | instid1(VALU_DEP_2)
	v_cmp_lt_u32_e32 vcc_lo, 6, v113
	v_pk_add_f32 v[108:109], v[108:109], v[114:115]
	s_or_b32 s3, vcc_lo, s3
	s_delay_alu instid0(SALU_CYCLE_1)
	s_and_not1_b32 exec_lo, exec_lo, s3
	s_cbranch_execnz .LBB51_587
; %bb.588:
	s_or_b32 exec_lo, exec_lo, s3
.LBB51_589:
	s_delay_alu instid0(SALU_CYCLE_1) | instskip(SKIP_4) | instid1(VALU_DEP_1)
	s_or_b32 exec_lo, exec_lo, s2
	v_mov_b32_e32 v111, 0
	ds_load_b64 v[112:113], v111 offset:64
	s_wait_dscnt 0x0
	v_pk_mul_f32 v[114:115], v[108:109], v[112:113] op_sel:[1,1] op_sel_hi:[0,1]
	v_pk_fma_f32 v[116:117], v[108:109], v[112:113], v[114:115] op_sel_hi:[1,0,1]
	v_pk_fma_f32 v[108:109], v[108:109], v[112:113], v[114:115] neg_lo:[0,0,1] neg_hi:[0,0,1]
	s_delay_alu instid0(VALU_DEP_2)
	v_mov_b32_e32 v109, v117
	scratch_store_b64 off, v[108:109], off offset:64
.LBB51_590:
	s_wait_xcnt 0x0
	s_or_b32 exec_lo, exec_lo, s0
	scratch_load_b64 v[108:109], off, off offset:72
	s_mov_b32 s0, exec_lo
	s_wait_loadcnt 0x0
	ds_store_b64 v1, v[108:109]
	s_wait_storecnt_dscnt 0x0
	s_barrier_signal -1
	s_barrier_wait -1
	s_wait_xcnt 0x0
	v_cmpx_gt_u32_e32 9, v0
	s_cbranch_execz .LBB51_600
; %bb.591:
	v_cmp_ne_u32_e32 vcc_lo, 1, v110
	s_cbranch_vccnz .LBB51_593
; %bb.592:
	scratch_load_b64 v[108:109], v55, off
	ds_load_b64 v[112:113], v1
	s_wait_loadcnt_dscnt 0x0
	v_pk_mul_f32 v[114:115], v[112:113], v[108:109] op_sel:[1,1] op_sel_hi:[0,1]
	s_delay_alu instid0(VALU_DEP_1) | instskip(SKIP_1) | instid1(VALU_DEP_2)
	v_pk_fma_f32 v[116:117], v[112:113], v[108:109], v[114:115] op_sel_hi:[1,0,1]
	v_pk_fma_f32 v[108:109], v[112:113], v[108:109], v[114:115] neg_lo:[0,0,1] neg_hi:[0,0,1]
	v_mov_b32_e32 v109, v117
	s_cbranch_execz .LBB51_594
	s_branch .LBB51_595
.LBB51_593:
                                        ; implicit-def: $vgpr108_vgpr109
.LBB51_594:
	ds_load_b64 v[108:109], v1
.LBB51_595:
	s_mov_b32 s2, exec_lo
	v_cmpx_ne_u32_e32 8, v0
	s_cbranch_execz .LBB51_599
; %bb.596:
	v_add_nc_u32_e32 v111, 0x1a8, v54
	v_add3_u32 v112, 0, v54, 8
	v_mov_b32_e32 v113, v0
	s_mov_b32 s3, 0
.LBB51_597:                             ; =>This Inner Loop Header: Depth=1
	scratch_load_b64 v[114:115], v112, off
	ds_load_b64 v[116:117], v111
	s_wait_xcnt 0x0
	v_dual_add_nc_u32 v111, 8, v111 :: v_dual_add_nc_u32 v112, 8, v112
	s_wait_loadcnt_dscnt 0x0
	v_pk_mul_f32 v[118:119], v[116:117], v[114:115] op_sel:[1,1] op_sel_hi:[0,1]
	s_delay_alu instid0(VALU_DEP_1) | instskip(SKIP_2) | instid1(VALU_DEP_3)
	v_pk_fma_f32 v[120:121], v[116:117], v[114:115], v[118:119] op_sel_hi:[1,0,1]
	v_add_nc_u32_e32 v113, 1, v113
	v_pk_fma_f32 v[114:115], v[116:117], v[114:115], v[118:119] neg_lo:[0,0,1] neg_hi:[0,0,1]
	v_mov_b32_e32 v115, v121
	s_delay_alu instid0(VALU_DEP_3) | instskip(NEXT) | instid1(VALU_DEP_2)
	v_cmp_lt_u32_e32 vcc_lo, 7, v113
	v_pk_add_f32 v[108:109], v[108:109], v[114:115]
	s_or_b32 s3, vcc_lo, s3
	s_delay_alu instid0(SALU_CYCLE_1)
	s_and_not1_b32 exec_lo, exec_lo, s3
	s_cbranch_execnz .LBB51_597
; %bb.598:
	s_or_b32 exec_lo, exec_lo, s3
.LBB51_599:
	s_delay_alu instid0(SALU_CYCLE_1) | instskip(SKIP_4) | instid1(VALU_DEP_1)
	s_or_b32 exec_lo, exec_lo, s2
	v_mov_b32_e32 v111, 0
	ds_load_b64 v[112:113], v111 offset:72
	s_wait_dscnt 0x0
	v_pk_mul_f32 v[114:115], v[108:109], v[112:113] op_sel:[1,1] op_sel_hi:[0,1]
	v_pk_fma_f32 v[116:117], v[108:109], v[112:113], v[114:115] op_sel_hi:[1,0,1]
	v_pk_fma_f32 v[108:109], v[108:109], v[112:113], v[114:115] neg_lo:[0,0,1] neg_hi:[0,0,1]
	s_delay_alu instid0(VALU_DEP_2)
	v_mov_b32_e32 v109, v117
	scratch_store_b64 off, v[108:109], off offset:72
.LBB51_600:
	s_wait_xcnt 0x0
	s_or_b32 exec_lo, exec_lo, s0
	scratch_load_b64 v[108:109], off, off offset:80
	s_mov_b32 s0, exec_lo
	s_wait_loadcnt 0x0
	ds_store_b64 v1, v[108:109]
	s_wait_storecnt_dscnt 0x0
	s_barrier_signal -1
	s_barrier_wait -1
	s_wait_xcnt 0x0
	v_cmpx_gt_u32_e32 10, v0
	s_cbranch_execz .LBB51_610
; %bb.601:
	v_cmp_ne_u32_e32 vcc_lo, 1, v110
	s_cbranch_vccnz .LBB51_603
; %bb.602:
	scratch_load_b64 v[108:109], v55, off
	ds_load_b64 v[112:113], v1
	s_wait_loadcnt_dscnt 0x0
	v_pk_mul_f32 v[114:115], v[112:113], v[108:109] op_sel:[1,1] op_sel_hi:[0,1]
	s_delay_alu instid0(VALU_DEP_1) | instskip(SKIP_1) | instid1(VALU_DEP_2)
	v_pk_fma_f32 v[116:117], v[112:113], v[108:109], v[114:115] op_sel_hi:[1,0,1]
	v_pk_fma_f32 v[108:109], v[112:113], v[108:109], v[114:115] neg_lo:[0,0,1] neg_hi:[0,0,1]
	v_mov_b32_e32 v109, v117
	s_cbranch_execz .LBB51_604
	s_branch .LBB51_605
.LBB51_603:
                                        ; implicit-def: $vgpr108_vgpr109
.LBB51_604:
	ds_load_b64 v[108:109], v1
.LBB51_605:
	s_mov_b32 s2, exec_lo
	v_cmpx_ne_u32_e32 9, v0
	s_cbranch_execz .LBB51_609
; %bb.606:
	v_add_nc_u32_e32 v111, 0x1a8, v54
	v_add3_u32 v112, 0, v54, 8
	v_mov_b32_e32 v113, v0
	s_mov_b32 s3, 0
.LBB51_607:                             ; =>This Inner Loop Header: Depth=1
	scratch_load_b64 v[114:115], v112, off
	ds_load_b64 v[116:117], v111
	s_wait_xcnt 0x0
	v_dual_add_nc_u32 v111, 8, v111 :: v_dual_add_nc_u32 v112, 8, v112
	s_wait_loadcnt_dscnt 0x0
	v_pk_mul_f32 v[118:119], v[116:117], v[114:115] op_sel:[1,1] op_sel_hi:[0,1]
	s_delay_alu instid0(VALU_DEP_1) | instskip(SKIP_2) | instid1(VALU_DEP_3)
	v_pk_fma_f32 v[120:121], v[116:117], v[114:115], v[118:119] op_sel_hi:[1,0,1]
	v_add_nc_u32_e32 v113, 1, v113
	v_pk_fma_f32 v[114:115], v[116:117], v[114:115], v[118:119] neg_lo:[0,0,1] neg_hi:[0,0,1]
	v_mov_b32_e32 v115, v121
	s_delay_alu instid0(VALU_DEP_3) | instskip(NEXT) | instid1(VALU_DEP_2)
	v_cmp_lt_u32_e32 vcc_lo, 8, v113
	v_pk_add_f32 v[108:109], v[108:109], v[114:115]
	s_or_b32 s3, vcc_lo, s3
	s_delay_alu instid0(SALU_CYCLE_1)
	s_and_not1_b32 exec_lo, exec_lo, s3
	s_cbranch_execnz .LBB51_607
; %bb.608:
	s_or_b32 exec_lo, exec_lo, s3
.LBB51_609:
	s_delay_alu instid0(SALU_CYCLE_1) | instskip(SKIP_4) | instid1(VALU_DEP_1)
	s_or_b32 exec_lo, exec_lo, s2
	v_mov_b32_e32 v111, 0
	ds_load_b64 v[112:113], v111 offset:80
	s_wait_dscnt 0x0
	v_pk_mul_f32 v[114:115], v[108:109], v[112:113] op_sel:[1,1] op_sel_hi:[0,1]
	v_pk_fma_f32 v[116:117], v[108:109], v[112:113], v[114:115] op_sel_hi:[1,0,1]
	v_pk_fma_f32 v[108:109], v[108:109], v[112:113], v[114:115] neg_lo:[0,0,1] neg_hi:[0,0,1]
	s_delay_alu instid0(VALU_DEP_2)
	v_mov_b32_e32 v109, v117
	scratch_store_b64 off, v[108:109], off offset:80
.LBB51_610:
	s_wait_xcnt 0x0
	s_or_b32 exec_lo, exec_lo, s0
	scratch_load_b64 v[108:109], off, off offset:88
	s_mov_b32 s0, exec_lo
	s_wait_loadcnt 0x0
	ds_store_b64 v1, v[108:109]
	s_wait_storecnt_dscnt 0x0
	s_barrier_signal -1
	s_barrier_wait -1
	s_wait_xcnt 0x0
	v_cmpx_gt_u32_e32 11, v0
	s_cbranch_execz .LBB51_620
; %bb.611:
	v_cmp_ne_u32_e32 vcc_lo, 1, v110
	s_cbranch_vccnz .LBB51_613
; %bb.612:
	scratch_load_b64 v[108:109], v55, off
	ds_load_b64 v[112:113], v1
	s_wait_loadcnt_dscnt 0x0
	v_pk_mul_f32 v[114:115], v[112:113], v[108:109] op_sel:[1,1] op_sel_hi:[0,1]
	s_delay_alu instid0(VALU_DEP_1) | instskip(SKIP_1) | instid1(VALU_DEP_2)
	v_pk_fma_f32 v[116:117], v[112:113], v[108:109], v[114:115] op_sel_hi:[1,0,1]
	v_pk_fma_f32 v[108:109], v[112:113], v[108:109], v[114:115] neg_lo:[0,0,1] neg_hi:[0,0,1]
	v_mov_b32_e32 v109, v117
	s_cbranch_execz .LBB51_614
	s_branch .LBB51_615
.LBB51_613:
                                        ; implicit-def: $vgpr108_vgpr109
.LBB51_614:
	ds_load_b64 v[108:109], v1
.LBB51_615:
	s_mov_b32 s2, exec_lo
	v_cmpx_ne_u32_e32 10, v0
	s_cbranch_execz .LBB51_619
; %bb.616:
	v_add_nc_u32_e32 v111, 0x1a8, v54
	v_add3_u32 v112, 0, v54, 8
	v_mov_b32_e32 v113, v0
	s_mov_b32 s3, 0
.LBB51_617:                             ; =>This Inner Loop Header: Depth=1
	scratch_load_b64 v[114:115], v112, off
	ds_load_b64 v[116:117], v111
	s_wait_xcnt 0x0
	v_dual_add_nc_u32 v111, 8, v111 :: v_dual_add_nc_u32 v112, 8, v112
	s_wait_loadcnt_dscnt 0x0
	v_pk_mul_f32 v[118:119], v[116:117], v[114:115] op_sel:[1,1] op_sel_hi:[0,1]
	s_delay_alu instid0(VALU_DEP_1) | instskip(SKIP_2) | instid1(VALU_DEP_3)
	v_pk_fma_f32 v[120:121], v[116:117], v[114:115], v[118:119] op_sel_hi:[1,0,1]
	v_add_nc_u32_e32 v113, 1, v113
	v_pk_fma_f32 v[114:115], v[116:117], v[114:115], v[118:119] neg_lo:[0,0,1] neg_hi:[0,0,1]
	v_mov_b32_e32 v115, v121
	s_delay_alu instid0(VALU_DEP_3) | instskip(NEXT) | instid1(VALU_DEP_2)
	v_cmp_lt_u32_e32 vcc_lo, 9, v113
	v_pk_add_f32 v[108:109], v[108:109], v[114:115]
	s_or_b32 s3, vcc_lo, s3
	s_delay_alu instid0(SALU_CYCLE_1)
	s_and_not1_b32 exec_lo, exec_lo, s3
	s_cbranch_execnz .LBB51_617
; %bb.618:
	s_or_b32 exec_lo, exec_lo, s3
.LBB51_619:
	s_delay_alu instid0(SALU_CYCLE_1) | instskip(SKIP_4) | instid1(VALU_DEP_1)
	s_or_b32 exec_lo, exec_lo, s2
	v_mov_b32_e32 v111, 0
	ds_load_b64 v[112:113], v111 offset:88
	s_wait_dscnt 0x0
	v_pk_mul_f32 v[114:115], v[108:109], v[112:113] op_sel:[1,1] op_sel_hi:[0,1]
	v_pk_fma_f32 v[116:117], v[108:109], v[112:113], v[114:115] op_sel_hi:[1,0,1]
	v_pk_fma_f32 v[108:109], v[108:109], v[112:113], v[114:115] neg_lo:[0,0,1] neg_hi:[0,0,1]
	s_delay_alu instid0(VALU_DEP_2)
	v_mov_b32_e32 v109, v117
	scratch_store_b64 off, v[108:109], off offset:88
.LBB51_620:
	s_wait_xcnt 0x0
	s_or_b32 exec_lo, exec_lo, s0
	scratch_load_b64 v[108:109], off, off offset:96
	s_mov_b32 s0, exec_lo
	s_wait_loadcnt 0x0
	ds_store_b64 v1, v[108:109]
	s_wait_storecnt_dscnt 0x0
	s_barrier_signal -1
	s_barrier_wait -1
	s_wait_xcnt 0x0
	v_cmpx_gt_u32_e32 12, v0
	s_cbranch_execz .LBB51_630
; %bb.621:
	v_cmp_ne_u32_e32 vcc_lo, 1, v110
	s_cbranch_vccnz .LBB51_623
; %bb.622:
	scratch_load_b64 v[108:109], v55, off
	ds_load_b64 v[112:113], v1
	s_wait_loadcnt_dscnt 0x0
	v_pk_mul_f32 v[114:115], v[112:113], v[108:109] op_sel:[1,1] op_sel_hi:[0,1]
	s_delay_alu instid0(VALU_DEP_1) | instskip(SKIP_1) | instid1(VALU_DEP_2)
	v_pk_fma_f32 v[116:117], v[112:113], v[108:109], v[114:115] op_sel_hi:[1,0,1]
	v_pk_fma_f32 v[108:109], v[112:113], v[108:109], v[114:115] neg_lo:[0,0,1] neg_hi:[0,0,1]
	v_mov_b32_e32 v109, v117
	s_cbranch_execz .LBB51_624
	s_branch .LBB51_625
.LBB51_623:
                                        ; implicit-def: $vgpr108_vgpr109
.LBB51_624:
	ds_load_b64 v[108:109], v1
.LBB51_625:
	s_mov_b32 s2, exec_lo
	v_cmpx_ne_u32_e32 11, v0
	s_cbranch_execz .LBB51_629
; %bb.626:
	v_add_nc_u32_e32 v111, 0x1a8, v54
	v_add3_u32 v112, 0, v54, 8
	v_mov_b32_e32 v113, v0
	s_mov_b32 s3, 0
.LBB51_627:                             ; =>This Inner Loop Header: Depth=1
	scratch_load_b64 v[114:115], v112, off
	ds_load_b64 v[116:117], v111
	s_wait_xcnt 0x0
	v_dual_add_nc_u32 v111, 8, v111 :: v_dual_add_nc_u32 v112, 8, v112
	s_wait_loadcnt_dscnt 0x0
	v_pk_mul_f32 v[118:119], v[116:117], v[114:115] op_sel:[1,1] op_sel_hi:[0,1]
	s_delay_alu instid0(VALU_DEP_1) | instskip(SKIP_2) | instid1(VALU_DEP_3)
	v_pk_fma_f32 v[120:121], v[116:117], v[114:115], v[118:119] op_sel_hi:[1,0,1]
	v_add_nc_u32_e32 v113, 1, v113
	v_pk_fma_f32 v[114:115], v[116:117], v[114:115], v[118:119] neg_lo:[0,0,1] neg_hi:[0,0,1]
	v_mov_b32_e32 v115, v121
	s_delay_alu instid0(VALU_DEP_3) | instskip(NEXT) | instid1(VALU_DEP_2)
	v_cmp_lt_u32_e32 vcc_lo, 10, v113
	v_pk_add_f32 v[108:109], v[108:109], v[114:115]
	s_or_b32 s3, vcc_lo, s3
	s_delay_alu instid0(SALU_CYCLE_1)
	s_and_not1_b32 exec_lo, exec_lo, s3
	s_cbranch_execnz .LBB51_627
; %bb.628:
	s_or_b32 exec_lo, exec_lo, s3
.LBB51_629:
	s_delay_alu instid0(SALU_CYCLE_1) | instskip(SKIP_4) | instid1(VALU_DEP_1)
	s_or_b32 exec_lo, exec_lo, s2
	v_mov_b32_e32 v111, 0
	ds_load_b64 v[112:113], v111 offset:96
	s_wait_dscnt 0x0
	v_pk_mul_f32 v[114:115], v[108:109], v[112:113] op_sel:[1,1] op_sel_hi:[0,1]
	v_pk_fma_f32 v[116:117], v[108:109], v[112:113], v[114:115] op_sel_hi:[1,0,1]
	v_pk_fma_f32 v[108:109], v[108:109], v[112:113], v[114:115] neg_lo:[0,0,1] neg_hi:[0,0,1]
	s_delay_alu instid0(VALU_DEP_2)
	v_mov_b32_e32 v109, v117
	scratch_store_b64 off, v[108:109], off offset:96
.LBB51_630:
	s_wait_xcnt 0x0
	s_or_b32 exec_lo, exec_lo, s0
	scratch_load_b64 v[108:109], off, off offset:104
	s_mov_b32 s0, exec_lo
	s_wait_loadcnt 0x0
	ds_store_b64 v1, v[108:109]
	s_wait_storecnt_dscnt 0x0
	s_barrier_signal -1
	s_barrier_wait -1
	s_wait_xcnt 0x0
	v_cmpx_gt_u32_e32 13, v0
	s_cbranch_execz .LBB51_640
; %bb.631:
	v_cmp_ne_u32_e32 vcc_lo, 1, v110
	s_cbranch_vccnz .LBB51_633
; %bb.632:
	scratch_load_b64 v[108:109], v55, off
	ds_load_b64 v[112:113], v1
	s_wait_loadcnt_dscnt 0x0
	v_pk_mul_f32 v[114:115], v[112:113], v[108:109] op_sel:[1,1] op_sel_hi:[0,1]
	s_delay_alu instid0(VALU_DEP_1) | instskip(SKIP_1) | instid1(VALU_DEP_2)
	v_pk_fma_f32 v[116:117], v[112:113], v[108:109], v[114:115] op_sel_hi:[1,0,1]
	v_pk_fma_f32 v[108:109], v[112:113], v[108:109], v[114:115] neg_lo:[0,0,1] neg_hi:[0,0,1]
	v_mov_b32_e32 v109, v117
	s_cbranch_execz .LBB51_634
	s_branch .LBB51_635
.LBB51_633:
                                        ; implicit-def: $vgpr108_vgpr109
.LBB51_634:
	ds_load_b64 v[108:109], v1
.LBB51_635:
	s_mov_b32 s2, exec_lo
	v_cmpx_ne_u32_e32 12, v0
	s_cbranch_execz .LBB51_639
; %bb.636:
	v_add_nc_u32_e32 v111, 0x1a8, v54
	v_add3_u32 v112, 0, v54, 8
	v_mov_b32_e32 v113, v0
	s_mov_b32 s3, 0
.LBB51_637:                             ; =>This Inner Loop Header: Depth=1
	scratch_load_b64 v[114:115], v112, off
	ds_load_b64 v[116:117], v111
	s_wait_xcnt 0x0
	v_dual_add_nc_u32 v111, 8, v111 :: v_dual_add_nc_u32 v112, 8, v112
	s_wait_loadcnt_dscnt 0x0
	v_pk_mul_f32 v[118:119], v[116:117], v[114:115] op_sel:[1,1] op_sel_hi:[0,1]
	s_delay_alu instid0(VALU_DEP_1) | instskip(SKIP_2) | instid1(VALU_DEP_3)
	v_pk_fma_f32 v[120:121], v[116:117], v[114:115], v[118:119] op_sel_hi:[1,0,1]
	v_add_nc_u32_e32 v113, 1, v113
	v_pk_fma_f32 v[114:115], v[116:117], v[114:115], v[118:119] neg_lo:[0,0,1] neg_hi:[0,0,1]
	v_mov_b32_e32 v115, v121
	s_delay_alu instid0(VALU_DEP_3) | instskip(NEXT) | instid1(VALU_DEP_2)
	v_cmp_lt_u32_e32 vcc_lo, 11, v113
	v_pk_add_f32 v[108:109], v[108:109], v[114:115]
	s_or_b32 s3, vcc_lo, s3
	s_delay_alu instid0(SALU_CYCLE_1)
	s_and_not1_b32 exec_lo, exec_lo, s3
	s_cbranch_execnz .LBB51_637
; %bb.638:
	s_or_b32 exec_lo, exec_lo, s3
.LBB51_639:
	s_delay_alu instid0(SALU_CYCLE_1) | instskip(SKIP_4) | instid1(VALU_DEP_1)
	s_or_b32 exec_lo, exec_lo, s2
	v_mov_b32_e32 v111, 0
	ds_load_b64 v[112:113], v111 offset:104
	s_wait_dscnt 0x0
	v_pk_mul_f32 v[114:115], v[108:109], v[112:113] op_sel:[1,1] op_sel_hi:[0,1]
	v_pk_fma_f32 v[116:117], v[108:109], v[112:113], v[114:115] op_sel_hi:[1,0,1]
	v_pk_fma_f32 v[108:109], v[108:109], v[112:113], v[114:115] neg_lo:[0,0,1] neg_hi:[0,0,1]
	s_delay_alu instid0(VALU_DEP_2)
	v_mov_b32_e32 v109, v117
	scratch_store_b64 off, v[108:109], off offset:104
.LBB51_640:
	s_wait_xcnt 0x0
	s_or_b32 exec_lo, exec_lo, s0
	scratch_load_b64 v[108:109], off, off offset:112
	s_mov_b32 s0, exec_lo
	s_wait_loadcnt 0x0
	ds_store_b64 v1, v[108:109]
	s_wait_storecnt_dscnt 0x0
	s_barrier_signal -1
	s_barrier_wait -1
	s_wait_xcnt 0x0
	v_cmpx_gt_u32_e32 14, v0
	s_cbranch_execz .LBB51_650
; %bb.641:
	v_cmp_ne_u32_e32 vcc_lo, 1, v110
	s_cbranch_vccnz .LBB51_643
; %bb.642:
	scratch_load_b64 v[108:109], v55, off
	ds_load_b64 v[112:113], v1
	s_wait_loadcnt_dscnt 0x0
	v_pk_mul_f32 v[114:115], v[112:113], v[108:109] op_sel:[1,1] op_sel_hi:[0,1]
	s_delay_alu instid0(VALU_DEP_1) | instskip(SKIP_1) | instid1(VALU_DEP_2)
	v_pk_fma_f32 v[116:117], v[112:113], v[108:109], v[114:115] op_sel_hi:[1,0,1]
	v_pk_fma_f32 v[108:109], v[112:113], v[108:109], v[114:115] neg_lo:[0,0,1] neg_hi:[0,0,1]
	v_mov_b32_e32 v109, v117
	s_cbranch_execz .LBB51_644
	s_branch .LBB51_645
.LBB51_643:
                                        ; implicit-def: $vgpr108_vgpr109
.LBB51_644:
	ds_load_b64 v[108:109], v1
.LBB51_645:
	s_mov_b32 s2, exec_lo
	v_cmpx_ne_u32_e32 13, v0
	s_cbranch_execz .LBB51_649
; %bb.646:
	v_add_nc_u32_e32 v111, 0x1a8, v54
	v_add3_u32 v112, 0, v54, 8
	v_mov_b32_e32 v113, v0
	s_mov_b32 s3, 0
.LBB51_647:                             ; =>This Inner Loop Header: Depth=1
	scratch_load_b64 v[114:115], v112, off
	ds_load_b64 v[116:117], v111
	s_wait_xcnt 0x0
	v_dual_add_nc_u32 v111, 8, v111 :: v_dual_add_nc_u32 v112, 8, v112
	s_wait_loadcnt_dscnt 0x0
	v_pk_mul_f32 v[118:119], v[116:117], v[114:115] op_sel:[1,1] op_sel_hi:[0,1]
	s_delay_alu instid0(VALU_DEP_1) | instskip(SKIP_2) | instid1(VALU_DEP_3)
	v_pk_fma_f32 v[120:121], v[116:117], v[114:115], v[118:119] op_sel_hi:[1,0,1]
	v_add_nc_u32_e32 v113, 1, v113
	v_pk_fma_f32 v[114:115], v[116:117], v[114:115], v[118:119] neg_lo:[0,0,1] neg_hi:[0,0,1]
	v_mov_b32_e32 v115, v121
	s_delay_alu instid0(VALU_DEP_3) | instskip(NEXT) | instid1(VALU_DEP_2)
	v_cmp_lt_u32_e32 vcc_lo, 12, v113
	v_pk_add_f32 v[108:109], v[108:109], v[114:115]
	s_or_b32 s3, vcc_lo, s3
	s_delay_alu instid0(SALU_CYCLE_1)
	s_and_not1_b32 exec_lo, exec_lo, s3
	s_cbranch_execnz .LBB51_647
; %bb.648:
	s_or_b32 exec_lo, exec_lo, s3
.LBB51_649:
	s_delay_alu instid0(SALU_CYCLE_1) | instskip(SKIP_4) | instid1(VALU_DEP_1)
	s_or_b32 exec_lo, exec_lo, s2
	v_mov_b32_e32 v111, 0
	ds_load_b64 v[112:113], v111 offset:112
	s_wait_dscnt 0x0
	v_pk_mul_f32 v[114:115], v[108:109], v[112:113] op_sel:[1,1] op_sel_hi:[0,1]
	v_pk_fma_f32 v[116:117], v[108:109], v[112:113], v[114:115] op_sel_hi:[1,0,1]
	v_pk_fma_f32 v[108:109], v[108:109], v[112:113], v[114:115] neg_lo:[0,0,1] neg_hi:[0,0,1]
	s_delay_alu instid0(VALU_DEP_2)
	v_mov_b32_e32 v109, v117
	scratch_store_b64 off, v[108:109], off offset:112
.LBB51_650:
	s_wait_xcnt 0x0
	s_or_b32 exec_lo, exec_lo, s0
	scratch_load_b64 v[108:109], off, off offset:120
	s_mov_b32 s0, exec_lo
	s_wait_loadcnt 0x0
	ds_store_b64 v1, v[108:109]
	s_wait_storecnt_dscnt 0x0
	s_barrier_signal -1
	s_barrier_wait -1
	s_wait_xcnt 0x0
	v_cmpx_gt_u32_e32 15, v0
	s_cbranch_execz .LBB51_660
; %bb.651:
	v_cmp_ne_u32_e32 vcc_lo, 1, v110
	s_cbranch_vccnz .LBB51_653
; %bb.652:
	scratch_load_b64 v[108:109], v55, off
	ds_load_b64 v[112:113], v1
	s_wait_loadcnt_dscnt 0x0
	v_pk_mul_f32 v[114:115], v[112:113], v[108:109] op_sel:[1,1] op_sel_hi:[0,1]
	s_delay_alu instid0(VALU_DEP_1) | instskip(SKIP_1) | instid1(VALU_DEP_2)
	v_pk_fma_f32 v[116:117], v[112:113], v[108:109], v[114:115] op_sel_hi:[1,0,1]
	v_pk_fma_f32 v[108:109], v[112:113], v[108:109], v[114:115] neg_lo:[0,0,1] neg_hi:[0,0,1]
	v_mov_b32_e32 v109, v117
	s_cbranch_execz .LBB51_654
	s_branch .LBB51_655
.LBB51_653:
                                        ; implicit-def: $vgpr108_vgpr109
.LBB51_654:
	ds_load_b64 v[108:109], v1
.LBB51_655:
	s_mov_b32 s2, exec_lo
	v_cmpx_ne_u32_e32 14, v0
	s_cbranch_execz .LBB51_659
; %bb.656:
	v_add_nc_u32_e32 v111, 0x1a8, v54
	v_add3_u32 v112, 0, v54, 8
	v_mov_b32_e32 v113, v0
	s_mov_b32 s3, 0
.LBB51_657:                             ; =>This Inner Loop Header: Depth=1
	scratch_load_b64 v[114:115], v112, off
	ds_load_b64 v[116:117], v111
	s_wait_xcnt 0x0
	v_dual_add_nc_u32 v111, 8, v111 :: v_dual_add_nc_u32 v112, 8, v112
	s_wait_loadcnt_dscnt 0x0
	v_pk_mul_f32 v[118:119], v[116:117], v[114:115] op_sel:[1,1] op_sel_hi:[0,1]
	s_delay_alu instid0(VALU_DEP_1) | instskip(SKIP_2) | instid1(VALU_DEP_3)
	v_pk_fma_f32 v[120:121], v[116:117], v[114:115], v[118:119] op_sel_hi:[1,0,1]
	v_add_nc_u32_e32 v113, 1, v113
	v_pk_fma_f32 v[114:115], v[116:117], v[114:115], v[118:119] neg_lo:[0,0,1] neg_hi:[0,0,1]
	v_mov_b32_e32 v115, v121
	s_delay_alu instid0(VALU_DEP_3) | instskip(NEXT) | instid1(VALU_DEP_2)
	v_cmp_lt_u32_e32 vcc_lo, 13, v113
	v_pk_add_f32 v[108:109], v[108:109], v[114:115]
	s_or_b32 s3, vcc_lo, s3
	s_delay_alu instid0(SALU_CYCLE_1)
	s_and_not1_b32 exec_lo, exec_lo, s3
	s_cbranch_execnz .LBB51_657
; %bb.658:
	s_or_b32 exec_lo, exec_lo, s3
.LBB51_659:
	s_delay_alu instid0(SALU_CYCLE_1) | instskip(SKIP_4) | instid1(VALU_DEP_1)
	s_or_b32 exec_lo, exec_lo, s2
	v_mov_b32_e32 v111, 0
	ds_load_b64 v[112:113], v111 offset:120
	s_wait_dscnt 0x0
	v_pk_mul_f32 v[114:115], v[108:109], v[112:113] op_sel:[1,1] op_sel_hi:[0,1]
	v_pk_fma_f32 v[116:117], v[108:109], v[112:113], v[114:115] op_sel_hi:[1,0,1]
	v_pk_fma_f32 v[108:109], v[108:109], v[112:113], v[114:115] neg_lo:[0,0,1] neg_hi:[0,0,1]
	s_delay_alu instid0(VALU_DEP_2)
	v_mov_b32_e32 v109, v117
	scratch_store_b64 off, v[108:109], off offset:120
.LBB51_660:
	s_wait_xcnt 0x0
	s_or_b32 exec_lo, exec_lo, s0
	scratch_load_b64 v[108:109], off, off offset:128
	s_mov_b32 s0, exec_lo
	s_wait_loadcnt 0x0
	ds_store_b64 v1, v[108:109]
	s_wait_storecnt_dscnt 0x0
	s_barrier_signal -1
	s_barrier_wait -1
	s_wait_xcnt 0x0
	v_cmpx_gt_u32_e32 16, v0
	s_cbranch_execz .LBB51_670
; %bb.661:
	v_cmp_ne_u32_e32 vcc_lo, 1, v110
	s_cbranch_vccnz .LBB51_663
; %bb.662:
	scratch_load_b64 v[108:109], v55, off
	ds_load_b64 v[112:113], v1
	s_wait_loadcnt_dscnt 0x0
	v_pk_mul_f32 v[114:115], v[112:113], v[108:109] op_sel:[1,1] op_sel_hi:[0,1]
	s_delay_alu instid0(VALU_DEP_1) | instskip(SKIP_1) | instid1(VALU_DEP_2)
	v_pk_fma_f32 v[116:117], v[112:113], v[108:109], v[114:115] op_sel_hi:[1,0,1]
	v_pk_fma_f32 v[108:109], v[112:113], v[108:109], v[114:115] neg_lo:[0,0,1] neg_hi:[0,0,1]
	v_mov_b32_e32 v109, v117
	s_cbranch_execz .LBB51_664
	s_branch .LBB51_665
.LBB51_663:
                                        ; implicit-def: $vgpr108_vgpr109
.LBB51_664:
	ds_load_b64 v[108:109], v1
.LBB51_665:
	s_mov_b32 s2, exec_lo
	v_cmpx_ne_u32_e32 15, v0
	s_cbranch_execz .LBB51_669
; %bb.666:
	v_add_nc_u32_e32 v111, 0x1a8, v54
	v_add3_u32 v112, 0, v54, 8
	v_mov_b32_e32 v113, v0
	s_mov_b32 s3, 0
.LBB51_667:                             ; =>This Inner Loop Header: Depth=1
	scratch_load_b64 v[114:115], v112, off
	ds_load_b64 v[116:117], v111
	s_wait_xcnt 0x0
	v_dual_add_nc_u32 v111, 8, v111 :: v_dual_add_nc_u32 v112, 8, v112
	s_wait_loadcnt_dscnt 0x0
	v_pk_mul_f32 v[118:119], v[116:117], v[114:115] op_sel:[1,1] op_sel_hi:[0,1]
	s_delay_alu instid0(VALU_DEP_1) | instskip(SKIP_2) | instid1(VALU_DEP_3)
	v_pk_fma_f32 v[120:121], v[116:117], v[114:115], v[118:119] op_sel_hi:[1,0,1]
	v_add_nc_u32_e32 v113, 1, v113
	v_pk_fma_f32 v[114:115], v[116:117], v[114:115], v[118:119] neg_lo:[0,0,1] neg_hi:[0,0,1]
	v_mov_b32_e32 v115, v121
	s_delay_alu instid0(VALU_DEP_3) | instskip(NEXT) | instid1(VALU_DEP_2)
	v_cmp_lt_u32_e32 vcc_lo, 14, v113
	v_pk_add_f32 v[108:109], v[108:109], v[114:115]
	s_or_b32 s3, vcc_lo, s3
	s_delay_alu instid0(SALU_CYCLE_1)
	s_and_not1_b32 exec_lo, exec_lo, s3
	s_cbranch_execnz .LBB51_667
; %bb.668:
	s_or_b32 exec_lo, exec_lo, s3
.LBB51_669:
	s_delay_alu instid0(SALU_CYCLE_1) | instskip(SKIP_4) | instid1(VALU_DEP_1)
	s_or_b32 exec_lo, exec_lo, s2
	v_mov_b32_e32 v111, 0
	ds_load_b64 v[112:113], v111 offset:128
	s_wait_dscnt 0x0
	v_pk_mul_f32 v[114:115], v[108:109], v[112:113] op_sel:[1,1] op_sel_hi:[0,1]
	v_pk_fma_f32 v[116:117], v[108:109], v[112:113], v[114:115] op_sel_hi:[1,0,1]
	v_pk_fma_f32 v[108:109], v[108:109], v[112:113], v[114:115] neg_lo:[0,0,1] neg_hi:[0,0,1]
	s_delay_alu instid0(VALU_DEP_2)
	v_mov_b32_e32 v109, v117
	scratch_store_b64 off, v[108:109], off offset:128
.LBB51_670:
	s_wait_xcnt 0x0
	s_or_b32 exec_lo, exec_lo, s0
	scratch_load_b64 v[108:109], off, off offset:136
	s_mov_b32 s0, exec_lo
	s_wait_loadcnt 0x0
	ds_store_b64 v1, v[108:109]
	s_wait_storecnt_dscnt 0x0
	s_barrier_signal -1
	s_barrier_wait -1
	s_wait_xcnt 0x0
	v_cmpx_gt_u32_e32 17, v0
	s_cbranch_execz .LBB51_680
; %bb.671:
	v_cmp_ne_u32_e32 vcc_lo, 1, v110
	s_cbranch_vccnz .LBB51_673
; %bb.672:
	scratch_load_b64 v[108:109], v55, off
	ds_load_b64 v[112:113], v1
	s_wait_loadcnt_dscnt 0x0
	v_pk_mul_f32 v[114:115], v[112:113], v[108:109] op_sel:[1,1] op_sel_hi:[0,1]
	s_delay_alu instid0(VALU_DEP_1) | instskip(SKIP_1) | instid1(VALU_DEP_2)
	v_pk_fma_f32 v[116:117], v[112:113], v[108:109], v[114:115] op_sel_hi:[1,0,1]
	v_pk_fma_f32 v[108:109], v[112:113], v[108:109], v[114:115] neg_lo:[0,0,1] neg_hi:[0,0,1]
	v_mov_b32_e32 v109, v117
	s_cbranch_execz .LBB51_674
	s_branch .LBB51_675
.LBB51_673:
                                        ; implicit-def: $vgpr108_vgpr109
.LBB51_674:
	ds_load_b64 v[108:109], v1
.LBB51_675:
	s_mov_b32 s2, exec_lo
	v_cmpx_ne_u32_e32 16, v0
	s_cbranch_execz .LBB51_679
; %bb.676:
	v_add_nc_u32_e32 v111, 0x1a8, v54
	v_add3_u32 v112, 0, v54, 8
	v_mov_b32_e32 v113, v0
	s_mov_b32 s3, 0
.LBB51_677:                             ; =>This Inner Loop Header: Depth=1
	scratch_load_b64 v[114:115], v112, off
	ds_load_b64 v[116:117], v111
	s_wait_xcnt 0x0
	v_dual_add_nc_u32 v111, 8, v111 :: v_dual_add_nc_u32 v112, 8, v112
	s_wait_loadcnt_dscnt 0x0
	v_pk_mul_f32 v[118:119], v[116:117], v[114:115] op_sel:[1,1] op_sel_hi:[0,1]
	s_delay_alu instid0(VALU_DEP_1) | instskip(SKIP_2) | instid1(VALU_DEP_3)
	v_pk_fma_f32 v[120:121], v[116:117], v[114:115], v[118:119] op_sel_hi:[1,0,1]
	v_add_nc_u32_e32 v113, 1, v113
	v_pk_fma_f32 v[114:115], v[116:117], v[114:115], v[118:119] neg_lo:[0,0,1] neg_hi:[0,0,1]
	v_mov_b32_e32 v115, v121
	s_delay_alu instid0(VALU_DEP_3) | instskip(NEXT) | instid1(VALU_DEP_2)
	v_cmp_lt_u32_e32 vcc_lo, 15, v113
	v_pk_add_f32 v[108:109], v[108:109], v[114:115]
	s_or_b32 s3, vcc_lo, s3
	s_delay_alu instid0(SALU_CYCLE_1)
	s_and_not1_b32 exec_lo, exec_lo, s3
	s_cbranch_execnz .LBB51_677
; %bb.678:
	s_or_b32 exec_lo, exec_lo, s3
.LBB51_679:
	s_delay_alu instid0(SALU_CYCLE_1) | instskip(SKIP_4) | instid1(VALU_DEP_1)
	s_or_b32 exec_lo, exec_lo, s2
	v_mov_b32_e32 v111, 0
	ds_load_b64 v[112:113], v111 offset:136
	s_wait_dscnt 0x0
	v_pk_mul_f32 v[114:115], v[108:109], v[112:113] op_sel:[1,1] op_sel_hi:[0,1]
	v_pk_fma_f32 v[116:117], v[108:109], v[112:113], v[114:115] op_sel_hi:[1,0,1]
	v_pk_fma_f32 v[108:109], v[108:109], v[112:113], v[114:115] neg_lo:[0,0,1] neg_hi:[0,0,1]
	s_delay_alu instid0(VALU_DEP_2)
	v_mov_b32_e32 v109, v117
	scratch_store_b64 off, v[108:109], off offset:136
.LBB51_680:
	s_wait_xcnt 0x0
	s_or_b32 exec_lo, exec_lo, s0
	scratch_load_b64 v[108:109], off, off offset:144
	s_mov_b32 s0, exec_lo
	s_wait_loadcnt 0x0
	ds_store_b64 v1, v[108:109]
	s_wait_storecnt_dscnt 0x0
	s_barrier_signal -1
	s_barrier_wait -1
	s_wait_xcnt 0x0
	v_cmpx_gt_u32_e32 18, v0
	s_cbranch_execz .LBB51_690
; %bb.681:
	v_cmp_ne_u32_e32 vcc_lo, 1, v110
	s_cbranch_vccnz .LBB51_683
; %bb.682:
	scratch_load_b64 v[108:109], v55, off
	ds_load_b64 v[112:113], v1
	s_wait_loadcnt_dscnt 0x0
	v_pk_mul_f32 v[114:115], v[112:113], v[108:109] op_sel:[1,1] op_sel_hi:[0,1]
	s_delay_alu instid0(VALU_DEP_1) | instskip(SKIP_1) | instid1(VALU_DEP_2)
	v_pk_fma_f32 v[116:117], v[112:113], v[108:109], v[114:115] op_sel_hi:[1,0,1]
	v_pk_fma_f32 v[108:109], v[112:113], v[108:109], v[114:115] neg_lo:[0,0,1] neg_hi:[0,0,1]
	v_mov_b32_e32 v109, v117
	s_cbranch_execz .LBB51_684
	s_branch .LBB51_685
.LBB51_683:
                                        ; implicit-def: $vgpr108_vgpr109
.LBB51_684:
	ds_load_b64 v[108:109], v1
.LBB51_685:
	s_mov_b32 s2, exec_lo
	v_cmpx_ne_u32_e32 17, v0
	s_cbranch_execz .LBB51_689
; %bb.686:
	v_add_nc_u32_e32 v111, 0x1a8, v54
	v_add3_u32 v112, 0, v54, 8
	v_mov_b32_e32 v113, v0
	s_mov_b32 s3, 0
.LBB51_687:                             ; =>This Inner Loop Header: Depth=1
	scratch_load_b64 v[114:115], v112, off
	ds_load_b64 v[116:117], v111
	s_wait_xcnt 0x0
	v_dual_add_nc_u32 v111, 8, v111 :: v_dual_add_nc_u32 v112, 8, v112
	s_wait_loadcnt_dscnt 0x0
	v_pk_mul_f32 v[118:119], v[116:117], v[114:115] op_sel:[1,1] op_sel_hi:[0,1]
	s_delay_alu instid0(VALU_DEP_1) | instskip(SKIP_2) | instid1(VALU_DEP_3)
	v_pk_fma_f32 v[120:121], v[116:117], v[114:115], v[118:119] op_sel_hi:[1,0,1]
	v_add_nc_u32_e32 v113, 1, v113
	v_pk_fma_f32 v[114:115], v[116:117], v[114:115], v[118:119] neg_lo:[0,0,1] neg_hi:[0,0,1]
	v_mov_b32_e32 v115, v121
	s_delay_alu instid0(VALU_DEP_3) | instskip(NEXT) | instid1(VALU_DEP_2)
	v_cmp_lt_u32_e32 vcc_lo, 16, v113
	v_pk_add_f32 v[108:109], v[108:109], v[114:115]
	s_or_b32 s3, vcc_lo, s3
	s_delay_alu instid0(SALU_CYCLE_1)
	s_and_not1_b32 exec_lo, exec_lo, s3
	s_cbranch_execnz .LBB51_687
; %bb.688:
	s_or_b32 exec_lo, exec_lo, s3
.LBB51_689:
	s_delay_alu instid0(SALU_CYCLE_1) | instskip(SKIP_4) | instid1(VALU_DEP_1)
	s_or_b32 exec_lo, exec_lo, s2
	v_mov_b32_e32 v111, 0
	ds_load_b64 v[112:113], v111 offset:144
	s_wait_dscnt 0x0
	v_pk_mul_f32 v[114:115], v[108:109], v[112:113] op_sel:[1,1] op_sel_hi:[0,1]
	v_pk_fma_f32 v[116:117], v[108:109], v[112:113], v[114:115] op_sel_hi:[1,0,1]
	v_pk_fma_f32 v[108:109], v[108:109], v[112:113], v[114:115] neg_lo:[0,0,1] neg_hi:[0,0,1]
	s_delay_alu instid0(VALU_DEP_2)
	v_mov_b32_e32 v109, v117
	scratch_store_b64 off, v[108:109], off offset:144
.LBB51_690:
	s_wait_xcnt 0x0
	s_or_b32 exec_lo, exec_lo, s0
	scratch_load_b64 v[108:109], off, off offset:152
	s_mov_b32 s0, exec_lo
	s_wait_loadcnt 0x0
	ds_store_b64 v1, v[108:109]
	s_wait_storecnt_dscnt 0x0
	s_barrier_signal -1
	s_barrier_wait -1
	s_wait_xcnt 0x0
	v_cmpx_gt_u32_e32 19, v0
	s_cbranch_execz .LBB51_700
; %bb.691:
	v_cmp_ne_u32_e32 vcc_lo, 1, v110
	s_cbranch_vccnz .LBB51_693
; %bb.692:
	scratch_load_b64 v[108:109], v55, off
	ds_load_b64 v[112:113], v1
	s_wait_loadcnt_dscnt 0x0
	v_pk_mul_f32 v[114:115], v[112:113], v[108:109] op_sel:[1,1] op_sel_hi:[0,1]
	s_delay_alu instid0(VALU_DEP_1) | instskip(SKIP_1) | instid1(VALU_DEP_2)
	v_pk_fma_f32 v[116:117], v[112:113], v[108:109], v[114:115] op_sel_hi:[1,0,1]
	v_pk_fma_f32 v[108:109], v[112:113], v[108:109], v[114:115] neg_lo:[0,0,1] neg_hi:[0,0,1]
	v_mov_b32_e32 v109, v117
	s_cbranch_execz .LBB51_694
	s_branch .LBB51_695
.LBB51_693:
                                        ; implicit-def: $vgpr108_vgpr109
.LBB51_694:
	ds_load_b64 v[108:109], v1
.LBB51_695:
	s_mov_b32 s2, exec_lo
	v_cmpx_ne_u32_e32 18, v0
	s_cbranch_execz .LBB51_699
; %bb.696:
	v_add_nc_u32_e32 v111, 0x1a8, v54
	v_add3_u32 v112, 0, v54, 8
	v_mov_b32_e32 v113, v0
	s_mov_b32 s3, 0
.LBB51_697:                             ; =>This Inner Loop Header: Depth=1
	scratch_load_b64 v[114:115], v112, off
	ds_load_b64 v[116:117], v111
	s_wait_xcnt 0x0
	v_dual_add_nc_u32 v111, 8, v111 :: v_dual_add_nc_u32 v112, 8, v112
	s_wait_loadcnt_dscnt 0x0
	v_pk_mul_f32 v[118:119], v[116:117], v[114:115] op_sel:[1,1] op_sel_hi:[0,1]
	s_delay_alu instid0(VALU_DEP_1) | instskip(SKIP_2) | instid1(VALU_DEP_3)
	v_pk_fma_f32 v[120:121], v[116:117], v[114:115], v[118:119] op_sel_hi:[1,0,1]
	v_add_nc_u32_e32 v113, 1, v113
	v_pk_fma_f32 v[114:115], v[116:117], v[114:115], v[118:119] neg_lo:[0,0,1] neg_hi:[0,0,1]
	v_mov_b32_e32 v115, v121
	s_delay_alu instid0(VALU_DEP_3) | instskip(NEXT) | instid1(VALU_DEP_2)
	v_cmp_lt_u32_e32 vcc_lo, 17, v113
	v_pk_add_f32 v[108:109], v[108:109], v[114:115]
	s_or_b32 s3, vcc_lo, s3
	s_delay_alu instid0(SALU_CYCLE_1)
	s_and_not1_b32 exec_lo, exec_lo, s3
	s_cbranch_execnz .LBB51_697
; %bb.698:
	s_or_b32 exec_lo, exec_lo, s3
.LBB51_699:
	s_delay_alu instid0(SALU_CYCLE_1) | instskip(SKIP_4) | instid1(VALU_DEP_1)
	s_or_b32 exec_lo, exec_lo, s2
	v_mov_b32_e32 v111, 0
	ds_load_b64 v[112:113], v111 offset:152
	s_wait_dscnt 0x0
	v_pk_mul_f32 v[114:115], v[108:109], v[112:113] op_sel:[1,1] op_sel_hi:[0,1]
	v_pk_fma_f32 v[116:117], v[108:109], v[112:113], v[114:115] op_sel_hi:[1,0,1]
	v_pk_fma_f32 v[108:109], v[108:109], v[112:113], v[114:115] neg_lo:[0,0,1] neg_hi:[0,0,1]
	s_delay_alu instid0(VALU_DEP_2)
	v_mov_b32_e32 v109, v117
	scratch_store_b64 off, v[108:109], off offset:152
.LBB51_700:
	s_wait_xcnt 0x0
	s_or_b32 exec_lo, exec_lo, s0
	scratch_load_b64 v[108:109], off, off offset:160
	s_mov_b32 s0, exec_lo
	s_wait_loadcnt 0x0
	ds_store_b64 v1, v[108:109]
	s_wait_storecnt_dscnt 0x0
	s_barrier_signal -1
	s_barrier_wait -1
	s_wait_xcnt 0x0
	v_cmpx_gt_u32_e32 20, v0
	s_cbranch_execz .LBB51_710
; %bb.701:
	v_cmp_ne_u32_e32 vcc_lo, 1, v110
	s_cbranch_vccnz .LBB51_703
; %bb.702:
	scratch_load_b64 v[108:109], v55, off
	ds_load_b64 v[112:113], v1
	s_wait_loadcnt_dscnt 0x0
	v_pk_mul_f32 v[114:115], v[112:113], v[108:109] op_sel:[1,1] op_sel_hi:[0,1]
	s_delay_alu instid0(VALU_DEP_1) | instskip(SKIP_1) | instid1(VALU_DEP_2)
	v_pk_fma_f32 v[116:117], v[112:113], v[108:109], v[114:115] op_sel_hi:[1,0,1]
	v_pk_fma_f32 v[108:109], v[112:113], v[108:109], v[114:115] neg_lo:[0,0,1] neg_hi:[0,0,1]
	v_mov_b32_e32 v109, v117
	s_cbranch_execz .LBB51_704
	s_branch .LBB51_705
.LBB51_703:
                                        ; implicit-def: $vgpr108_vgpr109
.LBB51_704:
	ds_load_b64 v[108:109], v1
.LBB51_705:
	s_mov_b32 s2, exec_lo
	v_cmpx_ne_u32_e32 19, v0
	s_cbranch_execz .LBB51_709
; %bb.706:
	v_add_nc_u32_e32 v111, 0x1a8, v54
	v_add3_u32 v112, 0, v54, 8
	v_mov_b32_e32 v113, v0
	s_mov_b32 s3, 0
.LBB51_707:                             ; =>This Inner Loop Header: Depth=1
	scratch_load_b64 v[114:115], v112, off
	ds_load_b64 v[116:117], v111
	s_wait_xcnt 0x0
	v_dual_add_nc_u32 v111, 8, v111 :: v_dual_add_nc_u32 v112, 8, v112
	s_wait_loadcnt_dscnt 0x0
	v_pk_mul_f32 v[118:119], v[116:117], v[114:115] op_sel:[1,1] op_sel_hi:[0,1]
	s_delay_alu instid0(VALU_DEP_1) | instskip(SKIP_2) | instid1(VALU_DEP_3)
	v_pk_fma_f32 v[120:121], v[116:117], v[114:115], v[118:119] op_sel_hi:[1,0,1]
	v_add_nc_u32_e32 v113, 1, v113
	v_pk_fma_f32 v[114:115], v[116:117], v[114:115], v[118:119] neg_lo:[0,0,1] neg_hi:[0,0,1]
	v_mov_b32_e32 v115, v121
	s_delay_alu instid0(VALU_DEP_3) | instskip(NEXT) | instid1(VALU_DEP_2)
	v_cmp_lt_u32_e32 vcc_lo, 18, v113
	v_pk_add_f32 v[108:109], v[108:109], v[114:115]
	s_or_b32 s3, vcc_lo, s3
	s_delay_alu instid0(SALU_CYCLE_1)
	s_and_not1_b32 exec_lo, exec_lo, s3
	s_cbranch_execnz .LBB51_707
; %bb.708:
	s_or_b32 exec_lo, exec_lo, s3
.LBB51_709:
	s_delay_alu instid0(SALU_CYCLE_1) | instskip(SKIP_4) | instid1(VALU_DEP_1)
	s_or_b32 exec_lo, exec_lo, s2
	v_mov_b32_e32 v111, 0
	ds_load_b64 v[112:113], v111 offset:160
	s_wait_dscnt 0x0
	v_pk_mul_f32 v[114:115], v[108:109], v[112:113] op_sel:[1,1] op_sel_hi:[0,1]
	v_pk_fma_f32 v[116:117], v[108:109], v[112:113], v[114:115] op_sel_hi:[1,0,1]
	v_pk_fma_f32 v[108:109], v[108:109], v[112:113], v[114:115] neg_lo:[0,0,1] neg_hi:[0,0,1]
	s_delay_alu instid0(VALU_DEP_2)
	v_mov_b32_e32 v109, v117
	scratch_store_b64 off, v[108:109], off offset:160
.LBB51_710:
	s_wait_xcnt 0x0
	s_or_b32 exec_lo, exec_lo, s0
	scratch_load_b64 v[108:109], off, off offset:168
	s_mov_b32 s0, exec_lo
	s_wait_loadcnt 0x0
	ds_store_b64 v1, v[108:109]
	s_wait_storecnt_dscnt 0x0
	s_barrier_signal -1
	s_barrier_wait -1
	s_wait_xcnt 0x0
	v_cmpx_gt_u32_e32 21, v0
	s_cbranch_execz .LBB51_720
; %bb.711:
	v_cmp_ne_u32_e32 vcc_lo, 1, v110
	s_cbranch_vccnz .LBB51_713
; %bb.712:
	scratch_load_b64 v[108:109], v55, off
	ds_load_b64 v[112:113], v1
	s_wait_loadcnt_dscnt 0x0
	v_pk_mul_f32 v[114:115], v[112:113], v[108:109] op_sel:[1,1] op_sel_hi:[0,1]
	s_delay_alu instid0(VALU_DEP_1) | instskip(SKIP_1) | instid1(VALU_DEP_2)
	v_pk_fma_f32 v[116:117], v[112:113], v[108:109], v[114:115] op_sel_hi:[1,0,1]
	v_pk_fma_f32 v[108:109], v[112:113], v[108:109], v[114:115] neg_lo:[0,0,1] neg_hi:[0,0,1]
	v_mov_b32_e32 v109, v117
	s_cbranch_execz .LBB51_714
	s_branch .LBB51_715
.LBB51_713:
                                        ; implicit-def: $vgpr108_vgpr109
.LBB51_714:
	ds_load_b64 v[108:109], v1
.LBB51_715:
	s_mov_b32 s2, exec_lo
	v_cmpx_ne_u32_e32 20, v0
	s_cbranch_execz .LBB51_719
; %bb.716:
	v_add_nc_u32_e32 v111, 0x1a8, v54
	v_add3_u32 v112, 0, v54, 8
	v_mov_b32_e32 v113, v0
	s_mov_b32 s3, 0
.LBB51_717:                             ; =>This Inner Loop Header: Depth=1
	scratch_load_b64 v[114:115], v112, off
	ds_load_b64 v[116:117], v111
	s_wait_xcnt 0x0
	v_dual_add_nc_u32 v111, 8, v111 :: v_dual_add_nc_u32 v112, 8, v112
	s_wait_loadcnt_dscnt 0x0
	v_pk_mul_f32 v[118:119], v[116:117], v[114:115] op_sel:[1,1] op_sel_hi:[0,1]
	s_delay_alu instid0(VALU_DEP_1) | instskip(SKIP_2) | instid1(VALU_DEP_3)
	v_pk_fma_f32 v[120:121], v[116:117], v[114:115], v[118:119] op_sel_hi:[1,0,1]
	v_add_nc_u32_e32 v113, 1, v113
	v_pk_fma_f32 v[114:115], v[116:117], v[114:115], v[118:119] neg_lo:[0,0,1] neg_hi:[0,0,1]
	v_mov_b32_e32 v115, v121
	s_delay_alu instid0(VALU_DEP_3) | instskip(NEXT) | instid1(VALU_DEP_2)
	v_cmp_lt_u32_e32 vcc_lo, 19, v113
	v_pk_add_f32 v[108:109], v[108:109], v[114:115]
	s_or_b32 s3, vcc_lo, s3
	s_delay_alu instid0(SALU_CYCLE_1)
	s_and_not1_b32 exec_lo, exec_lo, s3
	s_cbranch_execnz .LBB51_717
; %bb.718:
	s_or_b32 exec_lo, exec_lo, s3
.LBB51_719:
	s_delay_alu instid0(SALU_CYCLE_1) | instskip(SKIP_4) | instid1(VALU_DEP_1)
	s_or_b32 exec_lo, exec_lo, s2
	v_mov_b32_e32 v111, 0
	ds_load_b64 v[112:113], v111 offset:168
	s_wait_dscnt 0x0
	v_pk_mul_f32 v[114:115], v[108:109], v[112:113] op_sel:[1,1] op_sel_hi:[0,1]
	v_pk_fma_f32 v[116:117], v[108:109], v[112:113], v[114:115] op_sel_hi:[1,0,1]
	v_pk_fma_f32 v[108:109], v[108:109], v[112:113], v[114:115] neg_lo:[0,0,1] neg_hi:[0,0,1]
	s_delay_alu instid0(VALU_DEP_2)
	v_mov_b32_e32 v109, v117
	scratch_store_b64 off, v[108:109], off offset:168
.LBB51_720:
	s_wait_xcnt 0x0
	s_or_b32 exec_lo, exec_lo, s0
	scratch_load_b64 v[108:109], off, off offset:176
	s_mov_b32 s0, exec_lo
	s_wait_loadcnt 0x0
	ds_store_b64 v1, v[108:109]
	s_wait_storecnt_dscnt 0x0
	s_barrier_signal -1
	s_barrier_wait -1
	s_wait_xcnt 0x0
	v_cmpx_gt_u32_e32 22, v0
	s_cbranch_execz .LBB51_730
; %bb.721:
	v_cmp_ne_u32_e32 vcc_lo, 1, v110
	s_cbranch_vccnz .LBB51_723
; %bb.722:
	scratch_load_b64 v[108:109], v55, off
	ds_load_b64 v[112:113], v1
	s_wait_loadcnt_dscnt 0x0
	v_pk_mul_f32 v[114:115], v[112:113], v[108:109] op_sel:[1,1] op_sel_hi:[0,1]
	s_delay_alu instid0(VALU_DEP_1) | instskip(SKIP_1) | instid1(VALU_DEP_2)
	v_pk_fma_f32 v[116:117], v[112:113], v[108:109], v[114:115] op_sel_hi:[1,0,1]
	v_pk_fma_f32 v[108:109], v[112:113], v[108:109], v[114:115] neg_lo:[0,0,1] neg_hi:[0,0,1]
	v_mov_b32_e32 v109, v117
	s_cbranch_execz .LBB51_724
	s_branch .LBB51_725
.LBB51_723:
                                        ; implicit-def: $vgpr108_vgpr109
.LBB51_724:
	ds_load_b64 v[108:109], v1
.LBB51_725:
	s_mov_b32 s2, exec_lo
	v_cmpx_ne_u32_e32 21, v0
	s_cbranch_execz .LBB51_729
; %bb.726:
	v_add_nc_u32_e32 v111, 0x1a8, v54
	v_add3_u32 v112, 0, v54, 8
	v_mov_b32_e32 v113, v0
	s_mov_b32 s3, 0
.LBB51_727:                             ; =>This Inner Loop Header: Depth=1
	scratch_load_b64 v[114:115], v112, off
	ds_load_b64 v[116:117], v111
	s_wait_xcnt 0x0
	v_dual_add_nc_u32 v111, 8, v111 :: v_dual_add_nc_u32 v112, 8, v112
	s_wait_loadcnt_dscnt 0x0
	v_pk_mul_f32 v[118:119], v[116:117], v[114:115] op_sel:[1,1] op_sel_hi:[0,1]
	s_delay_alu instid0(VALU_DEP_1) | instskip(SKIP_2) | instid1(VALU_DEP_3)
	v_pk_fma_f32 v[120:121], v[116:117], v[114:115], v[118:119] op_sel_hi:[1,0,1]
	v_add_nc_u32_e32 v113, 1, v113
	v_pk_fma_f32 v[114:115], v[116:117], v[114:115], v[118:119] neg_lo:[0,0,1] neg_hi:[0,0,1]
	v_mov_b32_e32 v115, v121
	s_delay_alu instid0(VALU_DEP_3) | instskip(NEXT) | instid1(VALU_DEP_2)
	v_cmp_lt_u32_e32 vcc_lo, 20, v113
	v_pk_add_f32 v[108:109], v[108:109], v[114:115]
	s_or_b32 s3, vcc_lo, s3
	s_delay_alu instid0(SALU_CYCLE_1)
	s_and_not1_b32 exec_lo, exec_lo, s3
	s_cbranch_execnz .LBB51_727
; %bb.728:
	s_or_b32 exec_lo, exec_lo, s3
.LBB51_729:
	s_delay_alu instid0(SALU_CYCLE_1) | instskip(SKIP_4) | instid1(VALU_DEP_1)
	s_or_b32 exec_lo, exec_lo, s2
	v_mov_b32_e32 v111, 0
	ds_load_b64 v[112:113], v111 offset:176
	s_wait_dscnt 0x0
	v_pk_mul_f32 v[114:115], v[108:109], v[112:113] op_sel:[1,1] op_sel_hi:[0,1]
	v_pk_fma_f32 v[116:117], v[108:109], v[112:113], v[114:115] op_sel_hi:[1,0,1]
	v_pk_fma_f32 v[108:109], v[108:109], v[112:113], v[114:115] neg_lo:[0,0,1] neg_hi:[0,0,1]
	s_delay_alu instid0(VALU_DEP_2)
	v_mov_b32_e32 v109, v117
	scratch_store_b64 off, v[108:109], off offset:176
.LBB51_730:
	s_wait_xcnt 0x0
	s_or_b32 exec_lo, exec_lo, s0
	scratch_load_b64 v[108:109], off, off offset:184
	s_mov_b32 s0, exec_lo
	s_wait_loadcnt 0x0
	ds_store_b64 v1, v[108:109]
	s_wait_storecnt_dscnt 0x0
	s_barrier_signal -1
	s_barrier_wait -1
	s_wait_xcnt 0x0
	v_cmpx_gt_u32_e32 23, v0
	s_cbranch_execz .LBB51_740
; %bb.731:
	v_cmp_ne_u32_e32 vcc_lo, 1, v110
	s_cbranch_vccnz .LBB51_733
; %bb.732:
	scratch_load_b64 v[108:109], v55, off
	ds_load_b64 v[112:113], v1
	s_wait_loadcnt_dscnt 0x0
	v_pk_mul_f32 v[114:115], v[112:113], v[108:109] op_sel:[1,1] op_sel_hi:[0,1]
	s_delay_alu instid0(VALU_DEP_1) | instskip(SKIP_1) | instid1(VALU_DEP_2)
	v_pk_fma_f32 v[116:117], v[112:113], v[108:109], v[114:115] op_sel_hi:[1,0,1]
	v_pk_fma_f32 v[108:109], v[112:113], v[108:109], v[114:115] neg_lo:[0,0,1] neg_hi:[0,0,1]
	v_mov_b32_e32 v109, v117
	s_cbranch_execz .LBB51_734
	s_branch .LBB51_735
.LBB51_733:
                                        ; implicit-def: $vgpr108_vgpr109
.LBB51_734:
	ds_load_b64 v[108:109], v1
.LBB51_735:
	s_mov_b32 s2, exec_lo
	v_cmpx_ne_u32_e32 22, v0
	s_cbranch_execz .LBB51_739
; %bb.736:
	v_add_nc_u32_e32 v111, 0x1a8, v54
	v_add3_u32 v112, 0, v54, 8
	v_mov_b32_e32 v113, v0
	s_mov_b32 s3, 0
.LBB51_737:                             ; =>This Inner Loop Header: Depth=1
	scratch_load_b64 v[114:115], v112, off
	ds_load_b64 v[116:117], v111
	s_wait_xcnt 0x0
	v_dual_add_nc_u32 v111, 8, v111 :: v_dual_add_nc_u32 v112, 8, v112
	s_wait_loadcnt_dscnt 0x0
	v_pk_mul_f32 v[118:119], v[116:117], v[114:115] op_sel:[1,1] op_sel_hi:[0,1]
	s_delay_alu instid0(VALU_DEP_1) | instskip(SKIP_2) | instid1(VALU_DEP_3)
	v_pk_fma_f32 v[120:121], v[116:117], v[114:115], v[118:119] op_sel_hi:[1,0,1]
	v_add_nc_u32_e32 v113, 1, v113
	v_pk_fma_f32 v[114:115], v[116:117], v[114:115], v[118:119] neg_lo:[0,0,1] neg_hi:[0,0,1]
	v_mov_b32_e32 v115, v121
	s_delay_alu instid0(VALU_DEP_3) | instskip(NEXT) | instid1(VALU_DEP_2)
	v_cmp_lt_u32_e32 vcc_lo, 21, v113
	v_pk_add_f32 v[108:109], v[108:109], v[114:115]
	s_or_b32 s3, vcc_lo, s3
	s_delay_alu instid0(SALU_CYCLE_1)
	s_and_not1_b32 exec_lo, exec_lo, s3
	s_cbranch_execnz .LBB51_737
; %bb.738:
	s_or_b32 exec_lo, exec_lo, s3
.LBB51_739:
	s_delay_alu instid0(SALU_CYCLE_1) | instskip(SKIP_4) | instid1(VALU_DEP_1)
	s_or_b32 exec_lo, exec_lo, s2
	v_mov_b32_e32 v111, 0
	ds_load_b64 v[112:113], v111 offset:184
	s_wait_dscnt 0x0
	v_pk_mul_f32 v[114:115], v[108:109], v[112:113] op_sel:[1,1] op_sel_hi:[0,1]
	v_pk_fma_f32 v[116:117], v[108:109], v[112:113], v[114:115] op_sel_hi:[1,0,1]
	v_pk_fma_f32 v[108:109], v[108:109], v[112:113], v[114:115] neg_lo:[0,0,1] neg_hi:[0,0,1]
	s_delay_alu instid0(VALU_DEP_2)
	v_mov_b32_e32 v109, v117
	scratch_store_b64 off, v[108:109], off offset:184
.LBB51_740:
	s_wait_xcnt 0x0
	s_or_b32 exec_lo, exec_lo, s0
	scratch_load_b64 v[108:109], off, off offset:192
	s_mov_b32 s0, exec_lo
	s_wait_loadcnt 0x0
	ds_store_b64 v1, v[108:109]
	s_wait_storecnt_dscnt 0x0
	s_barrier_signal -1
	s_barrier_wait -1
	s_wait_xcnt 0x0
	v_cmpx_gt_u32_e32 24, v0
	s_cbranch_execz .LBB51_750
; %bb.741:
	v_cmp_ne_u32_e32 vcc_lo, 1, v110
	s_cbranch_vccnz .LBB51_743
; %bb.742:
	scratch_load_b64 v[108:109], v55, off
	ds_load_b64 v[112:113], v1
	s_wait_loadcnt_dscnt 0x0
	v_pk_mul_f32 v[114:115], v[112:113], v[108:109] op_sel:[1,1] op_sel_hi:[0,1]
	s_delay_alu instid0(VALU_DEP_1) | instskip(SKIP_1) | instid1(VALU_DEP_2)
	v_pk_fma_f32 v[116:117], v[112:113], v[108:109], v[114:115] op_sel_hi:[1,0,1]
	v_pk_fma_f32 v[108:109], v[112:113], v[108:109], v[114:115] neg_lo:[0,0,1] neg_hi:[0,0,1]
	v_mov_b32_e32 v109, v117
	s_cbranch_execz .LBB51_744
	s_branch .LBB51_745
.LBB51_743:
                                        ; implicit-def: $vgpr108_vgpr109
.LBB51_744:
	ds_load_b64 v[108:109], v1
.LBB51_745:
	s_mov_b32 s2, exec_lo
	v_cmpx_ne_u32_e32 23, v0
	s_cbranch_execz .LBB51_749
; %bb.746:
	v_add_nc_u32_e32 v111, 0x1a8, v54
	v_add3_u32 v112, 0, v54, 8
	v_mov_b32_e32 v113, v0
	s_mov_b32 s3, 0
.LBB51_747:                             ; =>This Inner Loop Header: Depth=1
	scratch_load_b64 v[114:115], v112, off
	ds_load_b64 v[116:117], v111
	s_wait_xcnt 0x0
	v_dual_add_nc_u32 v111, 8, v111 :: v_dual_add_nc_u32 v112, 8, v112
	s_wait_loadcnt_dscnt 0x0
	v_pk_mul_f32 v[118:119], v[116:117], v[114:115] op_sel:[1,1] op_sel_hi:[0,1]
	s_delay_alu instid0(VALU_DEP_1) | instskip(SKIP_2) | instid1(VALU_DEP_3)
	v_pk_fma_f32 v[120:121], v[116:117], v[114:115], v[118:119] op_sel_hi:[1,0,1]
	v_add_nc_u32_e32 v113, 1, v113
	v_pk_fma_f32 v[114:115], v[116:117], v[114:115], v[118:119] neg_lo:[0,0,1] neg_hi:[0,0,1]
	v_mov_b32_e32 v115, v121
	s_delay_alu instid0(VALU_DEP_3) | instskip(NEXT) | instid1(VALU_DEP_2)
	v_cmp_lt_u32_e32 vcc_lo, 22, v113
	v_pk_add_f32 v[108:109], v[108:109], v[114:115]
	s_or_b32 s3, vcc_lo, s3
	s_delay_alu instid0(SALU_CYCLE_1)
	s_and_not1_b32 exec_lo, exec_lo, s3
	s_cbranch_execnz .LBB51_747
; %bb.748:
	s_or_b32 exec_lo, exec_lo, s3
.LBB51_749:
	s_delay_alu instid0(SALU_CYCLE_1) | instskip(SKIP_4) | instid1(VALU_DEP_1)
	s_or_b32 exec_lo, exec_lo, s2
	v_mov_b32_e32 v111, 0
	ds_load_b64 v[112:113], v111 offset:192
	s_wait_dscnt 0x0
	v_pk_mul_f32 v[114:115], v[108:109], v[112:113] op_sel:[1,1] op_sel_hi:[0,1]
	v_pk_fma_f32 v[116:117], v[108:109], v[112:113], v[114:115] op_sel_hi:[1,0,1]
	v_pk_fma_f32 v[108:109], v[108:109], v[112:113], v[114:115] neg_lo:[0,0,1] neg_hi:[0,0,1]
	s_delay_alu instid0(VALU_DEP_2)
	v_mov_b32_e32 v109, v117
	scratch_store_b64 off, v[108:109], off offset:192
.LBB51_750:
	s_wait_xcnt 0x0
	s_or_b32 exec_lo, exec_lo, s0
	scratch_load_b64 v[108:109], off, off offset:200
	s_mov_b32 s0, exec_lo
	s_wait_loadcnt 0x0
	ds_store_b64 v1, v[108:109]
	s_wait_storecnt_dscnt 0x0
	s_barrier_signal -1
	s_barrier_wait -1
	s_wait_xcnt 0x0
	v_cmpx_gt_u32_e32 25, v0
	s_cbranch_execz .LBB51_760
; %bb.751:
	v_cmp_ne_u32_e32 vcc_lo, 1, v110
	s_cbranch_vccnz .LBB51_753
; %bb.752:
	scratch_load_b64 v[108:109], v55, off
	ds_load_b64 v[112:113], v1
	s_wait_loadcnt_dscnt 0x0
	v_pk_mul_f32 v[114:115], v[112:113], v[108:109] op_sel:[1,1] op_sel_hi:[0,1]
	s_delay_alu instid0(VALU_DEP_1) | instskip(SKIP_1) | instid1(VALU_DEP_2)
	v_pk_fma_f32 v[116:117], v[112:113], v[108:109], v[114:115] op_sel_hi:[1,0,1]
	v_pk_fma_f32 v[108:109], v[112:113], v[108:109], v[114:115] neg_lo:[0,0,1] neg_hi:[0,0,1]
	v_mov_b32_e32 v109, v117
	s_cbranch_execz .LBB51_754
	s_branch .LBB51_755
.LBB51_753:
                                        ; implicit-def: $vgpr108_vgpr109
.LBB51_754:
	ds_load_b64 v[108:109], v1
.LBB51_755:
	s_mov_b32 s2, exec_lo
	v_cmpx_ne_u32_e32 24, v0
	s_cbranch_execz .LBB51_759
; %bb.756:
	v_add_nc_u32_e32 v111, 0x1a8, v54
	v_add3_u32 v112, 0, v54, 8
	v_mov_b32_e32 v113, v0
	s_mov_b32 s3, 0
.LBB51_757:                             ; =>This Inner Loop Header: Depth=1
	scratch_load_b64 v[114:115], v112, off
	ds_load_b64 v[116:117], v111
	s_wait_xcnt 0x0
	v_dual_add_nc_u32 v111, 8, v111 :: v_dual_add_nc_u32 v112, 8, v112
	s_wait_loadcnt_dscnt 0x0
	v_pk_mul_f32 v[118:119], v[116:117], v[114:115] op_sel:[1,1] op_sel_hi:[0,1]
	s_delay_alu instid0(VALU_DEP_1) | instskip(SKIP_2) | instid1(VALU_DEP_3)
	v_pk_fma_f32 v[120:121], v[116:117], v[114:115], v[118:119] op_sel_hi:[1,0,1]
	v_add_nc_u32_e32 v113, 1, v113
	v_pk_fma_f32 v[114:115], v[116:117], v[114:115], v[118:119] neg_lo:[0,0,1] neg_hi:[0,0,1]
	v_mov_b32_e32 v115, v121
	s_delay_alu instid0(VALU_DEP_3) | instskip(NEXT) | instid1(VALU_DEP_2)
	v_cmp_lt_u32_e32 vcc_lo, 23, v113
	v_pk_add_f32 v[108:109], v[108:109], v[114:115]
	s_or_b32 s3, vcc_lo, s3
	s_delay_alu instid0(SALU_CYCLE_1)
	s_and_not1_b32 exec_lo, exec_lo, s3
	s_cbranch_execnz .LBB51_757
; %bb.758:
	s_or_b32 exec_lo, exec_lo, s3
.LBB51_759:
	s_delay_alu instid0(SALU_CYCLE_1) | instskip(SKIP_4) | instid1(VALU_DEP_1)
	s_or_b32 exec_lo, exec_lo, s2
	v_mov_b32_e32 v111, 0
	ds_load_b64 v[112:113], v111 offset:200
	s_wait_dscnt 0x0
	v_pk_mul_f32 v[114:115], v[108:109], v[112:113] op_sel:[1,1] op_sel_hi:[0,1]
	v_pk_fma_f32 v[116:117], v[108:109], v[112:113], v[114:115] op_sel_hi:[1,0,1]
	v_pk_fma_f32 v[108:109], v[108:109], v[112:113], v[114:115] neg_lo:[0,0,1] neg_hi:[0,0,1]
	s_delay_alu instid0(VALU_DEP_2)
	v_mov_b32_e32 v109, v117
	scratch_store_b64 off, v[108:109], off offset:200
.LBB51_760:
	s_wait_xcnt 0x0
	s_or_b32 exec_lo, exec_lo, s0
	scratch_load_b64 v[108:109], off, off offset:208
	s_mov_b32 s0, exec_lo
	s_wait_loadcnt 0x0
	ds_store_b64 v1, v[108:109]
	s_wait_storecnt_dscnt 0x0
	s_barrier_signal -1
	s_barrier_wait -1
	s_wait_xcnt 0x0
	v_cmpx_gt_u32_e32 26, v0
	s_cbranch_execz .LBB51_770
; %bb.761:
	v_cmp_ne_u32_e32 vcc_lo, 1, v110
	s_cbranch_vccnz .LBB51_763
; %bb.762:
	scratch_load_b64 v[108:109], v55, off
	ds_load_b64 v[112:113], v1
	s_wait_loadcnt_dscnt 0x0
	v_pk_mul_f32 v[114:115], v[112:113], v[108:109] op_sel:[1,1] op_sel_hi:[0,1]
	s_delay_alu instid0(VALU_DEP_1) | instskip(SKIP_1) | instid1(VALU_DEP_2)
	v_pk_fma_f32 v[116:117], v[112:113], v[108:109], v[114:115] op_sel_hi:[1,0,1]
	v_pk_fma_f32 v[108:109], v[112:113], v[108:109], v[114:115] neg_lo:[0,0,1] neg_hi:[0,0,1]
	v_mov_b32_e32 v109, v117
	s_cbranch_execz .LBB51_764
	s_branch .LBB51_765
.LBB51_763:
                                        ; implicit-def: $vgpr108_vgpr109
.LBB51_764:
	ds_load_b64 v[108:109], v1
.LBB51_765:
	s_mov_b32 s2, exec_lo
	v_cmpx_ne_u32_e32 25, v0
	s_cbranch_execz .LBB51_769
; %bb.766:
	v_add_nc_u32_e32 v111, 0x1a8, v54
	v_add3_u32 v112, 0, v54, 8
	v_mov_b32_e32 v113, v0
	s_mov_b32 s3, 0
.LBB51_767:                             ; =>This Inner Loop Header: Depth=1
	scratch_load_b64 v[114:115], v112, off
	ds_load_b64 v[116:117], v111
	s_wait_xcnt 0x0
	v_dual_add_nc_u32 v111, 8, v111 :: v_dual_add_nc_u32 v112, 8, v112
	s_wait_loadcnt_dscnt 0x0
	v_pk_mul_f32 v[118:119], v[116:117], v[114:115] op_sel:[1,1] op_sel_hi:[0,1]
	s_delay_alu instid0(VALU_DEP_1) | instskip(SKIP_2) | instid1(VALU_DEP_3)
	v_pk_fma_f32 v[120:121], v[116:117], v[114:115], v[118:119] op_sel_hi:[1,0,1]
	v_add_nc_u32_e32 v113, 1, v113
	v_pk_fma_f32 v[114:115], v[116:117], v[114:115], v[118:119] neg_lo:[0,0,1] neg_hi:[0,0,1]
	v_mov_b32_e32 v115, v121
	s_delay_alu instid0(VALU_DEP_3) | instskip(NEXT) | instid1(VALU_DEP_2)
	v_cmp_lt_u32_e32 vcc_lo, 24, v113
	v_pk_add_f32 v[108:109], v[108:109], v[114:115]
	s_or_b32 s3, vcc_lo, s3
	s_delay_alu instid0(SALU_CYCLE_1)
	s_and_not1_b32 exec_lo, exec_lo, s3
	s_cbranch_execnz .LBB51_767
; %bb.768:
	s_or_b32 exec_lo, exec_lo, s3
.LBB51_769:
	s_delay_alu instid0(SALU_CYCLE_1) | instskip(SKIP_4) | instid1(VALU_DEP_1)
	s_or_b32 exec_lo, exec_lo, s2
	v_mov_b32_e32 v111, 0
	ds_load_b64 v[112:113], v111 offset:208
	s_wait_dscnt 0x0
	v_pk_mul_f32 v[114:115], v[108:109], v[112:113] op_sel:[1,1] op_sel_hi:[0,1]
	v_pk_fma_f32 v[116:117], v[108:109], v[112:113], v[114:115] op_sel_hi:[1,0,1]
	v_pk_fma_f32 v[108:109], v[108:109], v[112:113], v[114:115] neg_lo:[0,0,1] neg_hi:[0,0,1]
	s_delay_alu instid0(VALU_DEP_2)
	v_mov_b32_e32 v109, v117
	scratch_store_b64 off, v[108:109], off offset:208
.LBB51_770:
	s_wait_xcnt 0x0
	s_or_b32 exec_lo, exec_lo, s0
	scratch_load_b64 v[108:109], off, off offset:216
	s_mov_b32 s0, exec_lo
	s_wait_loadcnt 0x0
	ds_store_b64 v1, v[108:109]
	s_wait_storecnt_dscnt 0x0
	s_barrier_signal -1
	s_barrier_wait -1
	s_wait_xcnt 0x0
	v_cmpx_gt_u32_e32 27, v0
	s_cbranch_execz .LBB51_780
; %bb.771:
	v_cmp_ne_u32_e32 vcc_lo, 1, v110
	s_cbranch_vccnz .LBB51_773
; %bb.772:
	scratch_load_b64 v[108:109], v55, off
	ds_load_b64 v[112:113], v1
	s_wait_loadcnt_dscnt 0x0
	v_pk_mul_f32 v[114:115], v[112:113], v[108:109] op_sel:[1,1] op_sel_hi:[0,1]
	s_delay_alu instid0(VALU_DEP_1) | instskip(SKIP_1) | instid1(VALU_DEP_2)
	v_pk_fma_f32 v[116:117], v[112:113], v[108:109], v[114:115] op_sel_hi:[1,0,1]
	v_pk_fma_f32 v[108:109], v[112:113], v[108:109], v[114:115] neg_lo:[0,0,1] neg_hi:[0,0,1]
	v_mov_b32_e32 v109, v117
	s_cbranch_execz .LBB51_774
	s_branch .LBB51_775
.LBB51_773:
                                        ; implicit-def: $vgpr108_vgpr109
.LBB51_774:
	ds_load_b64 v[108:109], v1
.LBB51_775:
	s_mov_b32 s2, exec_lo
	v_cmpx_ne_u32_e32 26, v0
	s_cbranch_execz .LBB51_779
; %bb.776:
	v_add_nc_u32_e32 v111, 0x1a8, v54
	v_add3_u32 v112, 0, v54, 8
	v_mov_b32_e32 v113, v0
	s_mov_b32 s3, 0
.LBB51_777:                             ; =>This Inner Loop Header: Depth=1
	scratch_load_b64 v[114:115], v112, off
	ds_load_b64 v[116:117], v111
	s_wait_xcnt 0x0
	v_dual_add_nc_u32 v111, 8, v111 :: v_dual_add_nc_u32 v112, 8, v112
	s_wait_loadcnt_dscnt 0x0
	v_pk_mul_f32 v[118:119], v[116:117], v[114:115] op_sel:[1,1] op_sel_hi:[0,1]
	s_delay_alu instid0(VALU_DEP_1) | instskip(SKIP_2) | instid1(VALU_DEP_3)
	v_pk_fma_f32 v[120:121], v[116:117], v[114:115], v[118:119] op_sel_hi:[1,0,1]
	v_add_nc_u32_e32 v113, 1, v113
	v_pk_fma_f32 v[114:115], v[116:117], v[114:115], v[118:119] neg_lo:[0,0,1] neg_hi:[0,0,1]
	v_mov_b32_e32 v115, v121
	s_delay_alu instid0(VALU_DEP_3) | instskip(NEXT) | instid1(VALU_DEP_2)
	v_cmp_lt_u32_e32 vcc_lo, 25, v113
	v_pk_add_f32 v[108:109], v[108:109], v[114:115]
	s_or_b32 s3, vcc_lo, s3
	s_delay_alu instid0(SALU_CYCLE_1)
	s_and_not1_b32 exec_lo, exec_lo, s3
	s_cbranch_execnz .LBB51_777
; %bb.778:
	s_or_b32 exec_lo, exec_lo, s3
.LBB51_779:
	s_delay_alu instid0(SALU_CYCLE_1) | instskip(SKIP_4) | instid1(VALU_DEP_1)
	s_or_b32 exec_lo, exec_lo, s2
	v_mov_b32_e32 v111, 0
	ds_load_b64 v[112:113], v111 offset:216
	s_wait_dscnt 0x0
	v_pk_mul_f32 v[114:115], v[108:109], v[112:113] op_sel:[1,1] op_sel_hi:[0,1]
	v_pk_fma_f32 v[116:117], v[108:109], v[112:113], v[114:115] op_sel_hi:[1,0,1]
	v_pk_fma_f32 v[108:109], v[108:109], v[112:113], v[114:115] neg_lo:[0,0,1] neg_hi:[0,0,1]
	s_delay_alu instid0(VALU_DEP_2)
	v_mov_b32_e32 v109, v117
	scratch_store_b64 off, v[108:109], off offset:216
.LBB51_780:
	s_wait_xcnt 0x0
	s_or_b32 exec_lo, exec_lo, s0
	scratch_load_b64 v[108:109], off, off offset:224
	s_mov_b32 s0, exec_lo
	s_wait_loadcnt 0x0
	ds_store_b64 v1, v[108:109]
	s_wait_storecnt_dscnt 0x0
	s_barrier_signal -1
	s_barrier_wait -1
	s_wait_xcnt 0x0
	v_cmpx_gt_u32_e32 28, v0
	s_cbranch_execz .LBB51_790
; %bb.781:
	v_cmp_ne_u32_e32 vcc_lo, 1, v110
	s_cbranch_vccnz .LBB51_783
; %bb.782:
	scratch_load_b64 v[108:109], v55, off
	ds_load_b64 v[112:113], v1
	s_wait_loadcnt_dscnt 0x0
	v_pk_mul_f32 v[114:115], v[112:113], v[108:109] op_sel:[1,1] op_sel_hi:[0,1]
	s_delay_alu instid0(VALU_DEP_1) | instskip(SKIP_1) | instid1(VALU_DEP_2)
	v_pk_fma_f32 v[116:117], v[112:113], v[108:109], v[114:115] op_sel_hi:[1,0,1]
	v_pk_fma_f32 v[108:109], v[112:113], v[108:109], v[114:115] neg_lo:[0,0,1] neg_hi:[0,0,1]
	v_mov_b32_e32 v109, v117
	s_cbranch_execz .LBB51_784
	s_branch .LBB51_785
.LBB51_783:
                                        ; implicit-def: $vgpr108_vgpr109
.LBB51_784:
	ds_load_b64 v[108:109], v1
.LBB51_785:
	s_mov_b32 s2, exec_lo
	v_cmpx_ne_u32_e32 27, v0
	s_cbranch_execz .LBB51_789
; %bb.786:
	v_add_nc_u32_e32 v111, 0x1a8, v54
	v_add3_u32 v112, 0, v54, 8
	v_mov_b32_e32 v113, v0
	s_mov_b32 s3, 0
.LBB51_787:                             ; =>This Inner Loop Header: Depth=1
	scratch_load_b64 v[114:115], v112, off
	ds_load_b64 v[116:117], v111
	s_wait_xcnt 0x0
	v_dual_add_nc_u32 v111, 8, v111 :: v_dual_add_nc_u32 v112, 8, v112
	s_wait_loadcnt_dscnt 0x0
	v_pk_mul_f32 v[118:119], v[116:117], v[114:115] op_sel:[1,1] op_sel_hi:[0,1]
	s_delay_alu instid0(VALU_DEP_1) | instskip(SKIP_2) | instid1(VALU_DEP_3)
	v_pk_fma_f32 v[120:121], v[116:117], v[114:115], v[118:119] op_sel_hi:[1,0,1]
	v_add_nc_u32_e32 v113, 1, v113
	v_pk_fma_f32 v[114:115], v[116:117], v[114:115], v[118:119] neg_lo:[0,0,1] neg_hi:[0,0,1]
	v_mov_b32_e32 v115, v121
	s_delay_alu instid0(VALU_DEP_3) | instskip(NEXT) | instid1(VALU_DEP_2)
	v_cmp_lt_u32_e32 vcc_lo, 26, v113
	v_pk_add_f32 v[108:109], v[108:109], v[114:115]
	s_or_b32 s3, vcc_lo, s3
	s_delay_alu instid0(SALU_CYCLE_1)
	s_and_not1_b32 exec_lo, exec_lo, s3
	s_cbranch_execnz .LBB51_787
; %bb.788:
	s_or_b32 exec_lo, exec_lo, s3
.LBB51_789:
	s_delay_alu instid0(SALU_CYCLE_1) | instskip(SKIP_4) | instid1(VALU_DEP_1)
	s_or_b32 exec_lo, exec_lo, s2
	v_mov_b32_e32 v111, 0
	ds_load_b64 v[112:113], v111 offset:224
	s_wait_dscnt 0x0
	v_pk_mul_f32 v[114:115], v[108:109], v[112:113] op_sel:[1,1] op_sel_hi:[0,1]
	v_pk_fma_f32 v[116:117], v[108:109], v[112:113], v[114:115] op_sel_hi:[1,0,1]
	v_pk_fma_f32 v[108:109], v[108:109], v[112:113], v[114:115] neg_lo:[0,0,1] neg_hi:[0,0,1]
	s_delay_alu instid0(VALU_DEP_2)
	v_mov_b32_e32 v109, v117
	scratch_store_b64 off, v[108:109], off offset:224
.LBB51_790:
	s_wait_xcnt 0x0
	s_or_b32 exec_lo, exec_lo, s0
	scratch_load_b64 v[108:109], off, off offset:232
	s_mov_b32 s0, exec_lo
	s_wait_loadcnt 0x0
	ds_store_b64 v1, v[108:109]
	s_wait_storecnt_dscnt 0x0
	s_barrier_signal -1
	s_barrier_wait -1
	s_wait_xcnt 0x0
	v_cmpx_gt_u32_e32 29, v0
	s_cbranch_execz .LBB51_800
; %bb.791:
	v_cmp_ne_u32_e32 vcc_lo, 1, v110
	s_cbranch_vccnz .LBB51_793
; %bb.792:
	scratch_load_b64 v[108:109], v55, off
	ds_load_b64 v[112:113], v1
	s_wait_loadcnt_dscnt 0x0
	v_pk_mul_f32 v[114:115], v[112:113], v[108:109] op_sel:[1,1] op_sel_hi:[0,1]
	s_delay_alu instid0(VALU_DEP_1) | instskip(SKIP_1) | instid1(VALU_DEP_2)
	v_pk_fma_f32 v[116:117], v[112:113], v[108:109], v[114:115] op_sel_hi:[1,0,1]
	v_pk_fma_f32 v[108:109], v[112:113], v[108:109], v[114:115] neg_lo:[0,0,1] neg_hi:[0,0,1]
	v_mov_b32_e32 v109, v117
	s_cbranch_execz .LBB51_794
	s_branch .LBB51_795
.LBB51_793:
                                        ; implicit-def: $vgpr108_vgpr109
.LBB51_794:
	ds_load_b64 v[108:109], v1
.LBB51_795:
	s_mov_b32 s2, exec_lo
	v_cmpx_ne_u32_e32 28, v0
	s_cbranch_execz .LBB51_799
; %bb.796:
	v_add_nc_u32_e32 v111, 0x1a8, v54
	v_add3_u32 v112, 0, v54, 8
	v_mov_b32_e32 v113, v0
	s_mov_b32 s3, 0
.LBB51_797:                             ; =>This Inner Loop Header: Depth=1
	scratch_load_b64 v[114:115], v112, off
	ds_load_b64 v[116:117], v111
	s_wait_xcnt 0x0
	v_dual_add_nc_u32 v111, 8, v111 :: v_dual_add_nc_u32 v112, 8, v112
	s_wait_loadcnt_dscnt 0x0
	v_pk_mul_f32 v[118:119], v[116:117], v[114:115] op_sel:[1,1] op_sel_hi:[0,1]
	s_delay_alu instid0(VALU_DEP_1) | instskip(SKIP_2) | instid1(VALU_DEP_3)
	v_pk_fma_f32 v[120:121], v[116:117], v[114:115], v[118:119] op_sel_hi:[1,0,1]
	v_add_nc_u32_e32 v113, 1, v113
	v_pk_fma_f32 v[114:115], v[116:117], v[114:115], v[118:119] neg_lo:[0,0,1] neg_hi:[0,0,1]
	v_mov_b32_e32 v115, v121
	s_delay_alu instid0(VALU_DEP_3) | instskip(NEXT) | instid1(VALU_DEP_2)
	v_cmp_lt_u32_e32 vcc_lo, 27, v113
	v_pk_add_f32 v[108:109], v[108:109], v[114:115]
	s_or_b32 s3, vcc_lo, s3
	s_delay_alu instid0(SALU_CYCLE_1)
	s_and_not1_b32 exec_lo, exec_lo, s3
	s_cbranch_execnz .LBB51_797
; %bb.798:
	s_or_b32 exec_lo, exec_lo, s3
.LBB51_799:
	s_delay_alu instid0(SALU_CYCLE_1) | instskip(SKIP_4) | instid1(VALU_DEP_1)
	s_or_b32 exec_lo, exec_lo, s2
	v_mov_b32_e32 v111, 0
	ds_load_b64 v[112:113], v111 offset:232
	s_wait_dscnt 0x0
	v_pk_mul_f32 v[114:115], v[108:109], v[112:113] op_sel:[1,1] op_sel_hi:[0,1]
	v_pk_fma_f32 v[116:117], v[108:109], v[112:113], v[114:115] op_sel_hi:[1,0,1]
	v_pk_fma_f32 v[108:109], v[108:109], v[112:113], v[114:115] neg_lo:[0,0,1] neg_hi:[0,0,1]
	s_delay_alu instid0(VALU_DEP_2)
	v_mov_b32_e32 v109, v117
	scratch_store_b64 off, v[108:109], off offset:232
.LBB51_800:
	s_wait_xcnt 0x0
	s_or_b32 exec_lo, exec_lo, s0
	scratch_load_b64 v[108:109], off, off offset:240
	s_mov_b32 s0, exec_lo
	s_wait_loadcnt 0x0
	ds_store_b64 v1, v[108:109]
	s_wait_storecnt_dscnt 0x0
	s_barrier_signal -1
	s_barrier_wait -1
	s_wait_xcnt 0x0
	v_cmpx_gt_u32_e32 30, v0
	s_cbranch_execz .LBB51_810
; %bb.801:
	v_cmp_ne_u32_e32 vcc_lo, 1, v110
	s_cbranch_vccnz .LBB51_803
; %bb.802:
	scratch_load_b64 v[108:109], v55, off
	ds_load_b64 v[112:113], v1
	s_wait_loadcnt_dscnt 0x0
	v_pk_mul_f32 v[114:115], v[112:113], v[108:109] op_sel:[1,1] op_sel_hi:[0,1]
	s_delay_alu instid0(VALU_DEP_1) | instskip(SKIP_1) | instid1(VALU_DEP_2)
	v_pk_fma_f32 v[116:117], v[112:113], v[108:109], v[114:115] op_sel_hi:[1,0,1]
	v_pk_fma_f32 v[108:109], v[112:113], v[108:109], v[114:115] neg_lo:[0,0,1] neg_hi:[0,0,1]
	v_mov_b32_e32 v109, v117
	s_cbranch_execz .LBB51_804
	s_branch .LBB51_805
.LBB51_803:
                                        ; implicit-def: $vgpr108_vgpr109
.LBB51_804:
	ds_load_b64 v[108:109], v1
.LBB51_805:
	s_mov_b32 s2, exec_lo
	v_cmpx_ne_u32_e32 29, v0
	s_cbranch_execz .LBB51_809
; %bb.806:
	v_add_nc_u32_e32 v111, 0x1a8, v54
	v_add3_u32 v112, 0, v54, 8
	v_mov_b32_e32 v113, v0
	s_mov_b32 s3, 0
.LBB51_807:                             ; =>This Inner Loop Header: Depth=1
	scratch_load_b64 v[114:115], v112, off
	ds_load_b64 v[116:117], v111
	s_wait_xcnt 0x0
	v_dual_add_nc_u32 v111, 8, v111 :: v_dual_add_nc_u32 v112, 8, v112
	s_wait_loadcnt_dscnt 0x0
	v_pk_mul_f32 v[118:119], v[116:117], v[114:115] op_sel:[1,1] op_sel_hi:[0,1]
	s_delay_alu instid0(VALU_DEP_1) | instskip(SKIP_2) | instid1(VALU_DEP_3)
	v_pk_fma_f32 v[120:121], v[116:117], v[114:115], v[118:119] op_sel_hi:[1,0,1]
	v_add_nc_u32_e32 v113, 1, v113
	v_pk_fma_f32 v[114:115], v[116:117], v[114:115], v[118:119] neg_lo:[0,0,1] neg_hi:[0,0,1]
	v_mov_b32_e32 v115, v121
	s_delay_alu instid0(VALU_DEP_3) | instskip(NEXT) | instid1(VALU_DEP_2)
	v_cmp_lt_u32_e32 vcc_lo, 28, v113
	v_pk_add_f32 v[108:109], v[108:109], v[114:115]
	s_or_b32 s3, vcc_lo, s3
	s_delay_alu instid0(SALU_CYCLE_1)
	s_and_not1_b32 exec_lo, exec_lo, s3
	s_cbranch_execnz .LBB51_807
; %bb.808:
	s_or_b32 exec_lo, exec_lo, s3
.LBB51_809:
	s_delay_alu instid0(SALU_CYCLE_1) | instskip(SKIP_4) | instid1(VALU_DEP_1)
	s_or_b32 exec_lo, exec_lo, s2
	v_mov_b32_e32 v111, 0
	ds_load_b64 v[112:113], v111 offset:240
	s_wait_dscnt 0x0
	v_pk_mul_f32 v[114:115], v[108:109], v[112:113] op_sel:[1,1] op_sel_hi:[0,1]
	v_pk_fma_f32 v[116:117], v[108:109], v[112:113], v[114:115] op_sel_hi:[1,0,1]
	v_pk_fma_f32 v[108:109], v[108:109], v[112:113], v[114:115] neg_lo:[0,0,1] neg_hi:[0,0,1]
	s_delay_alu instid0(VALU_DEP_2)
	v_mov_b32_e32 v109, v117
	scratch_store_b64 off, v[108:109], off offset:240
.LBB51_810:
	s_wait_xcnt 0x0
	s_or_b32 exec_lo, exec_lo, s0
	scratch_load_b64 v[108:109], off, off offset:248
	s_mov_b32 s0, exec_lo
	s_wait_loadcnt 0x0
	ds_store_b64 v1, v[108:109]
	s_wait_storecnt_dscnt 0x0
	s_barrier_signal -1
	s_barrier_wait -1
	s_wait_xcnt 0x0
	v_cmpx_gt_u32_e32 31, v0
	s_cbranch_execz .LBB51_820
; %bb.811:
	v_cmp_ne_u32_e32 vcc_lo, 1, v110
	s_cbranch_vccnz .LBB51_813
; %bb.812:
	scratch_load_b64 v[108:109], v55, off
	ds_load_b64 v[112:113], v1
	s_wait_loadcnt_dscnt 0x0
	v_pk_mul_f32 v[114:115], v[112:113], v[108:109] op_sel:[1,1] op_sel_hi:[0,1]
	s_delay_alu instid0(VALU_DEP_1) | instskip(SKIP_1) | instid1(VALU_DEP_2)
	v_pk_fma_f32 v[116:117], v[112:113], v[108:109], v[114:115] op_sel_hi:[1,0,1]
	v_pk_fma_f32 v[108:109], v[112:113], v[108:109], v[114:115] neg_lo:[0,0,1] neg_hi:[0,0,1]
	v_mov_b32_e32 v109, v117
	s_cbranch_execz .LBB51_814
	s_branch .LBB51_815
.LBB51_813:
                                        ; implicit-def: $vgpr108_vgpr109
.LBB51_814:
	ds_load_b64 v[108:109], v1
.LBB51_815:
	s_mov_b32 s2, exec_lo
	v_cmpx_ne_u32_e32 30, v0
	s_cbranch_execz .LBB51_819
; %bb.816:
	v_add_nc_u32_e32 v111, 0x1a8, v54
	v_add3_u32 v112, 0, v54, 8
	v_mov_b32_e32 v113, v0
	s_mov_b32 s3, 0
.LBB51_817:                             ; =>This Inner Loop Header: Depth=1
	scratch_load_b64 v[114:115], v112, off
	ds_load_b64 v[116:117], v111
	s_wait_xcnt 0x0
	v_dual_add_nc_u32 v111, 8, v111 :: v_dual_add_nc_u32 v112, 8, v112
	s_wait_loadcnt_dscnt 0x0
	v_pk_mul_f32 v[118:119], v[116:117], v[114:115] op_sel:[1,1] op_sel_hi:[0,1]
	s_delay_alu instid0(VALU_DEP_1) | instskip(SKIP_2) | instid1(VALU_DEP_3)
	v_pk_fma_f32 v[120:121], v[116:117], v[114:115], v[118:119] op_sel_hi:[1,0,1]
	v_add_nc_u32_e32 v113, 1, v113
	v_pk_fma_f32 v[114:115], v[116:117], v[114:115], v[118:119] neg_lo:[0,0,1] neg_hi:[0,0,1]
	v_mov_b32_e32 v115, v121
	s_delay_alu instid0(VALU_DEP_3) | instskip(NEXT) | instid1(VALU_DEP_2)
	v_cmp_lt_u32_e32 vcc_lo, 29, v113
	v_pk_add_f32 v[108:109], v[108:109], v[114:115]
	s_or_b32 s3, vcc_lo, s3
	s_delay_alu instid0(SALU_CYCLE_1)
	s_and_not1_b32 exec_lo, exec_lo, s3
	s_cbranch_execnz .LBB51_817
; %bb.818:
	s_or_b32 exec_lo, exec_lo, s3
.LBB51_819:
	s_delay_alu instid0(SALU_CYCLE_1) | instskip(SKIP_4) | instid1(VALU_DEP_1)
	s_or_b32 exec_lo, exec_lo, s2
	v_mov_b32_e32 v111, 0
	ds_load_b64 v[112:113], v111 offset:248
	s_wait_dscnt 0x0
	v_pk_mul_f32 v[114:115], v[108:109], v[112:113] op_sel:[1,1] op_sel_hi:[0,1]
	v_pk_fma_f32 v[116:117], v[108:109], v[112:113], v[114:115] op_sel_hi:[1,0,1]
	v_pk_fma_f32 v[108:109], v[108:109], v[112:113], v[114:115] neg_lo:[0,0,1] neg_hi:[0,0,1]
	s_delay_alu instid0(VALU_DEP_2)
	v_mov_b32_e32 v109, v117
	scratch_store_b64 off, v[108:109], off offset:248
.LBB51_820:
	s_wait_xcnt 0x0
	s_or_b32 exec_lo, exec_lo, s0
	scratch_load_b64 v[108:109], off, off offset:256
	s_mov_b32 s0, exec_lo
	s_wait_loadcnt 0x0
	ds_store_b64 v1, v[108:109]
	s_wait_storecnt_dscnt 0x0
	s_barrier_signal -1
	s_barrier_wait -1
	s_wait_xcnt 0x0
	v_cmpx_gt_u32_e32 32, v0
	s_cbranch_execz .LBB51_830
; %bb.821:
	v_cmp_ne_u32_e32 vcc_lo, 1, v110
	s_cbranch_vccnz .LBB51_823
; %bb.822:
	scratch_load_b64 v[108:109], v55, off
	ds_load_b64 v[112:113], v1
	s_wait_loadcnt_dscnt 0x0
	v_pk_mul_f32 v[114:115], v[112:113], v[108:109] op_sel:[1,1] op_sel_hi:[0,1]
	s_delay_alu instid0(VALU_DEP_1) | instskip(SKIP_1) | instid1(VALU_DEP_2)
	v_pk_fma_f32 v[116:117], v[112:113], v[108:109], v[114:115] op_sel_hi:[1,0,1]
	v_pk_fma_f32 v[108:109], v[112:113], v[108:109], v[114:115] neg_lo:[0,0,1] neg_hi:[0,0,1]
	v_mov_b32_e32 v109, v117
	s_cbranch_execz .LBB51_824
	s_branch .LBB51_825
.LBB51_823:
                                        ; implicit-def: $vgpr108_vgpr109
.LBB51_824:
	ds_load_b64 v[108:109], v1
.LBB51_825:
	s_mov_b32 s2, exec_lo
	v_cmpx_ne_u32_e32 31, v0
	s_cbranch_execz .LBB51_829
; %bb.826:
	v_add_nc_u32_e32 v111, 0x1a8, v54
	v_add3_u32 v112, 0, v54, 8
	v_mov_b32_e32 v113, v0
	s_mov_b32 s3, 0
.LBB51_827:                             ; =>This Inner Loop Header: Depth=1
	scratch_load_b64 v[114:115], v112, off
	ds_load_b64 v[116:117], v111
	s_wait_xcnt 0x0
	v_dual_add_nc_u32 v111, 8, v111 :: v_dual_add_nc_u32 v112, 8, v112
	s_wait_loadcnt_dscnt 0x0
	v_pk_mul_f32 v[118:119], v[116:117], v[114:115] op_sel:[1,1] op_sel_hi:[0,1]
	s_delay_alu instid0(VALU_DEP_1) | instskip(SKIP_2) | instid1(VALU_DEP_3)
	v_pk_fma_f32 v[120:121], v[116:117], v[114:115], v[118:119] op_sel_hi:[1,0,1]
	v_add_nc_u32_e32 v113, 1, v113
	v_pk_fma_f32 v[114:115], v[116:117], v[114:115], v[118:119] neg_lo:[0,0,1] neg_hi:[0,0,1]
	v_mov_b32_e32 v115, v121
	s_delay_alu instid0(VALU_DEP_3) | instskip(NEXT) | instid1(VALU_DEP_2)
	v_cmp_lt_u32_e32 vcc_lo, 30, v113
	v_pk_add_f32 v[108:109], v[108:109], v[114:115]
	s_or_b32 s3, vcc_lo, s3
	s_delay_alu instid0(SALU_CYCLE_1)
	s_and_not1_b32 exec_lo, exec_lo, s3
	s_cbranch_execnz .LBB51_827
; %bb.828:
	s_or_b32 exec_lo, exec_lo, s3
.LBB51_829:
	s_delay_alu instid0(SALU_CYCLE_1) | instskip(SKIP_4) | instid1(VALU_DEP_1)
	s_or_b32 exec_lo, exec_lo, s2
	v_mov_b32_e32 v111, 0
	ds_load_b64 v[112:113], v111 offset:256
	s_wait_dscnt 0x0
	v_pk_mul_f32 v[114:115], v[108:109], v[112:113] op_sel:[1,1] op_sel_hi:[0,1]
	v_pk_fma_f32 v[116:117], v[108:109], v[112:113], v[114:115] op_sel_hi:[1,0,1]
	v_pk_fma_f32 v[108:109], v[108:109], v[112:113], v[114:115] neg_lo:[0,0,1] neg_hi:[0,0,1]
	s_delay_alu instid0(VALU_DEP_2)
	v_mov_b32_e32 v109, v117
	scratch_store_b64 off, v[108:109], off offset:256
.LBB51_830:
	s_wait_xcnt 0x0
	s_or_b32 exec_lo, exec_lo, s0
	scratch_load_b64 v[108:109], off, off offset:264
	s_mov_b32 s0, exec_lo
	s_wait_loadcnt 0x0
	ds_store_b64 v1, v[108:109]
	s_wait_storecnt_dscnt 0x0
	s_barrier_signal -1
	s_barrier_wait -1
	s_wait_xcnt 0x0
	v_cmpx_gt_u32_e32 33, v0
	s_cbranch_execz .LBB51_840
; %bb.831:
	v_cmp_ne_u32_e32 vcc_lo, 1, v110
	s_cbranch_vccnz .LBB51_833
; %bb.832:
	scratch_load_b64 v[108:109], v55, off
	ds_load_b64 v[112:113], v1
	s_wait_loadcnt_dscnt 0x0
	v_pk_mul_f32 v[114:115], v[112:113], v[108:109] op_sel:[1,1] op_sel_hi:[0,1]
	s_delay_alu instid0(VALU_DEP_1) | instskip(SKIP_1) | instid1(VALU_DEP_2)
	v_pk_fma_f32 v[116:117], v[112:113], v[108:109], v[114:115] op_sel_hi:[1,0,1]
	v_pk_fma_f32 v[108:109], v[112:113], v[108:109], v[114:115] neg_lo:[0,0,1] neg_hi:[0,0,1]
	v_mov_b32_e32 v109, v117
	s_cbranch_execz .LBB51_834
	s_branch .LBB51_835
.LBB51_833:
                                        ; implicit-def: $vgpr108_vgpr109
.LBB51_834:
	ds_load_b64 v[108:109], v1
.LBB51_835:
	s_mov_b32 s2, exec_lo
	v_cmpx_ne_u32_e32 32, v0
	s_cbranch_execz .LBB51_839
; %bb.836:
	v_add_nc_u32_e32 v111, 0x1a8, v54
	v_add3_u32 v112, 0, v54, 8
	v_mov_b32_e32 v113, v0
	s_mov_b32 s3, 0
.LBB51_837:                             ; =>This Inner Loop Header: Depth=1
	scratch_load_b64 v[114:115], v112, off
	ds_load_b64 v[116:117], v111
	s_wait_xcnt 0x0
	v_dual_add_nc_u32 v111, 8, v111 :: v_dual_add_nc_u32 v112, 8, v112
	s_wait_loadcnt_dscnt 0x0
	v_pk_mul_f32 v[118:119], v[116:117], v[114:115] op_sel:[1,1] op_sel_hi:[0,1]
	s_delay_alu instid0(VALU_DEP_1) | instskip(SKIP_2) | instid1(VALU_DEP_3)
	v_pk_fma_f32 v[120:121], v[116:117], v[114:115], v[118:119] op_sel_hi:[1,0,1]
	v_add_nc_u32_e32 v113, 1, v113
	v_pk_fma_f32 v[114:115], v[116:117], v[114:115], v[118:119] neg_lo:[0,0,1] neg_hi:[0,0,1]
	v_mov_b32_e32 v115, v121
	s_delay_alu instid0(VALU_DEP_3) | instskip(NEXT) | instid1(VALU_DEP_2)
	v_cmp_lt_u32_e32 vcc_lo, 31, v113
	v_pk_add_f32 v[108:109], v[108:109], v[114:115]
	s_or_b32 s3, vcc_lo, s3
	s_delay_alu instid0(SALU_CYCLE_1)
	s_and_not1_b32 exec_lo, exec_lo, s3
	s_cbranch_execnz .LBB51_837
; %bb.838:
	s_or_b32 exec_lo, exec_lo, s3
.LBB51_839:
	s_delay_alu instid0(SALU_CYCLE_1) | instskip(SKIP_4) | instid1(VALU_DEP_1)
	s_or_b32 exec_lo, exec_lo, s2
	v_mov_b32_e32 v111, 0
	ds_load_b64 v[112:113], v111 offset:264
	s_wait_dscnt 0x0
	v_pk_mul_f32 v[114:115], v[108:109], v[112:113] op_sel:[1,1] op_sel_hi:[0,1]
	v_pk_fma_f32 v[116:117], v[108:109], v[112:113], v[114:115] op_sel_hi:[1,0,1]
	v_pk_fma_f32 v[108:109], v[108:109], v[112:113], v[114:115] neg_lo:[0,0,1] neg_hi:[0,0,1]
	s_delay_alu instid0(VALU_DEP_2)
	v_mov_b32_e32 v109, v117
	scratch_store_b64 off, v[108:109], off offset:264
.LBB51_840:
	s_wait_xcnt 0x0
	s_or_b32 exec_lo, exec_lo, s0
	scratch_load_b64 v[108:109], off, off offset:272
	s_mov_b32 s0, exec_lo
	s_wait_loadcnt 0x0
	ds_store_b64 v1, v[108:109]
	s_wait_storecnt_dscnt 0x0
	s_barrier_signal -1
	s_barrier_wait -1
	s_wait_xcnt 0x0
	v_cmpx_gt_u32_e32 34, v0
	s_cbranch_execz .LBB51_850
; %bb.841:
	v_cmp_ne_u32_e32 vcc_lo, 1, v110
	s_cbranch_vccnz .LBB51_843
; %bb.842:
	scratch_load_b64 v[108:109], v55, off
	ds_load_b64 v[112:113], v1
	s_wait_loadcnt_dscnt 0x0
	v_pk_mul_f32 v[114:115], v[112:113], v[108:109] op_sel:[1,1] op_sel_hi:[0,1]
	s_delay_alu instid0(VALU_DEP_1) | instskip(SKIP_1) | instid1(VALU_DEP_2)
	v_pk_fma_f32 v[116:117], v[112:113], v[108:109], v[114:115] op_sel_hi:[1,0,1]
	v_pk_fma_f32 v[108:109], v[112:113], v[108:109], v[114:115] neg_lo:[0,0,1] neg_hi:[0,0,1]
	v_mov_b32_e32 v109, v117
	s_cbranch_execz .LBB51_844
	s_branch .LBB51_845
.LBB51_843:
                                        ; implicit-def: $vgpr108_vgpr109
.LBB51_844:
	ds_load_b64 v[108:109], v1
.LBB51_845:
	s_mov_b32 s2, exec_lo
	v_cmpx_ne_u32_e32 33, v0
	s_cbranch_execz .LBB51_849
; %bb.846:
	v_add_nc_u32_e32 v111, 0x1a8, v54
	v_add3_u32 v112, 0, v54, 8
	v_mov_b32_e32 v113, v0
	s_mov_b32 s3, 0
.LBB51_847:                             ; =>This Inner Loop Header: Depth=1
	scratch_load_b64 v[114:115], v112, off
	ds_load_b64 v[116:117], v111
	s_wait_xcnt 0x0
	v_dual_add_nc_u32 v111, 8, v111 :: v_dual_add_nc_u32 v112, 8, v112
	s_wait_loadcnt_dscnt 0x0
	v_pk_mul_f32 v[118:119], v[116:117], v[114:115] op_sel:[1,1] op_sel_hi:[0,1]
	s_delay_alu instid0(VALU_DEP_1) | instskip(SKIP_2) | instid1(VALU_DEP_3)
	v_pk_fma_f32 v[120:121], v[116:117], v[114:115], v[118:119] op_sel_hi:[1,0,1]
	v_add_nc_u32_e32 v113, 1, v113
	v_pk_fma_f32 v[114:115], v[116:117], v[114:115], v[118:119] neg_lo:[0,0,1] neg_hi:[0,0,1]
	v_mov_b32_e32 v115, v121
	s_delay_alu instid0(VALU_DEP_3) | instskip(NEXT) | instid1(VALU_DEP_2)
	v_cmp_lt_u32_e32 vcc_lo, 32, v113
	v_pk_add_f32 v[108:109], v[108:109], v[114:115]
	s_or_b32 s3, vcc_lo, s3
	s_delay_alu instid0(SALU_CYCLE_1)
	s_and_not1_b32 exec_lo, exec_lo, s3
	s_cbranch_execnz .LBB51_847
; %bb.848:
	s_or_b32 exec_lo, exec_lo, s3
.LBB51_849:
	s_delay_alu instid0(SALU_CYCLE_1) | instskip(SKIP_4) | instid1(VALU_DEP_1)
	s_or_b32 exec_lo, exec_lo, s2
	v_mov_b32_e32 v111, 0
	ds_load_b64 v[112:113], v111 offset:272
	s_wait_dscnt 0x0
	v_pk_mul_f32 v[114:115], v[108:109], v[112:113] op_sel:[1,1] op_sel_hi:[0,1]
	v_pk_fma_f32 v[116:117], v[108:109], v[112:113], v[114:115] op_sel_hi:[1,0,1]
	v_pk_fma_f32 v[108:109], v[108:109], v[112:113], v[114:115] neg_lo:[0,0,1] neg_hi:[0,0,1]
	s_delay_alu instid0(VALU_DEP_2)
	v_mov_b32_e32 v109, v117
	scratch_store_b64 off, v[108:109], off offset:272
.LBB51_850:
	s_wait_xcnt 0x0
	s_or_b32 exec_lo, exec_lo, s0
	scratch_load_b64 v[108:109], off, off offset:280
	s_mov_b32 s0, exec_lo
	s_wait_loadcnt 0x0
	ds_store_b64 v1, v[108:109]
	s_wait_storecnt_dscnt 0x0
	s_barrier_signal -1
	s_barrier_wait -1
	s_wait_xcnt 0x0
	v_cmpx_gt_u32_e32 35, v0
	s_cbranch_execz .LBB51_860
; %bb.851:
	v_cmp_ne_u32_e32 vcc_lo, 1, v110
	s_cbranch_vccnz .LBB51_853
; %bb.852:
	scratch_load_b64 v[108:109], v55, off
	ds_load_b64 v[112:113], v1
	s_wait_loadcnt_dscnt 0x0
	v_pk_mul_f32 v[114:115], v[112:113], v[108:109] op_sel:[1,1] op_sel_hi:[0,1]
	s_delay_alu instid0(VALU_DEP_1) | instskip(SKIP_1) | instid1(VALU_DEP_2)
	v_pk_fma_f32 v[116:117], v[112:113], v[108:109], v[114:115] op_sel_hi:[1,0,1]
	v_pk_fma_f32 v[108:109], v[112:113], v[108:109], v[114:115] neg_lo:[0,0,1] neg_hi:[0,0,1]
	v_mov_b32_e32 v109, v117
	s_cbranch_execz .LBB51_854
	s_branch .LBB51_855
.LBB51_853:
                                        ; implicit-def: $vgpr108_vgpr109
.LBB51_854:
	ds_load_b64 v[108:109], v1
.LBB51_855:
	s_mov_b32 s2, exec_lo
	v_cmpx_ne_u32_e32 34, v0
	s_cbranch_execz .LBB51_859
; %bb.856:
	v_add_nc_u32_e32 v111, 0x1a8, v54
	v_add3_u32 v112, 0, v54, 8
	v_mov_b32_e32 v113, v0
	s_mov_b32 s3, 0
.LBB51_857:                             ; =>This Inner Loop Header: Depth=1
	scratch_load_b64 v[114:115], v112, off
	ds_load_b64 v[116:117], v111
	s_wait_xcnt 0x0
	v_dual_add_nc_u32 v111, 8, v111 :: v_dual_add_nc_u32 v112, 8, v112
	s_wait_loadcnt_dscnt 0x0
	v_pk_mul_f32 v[118:119], v[116:117], v[114:115] op_sel:[1,1] op_sel_hi:[0,1]
	s_delay_alu instid0(VALU_DEP_1) | instskip(SKIP_2) | instid1(VALU_DEP_3)
	v_pk_fma_f32 v[120:121], v[116:117], v[114:115], v[118:119] op_sel_hi:[1,0,1]
	v_add_nc_u32_e32 v113, 1, v113
	v_pk_fma_f32 v[114:115], v[116:117], v[114:115], v[118:119] neg_lo:[0,0,1] neg_hi:[0,0,1]
	v_mov_b32_e32 v115, v121
	s_delay_alu instid0(VALU_DEP_3) | instskip(NEXT) | instid1(VALU_DEP_2)
	v_cmp_lt_u32_e32 vcc_lo, 33, v113
	v_pk_add_f32 v[108:109], v[108:109], v[114:115]
	s_or_b32 s3, vcc_lo, s3
	s_delay_alu instid0(SALU_CYCLE_1)
	s_and_not1_b32 exec_lo, exec_lo, s3
	s_cbranch_execnz .LBB51_857
; %bb.858:
	s_or_b32 exec_lo, exec_lo, s3
.LBB51_859:
	s_delay_alu instid0(SALU_CYCLE_1) | instskip(SKIP_4) | instid1(VALU_DEP_1)
	s_or_b32 exec_lo, exec_lo, s2
	v_mov_b32_e32 v111, 0
	ds_load_b64 v[112:113], v111 offset:280
	s_wait_dscnt 0x0
	v_pk_mul_f32 v[114:115], v[108:109], v[112:113] op_sel:[1,1] op_sel_hi:[0,1]
	v_pk_fma_f32 v[116:117], v[108:109], v[112:113], v[114:115] op_sel_hi:[1,0,1]
	v_pk_fma_f32 v[108:109], v[108:109], v[112:113], v[114:115] neg_lo:[0,0,1] neg_hi:[0,0,1]
	s_delay_alu instid0(VALU_DEP_2)
	v_mov_b32_e32 v109, v117
	scratch_store_b64 off, v[108:109], off offset:280
.LBB51_860:
	s_wait_xcnt 0x0
	s_or_b32 exec_lo, exec_lo, s0
	scratch_load_b64 v[108:109], off, off offset:288
	s_mov_b32 s0, exec_lo
	s_wait_loadcnt 0x0
	ds_store_b64 v1, v[108:109]
	s_wait_storecnt_dscnt 0x0
	s_barrier_signal -1
	s_barrier_wait -1
	s_wait_xcnt 0x0
	v_cmpx_gt_u32_e32 36, v0
	s_cbranch_execz .LBB51_870
; %bb.861:
	v_cmp_ne_u32_e32 vcc_lo, 1, v110
	s_cbranch_vccnz .LBB51_863
; %bb.862:
	scratch_load_b64 v[108:109], v55, off
	ds_load_b64 v[112:113], v1
	s_wait_loadcnt_dscnt 0x0
	v_pk_mul_f32 v[114:115], v[112:113], v[108:109] op_sel:[1,1] op_sel_hi:[0,1]
	s_delay_alu instid0(VALU_DEP_1) | instskip(SKIP_1) | instid1(VALU_DEP_2)
	v_pk_fma_f32 v[116:117], v[112:113], v[108:109], v[114:115] op_sel_hi:[1,0,1]
	v_pk_fma_f32 v[108:109], v[112:113], v[108:109], v[114:115] neg_lo:[0,0,1] neg_hi:[0,0,1]
	v_mov_b32_e32 v109, v117
	s_cbranch_execz .LBB51_864
	s_branch .LBB51_865
.LBB51_863:
                                        ; implicit-def: $vgpr108_vgpr109
.LBB51_864:
	ds_load_b64 v[108:109], v1
.LBB51_865:
	s_mov_b32 s2, exec_lo
	v_cmpx_ne_u32_e32 35, v0
	s_cbranch_execz .LBB51_869
; %bb.866:
	v_add_nc_u32_e32 v111, 0x1a8, v54
	v_add3_u32 v112, 0, v54, 8
	v_mov_b32_e32 v113, v0
	s_mov_b32 s3, 0
.LBB51_867:                             ; =>This Inner Loop Header: Depth=1
	scratch_load_b64 v[114:115], v112, off
	ds_load_b64 v[116:117], v111
	s_wait_xcnt 0x0
	v_dual_add_nc_u32 v111, 8, v111 :: v_dual_add_nc_u32 v112, 8, v112
	s_wait_loadcnt_dscnt 0x0
	v_pk_mul_f32 v[118:119], v[116:117], v[114:115] op_sel:[1,1] op_sel_hi:[0,1]
	s_delay_alu instid0(VALU_DEP_1) | instskip(SKIP_2) | instid1(VALU_DEP_3)
	v_pk_fma_f32 v[120:121], v[116:117], v[114:115], v[118:119] op_sel_hi:[1,0,1]
	v_add_nc_u32_e32 v113, 1, v113
	v_pk_fma_f32 v[114:115], v[116:117], v[114:115], v[118:119] neg_lo:[0,0,1] neg_hi:[0,0,1]
	v_mov_b32_e32 v115, v121
	s_delay_alu instid0(VALU_DEP_3) | instskip(NEXT) | instid1(VALU_DEP_2)
	v_cmp_lt_u32_e32 vcc_lo, 34, v113
	v_pk_add_f32 v[108:109], v[108:109], v[114:115]
	s_or_b32 s3, vcc_lo, s3
	s_delay_alu instid0(SALU_CYCLE_1)
	s_and_not1_b32 exec_lo, exec_lo, s3
	s_cbranch_execnz .LBB51_867
; %bb.868:
	s_or_b32 exec_lo, exec_lo, s3
.LBB51_869:
	s_delay_alu instid0(SALU_CYCLE_1) | instskip(SKIP_4) | instid1(VALU_DEP_1)
	s_or_b32 exec_lo, exec_lo, s2
	v_mov_b32_e32 v111, 0
	ds_load_b64 v[112:113], v111 offset:288
	s_wait_dscnt 0x0
	v_pk_mul_f32 v[114:115], v[108:109], v[112:113] op_sel:[1,1] op_sel_hi:[0,1]
	v_pk_fma_f32 v[116:117], v[108:109], v[112:113], v[114:115] op_sel_hi:[1,0,1]
	v_pk_fma_f32 v[108:109], v[108:109], v[112:113], v[114:115] neg_lo:[0,0,1] neg_hi:[0,0,1]
	s_delay_alu instid0(VALU_DEP_2)
	v_mov_b32_e32 v109, v117
	scratch_store_b64 off, v[108:109], off offset:288
.LBB51_870:
	s_wait_xcnt 0x0
	s_or_b32 exec_lo, exec_lo, s0
	scratch_load_b64 v[108:109], off, off offset:296
	s_mov_b32 s0, exec_lo
	s_wait_loadcnt 0x0
	ds_store_b64 v1, v[108:109]
	s_wait_storecnt_dscnt 0x0
	s_barrier_signal -1
	s_barrier_wait -1
	s_wait_xcnt 0x0
	v_cmpx_gt_u32_e32 37, v0
	s_cbranch_execz .LBB51_880
; %bb.871:
	v_cmp_ne_u32_e32 vcc_lo, 1, v110
	s_cbranch_vccnz .LBB51_873
; %bb.872:
	scratch_load_b64 v[108:109], v55, off
	ds_load_b64 v[112:113], v1
	s_wait_loadcnt_dscnt 0x0
	v_pk_mul_f32 v[114:115], v[112:113], v[108:109] op_sel:[1,1] op_sel_hi:[0,1]
	s_delay_alu instid0(VALU_DEP_1) | instskip(SKIP_1) | instid1(VALU_DEP_2)
	v_pk_fma_f32 v[116:117], v[112:113], v[108:109], v[114:115] op_sel_hi:[1,0,1]
	v_pk_fma_f32 v[108:109], v[112:113], v[108:109], v[114:115] neg_lo:[0,0,1] neg_hi:[0,0,1]
	v_mov_b32_e32 v109, v117
	s_cbranch_execz .LBB51_874
	s_branch .LBB51_875
.LBB51_873:
                                        ; implicit-def: $vgpr108_vgpr109
.LBB51_874:
	ds_load_b64 v[108:109], v1
.LBB51_875:
	s_mov_b32 s2, exec_lo
	v_cmpx_ne_u32_e32 36, v0
	s_cbranch_execz .LBB51_879
; %bb.876:
	v_add_nc_u32_e32 v111, 0x1a8, v54
	v_add3_u32 v112, 0, v54, 8
	v_mov_b32_e32 v113, v0
	s_mov_b32 s3, 0
.LBB51_877:                             ; =>This Inner Loop Header: Depth=1
	scratch_load_b64 v[114:115], v112, off
	ds_load_b64 v[116:117], v111
	s_wait_xcnt 0x0
	v_dual_add_nc_u32 v111, 8, v111 :: v_dual_add_nc_u32 v112, 8, v112
	s_wait_loadcnt_dscnt 0x0
	v_pk_mul_f32 v[118:119], v[116:117], v[114:115] op_sel:[1,1] op_sel_hi:[0,1]
	s_delay_alu instid0(VALU_DEP_1) | instskip(SKIP_2) | instid1(VALU_DEP_3)
	v_pk_fma_f32 v[120:121], v[116:117], v[114:115], v[118:119] op_sel_hi:[1,0,1]
	v_add_nc_u32_e32 v113, 1, v113
	v_pk_fma_f32 v[114:115], v[116:117], v[114:115], v[118:119] neg_lo:[0,0,1] neg_hi:[0,0,1]
	v_mov_b32_e32 v115, v121
	s_delay_alu instid0(VALU_DEP_3) | instskip(NEXT) | instid1(VALU_DEP_2)
	v_cmp_lt_u32_e32 vcc_lo, 35, v113
	v_pk_add_f32 v[108:109], v[108:109], v[114:115]
	s_or_b32 s3, vcc_lo, s3
	s_delay_alu instid0(SALU_CYCLE_1)
	s_and_not1_b32 exec_lo, exec_lo, s3
	s_cbranch_execnz .LBB51_877
; %bb.878:
	s_or_b32 exec_lo, exec_lo, s3
.LBB51_879:
	s_delay_alu instid0(SALU_CYCLE_1) | instskip(SKIP_4) | instid1(VALU_DEP_1)
	s_or_b32 exec_lo, exec_lo, s2
	v_mov_b32_e32 v111, 0
	ds_load_b64 v[112:113], v111 offset:296
	s_wait_dscnt 0x0
	v_pk_mul_f32 v[114:115], v[108:109], v[112:113] op_sel:[1,1] op_sel_hi:[0,1]
	v_pk_fma_f32 v[116:117], v[108:109], v[112:113], v[114:115] op_sel_hi:[1,0,1]
	v_pk_fma_f32 v[108:109], v[108:109], v[112:113], v[114:115] neg_lo:[0,0,1] neg_hi:[0,0,1]
	s_delay_alu instid0(VALU_DEP_2)
	v_mov_b32_e32 v109, v117
	scratch_store_b64 off, v[108:109], off offset:296
.LBB51_880:
	s_wait_xcnt 0x0
	s_or_b32 exec_lo, exec_lo, s0
	scratch_load_b64 v[108:109], off, off offset:304
	s_mov_b32 s0, exec_lo
	s_wait_loadcnt 0x0
	ds_store_b64 v1, v[108:109]
	s_wait_storecnt_dscnt 0x0
	s_barrier_signal -1
	s_barrier_wait -1
	s_wait_xcnt 0x0
	v_cmpx_gt_u32_e32 38, v0
	s_cbranch_execz .LBB51_890
; %bb.881:
	v_cmp_ne_u32_e32 vcc_lo, 1, v110
	s_cbranch_vccnz .LBB51_883
; %bb.882:
	scratch_load_b64 v[108:109], v55, off
	ds_load_b64 v[112:113], v1
	s_wait_loadcnt_dscnt 0x0
	v_pk_mul_f32 v[114:115], v[112:113], v[108:109] op_sel:[1,1] op_sel_hi:[0,1]
	s_delay_alu instid0(VALU_DEP_1) | instskip(SKIP_1) | instid1(VALU_DEP_2)
	v_pk_fma_f32 v[116:117], v[112:113], v[108:109], v[114:115] op_sel_hi:[1,0,1]
	v_pk_fma_f32 v[108:109], v[112:113], v[108:109], v[114:115] neg_lo:[0,0,1] neg_hi:[0,0,1]
	v_mov_b32_e32 v109, v117
	s_cbranch_execz .LBB51_884
	s_branch .LBB51_885
.LBB51_883:
                                        ; implicit-def: $vgpr108_vgpr109
.LBB51_884:
	ds_load_b64 v[108:109], v1
.LBB51_885:
	s_mov_b32 s2, exec_lo
	v_cmpx_ne_u32_e32 37, v0
	s_cbranch_execz .LBB51_889
; %bb.886:
	v_add_nc_u32_e32 v111, 0x1a8, v54
	v_add3_u32 v112, 0, v54, 8
	v_mov_b32_e32 v113, v0
	s_mov_b32 s3, 0
.LBB51_887:                             ; =>This Inner Loop Header: Depth=1
	scratch_load_b64 v[114:115], v112, off
	ds_load_b64 v[116:117], v111
	s_wait_xcnt 0x0
	v_dual_add_nc_u32 v111, 8, v111 :: v_dual_add_nc_u32 v112, 8, v112
	s_wait_loadcnt_dscnt 0x0
	v_pk_mul_f32 v[118:119], v[116:117], v[114:115] op_sel:[1,1] op_sel_hi:[0,1]
	s_delay_alu instid0(VALU_DEP_1) | instskip(SKIP_2) | instid1(VALU_DEP_3)
	v_pk_fma_f32 v[120:121], v[116:117], v[114:115], v[118:119] op_sel_hi:[1,0,1]
	v_add_nc_u32_e32 v113, 1, v113
	v_pk_fma_f32 v[114:115], v[116:117], v[114:115], v[118:119] neg_lo:[0,0,1] neg_hi:[0,0,1]
	v_mov_b32_e32 v115, v121
	s_delay_alu instid0(VALU_DEP_3) | instskip(NEXT) | instid1(VALU_DEP_2)
	v_cmp_lt_u32_e32 vcc_lo, 36, v113
	v_pk_add_f32 v[108:109], v[108:109], v[114:115]
	s_or_b32 s3, vcc_lo, s3
	s_delay_alu instid0(SALU_CYCLE_1)
	s_and_not1_b32 exec_lo, exec_lo, s3
	s_cbranch_execnz .LBB51_887
; %bb.888:
	s_or_b32 exec_lo, exec_lo, s3
.LBB51_889:
	s_delay_alu instid0(SALU_CYCLE_1) | instskip(SKIP_4) | instid1(VALU_DEP_1)
	s_or_b32 exec_lo, exec_lo, s2
	v_mov_b32_e32 v111, 0
	ds_load_b64 v[112:113], v111 offset:304
	s_wait_dscnt 0x0
	v_pk_mul_f32 v[114:115], v[108:109], v[112:113] op_sel:[1,1] op_sel_hi:[0,1]
	v_pk_fma_f32 v[116:117], v[108:109], v[112:113], v[114:115] op_sel_hi:[1,0,1]
	v_pk_fma_f32 v[108:109], v[108:109], v[112:113], v[114:115] neg_lo:[0,0,1] neg_hi:[0,0,1]
	s_delay_alu instid0(VALU_DEP_2)
	v_mov_b32_e32 v109, v117
	scratch_store_b64 off, v[108:109], off offset:304
.LBB51_890:
	s_wait_xcnt 0x0
	s_or_b32 exec_lo, exec_lo, s0
	scratch_load_b64 v[108:109], off, off offset:312
	s_mov_b32 s0, exec_lo
	s_wait_loadcnt 0x0
	ds_store_b64 v1, v[108:109]
	s_wait_storecnt_dscnt 0x0
	s_barrier_signal -1
	s_barrier_wait -1
	s_wait_xcnt 0x0
	v_cmpx_gt_u32_e32 39, v0
	s_cbranch_execz .LBB51_900
; %bb.891:
	v_cmp_ne_u32_e32 vcc_lo, 1, v110
	s_cbranch_vccnz .LBB51_893
; %bb.892:
	scratch_load_b64 v[108:109], v55, off
	ds_load_b64 v[112:113], v1
	s_wait_loadcnt_dscnt 0x0
	v_pk_mul_f32 v[114:115], v[112:113], v[108:109] op_sel:[1,1] op_sel_hi:[0,1]
	s_delay_alu instid0(VALU_DEP_1) | instskip(SKIP_1) | instid1(VALU_DEP_2)
	v_pk_fma_f32 v[116:117], v[112:113], v[108:109], v[114:115] op_sel_hi:[1,0,1]
	v_pk_fma_f32 v[108:109], v[112:113], v[108:109], v[114:115] neg_lo:[0,0,1] neg_hi:[0,0,1]
	v_mov_b32_e32 v109, v117
	s_cbranch_execz .LBB51_894
	s_branch .LBB51_895
.LBB51_893:
                                        ; implicit-def: $vgpr108_vgpr109
.LBB51_894:
	ds_load_b64 v[108:109], v1
.LBB51_895:
	s_mov_b32 s2, exec_lo
	v_cmpx_ne_u32_e32 38, v0
	s_cbranch_execz .LBB51_899
; %bb.896:
	v_add_nc_u32_e32 v111, 0x1a8, v54
	v_add3_u32 v112, 0, v54, 8
	v_mov_b32_e32 v113, v0
	s_mov_b32 s3, 0
.LBB51_897:                             ; =>This Inner Loop Header: Depth=1
	scratch_load_b64 v[114:115], v112, off
	ds_load_b64 v[116:117], v111
	s_wait_xcnt 0x0
	v_dual_add_nc_u32 v111, 8, v111 :: v_dual_add_nc_u32 v112, 8, v112
	s_wait_loadcnt_dscnt 0x0
	v_pk_mul_f32 v[118:119], v[116:117], v[114:115] op_sel:[1,1] op_sel_hi:[0,1]
	s_delay_alu instid0(VALU_DEP_1) | instskip(SKIP_2) | instid1(VALU_DEP_3)
	v_pk_fma_f32 v[120:121], v[116:117], v[114:115], v[118:119] op_sel_hi:[1,0,1]
	v_add_nc_u32_e32 v113, 1, v113
	v_pk_fma_f32 v[114:115], v[116:117], v[114:115], v[118:119] neg_lo:[0,0,1] neg_hi:[0,0,1]
	v_mov_b32_e32 v115, v121
	s_delay_alu instid0(VALU_DEP_3) | instskip(NEXT) | instid1(VALU_DEP_2)
	v_cmp_lt_u32_e32 vcc_lo, 37, v113
	v_pk_add_f32 v[108:109], v[108:109], v[114:115]
	s_or_b32 s3, vcc_lo, s3
	s_delay_alu instid0(SALU_CYCLE_1)
	s_and_not1_b32 exec_lo, exec_lo, s3
	s_cbranch_execnz .LBB51_897
; %bb.898:
	s_or_b32 exec_lo, exec_lo, s3
.LBB51_899:
	s_delay_alu instid0(SALU_CYCLE_1) | instskip(SKIP_4) | instid1(VALU_DEP_1)
	s_or_b32 exec_lo, exec_lo, s2
	v_mov_b32_e32 v111, 0
	ds_load_b64 v[112:113], v111 offset:312
	s_wait_dscnt 0x0
	v_pk_mul_f32 v[114:115], v[108:109], v[112:113] op_sel:[1,1] op_sel_hi:[0,1]
	v_pk_fma_f32 v[116:117], v[108:109], v[112:113], v[114:115] op_sel_hi:[1,0,1]
	v_pk_fma_f32 v[108:109], v[108:109], v[112:113], v[114:115] neg_lo:[0,0,1] neg_hi:[0,0,1]
	s_delay_alu instid0(VALU_DEP_2)
	v_mov_b32_e32 v109, v117
	scratch_store_b64 off, v[108:109], off offset:312
.LBB51_900:
	s_wait_xcnt 0x0
	s_or_b32 exec_lo, exec_lo, s0
	scratch_load_b64 v[108:109], off, off offset:320
	s_mov_b32 s0, exec_lo
	s_wait_loadcnt 0x0
	ds_store_b64 v1, v[108:109]
	s_wait_storecnt_dscnt 0x0
	s_barrier_signal -1
	s_barrier_wait -1
	s_wait_xcnt 0x0
	v_cmpx_gt_u32_e32 40, v0
	s_cbranch_execz .LBB51_910
; %bb.901:
	v_cmp_ne_u32_e32 vcc_lo, 1, v110
	s_cbranch_vccnz .LBB51_903
; %bb.902:
	scratch_load_b64 v[108:109], v55, off
	ds_load_b64 v[112:113], v1
	s_wait_loadcnt_dscnt 0x0
	v_pk_mul_f32 v[114:115], v[112:113], v[108:109] op_sel:[1,1] op_sel_hi:[0,1]
	s_delay_alu instid0(VALU_DEP_1) | instskip(SKIP_1) | instid1(VALU_DEP_2)
	v_pk_fma_f32 v[116:117], v[112:113], v[108:109], v[114:115] op_sel_hi:[1,0,1]
	v_pk_fma_f32 v[108:109], v[112:113], v[108:109], v[114:115] neg_lo:[0,0,1] neg_hi:[0,0,1]
	v_mov_b32_e32 v109, v117
	s_cbranch_execz .LBB51_904
	s_branch .LBB51_905
.LBB51_903:
                                        ; implicit-def: $vgpr108_vgpr109
.LBB51_904:
	ds_load_b64 v[108:109], v1
.LBB51_905:
	s_mov_b32 s2, exec_lo
	v_cmpx_ne_u32_e32 39, v0
	s_cbranch_execz .LBB51_909
; %bb.906:
	v_add_nc_u32_e32 v111, 0x1a8, v54
	v_add3_u32 v112, 0, v54, 8
	v_mov_b32_e32 v113, v0
	s_mov_b32 s3, 0
.LBB51_907:                             ; =>This Inner Loop Header: Depth=1
	scratch_load_b64 v[114:115], v112, off
	ds_load_b64 v[116:117], v111
	s_wait_xcnt 0x0
	v_dual_add_nc_u32 v111, 8, v111 :: v_dual_add_nc_u32 v112, 8, v112
	s_wait_loadcnt_dscnt 0x0
	v_pk_mul_f32 v[118:119], v[116:117], v[114:115] op_sel:[1,1] op_sel_hi:[0,1]
	s_delay_alu instid0(VALU_DEP_1) | instskip(SKIP_2) | instid1(VALU_DEP_3)
	v_pk_fma_f32 v[120:121], v[116:117], v[114:115], v[118:119] op_sel_hi:[1,0,1]
	v_add_nc_u32_e32 v113, 1, v113
	v_pk_fma_f32 v[114:115], v[116:117], v[114:115], v[118:119] neg_lo:[0,0,1] neg_hi:[0,0,1]
	v_mov_b32_e32 v115, v121
	s_delay_alu instid0(VALU_DEP_3) | instskip(NEXT) | instid1(VALU_DEP_2)
	v_cmp_lt_u32_e32 vcc_lo, 38, v113
	v_pk_add_f32 v[108:109], v[108:109], v[114:115]
	s_or_b32 s3, vcc_lo, s3
	s_delay_alu instid0(SALU_CYCLE_1)
	s_and_not1_b32 exec_lo, exec_lo, s3
	s_cbranch_execnz .LBB51_907
; %bb.908:
	s_or_b32 exec_lo, exec_lo, s3
.LBB51_909:
	s_delay_alu instid0(SALU_CYCLE_1) | instskip(SKIP_4) | instid1(VALU_DEP_1)
	s_or_b32 exec_lo, exec_lo, s2
	v_mov_b32_e32 v111, 0
	ds_load_b64 v[112:113], v111 offset:320
	s_wait_dscnt 0x0
	v_pk_mul_f32 v[114:115], v[108:109], v[112:113] op_sel:[1,1] op_sel_hi:[0,1]
	v_pk_fma_f32 v[116:117], v[108:109], v[112:113], v[114:115] op_sel_hi:[1,0,1]
	v_pk_fma_f32 v[108:109], v[108:109], v[112:113], v[114:115] neg_lo:[0,0,1] neg_hi:[0,0,1]
	s_delay_alu instid0(VALU_DEP_2)
	v_mov_b32_e32 v109, v117
	scratch_store_b64 off, v[108:109], off offset:320
.LBB51_910:
	s_wait_xcnt 0x0
	s_or_b32 exec_lo, exec_lo, s0
	scratch_load_b64 v[108:109], off, off offset:328
	s_mov_b32 s0, exec_lo
	s_wait_loadcnt 0x0
	ds_store_b64 v1, v[108:109]
	s_wait_storecnt_dscnt 0x0
	s_barrier_signal -1
	s_barrier_wait -1
	s_wait_xcnt 0x0
	v_cmpx_gt_u32_e32 41, v0
	s_cbranch_execz .LBB51_920
; %bb.911:
	v_cmp_ne_u32_e32 vcc_lo, 1, v110
	s_cbranch_vccnz .LBB51_913
; %bb.912:
	scratch_load_b64 v[108:109], v55, off
	ds_load_b64 v[112:113], v1
	s_wait_loadcnt_dscnt 0x0
	v_pk_mul_f32 v[114:115], v[112:113], v[108:109] op_sel:[1,1] op_sel_hi:[0,1]
	s_delay_alu instid0(VALU_DEP_1) | instskip(SKIP_1) | instid1(VALU_DEP_2)
	v_pk_fma_f32 v[116:117], v[112:113], v[108:109], v[114:115] op_sel_hi:[1,0,1]
	v_pk_fma_f32 v[108:109], v[112:113], v[108:109], v[114:115] neg_lo:[0,0,1] neg_hi:[0,0,1]
	v_mov_b32_e32 v109, v117
	s_cbranch_execz .LBB51_914
	s_branch .LBB51_915
.LBB51_913:
                                        ; implicit-def: $vgpr108_vgpr109
.LBB51_914:
	ds_load_b64 v[108:109], v1
.LBB51_915:
	s_mov_b32 s2, exec_lo
	v_cmpx_ne_u32_e32 40, v0
	s_cbranch_execz .LBB51_919
; %bb.916:
	v_add_nc_u32_e32 v111, 0x1a8, v54
	v_add3_u32 v112, 0, v54, 8
	v_mov_b32_e32 v113, v0
	s_mov_b32 s3, 0
.LBB51_917:                             ; =>This Inner Loop Header: Depth=1
	scratch_load_b64 v[114:115], v112, off
	ds_load_b64 v[116:117], v111
	s_wait_xcnt 0x0
	v_dual_add_nc_u32 v111, 8, v111 :: v_dual_add_nc_u32 v112, 8, v112
	s_wait_loadcnt_dscnt 0x0
	v_pk_mul_f32 v[118:119], v[116:117], v[114:115] op_sel:[1,1] op_sel_hi:[0,1]
	s_delay_alu instid0(VALU_DEP_1) | instskip(SKIP_2) | instid1(VALU_DEP_3)
	v_pk_fma_f32 v[120:121], v[116:117], v[114:115], v[118:119] op_sel_hi:[1,0,1]
	v_add_nc_u32_e32 v113, 1, v113
	v_pk_fma_f32 v[114:115], v[116:117], v[114:115], v[118:119] neg_lo:[0,0,1] neg_hi:[0,0,1]
	v_mov_b32_e32 v115, v121
	s_delay_alu instid0(VALU_DEP_3) | instskip(NEXT) | instid1(VALU_DEP_2)
	v_cmp_lt_u32_e32 vcc_lo, 39, v113
	v_pk_add_f32 v[108:109], v[108:109], v[114:115]
	s_or_b32 s3, vcc_lo, s3
	s_delay_alu instid0(SALU_CYCLE_1)
	s_and_not1_b32 exec_lo, exec_lo, s3
	s_cbranch_execnz .LBB51_917
; %bb.918:
	s_or_b32 exec_lo, exec_lo, s3
.LBB51_919:
	s_delay_alu instid0(SALU_CYCLE_1) | instskip(SKIP_4) | instid1(VALU_DEP_1)
	s_or_b32 exec_lo, exec_lo, s2
	v_mov_b32_e32 v111, 0
	ds_load_b64 v[112:113], v111 offset:328
	s_wait_dscnt 0x0
	v_pk_mul_f32 v[114:115], v[108:109], v[112:113] op_sel:[1,1] op_sel_hi:[0,1]
	v_pk_fma_f32 v[116:117], v[108:109], v[112:113], v[114:115] op_sel_hi:[1,0,1]
	v_pk_fma_f32 v[108:109], v[108:109], v[112:113], v[114:115] neg_lo:[0,0,1] neg_hi:[0,0,1]
	s_delay_alu instid0(VALU_DEP_2)
	v_mov_b32_e32 v109, v117
	scratch_store_b64 off, v[108:109], off offset:328
.LBB51_920:
	s_wait_xcnt 0x0
	s_or_b32 exec_lo, exec_lo, s0
	scratch_load_b64 v[108:109], off, off offset:336
	s_mov_b32 s0, exec_lo
	s_wait_loadcnt 0x0
	ds_store_b64 v1, v[108:109]
	s_wait_storecnt_dscnt 0x0
	s_barrier_signal -1
	s_barrier_wait -1
	s_wait_xcnt 0x0
	v_cmpx_gt_u32_e32 42, v0
	s_cbranch_execz .LBB51_930
; %bb.921:
	v_cmp_ne_u32_e32 vcc_lo, 1, v110
	s_cbranch_vccnz .LBB51_923
; %bb.922:
	scratch_load_b64 v[108:109], v55, off
	ds_load_b64 v[112:113], v1
	s_wait_loadcnt_dscnt 0x0
	v_pk_mul_f32 v[114:115], v[112:113], v[108:109] op_sel:[1,1] op_sel_hi:[0,1]
	s_delay_alu instid0(VALU_DEP_1) | instskip(SKIP_1) | instid1(VALU_DEP_2)
	v_pk_fma_f32 v[116:117], v[112:113], v[108:109], v[114:115] op_sel_hi:[1,0,1]
	v_pk_fma_f32 v[108:109], v[112:113], v[108:109], v[114:115] neg_lo:[0,0,1] neg_hi:[0,0,1]
	v_mov_b32_e32 v109, v117
	s_cbranch_execz .LBB51_924
	s_branch .LBB51_925
.LBB51_923:
                                        ; implicit-def: $vgpr108_vgpr109
.LBB51_924:
	ds_load_b64 v[108:109], v1
.LBB51_925:
	s_mov_b32 s2, exec_lo
	v_cmpx_ne_u32_e32 41, v0
	s_cbranch_execz .LBB51_929
; %bb.926:
	v_add_nc_u32_e32 v111, 0x1a8, v54
	v_add3_u32 v112, 0, v54, 8
	v_mov_b32_e32 v113, v0
	s_mov_b32 s3, 0
.LBB51_927:                             ; =>This Inner Loop Header: Depth=1
	scratch_load_b64 v[114:115], v112, off
	ds_load_b64 v[116:117], v111
	s_wait_xcnt 0x0
	v_dual_add_nc_u32 v111, 8, v111 :: v_dual_add_nc_u32 v112, 8, v112
	s_wait_loadcnt_dscnt 0x0
	v_pk_mul_f32 v[118:119], v[116:117], v[114:115] op_sel:[1,1] op_sel_hi:[0,1]
	s_delay_alu instid0(VALU_DEP_1) | instskip(SKIP_2) | instid1(VALU_DEP_3)
	v_pk_fma_f32 v[120:121], v[116:117], v[114:115], v[118:119] op_sel_hi:[1,0,1]
	v_add_nc_u32_e32 v113, 1, v113
	v_pk_fma_f32 v[114:115], v[116:117], v[114:115], v[118:119] neg_lo:[0,0,1] neg_hi:[0,0,1]
	v_mov_b32_e32 v115, v121
	s_delay_alu instid0(VALU_DEP_3) | instskip(NEXT) | instid1(VALU_DEP_2)
	v_cmp_lt_u32_e32 vcc_lo, 40, v113
	v_pk_add_f32 v[108:109], v[108:109], v[114:115]
	s_or_b32 s3, vcc_lo, s3
	s_delay_alu instid0(SALU_CYCLE_1)
	s_and_not1_b32 exec_lo, exec_lo, s3
	s_cbranch_execnz .LBB51_927
; %bb.928:
	s_or_b32 exec_lo, exec_lo, s3
.LBB51_929:
	s_delay_alu instid0(SALU_CYCLE_1) | instskip(SKIP_4) | instid1(VALU_DEP_1)
	s_or_b32 exec_lo, exec_lo, s2
	v_mov_b32_e32 v111, 0
	ds_load_b64 v[112:113], v111 offset:336
	s_wait_dscnt 0x0
	v_pk_mul_f32 v[114:115], v[108:109], v[112:113] op_sel:[1,1] op_sel_hi:[0,1]
	v_pk_fma_f32 v[116:117], v[108:109], v[112:113], v[114:115] op_sel_hi:[1,0,1]
	v_pk_fma_f32 v[108:109], v[108:109], v[112:113], v[114:115] neg_lo:[0,0,1] neg_hi:[0,0,1]
	s_delay_alu instid0(VALU_DEP_2)
	v_mov_b32_e32 v109, v117
	scratch_store_b64 off, v[108:109], off offset:336
.LBB51_930:
	s_wait_xcnt 0x0
	s_or_b32 exec_lo, exec_lo, s0
	scratch_load_b64 v[108:109], off, off offset:344
	s_mov_b32 s0, exec_lo
	s_wait_loadcnt 0x0
	ds_store_b64 v1, v[108:109]
	s_wait_storecnt_dscnt 0x0
	s_barrier_signal -1
	s_barrier_wait -1
	s_wait_xcnt 0x0
	v_cmpx_gt_u32_e32 43, v0
	s_cbranch_execz .LBB51_940
; %bb.931:
	v_cmp_ne_u32_e32 vcc_lo, 1, v110
	s_cbranch_vccnz .LBB51_933
; %bb.932:
	scratch_load_b64 v[108:109], v55, off
	ds_load_b64 v[112:113], v1
	s_wait_loadcnt_dscnt 0x0
	v_pk_mul_f32 v[114:115], v[112:113], v[108:109] op_sel:[1,1] op_sel_hi:[0,1]
	s_delay_alu instid0(VALU_DEP_1) | instskip(SKIP_1) | instid1(VALU_DEP_2)
	v_pk_fma_f32 v[116:117], v[112:113], v[108:109], v[114:115] op_sel_hi:[1,0,1]
	v_pk_fma_f32 v[108:109], v[112:113], v[108:109], v[114:115] neg_lo:[0,0,1] neg_hi:[0,0,1]
	v_mov_b32_e32 v109, v117
	s_cbranch_execz .LBB51_934
	s_branch .LBB51_935
.LBB51_933:
                                        ; implicit-def: $vgpr108_vgpr109
.LBB51_934:
	ds_load_b64 v[108:109], v1
.LBB51_935:
	s_mov_b32 s2, exec_lo
	v_cmpx_ne_u32_e32 42, v0
	s_cbranch_execz .LBB51_939
; %bb.936:
	v_add_nc_u32_e32 v111, 0x1a8, v54
	v_add3_u32 v112, 0, v54, 8
	v_mov_b32_e32 v113, v0
	s_mov_b32 s3, 0
.LBB51_937:                             ; =>This Inner Loop Header: Depth=1
	scratch_load_b64 v[114:115], v112, off
	ds_load_b64 v[116:117], v111
	s_wait_xcnt 0x0
	v_dual_add_nc_u32 v111, 8, v111 :: v_dual_add_nc_u32 v112, 8, v112
	s_wait_loadcnt_dscnt 0x0
	v_pk_mul_f32 v[118:119], v[116:117], v[114:115] op_sel:[1,1] op_sel_hi:[0,1]
	s_delay_alu instid0(VALU_DEP_1) | instskip(SKIP_2) | instid1(VALU_DEP_3)
	v_pk_fma_f32 v[120:121], v[116:117], v[114:115], v[118:119] op_sel_hi:[1,0,1]
	v_add_nc_u32_e32 v113, 1, v113
	v_pk_fma_f32 v[114:115], v[116:117], v[114:115], v[118:119] neg_lo:[0,0,1] neg_hi:[0,0,1]
	v_mov_b32_e32 v115, v121
	s_delay_alu instid0(VALU_DEP_3) | instskip(NEXT) | instid1(VALU_DEP_2)
	v_cmp_lt_u32_e32 vcc_lo, 41, v113
	v_pk_add_f32 v[108:109], v[108:109], v[114:115]
	s_or_b32 s3, vcc_lo, s3
	s_delay_alu instid0(SALU_CYCLE_1)
	s_and_not1_b32 exec_lo, exec_lo, s3
	s_cbranch_execnz .LBB51_937
; %bb.938:
	s_or_b32 exec_lo, exec_lo, s3
.LBB51_939:
	s_delay_alu instid0(SALU_CYCLE_1) | instskip(SKIP_4) | instid1(VALU_DEP_1)
	s_or_b32 exec_lo, exec_lo, s2
	v_mov_b32_e32 v111, 0
	ds_load_b64 v[112:113], v111 offset:344
	s_wait_dscnt 0x0
	v_pk_mul_f32 v[114:115], v[108:109], v[112:113] op_sel:[1,1] op_sel_hi:[0,1]
	v_pk_fma_f32 v[116:117], v[108:109], v[112:113], v[114:115] op_sel_hi:[1,0,1]
	v_pk_fma_f32 v[108:109], v[108:109], v[112:113], v[114:115] neg_lo:[0,0,1] neg_hi:[0,0,1]
	s_delay_alu instid0(VALU_DEP_2)
	v_mov_b32_e32 v109, v117
	scratch_store_b64 off, v[108:109], off offset:344
.LBB51_940:
	s_wait_xcnt 0x0
	s_or_b32 exec_lo, exec_lo, s0
	scratch_load_b64 v[108:109], off, off offset:352
	s_mov_b32 s0, exec_lo
	s_wait_loadcnt 0x0
	ds_store_b64 v1, v[108:109]
	s_wait_storecnt_dscnt 0x0
	s_barrier_signal -1
	s_barrier_wait -1
	s_wait_xcnt 0x0
	v_cmpx_gt_u32_e32 44, v0
	s_cbranch_execz .LBB51_950
; %bb.941:
	v_cmp_ne_u32_e32 vcc_lo, 1, v110
	s_cbranch_vccnz .LBB51_943
; %bb.942:
	scratch_load_b64 v[108:109], v55, off
	ds_load_b64 v[112:113], v1
	s_wait_loadcnt_dscnt 0x0
	v_pk_mul_f32 v[114:115], v[112:113], v[108:109] op_sel:[1,1] op_sel_hi:[0,1]
	s_delay_alu instid0(VALU_DEP_1) | instskip(SKIP_1) | instid1(VALU_DEP_2)
	v_pk_fma_f32 v[116:117], v[112:113], v[108:109], v[114:115] op_sel_hi:[1,0,1]
	v_pk_fma_f32 v[108:109], v[112:113], v[108:109], v[114:115] neg_lo:[0,0,1] neg_hi:[0,0,1]
	v_mov_b32_e32 v109, v117
	s_cbranch_execz .LBB51_944
	s_branch .LBB51_945
.LBB51_943:
                                        ; implicit-def: $vgpr108_vgpr109
.LBB51_944:
	ds_load_b64 v[108:109], v1
.LBB51_945:
	s_mov_b32 s2, exec_lo
	v_cmpx_ne_u32_e32 43, v0
	s_cbranch_execz .LBB51_949
; %bb.946:
	v_add_nc_u32_e32 v111, 0x1a8, v54
	v_add3_u32 v112, 0, v54, 8
	v_mov_b32_e32 v113, v0
	s_mov_b32 s3, 0
.LBB51_947:                             ; =>This Inner Loop Header: Depth=1
	scratch_load_b64 v[114:115], v112, off
	ds_load_b64 v[116:117], v111
	s_wait_xcnt 0x0
	v_dual_add_nc_u32 v111, 8, v111 :: v_dual_add_nc_u32 v112, 8, v112
	s_wait_loadcnt_dscnt 0x0
	v_pk_mul_f32 v[118:119], v[116:117], v[114:115] op_sel:[1,1] op_sel_hi:[0,1]
	s_delay_alu instid0(VALU_DEP_1) | instskip(SKIP_2) | instid1(VALU_DEP_3)
	v_pk_fma_f32 v[120:121], v[116:117], v[114:115], v[118:119] op_sel_hi:[1,0,1]
	v_add_nc_u32_e32 v113, 1, v113
	v_pk_fma_f32 v[114:115], v[116:117], v[114:115], v[118:119] neg_lo:[0,0,1] neg_hi:[0,0,1]
	v_mov_b32_e32 v115, v121
	s_delay_alu instid0(VALU_DEP_3) | instskip(NEXT) | instid1(VALU_DEP_2)
	v_cmp_lt_u32_e32 vcc_lo, 42, v113
	v_pk_add_f32 v[108:109], v[108:109], v[114:115]
	s_or_b32 s3, vcc_lo, s3
	s_delay_alu instid0(SALU_CYCLE_1)
	s_and_not1_b32 exec_lo, exec_lo, s3
	s_cbranch_execnz .LBB51_947
; %bb.948:
	s_or_b32 exec_lo, exec_lo, s3
.LBB51_949:
	s_delay_alu instid0(SALU_CYCLE_1) | instskip(SKIP_4) | instid1(VALU_DEP_1)
	s_or_b32 exec_lo, exec_lo, s2
	v_mov_b32_e32 v111, 0
	ds_load_b64 v[112:113], v111 offset:352
	s_wait_dscnt 0x0
	v_pk_mul_f32 v[114:115], v[108:109], v[112:113] op_sel:[1,1] op_sel_hi:[0,1]
	v_pk_fma_f32 v[116:117], v[108:109], v[112:113], v[114:115] op_sel_hi:[1,0,1]
	v_pk_fma_f32 v[108:109], v[108:109], v[112:113], v[114:115] neg_lo:[0,0,1] neg_hi:[0,0,1]
	s_delay_alu instid0(VALU_DEP_2)
	v_mov_b32_e32 v109, v117
	scratch_store_b64 off, v[108:109], off offset:352
.LBB51_950:
	s_wait_xcnt 0x0
	s_or_b32 exec_lo, exec_lo, s0
	scratch_load_b64 v[108:109], off, off offset:360
	s_mov_b32 s0, exec_lo
	s_wait_loadcnt 0x0
	ds_store_b64 v1, v[108:109]
	s_wait_storecnt_dscnt 0x0
	s_barrier_signal -1
	s_barrier_wait -1
	s_wait_xcnt 0x0
	v_cmpx_gt_u32_e32 45, v0
	s_cbranch_execz .LBB51_960
; %bb.951:
	v_cmp_ne_u32_e32 vcc_lo, 1, v110
	s_cbranch_vccnz .LBB51_953
; %bb.952:
	scratch_load_b64 v[108:109], v55, off
	ds_load_b64 v[112:113], v1
	s_wait_loadcnt_dscnt 0x0
	v_pk_mul_f32 v[114:115], v[112:113], v[108:109] op_sel:[1,1] op_sel_hi:[0,1]
	s_delay_alu instid0(VALU_DEP_1) | instskip(SKIP_1) | instid1(VALU_DEP_2)
	v_pk_fma_f32 v[116:117], v[112:113], v[108:109], v[114:115] op_sel_hi:[1,0,1]
	v_pk_fma_f32 v[108:109], v[112:113], v[108:109], v[114:115] neg_lo:[0,0,1] neg_hi:[0,0,1]
	v_mov_b32_e32 v109, v117
	s_cbranch_execz .LBB51_954
	s_branch .LBB51_955
.LBB51_953:
                                        ; implicit-def: $vgpr108_vgpr109
.LBB51_954:
	ds_load_b64 v[108:109], v1
.LBB51_955:
	s_mov_b32 s2, exec_lo
	v_cmpx_ne_u32_e32 44, v0
	s_cbranch_execz .LBB51_959
; %bb.956:
	v_add_nc_u32_e32 v111, 0x1a8, v54
	v_add3_u32 v112, 0, v54, 8
	v_mov_b32_e32 v113, v0
	s_mov_b32 s3, 0
.LBB51_957:                             ; =>This Inner Loop Header: Depth=1
	scratch_load_b64 v[114:115], v112, off
	ds_load_b64 v[116:117], v111
	s_wait_xcnt 0x0
	v_dual_add_nc_u32 v111, 8, v111 :: v_dual_add_nc_u32 v112, 8, v112
	s_wait_loadcnt_dscnt 0x0
	v_pk_mul_f32 v[118:119], v[116:117], v[114:115] op_sel:[1,1] op_sel_hi:[0,1]
	s_delay_alu instid0(VALU_DEP_1) | instskip(SKIP_2) | instid1(VALU_DEP_3)
	v_pk_fma_f32 v[120:121], v[116:117], v[114:115], v[118:119] op_sel_hi:[1,0,1]
	v_add_nc_u32_e32 v113, 1, v113
	v_pk_fma_f32 v[114:115], v[116:117], v[114:115], v[118:119] neg_lo:[0,0,1] neg_hi:[0,0,1]
	v_mov_b32_e32 v115, v121
	s_delay_alu instid0(VALU_DEP_3) | instskip(NEXT) | instid1(VALU_DEP_2)
	v_cmp_lt_u32_e32 vcc_lo, 43, v113
	v_pk_add_f32 v[108:109], v[108:109], v[114:115]
	s_or_b32 s3, vcc_lo, s3
	s_delay_alu instid0(SALU_CYCLE_1)
	s_and_not1_b32 exec_lo, exec_lo, s3
	s_cbranch_execnz .LBB51_957
; %bb.958:
	s_or_b32 exec_lo, exec_lo, s3
.LBB51_959:
	s_delay_alu instid0(SALU_CYCLE_1) | instskip(SKIP_4) | instid1(VALU_DEP_1)
	s_or_b32 exec_lo, exec_lo, s2
	v_mov_b32_e32 v111, 0
	ds_load_b64 v[112:113], v111 offset:360
	s_wait_dscnt 0x0
	v_pk_mul_f32 v[114:115], v[108:109], v[112:113] op_sel:[1,1] op_sel_hi:[0,1]
	v_pk_fma_f32 v[116:117], v[108:109], v[112:113], v[114:115] op_sel_hi:[1,0,1]
	v_pk_fma_f32 v[108:109], v[108:109], v[112:113], v[114:115] neg_lo:[0,0,1] neg_hi:[0,0,1]
	s_delay_alu instid0(VALU_DEP_2)
	v_mov_b32_e32 v109, v117
	scratch_store_b64 off, v[108:109], off offset:360
.LBB51_960:
	s_wait_xcnt 0x0
	s_or_b32 exec_lo, exec_lo, s0
	scratch_load_b64 v[108:109], off, off offset:368
	s_mov_b32 s0, exec_lo
	s_wait_loadcnt 0x0
	ds_store_b64 v1, v[108:109]
	s_wait_storecnt_dscnt 0x0
	s_barrier_signal -1
	s_barrier_wait -1
	s_wait_xcnt 0x0
	v_cmpx_gt_u32_e32 46, v0
	s_cbranch_execz .LBB51_970
; %bb.961:
	v_cmp_ne_u32_e32 vcc_lo, 1, v110
	s_cbranch_vccnz .LBB51_963
; %bb.962:
	scratch_load_b64 v[108:109], v55, off
	ds_load_b64 v[112:113], v1
	s_wait_loadcnt_dscnt 0x0
	v_pk_mul_f32 v[114:115], v[112:113], v[108:109] op_sel:[1,1] op_sel_hi:[0,1]
	s_delay_alu instid0(VALU_DEP_1) | instskip(SKIP_1) | instid1(VALU_DEP_2)
	v_pk_fma_f32 v[116:117], v[112:113], v[108:109], v[114:115] op_sel_hi:[1,0,1]
	v_pk_fma_f32 v[108:109], v[112:113], v[108:109], v[114:115] neg_lo:[0,0,1] neg_hi:[0,0,1]
	v_mov_b32_e32 v109, v117
	s_cbranch_execz .LBB51_964
	s_branch .LBB51_965
.LBB51_963:
                                        ; implicit-def: $vgpr108_vgpr109
.LBB51_964:
	ds_load_b64 v[108:109], v1
.LBB51_965:
	s_mov_b32 s2, exec_lo
	v_cmpx_ne_u32_e32 45, v0
	s_cbranch_execz .LBB51_969
; %bb.966:
	v_add_nc_u32_e32 v111, 0x1a8, v54
	v_add3_u32 v112, 0, v54, 8
	v_mov_b32_e32 v113, v0
	s_mov_b32 s3, 0
.LBB51_967:                             ; =>This Inner Loop Header: Depth=1
	scratch_load_b64 v[114:115], v112, off
	ds_load_b64 v[116:117], v111
	s_wait_xcnt 0x0
	v_dual_add_nc_u32 v111, 8, v111 :: v_dual_add_nc_u32 v112, 8, v112
	s_wait_loadcnt_dscnt 0x0
	v_pk_mul_f32 v[118:119], v[116:117], v[114:115] op_sel:[1,1] op_sel_hi:[0,1]
	s_delay_alu instid0(VALU_DEP_1) | instskip(SKIP_2) | instid1(VALU_DEP_3)
	v_pk_fma_f32 v[120:121], v[116:117], v[114:115], v[118:119] op_sel_hi:[1,0,1]
	v_add_nc_u32_e32 v113, 1, v113
	v_pk_fma_f32 v[114:115], v[116:117], v[114:115], v[118:119] neg_lo:[0,0,1] neg_hi:[0,0,1]
	v_mov_b32_e32 v115, v121
	s_delay_alu instid0(VALU_DEP_3) | instskip(NEXT) | instid1(VALU_DEP_2)
	v_cmp_lt_u32_e32 vcc_lo, 44, v113
	v_pk_add_f32 v[108:109], v[108:109], v[114:115]
	s_or_b32 s3, vcc_lo, s3
	s_delay_alu instid0(SALU_CYCLE_1)
	s_and_not1_b32 exec_lo, exec_lo, s3
	s_cbranch_execnz .LBB51_967
; %bb.968:
	s_or_b32 exec_lo, exec_lo, s3
.LBB51_969:
	s_delay_alu instid0(SALU_CYCLE_1) | instskip(SKIP_4) | instid1(VALU_DEP_1)
	s_or_b32 exec_lo, exec_lo, s2
	v_mov_b32_e32 v111, 0
	ds_load_b64 v[112:113], v111 offset:368
	s_wait_dscnt 0x0
	v_pk_mul_f32 v[114:115], v[108:109], v[112:113] op_sel:[1,1] op_sel_hi:[0,1]
	v_pk_fma_f32 v[116:117], v[108:109], v[112:113], v[114:115] op_sel_hi:[1,0,1]
	v_pk_fma_f32 v[108:109], v[108:109], v[112:113], v[114:115] neg_lo:[0,0,1] neg_hi:[0,0,1]
	s_delay_alu instid0(VALU_DEP_2)
	v_mov_b32_e32 v109, v117
	scratch_store_b64 off, v[108:109], off offset:368
.LBB51_970:
	s_wait_xcnt 0x0
	s_or_b32 exec_lo, exec_lo, s0
	scratch_load_b64 v[108:109], off, off offset:376
	s_mov_b32 s0, exec_lo
	s_wait_loadcnt 0x0
	ds_store_b64 v1, v[108:109]
	s_wait_storecnt_dscnt 0x0
	s_barrier_signal -1
	s_barrier_wait -1
	s_wait_xcnt 0x0
	v_cmpx_gt_u32_e32 47, v0
	s_cbranch_execz .LBB51_980
; %bb.971:
	v_cmp_ne_u32_e32 vcc_lo, 1, v110
	s_cbranch_vccnz .LBB51_973
; %bb.972:
	scratch_load_b64 v[108:109], v55, off
	ds_load_b64 v[112:113], v1
	s_wait_loadcnt_dscnt 0x0
	v_pk_mul_f32 v[114:115], v[112:113], v[108:109] op_sel:[1,1] op_sel_hi:[0,1]
	s_delay_alu instid0(VALU_DEP_1) | instskip(SKIP_1) | instid1(VALU_DEP_2)
	v_pk_fma_f32 v[116:117], v[112:113], v[108:109], v[114:115] op_sel_hi:[1,0,1]
	v_pk_fma_f32 v[108:109], v[112:113], v[108:109], v[114:115] neg_lo:[0,0,1] neg_hi:[0,0,1]
	v_mov_b32_e32 v109, v117
	s_cbranch_execz .LBB51_974
	s_branch .LBB51_975
.LBB51_973:
                                        ; implicit-def: $vgpr108_vgpr109
.LBB51_974:
	ds_load_b64 v[108:109], v1
.LBB51_975:
	s_mov_b32 s2, exec_lo
	v_cmpx_ne_u32_e32 46, v0
	s_cbranch_execz .LBB51_979
; %bb.976:
	v_add_nc_u32_e32 v111, 0x1a8, v54
	v_add3_u32 v112, 0, v54, 8
	v_mov_b32_e32 v113, v0
	s_mov_b32 s3, 0
.LBB51_977:                             ; =>This Inner Loop Header: Depth=1
	scratch_load_b64 v[114:115], v112, off
	ds_load_b64 v[116:117], v111
	s_wait_xcnt 0x0
	v_dual_add_nc_u32 v111, 8, v111 :: v_dual_add_nc_u32 v112, 8, v112
	s_wait_loadcnt_dscnt 0x0
	v_pk_mul_f32 v[118:119], v[116:117], v[114:115] op_sel:[1,1] op_sel_hi:[0,1]
	s_delay_alu instid0(VALU_DEP_1) | instskip(SKIP_2) | instid1(VALU_DEP_3)
	v_pk_fma_f32 v[120:121], v[116:117], v[114:115], v[118:119] op_sel_hi:[1,0,1]
	v_add_nc_u32_e32 v113, 1, v113
	v_pk_fma_f32 v[114:115], v[116:117], v[114:115], v[118:119] neg_lo:[0,0,1] neg_hi:[0,0,1]
	v_mov_b32_e32 v115, v121
	s_delay_alu instid0(VALU_DEP_3) | instskip(NEXT) | instid1(VALU_DEP_2)
	v_cmp_lt_u32_e32 vcc_lo, 45, v113
	v_pk_add_f32 v[108:109], v[108:109], v[114:115]
	s_or_b32 s3, vcc_lo, s3
	s_delay_alu instid0(SALU_CYCLE_1)
	s_and_not1_b32 exec_lo, exec_lo, s3
	s_cbranch_execnz .LBB51_977
; %bb.978:
	s_or_b32 exec_lo, exec_lo, s3
.LBB51_979:
	s_delay_alu instid0(SALU_CYCLE_1) | instskip(SKIP_4) | instid1(VALU_DEP_1)
	s_or_b32 exec_lo, exec_lo, s2
	v_mov_b32_e32 v111, 0
	ds_load_b64 v[112:113], v111 offset:376
	s_wait_dscnt 0x0
	v_pk_mul_f32 v[114:115], v[108:109], v[112:113] op_sel:[1,1] op_sel_hi:[0,1]
	v_pk_fma_f32 v[116:117], v[108:109], v[112:113], v[114:115] op_sel_hi:[1,0,1]
	v_pk_fma_f32 v[108:109], v[108:109], v[112:113], v[114:115] neg_lo:[0,0,1] neg_hi:[0,0,1]
	s_delay_alu instid0(VALU_DEP_2)
	v_mov_b32_e32 v109, v117
	scratch_store_b64 off, v[108:109], off offset:376
.LBB51_980:
	s_wait_xcnt 0x0
	s_or_b32 exec_lo, exec_lo, s0
	scratch_load_b64 v[108:109], off, off offset:384
	s_mov_b32 s0, exec_lo
	s_wait_loadcnt 0x0
	ds_store_b64 v1, v[108:109]
	s_wait_storecnt_dscnt 0x0
	s_barrier_signal -1
	s_barrier_wait -1
	s_wait_xcnt 0x0
	v_cmpx_gt_u32_e32 48, v0
	s_cbranch_execz .LBB51_990
; %bb.981:
	v_cmp_ne_u32_e32 vcc_lo, 1, v110
	s_cbranch_vccnz .LBB51_983
; %bb.982:
	scratch_load_b64 v[108:109], v55, off
	ds_load_b64 v[112:113], v1
	s_wait_loadcnt_dscnt 0x0
	v_pk_mul_f32 v[114:115], v[112:113], v[108:109] op_sel:[1,1] op_sel_hi:[0,1]
	s_delay_alu instid0(VALU_DEP_1) | instskip(SKIP_1) | instid1(VALU_DEP_2)
	v_pk_fma_f32 v[116:117], v[112:113], v[108:109], v[114:115] op_sel_hi:[1,0,1]
	v_pk_fma_f32 v[108:109], v[112:113], v[108:109], v[114:115] neg_lo:[0,0,1] neg_hi:[0,0,1]
	v_mov_b32_e32 v109, v117
	s_cbranch_execz .LBB51_984
	s_branch .LBB51_985
.LBB51_983:
                                        ; implicit-def: $vgpr108_vgpr109
.LBB51_984:
	ds_load_b64 v[108:109], v1
.LBB51_985:
	s_mov_b32 s2, exec_lo
	v_cmpx_ne_u32_e32 47, v0
	s_cbranch_execz .LBB51_989
; %bb.986:
	v_add_nc_u32_e32 v111, 0x1a8, v54
	v_add3_u32 v112, 0, v54, 8
	v_mov_b32_e32 v113, v0
	s_mov_b32 s3, 0
.LBB51_987:                             ; =>This Inner Loop Header: Depth=1
	scratch_load_b64 v[114:115], v112, off
	ds_load_b64 v[116:117], v111
	s_wait_xcnt 0x0
	v_dual_add_nc_u32 v111, 8, v111 :: v_dual_add_nc_u32 v112, 8, v112
	s_wait_loadcnt_dscnt 0x0
	v_pk_mul_f32 v[118:119], v[116:117], v[114:115] op_sel:[1,1] op_sel_hi:[0,1]
	s_delay_alu instid0(VALU_DEP_1) | instskip(SKIP_2) | instid1(VALU_DEP_3)
	v_pk_fma_f32 v[120:121], v[116:117], v[114:115], v[118:119] op_sel_hi:[1,0,1]
	v_add_nc_u32_e32 v113, 1, v113
	v_pk_fma_f32 v[114:115], v[116:117], v[114:115], v[118:119] neg_lo:[0,0,1] neg_hi:[0,0,1]
	v_mov_b32_e32 v115, v121
	s_delay_alu instid0(VALU_DEP_3) | instskip(NEXT) | instid1(VALU_DEP_2)
	v_cmp_lt_u32_e32 vcc_lo, 46, v113
	v_pk_add_f32 v[108:109], v[108:109], v[114:115]
	s_or_b32 s3, vcc_lo, s3
	s_delay_alu instid0(SALU_CYCLE_1)
	s_and_not1_b32 exec_lo, exec_lo, s3
	s_cbranch_execnz .LBB51_987
; %bb.988:
	s_or_b32 exec_lo, exec_lo, s3
.LBB51_989:
	s_delay_alu instid0(SALU_CYCLE_1) | instskip(SKIP_4) | instid1(VALU_DEP_1)
	s_or_b32 exec_lo, exec_lo, s2
	v_mov_b32_e32 v111, 0
	ds_load_b64 v[112:113], v111 offset:384
	s_wait_dscnt 0x0
	v_pk_mul_f32 v[114:115], v[108:109], v[112:113] op_sel:[1,1] op_sel_hi:[0,1]
	v_pk_fma_f32 v[116:117], v[108:109], v[112:113], v[114:115] op_sel_hi:[1,0,1]
	v_pk_fma_f32 v[108:109], v[108:109], v[112:113], v[114:115] neg_lo:[0,0,1] neg_hi:[0,0,1]
	s_delay_alu instid0(VALU_DEP_2)
	v_mov_b32_e32 v109, v117
	scratch_store_b64 off, v[108:109], off offset:384
.LBB51_990:
	s_wait_xcnt 0x0
	s_or_b32 exec_lo, exec_lo, s0
	scratch_load_b64 v[108:109], off, off offset:392
	s_mov_b32 s0, exec_lo
	s_wait_loadcnt 0x0
	ds_store_b64 v1, v[108:109]
	s_wait_storecnt_dscnt 0x0
	s_barrier_signal -1
	s_barrier_wait -1
	s_wait_xcnt 0x0
	v_cmpx_gt_u32_e32 49, v0
	s_cbranch_execz .LBB51_1000
; %bb.991:
	v_cmp_ne_u32_e32 vcc_lo, 1, v110
	s_cbranch_vccnz .LBB51_993
; %bb.992:
	scratch_load_b64 v[108:109], v55, off
	ds_load_b64 v[112:113], v1
	s_wait_loadcnt_dscnt 0x0
	v_pk_mul_f32 v[114:115], v[112:113], v[108:109] op_sel:[1,1] op_sel_hi:[0,1]
	s_delay_alu instid0(VALU_DEP_1) | instskip(SKIP_1) | instid1(VALU_DEP_2)
	v_pk_fma_f32 v[116:117], v[112:113], v[108:109], v[114:115] op_sel_hi:[1,0,1]
	v_pk_fma_f32 v[108:109], v[112:113], v[108:109], v[114:115] neg_lo:[0,0,1] neg_hi:[0,0,1]
	v_mov_b32_e32 v109, v117
	s_cbranch_execz .LBB51_994
	s_branch .LBB51_995
.LBB51_993:
                                        ; implicit-def: $vgpr108_vgpr109
.LBB51_994:
	ds_load_b64 v[108:109], v1
.LBB51_995:
	s_mov_b32 s2, exec_lo
	v_cmpx_ne_u32_e32 48, v0
	s_cbranch_execz .LBB51_999
; %bb.996:
	v_add_nc_u32_e32 v111, 0x1a8, v54
	v_add3_u32 v112, 0, v54, 8
	v_mov_b32_e32 v113, v0
	s_mov_b32 s3, 0
.LBB51_997:                             ; =>This Inner Loop Header: Depth=1
	scratch_load_b64 v[114:115], v112, off
	ds_load_b64 v[116:117], v111
	s_wait_xcnt 0x0
	v_dual_add_nc_u32 v111, 8, v111 :: v_dual_add_nc_u32 v112, 8, v112
	s_wait_loadcnt_dscnt 0x0
	v_pk_mul_f32 v[118:119], v[116:117], v[114:115] op_sel:[1,1] op_sel_hi:[0,1]
	s_delay_alu instid0(VALU_DEP_1) | instskip(SKIP_2) | instid1(VALU_DEP_3)
	v_pk_fma_f32 v[120:121], v[116:117], v[114:115], v[118:119] op_sel_hi:[1,0,1]
	v_add_nc_u32_e32 v113, 1, v113
	v_pk_fma_f32 v[114:115], v[116:117], v[114:115], v[118:119] neg_lo:[0,0,1] neg_hi:[0,0,1]
	v_mov_b32_e32 v115, v121
	s_delay_alu instid0(VALU_DEP_3) | instskip(NEXT) | instid1(VALU_DEP_2)
	v_cmp_lt_u32_e32 vcc_lo, 47, v113
	v_pk_add_f32 v[108:109], v[108:109], v[114:115]
	s_or_b32 s3, vcc_lo, s3
	s_delay_alu instid0(SALU_CYCLE_1)
	s_and_not1_b32 exec_lo, exec_lo, s3
	s_cbranch_execnz .LBB51_997
; %bb.998:
	s_or_b32 exec_lo, exec_lo, s3
.LBB51_999:
	s_delay_alu instid0(SALU_CYCLE_1) | instskip(SKIP_4) | instid1(VALU_DEP_1)
	s_or_b32 exec_lo, exec_lo, s2
	v_mov_b32_e32 v111, 0
	ds_load_b64 v[112:113], v111 offset:392
	s_wait_dscnt 0x0
	v_pk_mul_f32 v[114:115], v[108:109], v[112:113] op_sel:[1,1] op_sel_hi:[0,1]
	v_pk_fma_f32 v[116:117], v[108:109], v[112:113], v[114:115] op_sel_hi:[1,0,1]
	v_pk_fma_f32 v[108:109], v[108:109], v[112:113], v[114:115] neg_lo:[0,0,1] neg_hi:[0,0,1]
	s_delay_alu instid0(VALU_DEP_2)
	v_mov_b32_e32 v109, v117
	scratch_store_b64 off, v[108:109], off offset:392
.LBB51_1000:
	s_wait_xcnt 0x0
	s_or_b32 exec_lo, exec_lo, s0
	scratch_load_b64 v[108:109], off, off offset:400
	v_cmp_gt_u32_e64 s0, 50, v0
	s_wait_loadcnt 0x0
	ds_store_b64 v1, v[108:109]
	s_wait_storecnt_dscnt 0x0
	s_barrier_signal -1
	s_barrier_wait -1
	s_wait_xcnt 0x0
	s_and_saveexec_b32 s2, s0
	s_cbranch_execz .LBB51_1010
; %bb.1001:
	v_cmp_ne_u32_e32 vcc_lo, 1, v110
	s_cbranch_vccnz .LBB51_1003
; %bb.1002:
	scratch_load_b64 v[108:109], v55, off
	ds_load_b64 v[112:113], v1
	s_wait_loadcnt_dscnt 0x0
	v_pk_mul_f32 v[114:115], v[112:113], v[108:109] op_sel:[1,1] op_sel_hi:[0,1]
	s_delay_alu instid0(VALU_DEP_1) | instskip(SKIP_1) | instid1(VALU_DEP_2)
	v_pk_fma_f32 v[116:117], v[112:113], v[108:109], v[114:115] op_sel_hi:[1,0,1]
	v_pk_fma_f32 v[108:109], v[112:113], v[108:109], v[114:115] neg_lo:[0,0,1] neg_hi:[0,0,1]
	v_mov_b32_e32 v109, v117
	s_cbranch_execz .LBB51_1004
	s_branch .LBB51_1005
.LBB51_1003:
                                        ; implicit-def: $vgpr108_vgpr109
.LBB51_1004:
	ds_load_b64 v[108:109], v1
.LBB51_1005:
	s_mov_b32 s3, exec_lo
	v_cmpx_ne_u32_e32 49, v0
	s_cbranch_execz .LBB51_1009
; %bb.1006:
	v_add_nc_u32_e32 v111, 0x1a8, v54
	v_add3_u32 v112, 0, v54, 8
	v_mov_b32_e32 v113, v0
	s_mov_b32 s4, 0
.LBB51_1007:                            ; =>This Inner Loop Header: Depth=1
	scratch_load_b64 v[114:115], v112, off
	ds_load_b64 v[116:117], v111
	s_wait_xcnt 0x0
	v_dual_add_nc_u32 v111, 8, v111 :: v_dual_add_nc_u32 v112, 8, v112
	s_wait_loadcnt_dscnt 0x0
	v_pk_mul_f32 v[118:119], v[116:117], v[114:115] op_sel:[1,1] op_sel_hi:[0,1]
	s_delay_alu instid0(VALU_DEP_1) | instskip(SKIP_2) | instid1(VALU_DEP_3)
	v_pk_fma_f32 v[120:121], v[116:117], v[114:115], v[118:119] op_sel_hi:[1,0,1]
	v_add_nc_u32_e32 v113, 1, v113
	v_pk_fma_f32 v[114:115], v[116:117], v[114:115], v[118:119] neg_lo:[0,0,1] neg_hi:[0,0,1]
	v_mov_b32_e32 v115, v121
	s_delay_alu instid0(VALU_DEP_3) | instskip(NEXT) | instid1(VALU_DEP_2)
	v_cmp_lt_u32_e32 vcc_lo, 48, v113
	v_pk_add_f32 v[108:109], v[108:109], v[114:115]
	s_or_b32 s4, vcc_lo, s4
	s_delay_alu instid0(SALU_CYCLE_1)
	s_and_not1_b32 exec_lo, exec_lo, s4
	s_cbranch_execnz .LBB51_1007
; %bb.1008:
	s_or_b32 exec_lo, exec_lo, s4
.LBB51_1009:
	s_delay_alu instid0(SALU_CYCLE_1) | instskip(SKIP_4) | instid1(VALU_DEP_1)
	s_or_b32 exec_lo, exec_lo, s3
	v_mov_b32_e32 v111, 0
	ds_load_b64 v[112:113], v111 offset:400
	s_wait_dscnt 0x0
	v_pk_mul_f32 v[114:115], v[108:109], v[112:113] op_sel:[1,1] op_sel_hi:[0,1]
	v_pk_fma_f32 v[116:117], v[108:109], v[112:113], v[114:115] op_sel_hi:[1,0,1]
	v_pk_fma_f32 v[108:109], v[108:109], v[112:113], v[114:115] neg_lo:[0,0,1] neg_hi:[0,0,1]
	s_delay_alu instid0(VALU_DEP_2)
	v_mov_b32_e32 v109, v117
	scratch_store_b64 off, v[108:109], off offset:400
.LBB51_1010:
	s_wait_xcnt 0x0
	s_or_b32 exec_lo, exec_lo, s2
	scratch_load_b64 v[108:109], off, off offset:408
	s_mov_b32 s2, exec_lo
                                        ; implicit-def: $vgpr148
                                        ; implicit-def: $sgpr4
	s_wait_loadcnt 0x0
	ds_store_b64 v1, v[108:109]
	s_wait_storecnt_dscnt 0x0
	s_barrier_signal -1
	s_barrier_wait -1
	s_wait_xcnt 0x0
	v_cmpx_ne_u32_e32 51, v0
	s_cbranch_execz .LBB51_1020
; %bb.1011:
	v_cmp_ne_u32_e32 vcc_lo, 1, v110
	s_cbranch_vccnz .LBB51_1013
; %bb.1012:
	scratch_load_b64 v[110:111], v55, off
	ds_load_b64 v[112:113], v1
	s_wait_loadcnt_dscnt 0x0
	v_dual_mul_f32 v55, v113, v111 :: v_dual_mul_f32 v109, v112, v111
	s_delay_alu instid0(VALU_DEP_1)
	v_dual_fma_f32 v108, v112, v110, -v55 :: v_dual_fmac_f32 v109, v113, v110
	s_cbranch_execz .LBB51_1014
	s_branch .LBB51_1015
.LBB51_1013:
                                        ; implicit-def: $vgpr109
.LBB51_1014:
	ds_load_b64 v[108:109], v1
.LBB51_1015:
	s_and_saveexec_b32 s3, s0
	s_cbranch_execz .LBB51_1019
; %bb.1016:
	v_add_nc_u32_e32 v1, 0x1a8, v54
	v_add3_u32 v54, 0, v54, 8
	s_mov_b32 s0, 0
.LBB51_1017:                            ; =>This Inner Loop Header: Depth=1
	scratch_load_b64 v[110:111], v54, off
	ds_load_b64 v[112:113], v1
	s_wait_loadcnt_dscnt 0x0
	v_dual_add_nc_u32 v1, 8, v1 :: v_dual_mul_f32 v55, v113, v111
	v_dual_mul_f32 v111, v112, v111 :: v_dual_add_nc_u32 v0, 1, v0
	s_delay_alu instid0(VALU_DEP_2) | instskip(NEXT) | instid1(VALU_DEP_2)
	v_fma_f32 v55, v112, v110, -v55
	v_fmac_f32_e32 v111, v113, v110
	s_delay_alu instid0(VALU_DEP_3) | instskip(NEXT) | instid1(VALU_DEP_3)
	v_cmp_lt_u32_e32 vcc_lo, 49, v0
	v_dual_add_nc_u32 v54, 8, v54 :: v_dual_add_f32 v108, v108, v55
	s_delay_alu instid0(VALU_DEP_3) | instskip(SKIP_1) | instid1(SALU_CYCLE_1)
	v_add_f32_e32 v109, v109, v111
	s_or_b32 s0, vcc_lo, s0
	s_and_not1_b32 exec_lo, exec_lo, s0
	s_cbranch_execnz .LBB51_1017
; %bb.1018:
	s_or_b32 exec_lo, exec_lo, s0
.LBB51_1019:
	s_delay_alu instid0(SALU_CYCLE_1)
	s_or_b32 exec_lo, exec_lo, s3
	v_mov_b32_e32 v0, 0
	s_movk_i32 s4, 0x19c
	s_or_b32 s1, s1, exec_lo
	ds_load_b64 v[0:1], v0 offset:408
	s_wait_dscnt 0x0
	v_dual_mul_f32 v54, v109, v1 :: v_dual_mul_f32 v148, v108, v1
	s_delay_alu instid0(VALU_DEP_1)
	v_dual_fma_f32 v1, v108, v0, -v54 :: v_dual_fmac_f32 v148, v109, v0
	scratch_store_b32 off, v1, off offset:408
.LBB51_1020:
	s_wait_xcnt 0x0
	s_or_b32 exec_lo, exec_lo, s2
.LBB51_1021:
	v_lshl_add_u64 v[144:145], v[2:3], 3, s[6:7]
	v_lshl_add_u64 v[146:147], v[4:5], 3, s[6:7]
	;; [unrolled: 1-line block ×50, first 2 shown]
	s_and_saveexec_b32 s0, s1
	s_cbranch_execz .LBB51_1023
; %bb.1022:
	scratch_store_b32 off, v148, s4
.LBB51_1023:
	s_wait_xcnt 0x0
	s_or_b32 exec_lo, exec_lo, s0
	s_clause 0x4
	scratch_load_b128 v[64:67], off, off
	scratch_load_b128 v[68:71], off, off offset:16
	scratch_load_b128 v[72:75], off, off offset:32
	;; [unrolled: 1-line block ×4, first 2 shown]
	s_wait_loadcnt 0x4
	s_clause 0x1
	global_store_b64 v[6:7], v[64:65], off
	global_store_b64 v[14:15], v[66:67], off
	s_clause 0x1
	scratch_load_b128 v[64:67], off, off offset:80
	scratch_load_b128 v[84:87], off, off offset:96
	s_wait_loadcnt 0x5
	s_clause 0x1
	global_store_b64 v[144:145], v[68:69], off
	global_store_b64 v[146:147], v[70:71], off
	s_clause 0x1
	scratch_load_b128 v[68:71], off, off offset:112
	scratch_load_b128 v[88:91], off, off offset:128
	;; [unrolled: 7-line block ×10, first 2 shown]
	s_wait_loadcnt 0xe
	s_clause 0x1
	global_store_b64 v[108:109], v[92:93], off
	global_store_b64 v[110:111], v[94:95], off
	scratch_load_b128 v[92:95], off, off offset:400
	s_wait_loadcnt 0xe
	s_clause 0x1
	global_store_b64 v[4:5], v[76:77], off
	global_store_b64 v[8:9], v[78:79], off
	s_wait_loadcnt 0xd
	s_clause 0x1
	global_store_b64 v[10:11], v[96:97], off
	global_store_b64 v[12:13], v[98:99], off
	;; [unrolled: 4-line block ×15, first 2 shown]
.LBB51_1024:
	s_sendmsg sendmsg(MSG_DEALLOC_VGPRS)
	s_endpgm
	.section	.rodata,"a",@progbits
	.p2align	6, 0x0
	.amdhsa_kernel _ZN9rocsolver6v33100L18trti2_kernel_smallILi52E19rocblas_complex_numIfEPS3_EEv13rocblas_fill_17rocblas_diagonal_T1_iil
		.amdhsa_group_segment_fixed_size 832
		.amdhsa_private_segment_fixed_size 432
		.amdhsa_kernarg_size 32
		.amdhsa_user_sgpr_count 2
		.amdhsa_user_sgpr_dispatch_ptr 0
		.amdhsa_user_sgpr_queue_ptr 0
		.amdhsa_user_sgpr_kernarg_segment_ptr 1
		.amdhsa_user_sgpr_dispatch_id 0
		.amdhsa_user_sgpr_kernarg_preload_length 0
		.amdhsa_user_sgpr_kernarg_preload_offset 0
		.amdhsa_user_sgpr_private_segment_size 0
		.amdhsa_wavefront_size32 1
		.amdhsa_uses_dynamic_stack 0
		.amdhsa_enable_private_segment 1
		.amdhsa_system_sgpr_workgroup_id_x 1
		.amdhsa_system_sgpr_workgroup_id_y 0
		.amdhsa_system_sgpr_workgroup_id_z 0
		.amdhsa_system_sgpr_workgroup_info 0
		.amdhsa_system_vgpr_workitem_id 0
		.amdhsa_next_free_vgpr 149
		.amdhsa_next_free_sgpr 34
		.amdhsa_named_barrier_count 0
		.amdhsa_reserve_vcc 1
		.amdhsa_float_round_mode_32 0
		.amdhsa_float_round_mode_16_64 0
		.amdhsa_float_denorm_mode_32 3
		.amdhsa_float_denorm_mode_16_64 3
		.amdhsa_fp16_overflow 0
		.amdhsa_memory_ordered 1
		.amdhsa_forward_progress 1
		.amdhsa_inst_pref_size 255
		.amdhsa_round_robin_scheduling 0
		.amdhsa_exception_fp_ieee_invalid_op 0
		.amdhsa_exception_fp_denorm_src 0
		.amdhsa_exception_fp_ieee_div_zero 0
		.amdhsa_exception_fp_ieee_overflow 0
		.amdhsa_exception_fp_ieee_underflow 0
		.amdhsa_exception_fp_ieee_inexact 0
		.amdhsa_exception_int_div_zero 0
	.end_amdhsa_kernel
	.section	.text._ZN9rocsolver6v33100L18trti2_kernel_smallILi52E19rocblas_complex_numIfEPS3_EEv13rocblas_fill_17rocblas_diagonal_T1_iil,"axG",@progbits,_ZN9rocsolver6v33100L18trti2_kernel_smallILi52E19rocblas_complex_numIfEPS3_EEv13rocblas_fill_17rocblas_diagonal_T1_iil,comdat
.Lfunc_end51:
	.size	_ZN9rocsolver6v33100L18trti2_kernel_smallILi52E19rocblas_complex_numIfEPS3_EEv13rocblas_fill_17rocblas_diagonal_T1_iil, .Lfunc_end51-_ZN9rocsolver6v33100L18trti2_kernel_smallILi52E19rocblas_complex_numIfEPS3_EEv13rocblas_fill_17rocblas_diagonal_T1_iil
                                        ; -- End function
	.set _ZN9rocsolver6v33100L18trti2_kernel_smallILi52E19rocblas_complex_numIfEPS3_EEv13rocblas_fill_17rocblas_diagonal_T1_iil.num_vgpr, 149
	.set _ZN9rocsolver6v33100L18trti2_kernel_smallILi52E19rocblas_complex_numIfEPS3_EEv13rocblas_fill_17rocblas_diagonal_T1_iil.num_agpr, 0
	.set _ZN9rocsolver6v33100L18trti2_kernel_smallILi52E19rocblas_complex_numIfEPS3_EEv13rocblas_fill_17rocblas_diagonal_T1_iil.numbered_sgpr, 34
	.set _ZN9rocsolver6v33100L18trti2_kernel_smallILi52E19rocblas_complex_numIfEPS3_EEv13rocblas_fill_17rocblas_diagonal_T1_iil.num_named_barrier, 0
	.set _ZN9rocsolver6v33100L18trti2_kernel_smallILi52E19rocblas_complex_numIfEPS3_EEv13rocblas_fill_17rocblas_diagonal_T1_iil.private_seg_size, 432
	.set _ZN9rocsolver6v33100L18trti2_kernel_smallILi52E19rocblas_complex_numIfEPS3_EEv13rocblas_fill_17rocblas_diagonal_T1_iil.uses_vcc, 1
	.set _ZN9rocsolver6v33100L18trti2_kernel_smallILi52E19rocblas_complex_numIfEPS3_EEv13rocblas_fill_17rocblas_diagonal_T1_iil.uses_flat_scratch, 1
	.set _ZN9rocsolver6v33100L18trti2_kernel_smallILi52E19rocblas_complex_numIfEPS3_EEv13rocblas_fill_17rocblas_diagonal_T1_iil.has_dyn_sized_stack, 0
	.set _ZN9rocsolver6v33100L18trti2_kernel_smallILi52E19rocblas_complex_numIfEPS3_EEv13rocblas_fill_17rocblas_diagonal_T1_iil.has_recursion, 0
	.set _ZN9rocsolver6v33100L18trti2_kernel_smallILi52E19rocblas_complex_numIfEPS3_EEv13rocblas_fill_17rocblas_diagonal_T1_iil.has_indirect_call, 0
	.section	.AMDGPU.csdata,"",@progbits
; Kernel info:
; codeLenInByte = 39436
; TotalNumSgprs: 36
; NumVgprs: 149
; ScratchSize: 432
; MemoryBound: 0
; FloatMode: 240
; IeeeMode: 1
; LDSByteSize: 832 bytes/workgroup (compile time only)
; SGPRBlocks: 0
; VGPRBlocks: 9
; NumSGPRsForWavesPerEU: 36
; NumVGPRsForWavesPerEU: 149
; NamedBarCnt: 0
; Occupancy: 6
; WaveLimiterHint : 0
; COMPUTE_PGM_RSRC2:SCRATCH_EN: 1
; COMPUTE_PGM_RSRC2:USER_SGPR: 2
; COMPUTE_PGM_RSRC2:TRAP_HANDLER: 0
; COMPUTE_PGM_RSRC2:TGID_X_EN: 1
; COMPUTE_PGM_RSRC2:TGID_Y_EN: 0
; COMPUTE_PGM_RSRC2:TGID_Z_EN: 0
; COMPUTE_PGM_RSRC2:TIDIG_COMP_CNT: 0
	.section	.text._ZN9rocsolver6v33100L18trti2_kernel_smallILi53E19rocblas_complex_numIfEPS3_EEv13rocblas_fill_17rocblas_diagonal_T1_iil,"axG",@progbits,_ZN9rocsolver6v33100L18trti2_kernel_smallILi53E19rocblas_complex_numIfEPS3_EEv13rocblas_fill_17rocblas_diagonal_T1_iil,comdat
	.globl	_ZN9rocsolver6v33100L18trti2_kernel_smallILi53E19rocblas_complex_numIfEPS3_EEv13rocblas_fill_17rocblas_diagonal_T1_iil ; -- Begin function _ZN9rocsolver6v33100L18trti2_kernel_smallILi53E19rocblas_complex_numIfEPS3_EEv13rocblas_fill_17rocblas_diagonal_T1_iil
	.p2align	8
	.type	_ZN9rocsolver6v33100L18trti2_kernel_smallILi53E19rocblas_complex_numIfEPS3_EEv13rocblas_fill_17rocblas_diagonal_T1_iil,@function
_ZN9rocsolver6v33100L18trti2_kernel_smallILi53E19rocblas_complex_numIfEPS3_EEv13rocblas_fill_17rocblas_diagonal_T1_iil: ; @_ZN9rocsolver6v33100L18trti2_kernel_smallILi53E19rocblas_complex_numIfEPS3_EEv13rocblas_fill_17rocblas_diagonal_T1_iil
; %bb.0:
	s_mov_b32 s2, exec_lo
	v_cmpx_gt_u32_e32 53, v0
	s_cbranch_execz .LBB52_1044
; %bb.1:
	s_load_b256 s[4:11], s[0:1], 0x0
	s_wait_xcnt 0x0
	s_bfe_u32 s0, ttmp6, 0x4000c
	s_and_b32 s1, ttmp6, 15
	s_add_co_i32 s0, s0, 1
	s_getreg_b32 s2, hwreg(HW_REG_IB_STS2, 6, 4)
	s_mul_i32 s0, ttmp9, s0
	v_dual_mov_b32 v39, 0 :: v_dual_lshlrev_b32 v38, 3, v0
	s_add_co_i32 s0, s1, s0
	s_wait_kmcnt 0x0
	v_add3_u32 v6, s9, s9, v0
	s_ashr_i32 s1, s8, 31
	s_cmp_eq_u32 s2, 0
	s_cselect_b32 s2, ttmp9, s0
	s_delay_alu instid0(VALU_DEP_1)
	v_add_nc_u32_e32 v8, s9, v6
	s_ashr_i32 s3, s2, 31
	s_mov_b32 s0, s8
	s_mul_u64 s[2:3], s[10:11], s[2:3]
	s_lshl_b64 s[0:1], s[0:1], 3
	v_add_nc_u32_e32 v10, s9, v8
	s_lshl_b64 s[2:3], s[2:3], 3
	s_delay_alu instid0(SALU_CYCLE_1) | instskip(NEXT) | instid1(SALU_CYCLE_1)
	s_add_nc_u64 s[2:3], s[6:7], s[2:3]
	s_add_nc_u64 s[6:7], s[2:3], s[0:1]
	s_delay_alu instid0(VALU_DEP_1)
	v_add_nc_u32_e32 v12, s9, v10
	v_add_nc_u64_e32 v[2:3], s[6:7], v[38:39]
	s_mov_b32 s0, s9
	s_ashr_i32 s1, s9, 31
	s_cmp_lg_u32 s5, 0x84
	v_add_nc_u32_e32 v14, s9, v12
	s_cselect_b32 s3, -1, 0
	s_delay_alu instid0(VALU_DEP_2) | instskip(SKIP_1) | instid1(VALU_DEP_2)
	v_lshl_add_u64 v[4:5], s[0:1], 3, v[2:3]
	s_mov_b32 s0, -1
	v_add_nc_u32_e32 v16, s9, v14
	s_and_b32 vcc_lo, exec_lo, s3
	s_delay_alu instid0(VALU_DEP_1)
	v_add_nc_u32_e32 v18, s9, v16
	s_clause 0x7
	global_load_b64 v[66:67], v10, s[6:7] scale_offset
	global_load_b64 v[68:69], v12, s[6:7] scale_offset
	;; [unrolled: 1-line block ×3, first 2 shown]
	global_load_b64 v[72:73], v[4:5], off
	global_load_b64 v[74:75], v6, s[6:7] scale_offset
	global_load_b64 v[76:77], v8, s[6:7] scale_offset
	;; [unrolled: 1-line block ×4, first 2 shown]
	v_add_nc_u32_e32 v20, s9, v18
	s_delay_alu instid0(VALU_DEP_1) | instskip(NEXT) | instid1(VALU_DEP_1)
	v_add_nc_u32_e32 v22, s9, v20
	v_add_nc_u32_e32 v24, s9, v22
	s_delay_alu instid0(VALU_DEP_1) | instskip(SKIP_4) | instid1(VALU_DEP_1)
	v_add_nc_u32_e32 v26, s9, v24
	s_clause 0x1
	global_load_b64 v[82:83], v18, s[6:7] scale_offset
	global_load_b64 v[84:85], v20, s[6:7] scale_offset
	v_add_nc_u32_e32 v28, s9, v26
	v_add_nc_u32_e32 v30, s9, v28
	s_clause 0x1
	global_load_b64 v[86:87], v22, s[6:7] scale_offset
	global_load_b64 v[88:89], v24, s[6:7] scale_offset
	v_add_nc_u32_e32 v32, s9, v30
	s_delay_alu instid0(VALU_DEP_1) | instskip(NEXT) | instid1(VALU_DEP_1)
	v_add_nc_u32_e32 v34, s9, v32
	v_add_nc_u32_e32 v36, s9, v34
	s_delay_alu instid0(VALU_DEP_1)
	v_add_nc_u32_e32 v40, s9, v36
	s_clause 0x3
	global_load_b64 v[90:91], v26, s[6:7] scale_offset
	global_load_b64 v[92:93], v28, s[6:7] scale_offset
	;; [unrolled: 1-line block ×4, first 2 shown]
	v_add_nc_u32_e32 v42, s9, v40
	s_delay_alu instid0(VALU_DEP_1)
	v_add_nc_u32_e32 v44, s9, v42
	s_clause 0x3
	global_load_b64 v[98:99], v34, s[6:7] scale_offset
	global_load_b64 v[100:101], v36, s[6:7] scale_offset
	;; [unrolled: 1-line block ×4, first 2 shown]
	v_add_nc_u32_e32 v46, s9, v44
	s_delay_alu instid0(VALU_DEP_1) | instskip(NEXT) | instid1(VALU_DEP_1)
	v_add_nc_u32_e32 v48, s9, v46
	v_add_nc_u32_e32 v50, s9, v48
	s_delay_alu instid0(VALU_DEP_1) | instskip(NEXT) | instid1(VALU_DEP_1)
	v_add_nc_u32_e32 v52, s9, v50
	v_add_nc_u32_e32 v54, s9, v52
	s_delay_alu instid0(VALU_DEP_1)
	v_add_nc_u32_e32 v56, s9, v54
	s_clause 0x3
	global_load_b64 v[106:107], v44, s[6:7] scale_offset
	global_load_b64 v[108:109], v46, s[6:7] scale_offset
	;; [unrolled: 1-line block ×4, first 2 shown]
	v_add_nc_u32_e32 v58, s9, v56
	s_delay_alu instid0(VALU_DEP_1) | instskip(NEXT) | instid1(VALU_DEP_1)
	v_add_nc_u32_e32 v60, s9, v58
	v_add_nc_u32_e32 v62, s9, v60
	s_delay_alu instid0(VALU_DEP_1)
	v_add_nc_u32_e32 v64, s9, v62
	s_clause 0x3
	global_load_b64 v[114:115], v52, s[6:7] scale_offset
	global_load_b64 v[116:117], v54, s[6:7] scale_offset
	;; [unrolled: 1-line block ×4, first 2 shown]
	s_wait_loadcnt 0x1a
	scratch_store_b128 off, v[66:69], off offset:32
	s_wait_xcnt 0x0
	v_add_nc_u32_e32 v66, s9, v64
	s_delay_alu instid0(VALU_DEP_1)
	v_add_nc_u32_e32 v68, s9, v66
	s_clause 0x1
	global_load_b64 v[122:123], v60, s[6:7] scale_offset
	global_load_b64 v[124:125], v62, s[6:7] scale_offset
	s_wait_loadcnt 0x1a
	scratch_store_b128 off, v[70:73], off
	s_clause 0x1
	global_load_b64 v[126:127], v64, s[6:7] scale_offset
	global_load_b64 v[128:129], v66, s[6:7] scale_offset
	s_wait_loadcnt 0x1a
	scratch_store_b128 off, v[74:77], off offset:16
	s_wait_loadcnt 0x18
	scratch_store_b128 off, v[78:81], off offset:48
	s_wait_xcnt 0x4
	v_add_nc_u32_e32 v70, s9, v68
	s_delay_alu instid0(VALU_DEP_1) | instskip(SKIP_4) | instid1(VALU_DEP_1)
	v_add_nc_u32_e32 v72, s9, v70
	s_wait_loadcnt 0x16
	scratch_store_b128 off, v[82:85], off offset:64
	s_wait_xcnt 0x2
	v_add_nc_u32_e32 v74, s9, v72
	v_add_nc_u32_e32 v76, s9, v74
	s_wait_loadcnt 0x14
	scratch_store_b128 off, v[86:89], off offset:80
	s_wait_xcnt 0x2
	v_add_nc_u32_e32 v78, s9, v76
	s_delay_alu instid0(VALU_DEP_1) | instskip(SKIP_1) | instid1(VALU_DEP_1)
	v_add_nc_u32_e32 v80, s9, v78
	s_wait_xcnt 0x1
	v_add_nc_u32_e32 v82, s9, v80
	s_delay_alu instid0(VALU_DEP_1)
	v_add_nc_u32_e32 v84, s9, v82
	s_wait_loadcnt 0x12
	scratch_store_b128 off, v[90:93], off offset:96
	s_wait_loadcnt 0x10
	scratch_store_b128 off, v[94:97], off offset:112
	s_clause 0x1
	global_load_b64 v[130:131], v68, s[6:7] scale_offset
	global_load_b64 v[132:133], v70, s[6:7] scale_offset
	s_wait_xcnt 0x4
	v_add_nc_u32_e32 v86, s9, v84
	s_delay_alu instid0(VALU_DEP_1)
	v_add_nc_u32_e32 v88, s9, v86
	s_wait_loadcnt 0x10
	scratch_store_b128 off, v[98:101], off offset:128
	s_wait_loadcnt 0xe
	scratch_store_b128 off, v[102:105], off offset:144
	s_clause 0x1
	global_load_b64 v[100:101], v72, s[6:7] scale_offset
	global_load_b64 v[102:103], v74, s[6:7] scale_offset
	v_add_nc_u32_e32 v90, s9, v88
	s_delay_alu instid0(VALU_DEP_1) | instskip(NEXT) | instid1(VALU_DEP_1)
	v_add_nc_u32_e32 v92, s9, v90
	v_add_nc_u32_e32 v94, s9, v92
	s_delay_alu instid0(VALU_DEP_1) | instskip(NEXT) | instid1(VALU_DEP_1)
	v_add_nc_u32_e32 v96, s9, v94
	v_add_nc_u32_e32 v98, s9, v96
	s_wait_loadcnt 0xe
	scratch_store_b128 off, v[106:109], off offset:160
	s_wait_loadcnt 0xc
	scratch_store_b128 off, v[110:113], off offset:176
	s_clause 0x1
	global_load_b64 v[104:105], v76, s[6:7] scale_offset
	global_load_b64 v[106:107], v78, s[6:7] scale_offset
	s_wait_loadcnt 0xc
	scratch_store_b128 off, v[114:117], off offset:192
	s_clause 0x1
	global_load_b64 v[108:109], v80, s[6:7] scale_offset
	global_load_b64 v[110:111], v82, s[6:7] scale_offset
	s_wait_loadcnt 0xc
	scratch_store_b128 off, v[118:121], off offset:208
	s_wait_loadcnt 0xa
	scratch_store_b128 off, v[122:125], off offset:224
	s_clause 0x3
	global_load_b64 v[112:113], v84, s[6:7] scale_offset
	global_load_b64 v[114:115], v86, s[6:7] scale_offset
	;; [unrolled: 1-line block ×4, first 2 shown]
	s_wait_loadcnt 0xc
	scratch_store_b128 off, v[126:129], off offset:240
	s_clause 0x1
	global_load_b64 v[120:121], v92, s[6:7] scale_offset
	global_load_b64 v[122:123], v94, s[6:7] scale_offset
	s_wait_loadcnt 0xc
	scratch_store_b128 off, v[130:133], off offset:256
	s_wait_loadcnt 0xa
	scratch_store_b128 off, v[100:103], off offset:272
	s_wait_xcnt 0x0
	v_add_nc_u32_e32 v100, s9, v98
	s_delay_alu instid0(VALU_DEP_1) | instskip(SKIP_4) | instid1(VALU_DEP_1)
	v_add_nc_u32_e32 v102, s9, v100
	s_wait_loadcnt 0x8
	scratch_store_b128 off, v[104:107], off offset:288
	s_wait_xcnt 0x0
	v_add_nc_u32_e32 v104, s9, v102
	v_add_nc_u32_e32 v106, s9, v104
	s_wait_loadcnt 0x6
	scratch_store_b128 off, v[108:111], off offset:304
	s_clause 0x1
	global_load_b64 v[124:125], v96, s[6:7] scale_offset
	global_load_b64 v[126:127], v98, s[6:7] scale_offset
	s_wait_xcnt 0x2
	v_add_nc_u32_e32 v108, s9, v106
	s_wait_loadcnt 0x6
	scratch_store_b128 off, v[112:115], off offset:320
	s_wait_loadcnt 0x4
	scratch_store_b128 off, v[116:119], off offset:336
	;; [unrolled: 2-line block ×3, first 2 shown]
	s_clause 0x4
	global_load_b64 v[110:111], v100, s[6:7] scale_offset
	global_load_b64 v[112:113], v102, s[6:7] scale_offset
	;; [unrolled: 1-line block ×5, first 2 shown]
	s_wait_loadcnt 0x5
	scratch_store_b128 off, v[124:127], off offset:368
	s_wait_loadcnt 0x3
	scratch_store_b128 off, v[110:113], off offset:384
	;; [unrolled: 2-line block ×3, first 2 shown]
	s_wait_loadcnt 0x0
	scratch_store_b64 off, v[118:119], off offset:416
	s_cbranch_vccz .LBB52_7
; %bb.2:
	scratch_load_b64 v[110:111], v0, off scale_offset
                                        ; implicit-def: $vgpr115
                                        ; implicit-def: $vgpr112
	s_wait_loadcnt 0x0
	v_cmp_ngt_f32_e64 s0, |v110|, |v111|
	s_wait_xcnt 0x0
	s_and_saveexec_b32 s1, s0
	s_delay_alu instid0(SALU_CYCLE_1)
	s_xor_b32 s0, exec_lo, s1
	s_cbranch_execz .LBB52_4
; %bb.3:
	v_div_scale_f32 v1, null, v111, v111, v110
	v_div_scale_f32 v11, vcc_lo, v110, v111, v110
	s_delay_alu instid0(VALU_DEP_2) | instskip(SKIP_1) | instid1(TRANS32_DEP_1)
	v_rcp_f32_e32 v7, v1
	v_nop
	v_fma_f32 v9, -v1, v7, 1.0
	s_delay_alu instid0(VALU_DEP_1) | instskip(NEXT) | instid1(VALU_DEP_1)
	v_fmac_f32_e32 v7, v9, v7
	v_mul_f32_e32 v9, v11, v7
	s_delay_alu instid0(VALU_DEP_1) | instskip(NEXT) | instid1(VALU_DEP_1)
	v_fma_f32 v13, -v1, v9, v11
	v_fmac_f32_e32 v9, v13, v7
	s_delay_alu instid0(VALU_DEP_1) | instskip(NEXT) | instid1(VALU_DEP_1)
	v_fma_f32 v1, -v1, v9, v11
	v_div_fmas_f32 v1, v1, v7, v9
	s_delay_alu instid0(VALU_DEP_1) | instskip(NEXT) | instid1(VALU_DEP_1)
	v_div_fixup_f32 v1, v1, v111, v110
	v_fmac_f32_e32 v111, v110, v1
	s_delay_alu instid0(VALU_DEP_1) | instskip(NEXT) | instid1(VALU_DEP_1)
	v_div_scale_f32 v7, null, v111, v111, -1.0
	v_rcp_f32_e32 v9, v7
	v_nop
	s_delay_alu instid0(TRANS32_DEP_1) | instskip(NEXT) | instid1(VALU_DEP_1)
	v_fma_f32 v11, -v7, v9, 1.0
	v_fmac_f32_e32 v9, v11, v9
	v_div_scale_f32 v11, vcc_lo, -1.0, v111, -1.0
	s_delay_alu instid0(VALU_DEP_1) | instskip(NEXT) | instid1(VALU_DEP_1)
	v_mul_f32_e32 v13, v11, v9
	v_fma_f32 v15, -v7, v13, v11
	s_delay_alu instid0(VALU_DEP_1) | instskip(NEXT) | instid1(VALU_DEP_1)
	v_fmac_f32_e32 v13, v15, v9
	v_fma_f32 v7, -v7, v13, v11
	s_delay_alu instid0(VALU_DEP_1) | instskip(NEXT) | instid1(VALU_DEP_1)
	v_div_fmas_f32 v7, v7, v9, v13
	v_div_fixup_f32 v115, v7, v111, -1.0
                                        ; implicit-def: $vgpr110_vgpr111
	s_delay_alu instid0(VALU_DEP_1) | instskip(NEXT) | instid1(VALU_DEP_1)
	v_mul_f32_e32 v112, v1, v115
	v_xor_b32_e32 v114, 0x80000000, v112
.LBB52_4:
	s_or_saveexec_b32 s0, s0
	v_lshl_add_u32 v1, v0, 3, 0
	s_xor_b32 exec_lo, exec_lo, s0
	s_cbranch_execz .LBB52_6
; %bb.5:
	v_div_scale_f32 v7, null, v110, v110, v111
	v_div_scale_f32 v13, vcc_lo, v111, v110, v111
	s_delay_alu instid0(VALU_DEP_2) | instskip(SKIP_1) | instid1(TRANS32_DEP_1)
	v_rcp_f32_e32 v9, v7
	v_nop
	v_fma_f32 v11, -v7, v9, 1.0
	s_delay_alu instid0(VALU_DEP_1) | instskip(NEXT) | instid1(VALU_DEP_1)
	v_fmac_f32_e32 v9, v11, v9
	v_mul_f32_e32 v11, v13, v9
	s_delay_alu instid0(VALU_DEP_1) | instskip(NEXT) | instid1(VALU_DEP_1)
	v_fma_f32 v15, -v7, v11, v13
	v_fmac_f32_e32 v11, v15, v9
	s_delay_alu instid0(VALU_DEP_1) | instskip(NEXT) | instid1(VALU_DEP_1)
	v_fma_f32 v7, -v7, v11, v13
	v_div_fmas_f32 v7, v7, v9, v11
	s_delay_alu instid0(VALU_DEP_1) | instskip(NEXT) | instid1(VALU_DEP_1)
	v_div_fixup_f32 v7, v7, v110, v111
	v_fmac_f32_e32 v110, v111, v7
	s_delay_alu instid0(VALU_DEP_1) | instskip(SKIP_1) | instid1(VALU_DEP_2)
	v_div_scale_f32 v9, null, v110, v110, 1.0
	v_div_scale_f32 v15, vcc_lo, 1.0, v110, 1.0
	v_rcp_f32_e32 v11, v9
	v_nop
	s_delay_alu instid0(TRANS32_DEP_1) | instskip(NEXT) | instid1(VALU_DEP_1)
	v_fma_f32 v13, -v9, v11, 1.0
	v_fmac_f32_e32 v11, v13, v11
	s_delay_alu instid0(VALU_DEP_1) | instskip(NEXT) | instid1(VALU_DEP_1)
	v_mul_f32_e32 v13, v15, v11
	v_fma_f32 v17, -v9, v13, v15
	s_delay_alu instid0(VALU_DEP_1) | instskip(NEXT) | instid1(VALU_DEP_1)
	v_fmac_f32_e32 v13, v17, v11
	v_fma_f32 v9, -v9, v13, v15
	s_delay_alu instid0(VALU_DEP_1) | instskip(NEXT) | instid1(VALU_DEP_1)
	v_div_fmas_f32 v9, v9, v11, v13
	v_div_fixup_f32 v114, v9, v110, 1.0
	s_delay_alu instid0(VALU_DEP_1)
	v_xor_b32_e32 v112, 0x80000000, v114
	v_mul_f32_e64 v115, v7, -v114
.LBB52_6:
	s_or_b32 exec_lo, exec_lo, s0
	s_delay_alu instid0(VALU_DEP_1)
	v_xor_b32_e32 v113, 0x80000000, v115
	s_mov_b32 s0, 0
	scratch_store_b64 v1, v[114:115], off
	ds_store_b64 v38, v[112:113]
.LBB52_7:
	s_and_b32 vcc_lo, exec_lo, s0
	s_cbranch_vccz .LBB52_9
; %bb.8:
	s_mov_b64 s[0:1], 0xbf800000
	s_wait_xcnt 0x2
	v_mov_b64_e32 v[110:111], s[0:1]
	ds_store_b64 v38, v[110:111]
.LBB52_9:
	v_dual_ashrrev_i32 v7, 31, v6 :: v_dual_ashrrev_i32 v9, 31, v8
	v_dual_ashrrev_i32 v11, 31, v10 :: v_dual_ashrrev_i32 v13, 31, v12
	;; [unrolled: 1-line block ×25, first 2 shown]
	v_dual_ashrrev_i32 v109, 31, v108 :: v_dual_mov_b32 v39, v38
	s_wait_xcnt 0x0
	v_add_nc_u32_e32 v1, 0x1b0, v38
	s_cmp_eq_u32 s4, 0x79
	s_cbranch_scc1 .LBB52_13
; %bb.10:
	scratch_load_b64 v[110:111], off, off offset:408
	v_cmp_eq_u32_e64 s0, 52, v0
	s_movk_i32 s1, 0x50
	s_movk_i32 s2, 0x60
	;; [unrolled: 1-line block ×21, first 2 shown]
	s_wait_loadcnt 0x0
	ds_store_b64 v1, v[110:111]
	s_wait_storecnt_dscnt 0x0
	s_barrier_signal -1
	s_barrier_wait -1
	s_wait_xcnt 0x0
	s_and_saveexec_b32 s4, s0
	s_cbranch_execz .LBB52_17
; %bb.11:
	s_and_b32 vcc_lo, exec_lo, s3
	s_cbranch_vccz .LBB52_14
; %bb.12:
	scratch_load_b64 v[110:111], v39, off
	ds_load_b64 v[112:113], v1
	s_wait_loadcnt_dscnt 0x0
	v_pk_mul_f32 v[114:115], v[112:113], v[110:111] op_sel:[1,1] op_sel_hi:[0,1]
	v_pk_mul_f32 v[116:117], v[112:113], v[110:111] op_sel_hi:[1,0]
	s_delay_alu instid0(VALU_DEP_2) | instskip(NEXT) | instid1(VALU_DEP_2)
	v_pk_fma_f32 v[110:111], v[112:113], v[110:111], v[114:115] op_sel_hi:[1,0,1]
	v_sub_f32_e32 v110, v116, v114
	s_cbranch_execz .LBB52_15
	s_branch .LBB52_16
.LBB52_13:
	s_mov_b32 s1, 0
                                        ; implicit-def: $vgpr150
                                        ; implicit-def: $sgpr4
	s_cbranch_execnz .LBB52_526
	s_branch .LBB52_1041
.LBB52_14:
                                        ; implicit-def: $vgpr111
.LBB52_15:
	ds_load_b64 v[110:111], v1
.LBB52_16:
	s_wait_dscnt 0x0
	v_dual_mov_b32 v112, 0 :: v_dual_mov_b32 v114, v111
	v_mov_b32_e32 v115, v110
	ds_load_b64 v[112:113], v112 offset:408
	s_wait_dscnt 0x0
	v_pk_mul_f32 v[114:115], v[114:115], v[112:113] op_sel:[0,1]
	s_delay_alu instid0(VALU_DEP_1) | instskip(SKIP_1) | instid1(VALU_DEP_2)
	v_pk_fma_f32 v[116:117], v[110:111], v[112:113], v[114:115] op_sel_hi:[1,0,1]
	v_pk_fma_f32 v[110:111], v[110:111], v[112:113], v[114:115] neg_lo:[0,0,1] neg_hi:[0,0,1]
	v_mov_b32_e32 v111, v117
	scratch_store_b64 off, v[110:111], off offset:408
.LBB52_17:
	s_wait_xcnt 0x0
	s_or_b32 exec_lo, exec_lo, s4
	scratch_load_b64 v[110:111], off, off offset:400
	s_mov_b32 s11, s2
	v_cmp_lt_u32_e64 s2, 50, v0
	s_mov_b32 s4, 16
	s_mov_b32 s5, 32
	;; [unrolled: 1-line block ×5, first 2 shown]
	s_wait_loadcnt 0x0
	ds_store_b64 v1, v[110:111]
	s_wait_storecnt_dscnt 0x0
	s_barrier_signal -1
	s_barrier_wait -1
	s_wait_xcnt 0x0
	s_and_saveexec_b32 s1, s2
	s_cbranch_execz .LBB52_25
; %bb.18:
	s_and_not1_b32 vcc_lo, exec_lo, s3
	s_cbranch_vccnz .LBB52_20
; %bb.19:
	scratch_load_b64 v[110:111], v39, off
	ds_load_b64 v[112:113], v1
	s_wait_loadcnt_dscnt 0x0
	v_pk_mul_f32 v[114:115], v[112:113], v[110:111] op_sel:[1,1] op_sel_hi:[0,1]
	s_delay_alu instid0(VALU_DEP_1) | instskip(SKIP_1) | instid1(VALU_DEP_2)
	v_pk_fma_f32 v[116:117], v[112:113], v[110:111], v[114:115] op_sel_hi:[1,0,1]
	v_pk_fma_f32 v[110:111], v[112:113], v[110:111], v[114:115] neg_lo:[0,0,1] neg_hi:[0,0,1]
	v_mov_b32_e32 v111, v117
	s_cbranch_execz .LBB52_21
	s_branch .LBB52_22
.LBB52_20:
                                        ; implicit-def: $vgpr110_vgpr111
.LBB52_21:
	ds_load_b64 v[110:111], v1
.LBB52_22:
	s_and_saveexec_b32 s31, s0
	s_cbranch_execz .LBB52_24
; %bb.23:
	scratch_load_b64 v[112:113], off, off offset:408
	v_mov_b32_e32 v114, 0
	ds_load_b64 v[114:115], v114 offset:840
	s_wait_loadcnt_dscnt 0x0
	v_pk_mul_f32 v[116:117], v[114:115], v[112:113] op_sel:[1,1] op_sel_hi:[0,1]
	s_delay_alu instid0(VALU_DEP_1) | instskip(SKIP_1) | instid1(VALU_DEP_2)
	v_pk_fma_f32 v[118:119], v[114:115], v[112:113], v[116:117] op_sel_hi:[1,0,1]
	v_pk_fma_f32 v[112:113], v[114:115], v[112:113], v[116:117] neg_lo:[0,0,1] neg_hi:[0,0,1]
	v_mov_b32_e32 v113, v119
	s_delay_alu instid0(VALU_DEP_1)
	v_pk_add_f32 v[110:111], v[110:111], v[112:113]
.LBB52_24:
	s_or_b32 exec_lo, exec_lo, s31
	v_mov_b32_e32 v112, 0
	ds_load_b64 v[112:113], v112 offset:400
	s_wait_dscnt 0x0
	v_pk_mul_f32 v[114:115], v[110:111], v[112:113] op_sel:[1,1] op_sel_hi:[0,1]
	s_delay_alu instid0(VALU_DEP_1) | instskip(SKIP_1) | instid1(VALU_DEP_2)
	v_pk_fma_f32 v[116:117], v[110:111], v[112:113], v[114:115] op_sel_hi:[1,0,1]
	v_pk_fma_f32 v[110:111], v[110:111], v[112:113], v[114:115] neg_lo:[0,0,1] neg_hi:[0,0,1]
	v_mov_b32_e32 v111, v117
	scratch_store_b64 off, v[110:111], off offset:400
.LBB52_25:
	s_wait_xcnt 0x0
	s_or_b32 exec_lo, exec_lo, s1
	scratch_load_b64 v[110:111], off, off offset:392
	v_cmp_lt_u32_e64 s1, 49, v0
	s_wait_loadcnt 0x0
	ds_store_b64 v1, v[110:111]
	s_wait_storecnt_dscnt 0x0
	s_barrier_signal -1
	s_barrier_wait -1
	s_wait_xcnt 0x0
	s_and_saveexec_b32 s0, s1
	s_cbranch_execz .LBB52_35
; %bb.26:
	s_and_not1_b32 vcc_lo, exec_lo, s3
	s_cbranch_vccnz .LBB52_28
; %bb.27:
	scratch_load_b64 v[110:111], v39, off
	ds_load_b64 v[112:113], v1
	s_wait_loadcnt_dscnt 0x0
	v_pk_mul_f32 v[114:115], v[112:113], v[110:111] op_sel:[1,1] op_sel_hi:[0,1]
	s_delay_alu instid0(VALU_DEP_1) | instskip(SKIP_1) | instid1(VALU_DEP_2)
	v_pk_fma_f32 v[116:117], v[112:113], v[110:111], v[114:115] op_sel_hi:[1,0,1]
	v_pk_fma_f32 v[110:111], v[112:113], v[110:111], v[114:115] neg_lo:[0,0,1] neg_hi:[0,0,1]
	v_mov_b32_e32 v111, v117
	s_cbranch_execz .LBB52_29
	s_branch .LBB52_30
.LBB52_28:
                                        ; implicit-def: $vgpr110_vgpr111
.LBB52_29:
	ds_load_b64 v[110:111], v1
.LBB52_30:
	s_and_saveexec_b32 s31, s2
	s_cbranch_execz .LBB52_34
; %bb.31:
	v_subrev_nc_u32_e32 v112, 50, v0
	s_movk_i32 s33, 0x340
	s_mov_b32 s2, 0
.LBB52_32:                              ; =>This Inner Loop Header: Depth=1
	scratch_load_b64 v[114:115], off, s30
	v_dual_mov_b32 v113, s33 :: v_dual_add_nc_u32 v112, -1, v112
	s_add_co_i32 s33, s33, 8
	s_wait_xcnt 0x0
	s_add_co_i32 s30, s30, 8
	ds_load_b64 v[116:117], v113
	v_cmp_eq_u32_e32 vcc_lo, 0, v112
	s_or_b32 s2, vcc_lo, s2
	s_wait_loadcnt_dscnt 0x0
	v_pk_mul_f32 v[118:119], v[116:117], v[114:115] op_sel:[1,1] op_sel_hi:[0,1]
	s_delay_alu instid0(VALU_DEP_1) | instskip(SKIP_1) | instid1(VALU_DEP_2)
	v_pk_fma_f32 v[120:121], v[116:117], v[114:115], v[118:119] op_sel_hi:[1,0,1]
	v_pk_fma_f32 v[114:115], v[116:117], v[114:115], v[118:119] neg_lo:[0,0,1] neg_hi:[0,0,1]
	v_mov_b32_e32 v115, v121
	s_delay_alu instid0(VALU_DEP_1)
	v_pk_add_f32 v[110:111], v[110:111], v[114:115]
	s_and_not1_b32 exec_lo, exec_lo, s2
	s_cbranch_execnz .LBB52_32
; %bb.33:
	s_or_b32 exec_lo, exec_lo, s2
.LBB52_34:
	s_delay_alu instid0(SALU_CYCLE_1) | instskip(SKIP_4) | instid1(VALU_DEP_1)
	s_or_b32 exec_lo, exec_lo, s31
	v_mov_b32_e32 v112, 0
	ds_load_b64 v[112:113], v112 offset:392
	s_wait_dscnt 0x0
	v_pk_mul_f32 v[114:115], v[110:111], v[112:113] op_sel:[1,1] op_sel_hi:[0,1]
	v_pk_fma_f32 v[116:117], v[110:111], v[112:113], v[114:115] op_sel_hi:[1,0,1]
	v_pk_fma_f32 v[110:111], v[110:111], v[112:113], v[114:115] neg_lo:[0,0,1] neg_hi:[0,0,1]
	s_delay_alu instid0(VALU_DEP_2)
	v_mov_b32_e32 v111, v117
	scratch_store_b64 off, v[110:111], off offset:392
.LBB52_35:
	s_wait_xcnt 0x0
	s_or_b32 exec_lo, exec_lo, s0
	scratch_load_b64 v[110:111], off, off offset:384
	v_cmp_lt_u32_e64 s0, 48, v0
	s_wait_loadcnt 0x0
	ds_store_b64 v1, v[110:111]
	s_wait_storecnt_dscnt 0x0
	s_barrier_signal -1
	s_barrier_wait -1
	s_wait_xcnt 0x0
	s_and_saveexec_b32 s2, s0
	s_cbranch_execz .LBB52_45
; %bb.36:
	s_and_not1_b32 vcc_lo, exec_lo, s3
	s_cbranch_vccnz .LBB52_38
; %bb.37:
	scratch_load_b64 v[110:111], v39, off
	ds_load_b64 v[112:113], v1
	s_wait_loadcnt_dscnt 0x0
	v_pk_mul_f32 v[114:115], v[112:113], v[110:111] op_sel:[1,1] op_sel_hi:[0,1]
	s_delay_alu instid0(VALU_DEP_1) | instskip(SKIP_1) | instid1(VALU_DEP_2)
	v_pk_fma_f32 v[116:117], v[112:113], v[110:111], v[114:115] op_sel_hi:[1,0,1]
	v_pk_fma_f32 v[110:111], v[112:113], v[110:111], v[114:115] neg_lo:[0,0,1] neg_hi:[0,0,1]
	v_mov_b32_e32 v111, v117
	s_cbranch_execz .LBB52_39
	s_branch .LBB52_40
.LBB52_38:
                                        ; implicit-def: $vgpr110_vgpr111
.LBB52_39:
	ds_load_b64 v[110:111], v1
.LBB52_40:
	s_and_saveexec_b32 s30, s1
	s_cbranch_execz .LBB52_44
; %bb.41:
	v_subrev_nc_u32_e32 v112, 49, v0
	s_movk_i32 s1, 0x188
	s_movk_i32 s33, 0x338
	s_mov_b32 s31, 0
.LBB52_42:                              ; =>This Inner Loop Header: Depth=1
	scratch_load_b64 v[114:115], off, s1
	v_dual_mov_b32 v113, s33 :: v_dual_add_nc_u32 v112, -1, v112
	s_add_co_i32 s33, s33, 8
	s_wait_xcnt 0x0
	s_add_co_i32 s1, s1, 8
	ds_load_b64 v[116:117], v113
	v_cmp_eq_u32_e32 vcc_lo, 0, v112
	s_or_b32 s31, vcc_lo, s31
	s_wait_loadcnt_dscnt 0x0
	v_pk_mul_f32 v[118:119], v[116:117], v[114:115] op_sel:[1,1] op_sel_hi:[0,1]
	s_delay_alu instid0(VALU_DEP_1) | instskip(SKIP_1) | instid1(VALU_DEP_2)
	v_pk_fma_f32 v[120:121], v[116:117], v[114:115], v[118:119] op_sel_hi:[1,0,1]
	v_pk_fma_f32 v[114:115], v[116:117], v[114:115], v[118:119] neg_lo:[0,0,1] neg_hi:[0,0,1]
	v_mov_b32_e32 v115, v121
	s_delay_alu instid0(VALU_DEP_1)
	v_pk_add_f32 v[110:111], v[110:111], v[114:115]
	s_and_not1_b32 exec_lo, exec_lo, s31
	s_cbranch_execnz .LBB52_42
; %bb.43:
	s_or_b32 exec_lo, exec_lo, s31
.LBB52_44:
	s_delay_alu instid0(SALU_CYCLE_1) | instskip(SKIP_4) | instid1(VALU_DEP_1)
	s_or_b32 exec_lo, exec_lo, s30
	v_mov_b32_e32 v112, 0
	ds_load_b64 v[112:113], v112 offset:384
	s_wait_dscnt 0x0
	v_pk_mul_f32 v[114:115], v[110:111], v[112:113] op_sel:[1,1] op_sel_hi:[0,1]
	v_pk_fma_f32 v[116:117], v[110:111], v[112:113], v[114:115] op_sel_hi:[1,0,1]
	v_pk_fma_f32 v[110:111], v[110:111], v[112:113], v[114:115] neg_lo:[0,0,1] neg_hi:[0,0,1]
	s_delay_alu instid0(VALU_DEP_2)
	v_mov_b32_e32 v111, v117
	scratch_store_b64 off, v[110:111], off offset:384
.LBB52_45:
	s_wait_xcnt 0x0
	s_or_b32 exec_lo, exec_lo, s2
	scratch_load_b64 v[110:111], off, off offset:376
	v_cmp_lt_u32_e64 s1, 47, v0
	s_wait_loadcnt 0x0
	ds_store_b64 v1, v[110:111]
	s_wait_storecnt_dscnt 0x0
	s_barrier_signal -1
	s_barrier_wait -1
	s_wait_xcnt 0x0
	s_and_saveexec_b32 s2, s1
	s_cbranch_execz .LBB52_55
; %bb.46:
	s_and_not1_b32 vcc_lo, exec_lo, s3
	s_cbranch_vccnz .LBB52_48
; %bb.47:
	scratch_load_b64 v[110:111], v39, off
	ds_load_b64 v[112:113], v1
	s_wait_loadcnt_dscnt 0x0
	v_pk_mul_f32 v[114:115], v[112:113], v[110:111] op_sel:[1,1] op_sel_hi:[0,1]
	s_delay_alu instid0(VALU_DEP_1) | instskip(SKIP_1) | instid1(VALU_DEP_2)
	v_pk_fma_f32 v[116:117], v[112:113], v[110:111], v[114:115] op_sel_hi:[1,0,1]
	v_pk_fma_f32 v[110:111], v[112:113], v[110:111], v[114:115] neg_lo:[0,0,1] neg_hi:[0,0,1]
	v_mov_b32_e32 v111, v117
	s_cbranch_execz .LBB52_49
	s_branch .LBB52_50
.LBB52_48:
                                        ; implicit-def: $vgpr110_vgpr111
.LBB52_49:
	ds_load_b64 v[110:111], v1
.LBB52_50:
	s_and_saveexec_b32 s30, s0
	s_cbranch_execz .LBB52_54
; %bb.51:
	v_subrev_nc_u32_e32 v112, 48, v0
	s_movk_i32 s31, 0x330
	s_mov_b32 s0, 0
.LBB52_52:                              ; =>This Inner Loop Header: Depth=1
	scratch_load_b64 v[114:115], off, s29
	v_dual_mov_b32 v113, s31 :: v_dual_add_nc_u32 v112, -1, v112
	s_add_co_i32 s31, s31, 8
	s_wait_xcnt 0x0
	s_add_co_i32 s29, s29, 8
	ds_load_b64 v[116:117], v113
	v_cmp_eq_u32_e32 vcc_lo, 0, v112
	s_or_b32 s0, vcc_lo, s0
	s_wait_loadcnt_dscnt 0x0
	v_pk_mul_f32 v[118:119], v[116:117], v[114:115] op_sel:[1,1] op_sel_hi:[0,1]
	s_delay_alu instid0(VALU_DEP_1) | instskip(SKIP_1) | instid1(VALU_DEP_2)
	v_pk_fma_f32 v[120:121], v[116:117], v[114:115], v[118:119] op_sel_hi:[1,0,1]
	v_pk_fma_f32 v[114:115], v[116:117], v[114:115], v[118:119] neg_lo:[0,0,1] neg_hi:[0,0,1]
	v_mov_b32_e32 v115, v121
	s_delay_alu instid0(VALU_DEP_1)
	v_pk_add_f32 v[110:111], v[110:111], v[114:115]
	s_and_not1_b32 exec_lo, exec_lo, s0
	s_cbranch_execnz .LBB52_52
; %bb.53:
	s_or_b32 exec_lo, exec_lo, s0
.LBB52_54:
	s_delay_alu instid0(SALU_CYCLE_1) | instskip(SKIP_4) | instid1(VALU_DEP_1)
	s_or_b32 exec_lo, exec_lo, s30
	v_mov_b32_e32 v112, 0
	ds_load_b64 v[112:113], v112 offset:376
	s_wait_dscnt 0x0
	v_pk_mul_f32 v[114:115], v[110:111], v[112:113] op_sel:[1,1] op_sel_hi:[0,1]
	v_pk_fma_f32 v[116:117], v[110:111], v[112:113], v[114:115] op_sel_hi:[1,0,1]
	v_pk_fma_f32 v[110:111], v[110:111], v[112:113], v[114:115] neg_lo:[0,0,1] neg_hi:[0,0,1]
	s_delay_alu instid0(VALU_DEP_2)
	v_mov_b32_e32 v111, v117
	scratch_store_b64 off, v[110:111], off offset:376
.LBB52_55:
	s_wait_xcnt 0x0
	s_or_b32 exec_lo, exec_lo, s2
	scratch_load_b64 v[110:111], off, off offset:368
	v_cmp_lt_u32_e64 s0, 46, v0
	s_wait_loadcnt 0x0
	ds_store_b64 v1, v[110:111]
	s_wait_storecnt_dscnt 0x0
	s_barrier_signal -1
	s_barrier_wait -1
	s_wait_xcnt 0x0
	s_and_saveexec_b32 s2, s0
	s_cbranch_execz .LBB52_65
; %bb.56:
	s_and_not1_b32 vcc_lo, exec_lo, s3
	s_cbranch_vccnz .LBB52_58
; %bb.57:
	scratch_load_b64 v[110:111], v39, off
	ds_load_b64 v[112:113], v1
	s_wait_loadcnt_dscnt 0x0
	v_pk_mul_f32 v[114:115], v[112:113], v[110:111] op_sel:[1,1] op_sel_hi:[0,1]
	s_delay_alu instid0(VALU_DEP_1) | instskip(SKIP_1) | instid1(VALU_DEP_2)
	v_pk_fma_f32 v[116:117], v[112:113], v[110:111], v[114:115] op_sel_hi:[1,0,1]
	v_pk_fma_f32 v[110:111], v[112:113], v[110:111], v[114:115] neg_lo:[0,0,1] neg_hi:[0,0,1]
	v_mov_b32_e32 v111, v117
	s_cbranch_execz .LBB52_59
	s_branch .LBB52_60
.LBB52_58:
                                        ; implicit-def: $vgpr110_vgpr111
.LBB52_59:
	ds_load_b64 v[110:111], v1
.LBB52_60:
	s_and_saveexec_b32 s29, s1
	s_cbranch_execz .LBB52_64
; %bb.61:
	v_subrev_nc_u32_e32 v112, 47, v0
	s_movk_i32 s1, 0x178
	s_movk_i32 s31, 0x328
	s_mov_b32 s30, 0
.LBB52_62:                              ; =>This Inner Loop Header: Depth=1
	scratch_load_b64 v[114:115], off, s1
	v_dual_mov_b32 v113, s31 :: v_dual_add_nc_u32 v112, -1, v112
	s_add_co_i32 s31, s31, 8
	s_wait_xcnt 0x0
	s_add_co_i32 s1, s1, 8
	ds_load_b64 v[116:117], v113
	v_cmp_eq_u32_e32 vcc_lo, 0, v112
	s_or_b32 s30, vcc_lo, s30
	s_wait_loadcnt_dscnt 0x0
	v_pk_mul_f32 v[118:119], v[116:117], v[114:115] op_sel:[1,1] op_sel_hi:[0,1]
	s_delay_alu instid0(VALU_DEP_1) | instskip(SKIP_1) | instid1(VALU_DEP_2)
	v_pk_fma_f32 v[120:121], v[116:117], v[114:115], v[118:119] op_sel_hi:[1,0,1]
	v_pk_fma_f32 v[114:115], v[116:117], v[114:115], v[118:119] neg_lo:[0,0,1] neg_hi:[0,0,1]
	v_mov_b32_e32 v115, v121
	s_delay_alu instid0(VALU_DEP_1)
	v_pk_add_f32 v[110:111], v[110:111], v[114:115]
	s_and_not1_b32 exec_lo, exec_lo, s30
	s_cbranch_execnz .LBB52_62
; %bb.63:
	s_or_b32 exec_lo, exec_lo, s30
.LBB52_64:
	s_delay_alu instid0(SALU_CYCLE_1) | instskip(SKIP_4) | instid1(VALU_DEP_1)
	s_or_b32 exec_lo, exec_lo, s29
	v_mov_b32_e32 v112, 0
	ds_load_b64 v[112:113], v112 offset:368
	s_wait_dscnt 0x0
	v_pk_mul_f32 v[114:115], v[110:111], v[112:113] op_sel:[1,1] op_sel_hi:[0,1]
	v_pk_fma_f32 v[116:117], v[110:111], v[112:113], v[114:115] op_sel_hi:[1,0,1]
	v_pk_fma_f32 v[110:111], v[110:111], v[112:113], v[114:115] neg_lo:[0,0,1] neg_hi:[0,0,1]
	s_delay_alu instid0(VALU_DEP_2)
	v_mov_b32_e32 v111, v117
	scratch_store_b64 off, v[110:111], off offset:368
.LBB52_65:
	s_wait_xcnt 0x0
	s_or_b32 exec_lo, exec_lo, s2
	scratch_load_b64 v[110:111], off, off offset:360
	v_cmp_lt_u32_e64 s1, 45, v0
	s_wait_loadcnt 0x0
	ds_store_b64 v1, v[110:111]
	s_wait_storecnt_dscnt 0x0
	s_barrier_signal -1
	s_barrier_wait -1
	s_wait_xcnt 0x0
	s_and_saveexec_b32 s2, s1
	s_cbranch_execz .LBB52_75
; %bb.66:
	s_and_not1_b32 vcc_lo, exec_lo, s3
	s_cbranch_vccnz .LBB52_68
; %bb.67:
	scratch_load_b64 v[110:111], v39, off
	ds_load_b64 v[112:113], v1
	s_wait_loadcnt_dscnt 0x0
	v_pk_mul_f32 v[114:115], v[112:113], v[110:111] op_sel:[1,1] op_sel_hi:[0,1]
	s_delay_alu instid0(VALU_DEP_1) | instskip(SKIP_1) | instid1(VALU_DEP_2)
	v_pk_fma_f32 v[116:117], v[112:113], v[110:111], v[114:115] op_sel_hi:[1,0,1]
	v_pk_fma_f32 v[110:111], v[112:113], v[110:111], v[114:115] neg_lo:[0,0,1] neg_hi:[0,0,1]
	v_mov_b32_e32 v111, v117
	s_cbranch_execz .LBB52_69
	s_branch .LBB52_70
.LBB52_68:
                                        ; implicit-def: $vgpr110_vgpr111
.LBB52_69:
	ds_load_b64 v[110:111], v1
.LBB52_70:
	s_and_saveexec_b32 s29, s0
	s_cbranch_execz .LBB52_74
; %bb.71:
	v_subrev_nc_u32_e32 v112, 46, v0
	s_movk_i32 s30, 0x320
	s_mov_b32 s0, 0
.LBB52_72:                              ; =>This Inner Loop Header: Depth=1
	scratch_load_b64 v[114:115], off, s28
	v_dual_mov_b32 v113, s30 :: v_dual_add_nc_u32 v112, -1, v112
	s_add_co_i32 s30, s30, 8
	s_wait_xcnt 0x0
	s_add_co_i32 s28, s28, 8
	ds_load_b64 v[116:117], v113
	v_cmp_eq_u32_e32 vcc_lo, 0, v112
	s_or_b32 s0, vcc_lo, s0
	s_wait_loadcnt_dscnt 0x0
	v_pk_mul_f32 v[118:119], v[116:117], v[114:115] op_sel:[1,1] op_sel_hi:[0,1]
	s_delay_alu instid0(VALU_DEP_1) | instskip(SKIP_1) | instid1(VALU_DEP_2)
	v_pk_fma_f32 v[120:121], v[116:117], v[114:115], v[118:119] op_sel_hi:[1,0,1]
	v_pk_fma_f32 v[114:115], v[116:117], v[114:115], v[118:119] neg_lo:[0,0,1] neg_hi:[0,0,1]
	v_mov_b32_e32 v115, v121
	s_delay_alu instid0(VALU_DEP_1)
	v_pk_add_f32 v[110:111], v[110:111], v[114:115]
	s_and_not1_b32 exec_lo, exec_lo, s0
	s_cbranch_execnz .LBB52_72
; %bb.73:
	s_or_b32 exec_lo, exec_lo, s0
.LBB52_74:
	s_delay_alu instid0(SALU_CYCLE_1) | instskip(SKIP_4) | instid1(VALU_DEP_1)
	s_or_b32 exec_lo, exec_lo, s29
	v_mov_b32_e32 v112, 0
	ds_load_b64 v[112:113], v112 offset:360
	s_wait_dscnt 0x0
	v_pk_mul_f32 v[114:115], v[110:111], v[112:113] op_sel:[1,1] op_sel_hi:[0,1]
	v_pk_fma_f32 v[116:117], v[110:111], v[112:113], v[114:115] op_sel_hi:[1,0,1]
	v_pk_fma_f32 v[110:111], v[110:111], v[112:113], v[114:115] neg_lo:[0,0,1] neg_hi:[0,0,1]
	s_delay_alu instid0(VALU_DEP_2)
	v_mov_b32_e32 v111, v117
	scratch_store_b64 off, v[110:111], off offset:360
.LBB52_75:
	s_wait_xcnt 0x0
	s_or_b32 exec_lo, exec_lo, s2
	scratch_load_b64 v[110:111], off, off offset:352
	v_cmp_lt_u32_e64 s0, 44, v0
	s_wait_loadcnt 0x0
	ds_store_b64 v1, v[110:111]
	s_wait_storecnt_dscnt 0x0
	s_barrier_signal -1
	s_barrier_wait -1
	s_wait_xcnt 0x0
	s_and_saveexec_b32 s2, s0
	s_cbranch_execz .LBB52_85
; %bb.76:
	s_and_not1_b32 vcc_lo, exec_lo, s3
	s_cbranch_vccnz .LBB52_78
; %bb.77:
	scratch_load_b64 v[110:111], v39, off
	ds_load_b64 v[112:113], v1
	s_wait_loadcnt_dscnt 0x0
	v_pk_mul_f32 v[114:115], v[112:113], v[110:111] op_sel:[1,1] op_sel_hi:[0,1]
	s_delay_alu instid0(VALU_DEP_1) | instskip(SKIP_1) | instid1(VALU_DEP_2)
	v_pk_fma_f32 v[116:117], v[112:113], v[110:111], v[114:115] op_sel_hi:[1,0,1]
	v_pk_fma_f32 v[110:111], v[112:113], v[110:111], v[114:115] neg_lo:[0,0,1] neg_hi:[0,0,1]
	v_mov_b32_e32 v111, v117
	s_cbranch_execz .LBB52_79
	s_branch .LBB52_80
.LBB52_78:
                                        ; implicit-def: $vgpr110_vgpr111
.LBB52_79:
	ds_load_b64 v[110:111], v1
.LBB52_80:
	s_and_saveexec_b32 s28, s1
	s_cbranch_execz .LBB52_84
; %bb.81:
	v_subrev_nc_u32_e32 v112, 45, v0
	s_movk_i32 s1, 0x168
	s_movk_i32 s30, 0x318
	s_mov_b32 s29, 0
.LBB52_82:                              ; =>This Inner Loop Header: Depth=1
	scratch_load_b64 v[114:115], off, s1
	v_dual_mov_b32 v113, s30 :: v_dual_add_nc_u32 v112, -1, v112
	s_add_co_i32 s30, s30, 8
	s_wait_xcnt 0x0
	s_add_co_i32 s1, s1, 8
	ds_load_b64 v[116:117], v113
	v_cmp_eq_u32_e32 vcc_lo, 0, v112
	s_or_b32 s29, vcc_lo, s29
	s_wait_loadcnt_dscnt 0x0
	v_pk_mul_f32 v[118:119], v[116:117], v[114:115] op_sel:[1,1] op_sel_hi:[0,1]
	s_delay_alu instid0(VALU_DEP_1) | instskip(SKIP_1) | instid1(VALU_DEP_2)
	v_pk_fma_f32 v[120:121], v[116:117], v[114:115], v[118:119] op_sel_hi:[1,0,1]
	v_pk_fma_f32 v[114:115], v[116:117], v[114:115], v[118:119] neg_lo:[0,0,1] neg_hi:[0,0,1]
	v_mov_b32_e32 v115, v121
	s_delay_alu instid0(VALU_DEP_1)
	v_pk_add_f32 v[110:111], v[110:111], v[114:115]
	s_and_not1_b32 exec_lo, exec_lo, s29
	s_cbranch_execnz .LBB52_82
; %bb.83:
	s_or_b32 exec_lo, exec_lo, s29
.LBB52_84:
	s_delay_alu instid0(SALU_CYCLE_1) | instskip(SKIP_4) | instid1(VALU_DEP_1)
	s_or_b32 exec_lo, exec_lo, s28
	v_mov_b32_e32 v112, 0
	ds_load_b64 v[112:113], v112 offset:352
	s_wait_dscnt 0x0
	v_pk_mul_f32 v[114:115], v[110:111], v[112:113] op_sel:[1,1] op_sel_hi:[0,1]
	v_pk_fma_f32 v[116:117], v[110:111], v[112:113], v[114:115] op_sel_hi:[1,0,1]
	v_pk_fma_f32 v[110:111], v[110:111], v[112:113], v[114:115] neg_lo:[0,0,1] neg_hi:[0,0,1]
	s_delay_alu instid0(VALU_DEP_2)
	v_mov_b32_e32 v111, v117
	scratch_store_b64 off, v[110:111], off offset:352
.LBB52_85:
	s_wait_xcnt 0x0
	s_or_b32 exec_lo, exec_lo, s2
	scratch_load_b64 v[110:111], off, off offset:344
	v_cmp_lt_u32_e64 s1, 43, v0
	s_wait_loadcnt 0x0
	ds_store_b64 v1, v[110:111]
	s_wait_storecnt_dscnt 0x0
	s_barrier_signal -1
	s_barrier_wait -1
	s_wait_xcnt 0x0
	s_and_saveexec_b32 s2, s1
	s_cbranch_execz .LBB52_95
; %bb.86:
	s_and_not1_b32 vcc_lo, exec_lo, s3
	s_cbranch_vccnz .LBB52_88
; %bb.87:
	scratch_load_b64 v[110:111], v39, off
	ds_load_b64 v[112:113], v1
	s_wait_loadcnt_dscnt 0x0
	v_pk_mul_f32 v[114:115], v[112:113], v[110:111] op_sel:[1,1] op_sel_hi:[0,1]
	s_delay_alu instid0(VALU_DEP_1) | instskip(SKIP_1) | instid1(VALU_DEP_2)
	v_pk_fma_f32 v[116:117], v[112:113], v[110:111], v[114:115] op_sel_hi:[1,0,1]
	v_pk_fma_f32 v[110:111], v[112:113], v[110:111], v[114:115] neg_lo:[0,0,1] neg_hi:[0,0,1]
	v_mov_b32_e32 v111, v117
	s_cbranch_execz .LBB52_89
	s_branch .LBB52_90
.LBB52_88:
                                        ; implicit-def: $vgpr110_vgpr111
.LBB52_89:
	ds_load_b64 v[110:111], v1
.LBB52_90:
	s_and_saveexec_b32 s28, s0
	s_cbranch_execz .LBB52_94
; %bb.91:
	v_subrev_nc_u32_e32 v112, 44, v0
	s_movk_i32 s29, 0x310
	s_mov_b32 s0, 0
.LBB52_92:                              ; =>This Inner Loop Header: Depth=1
	scratch_load_b64 v[114:115], off, s27
	v_dual_mov_b32 v113, s29 :: v_dual_add_nc_u32 v112, -1, v112
	s_add_co_i32 s29, s29, 8
	s_wait_xcnt 0x0
	s_add_co_i32 s27, s27, 8
	ds_load_b64 v[116:117], v113
	v_cmp_eq_u32_e32 vcc_lo, 0, v112
	s_or_b32 s0, vcc_lo, s0
	s_wait_loadcnt_dscnt 0x0
	v_pk_mul_f32 v[118:119], v[116:117], v[114:115] op_sel:[1,1] op_sel_hi:[0,1]
	s_delay_alu instid0(VALU_DEP_1) | instskip(SKIP_1) | instid1(VALU_DEP_2)
	v_pk_fma_f32 v[120:121], v[116:117], v[114:115], v[118:119] op_sel_hi:[1,0,1]
	v_pk_fma_f32 v[114:115], v[116:117], v[114:115], v[118:119] neg_lo:[0,0,1] neg_hi:[0,0,1]
	v_mov_b32_e32 v115, v121
	s_delay_alu instid0(VALU_DEP_1)
	v_pk_add_f32 v[110:111], v[110:111], v[114:115]
	s_and_not1_b32 exec_lo, exec_lo, s0
	s_cbranch_execnz .LBB52_92
; %bb.93:
	s_or_b32 exec_lo, exec_lo, s0
.LBB52_94:
	s_delay_alu instid0(SALU_CYCLE_1) | instskip(SKIP_4) | instid1(VALU_DEP_1)
	s_or_b32 exec_lo, exec_lo, s28
	v_mov_b32_e32 v112, 0
	ds_load_b64 v[112:113], v112 offset:344
	s_wait_dscnt 0x0
	v_pk_mul_f32 v[114:115], v[110:111], v[112:113] op_sel:[1,1] op_sel_hi:[0,1]
	v_pk_fma_f32 v[116:117], v[110:111], v[112:113], v[114:115] op_sel_hi:[1,0,1]
	v_pk_fma_f32 v[110:111], v[110:111], v[112:113], v[114:115] neg_lo:[0,0,1] neg_hi:[0,0,1]
	s_delay_alu instid0(VALU_DEP_2)
	v_mov_b32_e32 v111, v117
	scratch_store_b64 off, v[110:111], off offset:344
.LBB52_95:
	s_wait_xcnt 0x0
	s_or_b32 exec_lo, exec_lo, s2
	scratch_load_b64 v[110:111], off, off offset:336
	v_cmp_lt_u32_e64 s0, 42, v0
	s_wait_loadcnt 0x0
	ds_store_b64 v1, v[110:111]
	s_wait_storecnt_dscnt 0x0
	s_barrier_signal -1
	s_barrier_wait -1
	s_wait_xcnt 0x0
	s_and_saveexec_b32 s2, s0
	s_cbranch_execz .LBB52_105
; %bb.96:
	s_and_not1_b32 vcc_lo, exec_lo, s3
	s_cbranch_vccnz .LBB52_98
; %bb.97:
	scratch_load_b64 v[110:111], v39, off
	ds_load_b64 v[112:113], v1
	s_wait_loadcnt_dscnt 0x0
	v_pk_mul_f32 v[114:115], v[112:113], v[110:111] op_sel:[1,1] op_sel_hi:[0,1]
	s_delay_alu instid0(VALU_DEP_1) | instskip(SKIP_1) | instid1(VALU_DEP_2)
	v_pk_fma_f32 v[116:117], v[112:113], v[110:111], v[114:115] op_sel_hi:[1,0,1]
	v_pk_fma_f32 v[110:111], v[112:113], v[110:111], v[114:115] neg_lo:[0,0,1] neg_hi:[0,0,1]
	v_mov_b32_e32 v111, v117
	s_cbranch_execz .LBB52_99
	s_branch .LBB52_100
.LBB52_98:
                                        ; implicit-def: $vgpr110_vgpr111
.LBB52_99:
	ds_load_b64 v[110:111], v1
.LBB52_100:
	s_and_saveexec_b32 s27, s1
	s_cbranch_execz .LBB52_104
; %bb.101:
	v_subrev_nc_u32_e32 v112, 43, v0
	s_movk_i32 s1, 0x158
	s_movk_i32 s29, 0x308
	s_mov_b32 s28, 0
.LBB52_102:                             ; =>This Inner Loop Header: Depth=1
	scratch_load_b64 v[114:115], off, s1
	v_dual_mov_b32 v113, s29 :: v_dual_add_nc_u32 v112, -1, v112
	s_add_co_i32 s29, s29, 8
	s_wait_xcnt 0x0
	s_add_co_i32 s1, s1, 8
	ds_load_b64 v[116:117], v113
	v_cmp_eq_u32_e32 vcc_lo, 0, v112
	s_or_b32 s28, vcc_lo, s28
	s_wait_loadcnt_dscnt 0x0
	v_pk_mul_f32 v[118:119], v[116:117], v[114:115] op_sel:[1,1] op_sel_hi:[0,1]
	s_delay_alu instid0(VALU_DEP_1) | instskip(SKIP_1) | instid1(VALU_DEP_2)
	v_pk_fma_f32 v[120:121], v[116:117], v[114:115], v[118:119] op_sel_hi:[1,0,1]
	v_pk_fma_f32 v[114:115], v[116:117], v[114:115], v[118:119] neg_lo:[0,0,1] neg_hi:[0,0,1]
	v_mov_b32_e32 v115, v121
	s_delay_alu instid0(VALU_DEP_1)
	v_pk_add_f32 v[110:111], v[110:111], v[114:115]
	s_and_not1_b32 exec_lo, exec_lo, s28
	s_cbranch_execnz .LBB52_102
; %bb.103:
	s_or_b32 exec_lo, exec_lo, s28
.LBB52_104:
	s_delay_alu instid0(SALU_CYCLE_1) | instskip(SKIP_4) | instid1(VALU_DEP_1)
	s_or_b32 exec_lo, exec_lo, s27
	v_mov_b32_e32 v112, 0
	ds_load_b64 v[112:113], v112 offset:336
	s_wait_dscnt 0x0
	v_pk_mul_f32 v[114:115], v[110:111], v[112:113] op_sel:[1,1] op_sel_hi:[0,1]
	v_pk_fma_f32 v[116:117], v[110:111], v[112:113], v[114:115] op_sel_hi:[1,0,1]
	v_pk_fma_f32 v[110:111], v[110:111], v[112:113], v[114:115] neg_lo:[0,0,1] neg_hi:[0,0,1]
	s_delay_alu instid0(VALU_DEP_2)
	v_mov_b32_e32 v111, v117
	scratch_store_b64 off, v[110:111], off offset:336
.LBB52_105:
	s_wait_xcnt 0x0
	s_or_b32 exec_lo, exec_lo, s2
	scratch_load_b64 v[110:111], off, off offset:328
	v_cmp_lt_u32_e64 s1, 41, v0
	s_wait_loadcnt 0x0
	ds_store_b64 v1, v[110:111]
	s_wait_storecnt_dscnt 0x0
	s_barrier_signal -1
	s_barrier_wait -1
	s_wait_xcnt 0x0
	s_and_saveexec_b32 s2, s1
	s_cbranch_execz .LBB52_115
; %bb.106:
	s_and_not1_b32 vcc_lo, exec_lo, s3
	s_cbranch_vccnz .LBB52_108
; %bb.107:
	scratch_load_b64 v[110:111], v39, off
	ds_load_b64 v[112:113], v1
	s_wait_loadcnt_dscnt 0x0
	v_pk_mul_f32 v[114:115], v[112:113], v[110:111] op_sel:[1,1] op_sel_hi:[0,1]
	s_delay_alu instid0(VALU_DEP_1) | instskip(SKIP_1) | instid1(VALU_DEP_2)
	v_pk_fma_f32 v[116:117], v[112:113], v[110:111], v[114:115] op_sel_hi:[1,0,1]
	v_pk_fma_f32 v[110:111], v[112:113], v[110:111], v[114:115] neg_lo:[0,0,1] neg_hi:[0,0,1]
	v_mov_b32_e32 v111, v117
	s_cbranch_execz .LBB52_109
	s_branch .LBB52_110
.LBB52_108:
                                        ; implicit-def: $vgpr110_vgpr111
.LBB52_109:
	ds_load_b64 v[110:111], v1
.LBB52_110:
	s_and_saveexec_b32 s27, s0
	s_cbranch_execz .LBB52_114
; %bb.111:
	v_subrev_nc_u32_e32 v112, 42, v0
	s_movk_i32 s28, 0x300
	s_mov_b32 s0, 0
.LBB52_112:                             ; =>This Inner Loop Header: Depth=1
	scratch_load_b64 v[114:115], off, s26
	v_dual_mov_b32 v113, s28 :: v_dual_add_nc_u32 v112, -1, v112
	s_add_co_i32 s28, s28, 8
	s_wait_xcnt 0x0
	s_add_co_i32 s26, s26, 8
	ds_load_b64 v[116:117], v113
	v_cmp_eq_u32_e32 vcc_lo, 0, v112
	s_or_b32 s0, vcc_lo, s0
	s_wait_loadcnt_dscnt 0x0
	v_pk_mul_f32 v[118:119], v[116:117], v[114:115] op_sel:[1,1] op_sel_hi:[0,1]
	s_delay_alu instid0(VALU_DEP_1) | instskip(SKIP_1) | instid1(VALU_DEP_2)
	v_pk_fma_f32 v[120:121], v[116:117], v[114:115], v[118:119] op_sel_hi:[1,0,1]
	v_pk_fma_f32 v[114:115], v[116:117], v[114:115], v[118:119] neg_lo:[0,0,1] neg_hi:[0,0,1]
	v_mov_b32_e32 v115, v121
	s_delay_alu instid0(VALU_DEP_1)
	v_pk_add_f32 v[110:111], v[110:111], v[114:115]
	s_and_not1_b32 exec_lo, exec_lo, s0
	s_cbranch_execnz .LBB52_112
; %bb.113:
	s_or_b32 exec_lo, exec_lo, s0
.LBB52_114:
	s_delay_alu instid0(SALU_CYCLE_1) | instskip(SKIP_4) | instid1(VALU_DEP_1)
	s_or_b32 exec_lo, exec_lo, s27
	v_mov_b32_e32 v112, 0
	ds_load_b64 v[112:113], v112 offset:328
	s_wait_dscnt 0x0
	v_pk_mul_f32 v[114:115], v[110:111], v[112:113] op_sel:[1,1] op_sel_hi:[0,1]
	v_pk_fma_f32 v[116:117], v[110:111], v[112:113], v[114:115] op_sel_hi:[1,0,1]
	v_pk_fma_f32 v[110:111], v[110:111], v[112:113], v[114:115] neg_lo:[0,0,1] neg_hi:[0,0,1]
	s_delay_alu instid0(VALU_DEP_2)
	v_mov_b32_e32 v111, v117
	scratch_store_b64 off, v[110:111], off offset:328
.LBB52_115:
	s_wait_xcnt 0x0
	s_or_b32 exec_lo, exec_lo, s2
	scratch_load_b64 v[110:111], off, off offset:320
	v_cmp_lt_u32_e64 s0, 40, v0
	s_wait_loadcnt 0x0
	ds_store_b64 v1, v[110:111]
	s_wait_storecnt_dscnt 0x0
	s_barrier_signal -1
	s_barrier_wait -1
	s_wait_xcnt 0x0
	s_and_saveexec_b32 s2, s0
	s_cbranch_execz .LBB52_125
; %bb.116:
	s_and_not1_b32 vcc_lo, exec_lo, s3
	s_cbranch_vccnz .LBB52_118
; %bb.117:
	scratch_load_b64 v[110:111], v39, off
	ds_load_b64 v[112:113], v1
	s_wait_loadcnt_dscnt 0x0
	v_pk_mul_f32 v[114:115], v[112:113], v[110:111] op_sel:[1,1] op_sel_hi:[0,1]
	s_delay_alu instid0(VALU_DEP_1) | instskip(SKIP_1) | instid1(VALU_DEP_2)
	v_pk_fma_f32 v[116:117], v[112:113], v[110:111], v[114:115] op_sel_hi:[1,0,1]
	v_pk_fma_f32 v[110:111], v[112:113], v[110:111], v[114:115] neg_lo:[0,0,1] neg_hi:[0,0,1]
	v_mov_b32_e32 v111, v117
	s_cbranch_execz .LBB52_119
	s_branch .LBB52_120
.LBB52_118:
                                        ; implicit-def: $vgpr110_vgpr111
.LBB52_119:
	ds_load_b64 v[110:111], v1
.LBB52_120:
	s_and_saveexec_b32 s26, s1
	s_cbranch_execz .LBB52_124
; %bb.121:
	v_subrev_nc_u32_e32 v112, 41, v0
	s_movk_i32 s1, 0x148
	s_movk_i32 s28, 0x2f8
	s_mov_b32 s27, 0
.LBB52_122:                             ; =>This Inner Loop Header: Depth=1
	scratch_load_b64 v[114:115], off, s1
	v_dual_mov_b32 v113, s28 :: v_dual_add_nc_u32 v112, -1, v112
	s_add_co_i32 s28, s28, 8
	s_wait_xcnt 0x0
	s_add_co_i32 s1, s1, 8
	ds_load_b64 v[116:117], v113
	v_cmp_eq_u32_e32 vcc_lo, 0, v112
	s_or_b32 s27, vcc_lo, s27
	s_wait_loadcnt_dscnt 0x0
	v_pk_mul_f32 v[118:119], v[116:117], v[114:115] op_sel:[1,1] op_sel_hi:[0,1]
	s_delay_alu instid0(VALU_DEP_1) | instskip(SKIP_1) | instid1(VALU_DEP_2)
	v_pk_fma_f32 v[120:121], v[116:117], v[114:115], v[118:119] op_sel_hi:[1,0,1]
	v_pk_fma_f32 v[114:115], v[116:117], v[114:115], v[118:119] neg_lo:[0,0,1] neg_hi:[0,0,1]
	v_mov_b32_e32 v115, v121
	s_delay_alu instid0(VALU_DEP_1)
	v_pk_add_f32 v[110:111], v[110:111], v[114:115]
	s_and_not1_b32 exec_lo, exec_lo, s27
	s_cbranch_execnz .LBB52_122
; %bb.123:
	s_or_b32 exec_lo, exec_lo, s27
.LBB52_124:
	s_delay_alu instid0(SALU_CYCLE_1) | instskip(SKIP_4) | instid1(VALU_DEP_1)
	s_or_b32 exec_lo, exec_lo, s26
	v_mov_b32_e32 v112, 0
	ds_load_b64 v[112:113], v112 offset:320
	s_wait_dscnt 0x0
	v_pk_mul_f32 v[114:115], v[110:111], v[112:113] op_sel:[1,1] op_sel_hi:[0,1]
	v_pk_fma_f32 v[116:117], v[110:111], v[112:113], v[114:115] op_sel_hi:[1,0,1]
	v_pk_fma_f32 v[110:111], v[110:111], v[112:113], v[114:115] neg_lo:[0,0,1] neg_hi:[0,0,1]
	s_delay_alu instid0(VALU_DEP_2)
	v_mov_b32_e32 v111, v117
	scratch_store_b64 off, v[110:111], off offset:320
.LBB52_125:
	s_wait_xcnt 0x0
	s_or_b32 exec_lo, exec_lo, s2
	scratch_load_b64 v[110:111], off, off offset:312
	v_cmp_lt_u32_e64 s1, 39, v0
	s_wait_loadcnt 0x0
	ds_store_b64 v1, v[110:111]
	s_wait_storecnt_dscnt 0x0
	s_barrier_signal -1
	s_barrier_wait -1
	s_wait_xcnt 0x0
	s_and_saveexec_b32 s2, s1
	s_cbranch_execz .LBB52_135
; %bb.126:
	s_and_not1_b32 vcc_lo, exec_lo, s3
	s_cbranch_vccnz .LBB52_128
; %bb.127:
	scratch_load_b64 v[110:111], v39, off
	ds_load_b64 v[112:113], v1
	s_wait_loadcnt_dscnt 0x0
	v_pk_mul_f32 v[114:115], v[112:113], v[110:111] op_sel:[1,1] op_sel_hi:[0,1]
	s_delay_alu instid0(VALU_DEP_1) | instskip(SKIP_1) | instid1(VALU_DEP_2)
	v_pk_fma_f32 v[116:117], v[112:113], v[110:111], v[114:115] op_sel_hi:[1,0,1]
	v_pk_fma_f32 v[110:111], v[112:113], v[110:111], v[114:115] neg_lo:[0,0,1] neg_hi:[0,0,1]
	v_mov_b32_e32 v111, v117
	s_cbranch_execz .LBB52_129
	s_branch .LBB52_130
.LBB52_128:
                                        ; implicit-def: $vgpr110_vgpr111
.LBB52_129:
	ds_load_b64 v[110:111], v1
.LBB52_130:
	s_and_saveexec_b32 s26, s0
	s_cbranch_execz .LBB52_134
; %bb.131:
	v_subrev_nc_u32_e32 v112, 40, v0
	s_movk_i32 s27, 0x2f0
	s_mov_b32 s0, 0
.LBB52_132:                             ; =>This Inner Loop Header: Depth=1
	scratch_load_b64 v[114:115], off, s25
	v_dual_mov_b32 v113, s27 :: v_dual_add_nc_u32 v112, -1, v112
	s_add_co_i32 s27, s27, 8
	s_wait_xcnt 0x0
	s_add_co_i32 s25, s25, 8
	ds_load_b64 v[116:117], v113
	v_cmp_eq_u32_e32 vcc_lo, 0, v112
	s_or_b32 s0, vcc_lo, s0
	s_wait_loadcnt_dscnt 0x0
	v_pk_mul_f32 v[118:119], v[116:117], v[114:115] op_sel:[1,1] op_sel_hi:[0,1]
	s_delay_alu instid0(VALU_DEP_1) | instskip(SKIP_1) | instid1(VALU_DEP_2)
	v_pk_fma_f32 v[120:121], v[116:117], v[114:115], v[118:119] op_sel_hi:[1,0,1]
	v_pk_fma_f32 v[114:115], v[116:117], v[114:115], v[118:119] neg_lo:[0,0,1] neg_hi:[0,0,1]
	v_mov_b32_e32 v115, v121
	s_delay_alu instid0(VALU_DEP_1)
	v_pk_add_f32 v[110:111], v[110:111], v[114:115]
	s_and_not1_b32 exec_lo, exec_lo, s0
	s_cbranch_execnz .LBB52_132
; %bb.133:
	s_or_b32 exec_lo, exec_lo, s0
.LBB52_134:
	s_delay_alu instid0(SALU_CYCLE_1) | instskip(SKIP_4) | instid1(VALU_DEP_1)
	s_or_b32 exec_lo, exec_lo, s26
	v_mov_b32_e32 v112, 0
	ds_load_b64 v[112:113], v112 offset:312
	s_wait_dscnt 0x0
	v_pk_mul_f32 v[114:115], v[110:111], v[112:113] op_sel:[1,1] op_sel_hi:[0,1]
	v_pk_fma_f32 v[116:117], v[110:111], v[112:113], v[114:115] op_sel_hi:[1,0,1]
	v_pk_fma_f32 v[110:111], v[110:111], v[112:113], v[114:115] neg_lo:[0,0,1] neg_hi:[0,0,1]
	s_delay_alu instid0(VALU_DEP_2)
	v_mov_b32_e32 v111, v117
	scratch_store_b64 off, v[110:111], off offset:312
.LBB52_135:
	s_wait_xcnt 0x0
	s_or_b32 exec_lo, exec_lo, s2
	scratch_load_b64 v[110:111], off, off offset:304
	v_cmp_lt_u32_e64 s0, 38, v0
	s_wait_loadcnt 0x0
	ds_store_b64 v1, v[110:111]
	s_wait_storecnt_dscnt 0x0
	s_barrier_signal -1
	s_barrier_wait -1
	s_wait_xcnt 0x0
	s_and_saveexec_b32 s2, s0
	s_cbranch_execz .LBB52_145
; %bb.136:
	s_and_not1_b32 vcc_lo, exec_lo, s3
	s_cbranch_vccnz .LBB52_138
; %bb.137:
	scratch_load_b64 v[110:111], v39, off
	ds_load_b64 v[112:113], v1
	s_wait_loadcnt_dscnt 0x0
	v_pk_mul_f32 v[114:115], v[112:113], v[110:111] op_sel:[1,1] op_sel_hi:[0,1]
	s_delay_alu instid0(VALU_DEP_1) | instskip(SKIP_1) | instid1(VALU_DEP_2)
	v_pk_fma_f32 v[116:117], v[112:113], v[110:111], v[114:115] op_sel_hi:[1,0,1]
	v_pk_fma_f32 v[110:111], v[112:113], v[110:111], v[114:115] neg_lo:[0,0,1] neg_hi:[0,0,1]
	v_mov_b32_e32 v111, v117
	s_cbranch_execz .LBB52_139
	s_branch .LBB52_140
.LBB52_138:
                                        ; implicit-def: $vgpr110_vgpr111
.LBB52_139:
	ds_load_b64 v[110:111], v1
.LBB52_140:
	s_and_saveexec_b32 s25, s1
	s_cbranch_execz .LBB52_144
; %bb.141:
	v_subrev_nc_u32_e32 v112, 39, v0
	s_movk_i32 s1, 0x138
	s_movk_i32 s27, 0x2e8
	s_mov_b32 s26, 0
.LBB52_142:                             ; =>This Inner Loop Header: Depth=1
	scratch_load_b64 v[114:115], off, s1
	v_dual_mov_b32 v113, s27 :: v_dual_add_nc_u32 v112, -1, v112
	s_add_co_i32 s27, s27, 8
	s_wait_xcnt 0x0
	s_add_co_i32 s1, s1, 8
	ds_load_b64 v[116:117], v113
	v_cmp_eq_u32_e32 vcc_lo, 0, v112
	s_or_b32 s26, vcc_lo, s26
	s_wait_loadcnt_dscnt 0x0
	v_pk_mul_f32 v[118:119], v[116:117], v[114:115] op_sel:[1,1] op_sel_hi:[0,1]
	s_delay_alu instid0(VALU_DEP_1) | instskip(SKIP_1) | instid1(VALU_DEP_2)
	v_pk_fma_f32 v[120:121], v[116:117], v[114:115], v[118:119] op_sel_hi:[1,0,1]
	v_pk_fma_f32 v[114:115], v[116:117], v[114:115], v[118:119] neg_lo:[0,0,1] neg_hi:[0,0,1]
	v_mov_b32_e32 v115, v121
	s_delay_alu instid0(VALU_DEP_1)
	v_pk_add_f32 v[110:111], v[110:111], v[114:115]
	s_and_not1_b32 exec_lo, exec_lo, s26
	s_cbranch_execnz .LBB52_142
; %bb.143:
	s_or_b32 exec_lo, exec_lo, s26
.LBB52_144:
	s_delay_alu instid0(SALU_CYCLE_1) | instskip(SKIP_4) | instid1(VALU_DEP_1)
	s_or_b32 exec_lo, exec_lo, s25
	v_mov_b32_e32 v112, 0
	ds_load_b64 v[112:113], v112 offset:304
	s_wait_dscnt 0x0
	v_pk_mul_f32 v[114:115], v[110:111], v[112:113] op_sel:[1,1] op_sel_hi:[0,1]
	v_pk_fma_f32 v[116:117], v[110:111], v[112:113], v[114:115] op_sel_hi:[1,0,1]
	v_pk_fma_f32 v[110:111], v[110:111], v[112:113], v[114:115] neg_lo:[0,0,1] neg_hi:[0,0,1]
	s_delay_alu instid0(VALU_DEP_2)
	v_mov_b32_e32 v111, v117
	scratch_store_b64 off, v[110:111], off offset:304
.LBB52_145:
	s_wait_xcnt 0x0
	s_or_b32 exec_lo, exec_lo, s2
	scratch_load_b64 v[110:111], off, off offset:296
	v_cmp_lt_u32_e64 s1, 37, v0
	s_wait_loadcnt 0x0
	ds_store_b64 v1, v[110:111]
	s_wait_storecnt_dscnt 0x0
	s_barrier_signal -1
	s_barrier_wait -1
	s_wait_xcnt 0x0
	s_and_saveexec_b32 s2, s1
	s_cbranch_execz .LBB52_155
; %bb.146:
	s_and_not1_b32 vcc_lo, exec_lo, s3
	s_cbranch_vccnz .LBB52_148
; %bb.147:
	scratch_load_b64 v[110:111], v39, off
	ds_load_b64 v[112:113], v1
	s_wait_loadcnt_dscnt 0x0
	v_pk_mul_f32 v[114:115], v[112:113], v[110:111] op_sel:[1,1] op_sel_hi:[0,1]
	s_delay_alu instid0(VALU_DEP_1) | instskip(SKIP_1) | instid1(VALU_DEP_2)
	v_pk_fma_f32 v[116:117], v[112:113], v[110:111], v[114:115] op_sel_hi:[1,0,1]
	v_pk_fma_f32 v[110:111], v[112:113], v[110:111], v[114:115] neg_lo:[0,0,1] neg_hi:[0,0,1]
	v_mov_b32_e32 v111, v117
	s_cbranch_execz .LBB52_149
	s_branch .LBB52_150
.LBB52_148:
                                        ; implicit-def: $vgpr110_vgpr111
.LBB52_149:
	ds_load_b64 v[110:111], v1
.LBB52_150:
	s_and_saveexec_b32 s25, s0
	s_cbranch_execz .LBB52_154
; %bb.151:
	v_subrev_nc_u32_e32 v112, 38, v0
	s_movk_i32 s26, 0x2e0
	s_mov_b32 s0, 0
.LBB52_152:                             ; =>This Inner Loop Header: Depth=1
	scratch_load_b64 v[114:115], off, s24
	v_dual_mov_b32 v113, s26 :: v_dual_add_nc_u32 v112, -1, v112
	s_add_co_i32 s26, s26, 8
	s_wait_xcnt 0x0
	s_add_co_i32 s24, s24, 8
	ds_load_b64 v[116:117], v113
	v_cmp_eq_u32_e32 vcc_lo, 0, v112
	s_or_b32 s0, vcc_lo, s0
	s_wait_loadcnt_dscnt 0x0
	v_pk_mul_f32 v[118:119], v[116:117], v[114:115] op_sel:[1,1] op_sel_hi:[0,1]
	s_delay_alu instid0(VALU_DEP_1) | instskip(SKIP_1) | instid1(VALU_DEP_2)
	v_pk_fma_f32 v[120:121], v[116:117], v[114:115], v[118:119] op_sel_hi:[1,0,1]
	v_pk_fma_f32 v[114:115], v[116:117], v[114:115], v[118:119] neg_lo:[0,0,1] neg_hi:[0,0,1]
	v_mov_b32_e32 v115, v121
	s_delay_alu instid0(VALU_DEP_1)
	v_pk_add_f32 v[110:111], v[110:111], v[114:115]
	s_and_not1_b32 exec_lo, exec_lo, s0
	s_cbranch_execnz .LBB52_152
; %bb.153:
	s_or_b32 exec_lo, exec_lo, s0
.LBB52_154:
	s_delay_alu instid0(SALU_CYCLE_1) | instskip(SKIP_4) | instid1(VALU_DEP_1)
	s_or_b32 exec_lo, exec_lo, s25
	v_mov_b32_e32 v112, 0
	ds_load_b64 v[112:113], v112 offset:296
	s_wait_dscnt 0x0
	v_pk_mul_f32 v[114:115], v[110:111], v[112:113] op_sel:[1,1] op_sel_hi:[0,1]
	v_pk_fma_f32 v[116:117], v[110:111], v[112:113], v[114:115] op_sel_hi:[1,0,1]
	v_pk_fma_f32 v[110:111], v[110:111], v[112:113], v[114:115] neg_lo:[0,0,1] neg_hi:[0,0,1]
	s_delay_alu instid0(VALU_DEP_2)
	v_mov_b32_e32 v111, v117
	scratch_store_b64 off, v[110:111], off offset:296
.LBB52_155:
	s_wait_xcnt 0x0
	s_or_b32 exec_lo, exec_lo, s2
	scratch_load_b64 v[110:111], off, off offset:288
	v_cmp_lt_u32_e64 s0, 36, v0
	s_wait_loadcnt 0x0
	ds_store_b64 v1, v[110:111]
	s_wait_storecnt_dscnt 0x0
	s_barrier_signal -1
	s_barrier_wait -1
	s_wait_xcnt 0x0
	s_and_saveexec_b32 s2, s0
	s_cbranch_execz .LBB52_165
; %bb.156:
	s_and_not1_b32 vcc_lo, exec_lo, s3
	s_cbranch_vccnz .LBB52_158
; %bb.157:
	scratch_load_b64 v[110:111], v39, off
	ds_load_b64 v[112:113], v1
	s_wait_loadcnt_dscnt 0x0
	v_pk_mul_f32 v[114:115], v[112:113], v[110:111] op_sel:[1,1] op_sel_hi:[0,1]
	s_delay_alu instid0(VALU_DEP_1) | instskip(SKIP_1) | instid1(VALU_DEP_2)
	v_pk_fma_f32 v[116:117], v[112:113], v[110:111], v[114:115] op_sel_hi:[1,0,1]
	v_pk_fma_f32 v[110:111], v[112:113], v[110:111], v[114:115] neg_lo:[0,0,1] neg_hi:[0,0,1]
	v_mov_b32_e32 v111, v117
	s_cbranch_execz .LBB52_159
	s_branch .LBB52_160
.LBB52_158:
                                        ; implicit-def: $vgpr110_vgpr111
.LBB52_159:
	ds_load_b64 v[110:111], v1
.LBB52_160:
	s_and_saveexec_b32 s24, s1
	s_cbranch_execz .LBB52_164
; %bb.161:
	v_subrev_nc_u32_e32 v112, 37, v0
	s_movk_i32 s1, 0x128
	s_movk_i32 s26, 0x2d8
	s_mov_b32 s25, 0
.LBB52_162:                             ; =>This Inner Loop Header: Depth=1
	scratch_load_b64 v[114:115], off, s1
	v_dual_mov_b32 v113, s26 :: v_dual_add_nc_u32 v112, -1, v112
	s_add_co_i32 s26, s26, 8
	s_wait_xcnt 0x0
	s_add_co_i32 s1, s1, 8
	ds_load_b64 v[116:117], v113
	v_cmp_eq_u32_e32 vcc_lo, 0, v112
	s_or_b32 s25, vcc_lo, s25
	s_wait_loadcnt_dscnt 0x0
	v_pk_mul_f32 v[118:119], v[116:117], v[114:115] op_sel:[1,1] op_sel_hi:[0,1]
	s_delay_alu instid0(VALU_DEP_1) | instskip(SKIP_1) | instid1(VALU_DEP_2)
	v_pk_fma_f32 v[120:121], v[116:117], v[114:115], v[118:119] op_sel_hi:[1,0,1]
	v_pk_fma_f32 v[114:115], v[116:117], v[114:115], v[118:119] neg_lo:[0,0,1] neg_hi:[0,0,1]
	v_mov_b32_e32 v115, v121
	s_delay_alu instid0(VALU_DEP_1)
	v_pk_add_f32 v[110:111], v[110:111], v[114:115]
	s_and_not1_b32 exec_lo, exec_lo, s25
	s_cbranch_execnz .LBB52_162
; %bb.163:
	s_or_b32 exec_lo, exec_lo, s25
.LBB52_164:
	s_delay_alu instid0(SALU_CYCLE_1) | instskip(SKIP_4) | instid1(VALU_DEP_1)
	s_or_b32 exec_lo, exec_lo, s24
	v_mov_b32_e32 v112, 0
	ds_load_b64 v[112:113], v112 offset:288
	s_wait_dscnt 0x0
	v_pk_mul_f32 v[114:115], v[110:111], v[112:113] op_sel:[1,1] op_sel_hi:[0,1]
	v_pk_fma_f32 v[116:117], v[110:111], v[112:113], v[114:115] op_sel_hi:[1,0,1]
	v_pk_fma_f32 v[110:111], v[110:111], v[112:113], v[114:115] neg_lo:[0,0,1] neg_hi:[0,0,1]
	s_delay_alu instid0(VALU_DEP_2)
	v_mov_b32_e32 v111, v117
	scratch_store_b64 off, v[110:111], off offset:288
.LBB52_165:
	s_wait_xcnt 0x0
	s_or_b32 exec_lo, exec_lo, s2
	scratch_load_b64 v[110:111], off, off offset:280
	v_cmp_lt_u32_e64 s1, 35, v0
	s_wait_loadcnt 0x0
	ds_store_b64 v1, v[110:111]
	s_wait_storecnt_dscnt 0x0
	s_barrier_signal -1
	s_barrier_wait -1
	s_wait_xcnt 0x0
	s_and_saveexec_b32 s2, s1
	s_cbranch_execz .LBB52_175
; %bb.166:
	s_and_not1_b32 vcc_lo, exec_lo, s3
	s_cbranch_vccnz .LBB52_168
; %bb.167:
	scratch_load_b64 v[110:111], v39, off
	ds_load_b64 v[112:113], v1
	s_wait_loadcnt_dscnt 0x0
	v_pk_mul_f32 v[114:115], v[112:113], v[110:111] op_sel:[1,1] op_sel_hi:[0,1]
	s_delay_alu instid0(VALU_DEP_1) | instskip(SKIP_1) | instid1(VALU_DEP_2)
	v_pk_fma_f32 v[116:117], v[112:113], v[110:111], v[114:115] op_sel_hi:[1,0,1]
	v_pk_fma_f32 v[110:111], v[112:113], v[110:111], v[114:115] neg_lo:[0,0,1] neg_hi:[0,0,1]
	v_mov_b32_e32 v111, v117
	s_cbranch_execz .LBB52_169
	s_branch .LBB52_170
.LBB52_168:
                                        ; implicit-def: $vgpr110_vgpr111
.LBB52_169:
	ds_load_b64 v[110:111], v1
.LBB52_170:
	s_and_saveexec_b32 s24, s0
	s_cbranch_execz .LBB52_174
; %bb.171:
	v_subrev_nc_u32_e32 v112, 36, v0
	s_movk_i32 s25, 0x2d0
	s_mov_b32 s0, 0
.LBB52_172:                             ; =>This Inner Loop Header: Depth=1
	scratch_load_b64 v[114:115], off, s23
	v_dual_mov_b32 v113, s25 :: v_dual_add_nc_u32 v112, -1, v112
	s_add_co_i32 s25, s25, 8
	s_wait_xcnt 0x0
	s_add_co_i32 s23, s23, 8
	ds_load_b64 v[116:117], v113
	v_cmp_eq_u32_e32 vcc_lo, 0, v112
	s_or_b32 s0, vcc_lo, s0
	s_wait_loadcnt_dscnt 0x0
	v_pk_mul_f32 v[118:119], v[116:117], v[114:115] op_sel:[1,1] op_sel_hi:[0,1]
	s_delay_alu instid0(VALU_DEP_1) | instskip(SKIP_1) | instid1(VALU_DEP_2)
	v_pk_fma_f32 v[120:121], v[116:117], v[114:115], v[118:119] op_sel_hi:[1,0,1]
	v_pk_fma_f32 v[114:115], v[116:117], v[114:115], v[118:119] neg_lo:[0,0,1] neg_hi:[0,0,1]
	v_mov_b32_e32 v115, v121
	s_delay_alu instid0(VALU_DEP_1)
	v_pk_add_f32 v[110:111], v[110:111], v[114:115]
	s_and_not1_b32 exec_lo, exec_lo, s0
	s_cbranch_execnz .LBB52_172
; %bb.173:
	s_or_b32 exec_lo, exec_lo, s0
.LBB52_174:
	s_delay_alu instid0(SALU_CYCLE_1) | instskip(SKIP_4) | instid1(VALU_DEP_1)
	s_or_b32 exec_lo, exec_lo, s24
	v_mov_b32_e32 v112, 0
	ds_load_b64 v[112:113], v112 offset:280
	s_wait_dscnt 0x0
	v_pk_mul_f32 v[114:115], v[110:111], v[112:113] op_sel:[1,1] op_sel_hi:[0,1]
	v_pk_fma_f32 v[116:117], v[110:111], v[112:113], v[114:115] op_sel_hi:[1,0,1]
	v_pk_fma_f32 v[110:111], v[110:111], v[112:113], v[114:115] neg_lo:[0,0,1] neg_hi:[0,0,1]
	s_delay_alu instid0(VALU_DEP_2)
	v_mov_b32_e32 v111, v117
	scratch_store_b64 off, v[110:111], off offset:280
.LBB52_175:
	s_wait_xcnt 0x0
	s_or_b32 exec_lo, exec_lo, s2
	scratch_load_b64 v[110:111], off, off offset:272
	v_cmp_lt_u32_e64 s0, 34, v0
	s_wait_loadcnt 0x0
	ds_store_b64 v1, v[110:111]
	s_wait_storecnt_dscnt 0x0
	s_barrier_signal -1
	s_barrier_wait -1
	s_wait_xcnt 0x0
	s_and_saveexec_b32 s2, s0
	s_cbranch_execz .LBB52_185
; %bb.176:
	s_and_not1_b32 vcc_lo, exec_lo, s3
	s_cbranch_vccnz .LBB52_178
; %bb.177:
	scratch_load_b64 v[110:111], v39, off
	ds_load_b64 v[112:113], v1
	s_wait_loadcnt_dscnt 0x0
	v_pk_mul_f32 v[114:115], v[112:113], v[110:111] op_sel:[1,1] op_sel_hi:[0,1]
	s_delay_alu instid0(VALU_DEP_1) | instskip(SKIP_1) | instid1(VALU_DEP_2)
	v_pk_fma_f32 v[116:117], v[112:113], v[110:111], v[114:115] op_sel_hi:[1,0,1]
	v_pk_fma_f32 v[110:111], v[112:113], v[110:111], v[114:115] neg_lo:[0,0,1] neg_hi:[0,0,1]
	v_mov_b32_e32 v111, v117
	s_cbranch_execz .LBB52_179
	s_branch .LBB52_180
.LBB52_178:
                                        ; implicit-def: $vgpr110_vgpr111
.LBB52_179:
	ds_load_b64 v[110:111], v1
.LBB52_180:
	s_and_saveexec_b32 s23, s1
	s_cbranch_execz .LBB52_184
; %bb.181:
	v_subrev_nc_u32_e32 v112, 35, v0
	s_movk_i32 s1, 0x118
	s_movk_i32 s25, 0x2c8
	s_mov_b32 s24, 0
.LBB52_182:                             ; =>This Inner Loop Header: Depth=1
	scratch_load_b64 v[114:115], off, s1
	v_dual_mov_b32 v113, s25 :: v_dual_add_nc_u32 v112, -1, v112
	s_add_co_i32 s25, s25, 8
	s_wait_xcnt 0x0
	s_add_co_i32 s1, s1, 8
	ds_load_b64 v[116:117], v113
	v_cmp_eq_u32_e32 vcc_lo, 0, v112
	s_or_b32 s24, vcc_lo, s24
	s_wait_loadcnt_dscnt 0x0
	v_pk_mul_f32 v[118:119], v[116:117], v[114:115] op_sel:[1,1] op_sel_hi:[0,1]
	s_delay_alu instid0(VALU_DEP_1) | instskip(SKIP_1) | instid1(VALU_DEP_2)
	v_pk_fma_f32 v[120:121], v[116:117], v[114:115], v[118:119] op_sel_hi:[1,0,1]
	v_pk_fma_f32 v[114:115], v[116:117], v[114:115], v[118:119] neg_lo:[0,0,1] neg_hi:[0,0,1]
	v_mov_b32_e32 v115, v121
	s_delay_alu instid0(VALU_DEP_1)
	v_pk_add_f32 v[110:111], v[110:111], v[114:115]
	s_and_not1_b32 exec_lo, exec_lo, s24
	s_cbranch_execnz .LBB52_182
; %bb.183:
	s_or_b32 exec_lo, exec_lo, s24
.LBB52_184:
	s_delay_alu instid0(SALU_CYCLE_1) | instskip(SKIP_4) | instid1(VALU_DEP_1)
	s_or_b32 exec_lo, exec_lo, s23
	v_mov_b32_e32 v112, 0
	ds_load_b64 v[112:113], v112 offset:272
	s_wait_dscnt 0x0
	v_pk_mul_f32 v[114:115], v[110:111], v[112:113] op_sel:[1,1] op_sel_hi:[0,1]
	v_pk_fma_f32 v[116:117], v[110:111], v[112:113], v[114:115] op_sel_hi:[1,0,1]
	v_pk_fma_f32 v[110:111], v[110:111], v[112:113], v[114:115] neg_lo:[0,0,1] neg_hi:[0,0,1]
	s_delay_alu instid0(VALU_DEP_2)
	v_mov_b32_e32 v111, v117
	scratch_store_b64 off, v[110:111], off offset:272
.LBB52_185:
	s_wait_xcnt 0x0
	s_or_b32 exec_lo, exec_lo, s2
	scratch_load_b64 v[110:111], off, off offset:264
	v_cmp_lt_u32_e64 s1, 33, v0
	s_wait_loadcnt 0x0
	ds_store_b64 v1, v[110:111]
	s_wait_storecnt_dscnt 0x0
	s_barrier_signal -1
	s_barrier_wait -1
	s_wait_xcnt 0x0
	s_and_saveexec_b32 s2, s1
	s_cbranch_execz .LBB52_195
; %bb.186:
	s_and_not1_b32 vcc_lo, exec_lo, s3
	s_cbranch_vccnz .LBB52_188
; %bb.187:
	scratch_load_b64 v[110:111], v39, off
	ds_load_b64 v[112:113], v1
	s_wait_loadcnt_dscnt 0x0
	v_pk_mul_f32 v[114:115], v[112:113], v[110:111] op_sel:[1,1] op_sel_hi:[0,1]
	s_delay_alu instid0(VALU_DEP_1) | instskip(SKIP_1) | instid1(VALU_DEP_2)
	v_pk_fma_f32 v[116:117], v[112:113], v[110:111], v[114:115] op_sel_hi:[1,0,1]
	v_pk_fma_f32 v[110:111], v[112:113], v[110:111], v[114:115] neg_lo:[0,0,1] neg_hi:[0,0,1]
	v_mov_b32_e32 v111, v117
	s_cbranch_execz .LBB52_189
	s_branch .LBB52_190
.LBB52_188:
                                        ; implicit-def: $vgpr110_vgpr111
.LBB52_189:
	ds_load_b64 v[110:111], v1
.LBB52_190:
	s_and_saveexec_b32 s23, s0
	s_cbranch_execz .LBB52_194
; %bb.191:
	v_subrev_nc_u32_e32 v112, 34, v0
	s_movk_i32 s24, 0x2c0
	s_mov_b32 s0, 0
.LBB52_192:                             ; =>This Inner Loop Header: Depth=1
	scratch_load_b64 v[114:115], off, s22
	v_dual_mov_b32 v113, s24 :: v_dual_add_nc_u32 v112, -1, v112
	s_add_co_i32 s24, s24, 8
	s_wait_xcnt 0x0
	s_add_co_i32 s22, s22, 8
	ds_load_b64 v[116:117], v113
	v_cmp_eq_u32_e32 vcc_lo, 0, v112
	s_or_b32 s0, vcc_lo, s0
	s_wait_loadcnt_dscnt 0x0
	v_pk_mul_f32 v[118:119], v[116:117], v[114:115] op_sel:[1,1] op_sel_hi:[0,1]
	s_delay_alu instid0(VALU_DEP_1) | instskip(SKIP_1) | instid1(VALU_DEP_2)
	v_pk_fma_f32 v[120:121], v[116:117], v[114:115], v[118:119] op_sel_hi:[1,0,1]
	v_pk_fma_f32 v[114:115], v[116:117], v[114:115], v[118:119] neg_lo:[0,0,1] neg_hi:[0,0,1]
	v_mov_b32_e32 v115, v121
	s_delay_alu instid0(VALU_DEP_1)
	v_pk_add_f32 v[110:111], v[110:111], v[114:115]
	s_and_not1_b32 exec_lo, exec_lo, s0
	s_cbranch_execnz .LBB52_192
; %bb.193:
	s_or_b32 exec_lo, exec_lo, s0
.LBB52_194:
	s_delay_alu instid0(SALU_CYCLE_1) | instskip(SKIP_4) | instid1(VALU_DEP_1)
	s_or_b32 exec_lo, exec_lo, s23
	v_mov_b32_e32 v112, 0
	ds_load_b64 v[112:113], v112 offset:264
	s_wait_dscnt 0x0
	v_pk_mul_f32 v[114:115], v[110:111], v[112:113] op_sel:[1,1] op_sel_hi:[0,1]
	v_pk_fma_f32 v[116:117], v[110:111], v[112:113], v[114:115] op_sel_hi:[1,0,1]
	v_pk_fma_f32 v[110:111], v[110:111], v[112:113], v[114:115] neg_lo:[0,0,1] neg_hi:[0,0,1]
	s_delay_alu instid0(VALU_DEP_2)
	v_mov_b32_e32 v111, v117
	scratch_store_b64 off, v[110:111], off offset:264
.LBB52_195:
	s_wait_xcnt 0x0
	s_or_b32 exec_lo, exec_lo, s2
	scratch_load_b64 v[110:111], off, off offset:256
	v_cmp_lt_u32_e64 s0, 32, v0
	s_wait_loadcnt 0x0
	ds_store_b64 v1, v[110:111]
	s_wait_storecnt_dscnt 0x0
	s_barrier_signal -1
	s_barrier_wait -1
	s_wait_xcnt 0x0
	s_and_saveexec_b32 s2, s0
	s_cbranch_execz .LBB52_205
; %bb.196:
	s_and_not1_b32 vcc_lo, exec_lo, s3
	s_cbranch_vccnz .LBB52_198
; %bb.197:
	scratch_load_b64 v[110:111], v39, off
	ds_load_b64 v[112:113], v1
	s_wait_loadcnt_dscnt 0x0
	v_pk_mul_f32 v[114:115], v[112:113], v[110:111] op_sel:[1,1] op_sel_hi:[0,1]
	s_delay_alu instid0(VALU_DEP_1) | instskip(SKIP_1) | instid1(VALU_DEP_2)
	v_pk_fma_f32 v[116:117], v[112:113], v[110:111], v[114:115] op_sel_hi:[1,0,1]
	v_pk_fma_f32 v[110:111], v[112:113], v[110:111], v[114:115] neg_lo:[0,0,1] neg_hi:[0,0,1]
	v_mov_b32_e32 v111, v117
	s_cbranch_execz .LBB52_199
	s_branch .LBB52_200
.LBB52_198:
                                        ; implicit-def: $vgpr110_vgpr111
.LBB52_199:
	ds_load_b64 v[110:111], v1
.LBB52_200:
	s_and_saveexec_b32 s22, s1
	s_cbranch_execz .LBB52_204
; %bb.201:
	v_subrev_nc_u32_e32 v112, 33, v0
	s_movk_i32 s1, 0x108
	s_movk_i32 s24, 0x2b8
	s_mov_b32 s23, 0
.LBB52_202:                             ; =>This Inner Loop Header: Depth=1
	scratch_load_b64 v[114:115], off, s1
	v_dual_mov_b32 v113, s24 :: v_dual_add_nc_u32 v112, -1, v112
	s_add_co_i32 s24, s24, 8
	s_wait_xcnt 0x0
	s_add_co_i32 s1, s1, 8
	ds_load_b64 v[116:117], v113
	v_cmp_eq_u32_e32 vcc_lo, 0, v112
	s_or_b32 s23, vcc_lo, s23
	s_wait_loadcnt_dscnt 0x0
	v_pk_mul_f32 v[118:119], v[116:117], v[114:115] op_sel:[1,1] op_sel_hi:[0,1]
	s_delay_alu instid0(VALU_DEP_1) | instskip(SKIP_1) | instid1(VALU_DEP_2)
	v_pk_fma_f32 v[120:121], v[116:117], v[114:115], v[118:119] op_sel_hi:[1,0,1]
	v_pk_fma_f32 v[114:115], v[116:117], v[114:115], v[118:119] neg_lo:[0,0,1] neg_hi:[0,0,1]
	v_mov_b32_e32 v115, v121
	s_delay_alu instid0(VALU_DEP_1)
	v_pk_add_f32 v[110:111], v[110:111], v[114:115]
	s_and_not1_b32 exec_lo, exec_lo, s23
	s_cbranch_execnz .LBB52_202
; %bb.203:
	s_or_b32 exec_lo, exec_lo, s23
.LBB52_204:
	s_delay_alu instid0(SALU_CYCLE_1) | instskip(SKIP_4) | instid1(VALU_DEP_1)
	s_or_b32 exec_lo, exec_lo, s22
	v_mov_b32_e32 v112, 0
	ds_load_b64 v[112:113], v112 offset:256
	s_wait_dscnt 0x0
	v_pk_mul_f32 v[114:115], v[110:111], v[112:113] op_sel:[1,1] op_sel_hi:[0,1]
	v_pk_fma_f32 v[116:117], v[110:111], v[112:113], v[114:115] op_sel_hi:[1,0,1]
	v_pk_fma_f32 v[110:111], v[110:111], v[112:113], v[114:115] neg_lo:[0,0,1] neg_hi:[0,0,1]
	s_delay_alu instid0(VALU_DEP_2)
	v_mov_b32_e32 v111, v117
	scratch_store_b64 off, v[110:111], off offset:256
.LBB52_205:
	s_wait_xcnt 0x0
	s_or_b32 exec_lo, exec_lo, s2
	scratch_load_b64 v[110:111], off, off offset:248
	v_cmp_lt_u32_e64 s1, 31, v0
	s_wait_loadcnt 0x0
	ds_store_b64 v1, v[110:111]
	s_wait_storecnt_dscnt 0x0
	s_barrier_signal -1
	s_barrier_wait -1
	s_wait_xcnt 0x0
	s_and_saveexec_b32 s2, s1
	s_cbranch_execz .LBB52_215
; %bb.206:
	s_and_not1_b32 vcc_lo, exec_lo, s3
	s_cbranch_vccnz .LBB52_208
; %bb.207:
	scratch_load_b64 v[110:111], v39, off
	ds_load_b64 v[112:113], v1
	s_wait_loadcnt_dscnt 0x0
	v_pk_mul_f32 v[114:115], v[112:113], v[110:111] op_sel:[1,1] op_sel_hi:[0,1]
	s_delay_alu instid0(VALU_DEP_1) | instskip(SKIP_1) | instid1(VALU_DEP_2)
	v_pk_fma_f32 v[116:117], v[112:113], v[110:111], v[114:115] op_sel_hi:[1,0,1]
	v_pk_fma_f32 v[110:111], v[112:113], v[110:111], v[114:115] neg_lo:[0,0,1] neg_hi:[0,0,1]
	v_mov_b32_e32 v111, v117
	s_cbranch_execz .LBB52_209
	s_branch .LBB52_210
.LBB52_208:
                                        ; implicit-def: $vgpr110_vgpr111
.LBB52_209:
	ds_load_b64 v[110:111], v1
.LBB52_210:
	s_and_saveexec_b32 s22, s0
	s_cbranch_execz .LBB52_214
; %bb.211:
	v_subrev_nc_u32_e32 v112, 32, v0
	s_movk_i32 s23, 0x2b0
	s_mov_b32 s0, 0
.LBB52_212:                             ; =>This Inner Loop Header: Depth=1
	scratch_load_b64 v[114:115], off, s21
	v_dual_mov_b32 v113, s23 :: v_dual_add_nc_u32 v112, -1, v112
	s_add_co_i32 s23, s23, 8
	s_wait_xcnt 0x0
	s_add_co_i32 s21, s21, 8
	ds_load_b64 v[116:117], v113
	v_cmp_eq_u32_e32 vcc_lo, 0, v112
	s_or_b32 s0, vcc_lo, s0
	s_wait_loadcnt_dscnt 0x0
	v_pk_mul_f32 v[118:119], v[116:117], v[114:115] op_sel:[1,1] op_sel_hi:[0,1]
	s_delay_alu instid0(VALU_DEP_1) | instskip(SKIP_1) | instid1(VALU_DEP_2)
	v_pk_fma_f32 v[120:121], v[116:117], v[114:115], v[118:119] op_sel_hi:[1,0,1]
	v_pk_fma_f32 v[114:115], v[116:117], v[114:115], v[118:119] neg_lo:[0,0,1] neg_hi:[0,0,1]
	v_mov_b32_e32 v115, v121
	s_delay_alu instid0(VALU_DEP_1)
	v_pk_add_f32 v[110:111], v[110:111], v[114:115]
	s_and_not1_b32 exec_lo, exec_lo, s0
	s_cbranch_execnz .LBB52_212
; %bb.213:
	s_or_b32 exec_lo, exec_lo, s0
.LBB52_214:
	s_delay_alu instid0(SALU_CYCLE_1) | instskip(SKIP_4) | instid1(VALU_DEP_1)
	s_or_b32 exec_lo, exec_lo, s22
	v_mov_b32_e32 v112, 0
	ds_load_b64 v[112:113], v112 offset:248
	s_wait_dscnt 0x0
	v_pk_mul_f32 v[114:115], v[110:111], v[112:113] op_sel:[1,1] op_sel_hi:[0,1]
	v_pk_fma_f32 v[116:117], v[110:111], v[112:113], v[114:115] op_sel_hi:[1,0,1]
	v_pk_fma_f32 v[110:111], v[110:111], v[112:113], v[114:115] neg_lo:[0,0,1] neg_hi:[0,0,1]
	s_delay_alu instid0(VALU_DEP_2)
	v_mov_b32_e32 v111, v117
	scratch_store_b64 off, v[110:111], off offset:248
.LBB52_215:
	s_wait_xcnt 0x0
	s_or_b32 exec_lo, exec_lo, s2
	scratch_load_b64 v[110:111], off, off offset:240
	v_cmp_lt_u32_e64 s0, 30, v0
	s_wait_loadcnt 0x0
	ds_store_b64 v1, v[110:111]
	s_wait_storecnt_dscnt 0x0
	s_barrier_signal -1
	s_barrier_wait -1
	s_wait_xcnt 0x0
	s_and_saveexec_b32 s2, s0
	s_cbranch_execz .LBB52_225
; %bb.216:
	s_and_not1_b32 vcc_lo, exec_lo, s3
	s_cbranch_vccnz .LBB52_218
; %bb.217:
	scratch_load_b64 v[110:111], v39, off
	ds_load_b64 v[112:113], v1
	s_wait_loadcnt_dscnt 0x0
	v_pk_mul_f32 v[114:115], v[112:113], v[110:111] op_sel:[1,1] op_sel_hi:[0,1]
	s_delay_alu instid0(VALU_DEP_1) | instskip(SKIP_1) | instid1(VALU_DEP_2)
	v_pk_fma_f32 v[116:117], v[112:113], v[110:111], v[114:115] op_sel_hi:[1,0,1]
	v_pk_fma_f32 v[110:111], v[112:113], v[110:111], v[114:115] neg_lo:[0,0,1] neg_hi:[0,0,1]
	v_mov_b32_e32 v111, v117
	s_cbranch_execz .LBB52_219
	s_branch .LBB52_220
.LBB52_218:
                                        ; implicit-def: $vgpr110_vgpr111
.LBB52_219:
	ds_load_b64 v[110:111], v1
.LBB52_220:
	s_and_saveexec_b32 s21, s1
	s_cbranch_execz .LBB52_224
; %bb.221:
	v_subrev_nc_u32_e32 v112, 31, v0
	s_movk_i32 s1, 0xf8
	s_movk_i32 s23, 0x2a8
	s_mov_b32 s22, 0
.LBB52_222:                             ; =>This Inner Loop Header: Depth=1
	scratch_load_b64 v[114:115], off, s1
	v_dual_mov_b32 v113, s23 :: v_dual_add_nc_u32 v112, -1, v112
	s_add_co_i32 s23, s23, 8
	s_wait_xcnt 0x0
	s_add_co_i32 s1, s1, 8
	ds_load_b64 v[116:117], v113
	v_cmp_eq_u32_e32 vcc_lo, 0, v112
	s_or_b32 s22, vcc_lo, s22
	s_wait_loadcnt_dscnt 0x0
	v_pk_mul_f32 v[118:119], v[116:117], v[114:115] op_sel:[1,1] op_sel_hi:[0,1]
	s_delay_alu instid0(VALU_DEP_1) | instskip(SKIP_1) | instid1(VALU_DEP_2)
	v_pk_fma_f32 v[120:121], v[116:117], v[114:115], v[118:119] op_sel_hi:[1,0,1]
	v_pk_fma_f32 v[114:115], v[116:117], v[114:115], v[118:119] neg_lo:[0,0,1] neg_hi:[0,0,1]
	v_mov_b32_e32 v115, v121
	s_delay_alu instid0(VALU_DEP_1)
	v_pk_add_f32 v[110:111], v[110:111], v[114:115]
	s_and_not1_b32 exec_lo, exec_lo, s22
	s_cbranch_execnz .LBB52_222
; %bb.223:
	s_or_b32 exec_lo, exec_lo, s22
.LBB52_224:
	s_delay_alu instid0(SALU_CYCLE_1) | instskip(SKIP_4) | instid1(VALU_DEP_1)
	s_or_b32 exec_lo, exec_lo, s21
	v_mov_b32_e32 v112, 0
	ds_load_b64 v[112:113], v112 offset:240
	s_wait_dscnt 0x0
	v_pk_mul_f32 v[114:115], v[110:111], v[112:113] op_sel:[1,1] op_sel_hi:[0,1]
	v_pk_fma_f32 v[116:117], v[110:111], v[112:113], v[114:115] op_sel_hi:[1,0,1]
	v_pk_fma_f32 v[110:111], v[110:111], v[112:113], v[114:115] neg_lo:[0,0,1] neg_hi:[0,0,1]
	s_delay_alu instid0(VALU_DEP_2)
	v_mov_b32_e32 v111, v117
	scratch_store_b64 off, v[110:111], off offset:240
.LBB52_225:
	s_wait_xcnt 0x0
	s_or_b32 exec_lo, exec_lo, s2
	scratch_load_b64 v[110:111], off, off offset:232
	v_cmp_lt_u32_e64 s1, 29, v0
	s_wait_loadcnt 0x0
	ds_store_b64 v1, v[110:111]
	s_wait_storecnt_dscnt 0x0
	s_barrier_signal -1
	s_barrier_wait -1
	s_wait_xcnt 0x0
	s_and_saveexec_b32 s2, s1
	s_cbranch_execz .LBB52_235
; %bb.226:
	s_and_not1_b32 vcc_lo, exec_lo, s3
	s_cbranch_vccnz .LBB52_228
; %bb.227:
	scratch_load_b64 v[110:111], v39, off
	ds_load_b64 v[112:113], v1
	s_wait_loadcnt_dscnt 0x0
	v_pk_mul_f32 v[114:115], v[112:113], v[110:111] op_sel:[1,1] op_sel_hi:[0,1]
	s_delay_alu instid0(VALU_DEP_1) | instskip(SKIP_1) | instid1(VALU_DEP_2)
	v_pk_fma_f32 v[116:117], v[112:113], v[110:111], v[114:115] op_sel_hi:[1,0,1]
	v_pk_fma_f32 v[110:111], v[112:113], v[110:111], v[114:115] neg_lo:[0,0,1] neg_hi:[0,0,1]
	v_mov_b32_e32 v111, v117
	s_cbranch_execz .LBB52_229
	s_branch .LBB52_230
.LBB52_228:
                                        ; implicit-def: $vgpr110_vgpr111
.LBB52_229:
	ds_load_b64 v[110:111], v1
.LBB52_230:
	s_and_saveexec_b32 s21, s0
	s_cbranch_execz .LBB52_234
; %bb.231:
	v_subrev_nc_u32_e32 v112, 30, v0
	s_movk_i32 s22, 0x2a0
	s_mov_b32 s0, 0
.LBB52_232:                             ; =>This Inner Loop Header: Depth=1
	scratch_load_b64 v[114:115], off, s20
	v_dual_mov_b32 v113, s22 :: v_dual_add_nc_u32 v112, -1, v112
	s_add_co_i32 s22, s22, 8
	s_wait_xcnt 0x0
	s_add_co_i32 s20, s20, 8
	ds_load_b64 v[116:117], v113
	v_cmp_eq_u32_e32 vcc_lo, 0, v112
	s_or_b32 s0, vcc_lo, s0
	s_wait_loadcnt_dscnt 0x0
	v_pk_mul_f32 v[118:119], v[116:117], v[114:115] op_sel:[1,1] op_sel_hi:[0,1]
	s_delay_alu instid0(VALU_DEP_1) | instskip(SKIP_1) | instid1(VALU_DEP_2)
	v_pk_fma_f32 v[120:121], v[116:117], v[114:115], v[118:119] op_sel_hi:[1,0,1]
	v_pk_fma_f32 v[114:115], v[116:117], v[114:115], v[118:119] neg_lo:[0,0,1] neg_hi:[0,0,1]
	v_mov_b32_e32 v115, v121
	s_delay_alu instid0(VALU_DEP_1)
	v_pk_add_f32 v[110:111], v[110:111], v[114:115]
	s_and_not1_b32 exec_lo, exec_lo, s0
	s_cbranch_execnz .LBB52_232
; %bb.233:
	s_or_b32 exec_lo, exec_lo, s0
.LBB52_234:
	s_delay_alu instid0(SALU_CYCLE_1) | instskip(SKIP_4) | instid1(VALU_DEP_1)
	s_or_b32 exec_lo, exec_lo, s21
	v_mov_b32_e32 v112, 0
	ds_load_b64 v[112:113], v112 offset:232
	s_wait_dscnt 0x0
	v_pk_mul_f32 v[114:115], v[110:111], v[112:113] op_sel:[1,1] op_sel_hi:[0,1]
	v_pk_fma_f32 v[116:117], v[110:111], v[112:113], v[114:115] op_sel_hi:[1,0,1]
	v_pk_fma_f32 v[110:111], v[110:111], v[112:113], v[114:115] neg_lo:[0,0,1] neg_hi:[0,0,1]
	s_delay_alu instid0(VALU_DEP_2)
	v_mov_b32_e32 v111, v117
	scratch_store_b64 off, v[110:111], off offset:232
.LBB52_235:
	s_wait_xcnt 0x0
	s_or_b32 exec_lo, exec_lo, s2
	scratch_load_b64 v[110:111], off, off offset:224
	v_cmp_lt_u32_e64 s0, 28, v0
	s_wait_loadcnt 0x0
	ds_store_b64 v1, v[110:111]
	s_wait_storecnt_dscnt 0x0
	s_barrier_signal -1
	s_barrier_wait -1
	s_wait_xcnt 0x0
	s_and_saveexec_b32 s2, s0
	s_cbranch_execz .LBB52_245
; %bb.236:
	s_and_not1_b32 vcc_lo, exec_lo, s3
	s_cbranch_vccnz .LBB52_238
; %bb.237:
	scratch_load_b64 v[110:111], v39, off
	ds_load_b64 v[112:113], v1
	s_wait_loadcnt_dscnt 0x0
	v_pk_mul_f32 v[114:115], v[112:113], v[110:111] op_sel:[1,1] op_sel_hi:[0,1]
	s_delay_alu instid0(VALU_DEP_1) | instskip(SKIP_1) | instid1(VALU_DEP_2)
	v_pk_fma_f32 v[116:117], v[112:113], v[110:111], v[114:115] op_sel_hi:[1,0,1]
	v_pk_fma_f32 v[110:111], v[112:113], v[110:111], v[114:115] neg_lo:[0,0,1] neg_hi:[0,0,1]
	v_mov_b32_e32 v111, v117
	s_cbranch_execz .LBB52_239
	s_branch .LBB52_240
.LBB52_238:
                                        ; implicit-def: $vgpr110_vgpr111
.LBB52_239:
	ds_load_b64 v[110:111], v1
.LBB52_240:
	s_and_saveexec_b32 s20, s1
	s_cbranch_execz .LBB52_244
; %bb.241:
	v_subrev_nc_u32_e32 v112, 29, v0
	s_movk_i32 s1, 0xe8
	s_movk_i32 s22, 0x298
	s_mov_b32 s21, 0
.LBB52_242:                             ; =>This Inner Loop Header: Depth=1
	scratch_load_b64 v[114:115], off, s1
	v_dual_mov_b32 v113, s22 :: v_dual_add_nc_u32 v112, -1, v112
	s_add_co_i32 s22, s22, 8
	s_wait_xcnt 0x0
	s_add_co_i32 s1, s1, 8
	ds_load_b64 v[116:117], v113
	v_cmp_eq_u32_e32 vcc_lo, 0, v112
	s_or_b32 s21, vcc_lo, s21
	s_wait_loadcnt_dscnt 0x0
	v_pk_mul_f32 v[118:119], v[116:117], v[114:115] op_sel:[1,1] op_sel_hi:[0,1]
	s_delay_alu instid0(VALU_DEP_1) | instskip(SKIP_1) | instid1(VALU_DEP_2)
	v_pk_fma_f32 v[120:121], v[116:117], v[114:115], v[118:119] op_sel_hi:[1,0,1]
	v_pk_fma_f32 v[114:115], v[116:117], v[114:115], v[118:119] neg_lo:[0,0,1] neg_hi:[0,0,1]
	v_mov_b32_e32 v115, v121
	s_delay_alu instid0(VALU_DEP_1)
	v_pk_add_f32 v[110:111], v[110:111], v[114:115]
	s_and_not1_b32 exec_lo, exec_lo, s21
	s_cbranch_execnz .LBB52_242
; %bb.243:
	s_or_b32 exec_lo, exec_lo, s21
.LBB52_244:
	s_delay_alu instid0(SALU_CYCLE_1) | instskip(SKIP_4) | instid1(VALU_DEP_1)
	s_or_b32 exec_lo, exec_lo, s20
	v_mov_b32_e32 v112, 0
	ds_load_b64 v[112:113], v112 offset:224
	s_wait_dscnt 0x0
	v_pk_mul_f32 v[114:115], v[110:111], v[112:113] op_sel:[1,1] op_sel_hi:[0,1]
	v_pk_fma_f32 v[116:117], v[110:111], v[112:113], v[114:115] op_sel_hi:[1,0,1]
	v_pk_fma_f32 v[110:111], v[110:111], v[112:113], v[114:115] neg_lo:[0,0,1] neg_hi:[0,0,1]
	s_delay_alu instid0(VALU_DEP_2)
	v_mov_b32_e32 v111, v117
	scratch_store_b64 off, v[110:111], off offset:224
.LBB52_245:
	s_wait_xcnt 0x0
	s_or_b32 exec_lo, exec_lo, s2
	scratch_load_b64 v[110:111], off, off offset:216
	v_cmp_lt_u32_e64 s1, 27, v0
	s_wait_loadcnt 0x0
	ds_store_b64 v1, v[110:111]
	s_wait_storecnt_dscnt 0x0
	s_barrier_signal -1
	s_barrier_wait -1
	s_wait_xcnt 0x0
	s_and_saveexec_b32 s2, s1
	s_cbranch_execz .LBB52_255
; %bb.246:
	s_and_not1_b32 vcc_lo, exec_lo, s3
	s_cbranch_vccnz .LBB52_248
; %bb.247:
	scratch_load_b64 v[110:111], v39, off
	ds_load_b64 v[112:113], v1
	s_wait_loadcnt_dscnt 0x0
	v_pk_mul_f32 v[114:115], v[112:113], v[110:111] op_sel:[1,1] op_sel_hi:[0,1]
	s_delay_alu instid0(VALU_DEP_1) | instskip(SKIP_1) | instid1(VALU_DEP_2)
	v_pk_fma_f32 v[116:117], v[112:113], v[110:111], v[114:115] op_sel_hi:[1,0,1]
	v_pk_fma_f32 v[110:111], v[112:113], v[110:111], v[114:115] neg_lo:[0,0,1] neg_hi:[0,0,1]
	v_mov_b32_e32 v111, v117
	s_cbranch_execz .LBB52_249
	s_branch .LBB52_250
.LBB52_248:
                                        ; implicit-def: $vgpr110_vgpr111
.LBB52_249:
	ds_load_b64 v[110:111], v1
.LBB52_250:
	s_and_saveexec_b32 s20, s0
	s_cbranch_execz .LBB52_254
; %bb.251:
	v_subrev_nc_u32_e32 v112, 28, v0
	s_movk_i32 s21, 0x290
	s_mov_b32 s0, 0
.LBB52_252:                             ; =>This Inner Loop Header: Depth=1
	scratch_load_b64 v[114:115], off, s19
	v_dual_mov_b32 v113, s21 :: v_dual_add_nc_u32 v112, -1, v112
	s_add_co_i32 s21, s21, 8
	s_wait_xcnt 0x0
	s_add_co_i32 s19, s19, 8
	ds_load_b64 v[116:117], v113
	v_cmp_eq_u32_e32 vcc_lo, 0, v112
	s_or_b32 s0, vcc_lo, s0
	s_wait_loadcnt_dscnt 0x0
	v_pk_mul_f32 v[118:119], v[116:117], v[114:115] op_sel:[1,1] op_sel_hi:[0,1]
	s_delay_alu instid0(VALU_DEP_1) | instskip(SKIP_1) | instid1(VALU_DEP_2)
	v_pk_fma_f32 v[120:121], v[116:117], v[114:115], v[118:119] op_sel_hi:[1,0,1]
	v_pk_fma_f32 v[114:115], v[116:117], v[114:115], v[118:119] neg_lo:[0,0,1] neg_hi:[0,0,1]
	v_mov_b32_e32 v115, v121
	s_delay_alu instid0(VALU_DEP_1)
	v_pk_add_f32 v[110:111], v[110:111], v[114:115]
	s_and_not1_b32 exec_lo, exec_lo, s0
	s_cbranch_execnz .LBB52_252
; %bb.253:
	s_or_b32 exec_lo, exec_lo, s0
.LBB52_254:
	s_delay_alu instid0(SALU_CYCLE_1) | instskip(SKIP_4) | instid1(VALU_DEP_1)
	s_or_b32 exec_lo, exec_lo, s20
	v_mov_b32_e32 v112, 0
	ds_load_b64 v[112:113], v112 offset:216
	s_wait_dscnt 0x0
	v_pk_mul_f32 v[114:115], v[110:111], v[112:113] op_sel:[1,1] op_sel_hi:[0,1]
	v_pk_fma_f32 v[116:117], v[110:111], v[112:113], v[114:115] op_sel_hi:[1,0,1]
	v_pk_fma_f32 v[110:111], v[110:111], v[112:113], v[114:115] neg_lo:[0,0,1] neg_hi:[0,0,1]
	s_delay_alu instid0(VALU_DEP_2)
	v_mov_b32_e32 v111, v117
	scratch_store_b64 off, v[110:111], off offset:216
.LBB52_255:
	s_wait_xcnt 0x0
	s_or_b32 exec_lo, exec_lo, s2
	scratch_load_b64 v[110:111], off, off offset:208
	v_cmp_lt_u32_e64 s0, 26, v0
	s_wait_loadcnt 0x0
	ds_store_b64 v1, v[110:111]
	s_wait_storecnt_dscnt 0x0
	s_barrier_signal -1
	s_barrier_wait -1
	s_wait_xcnt 0x0
	s_and_saveexec_b32 s2, s0
	s_cbranch_execz .LBB52_265
; %bb.256:
	s_and_not1_b32 vcc_lo, exec_lo, s3
	s_cbranch_vccnz .LBB52_258
; %bb.257:
	scratch_load_b64 v[110:111], v39, off
	ds_load_b64 v[112:113], v1
	s_wait_loadcnt_dscnt 0x0
	v_pk_mul_f32 v[114:115], v[112:113], v[110:111] op_sel:[1,1] op_sel_hi:[0,1]
	s_delay_alu instid0(VALU_DEP_1) | instskip(SKIP_1) | instid1(VALU_DEP_2)
	v_pk_fma_f32 v[116:117], v[112:113], v[110:111], v[114:115] op_sel_hi:[1,0,1]
	v_pk_fma_f32 v[110:111], v[112:113], v[110:111], v[114:115] neg_lo:[0,0,1] neg_hi:[0,0,1]
	v_mov_b32_e32 v111, v117
	s_cbranch_execz .LBB52_259
	s_branch .LBB52_260
.LBB52_258:
                                        ; implicit-def: $vgpr110_vgpr111
.LBB52_259:
	ds_load_b64 v[110:111], v1
.LBB52_260:
	s_and_saveexec_b32 s19, s1
	s_cbranch_execz .LBB52_264
; %bb.261:
	v_subrev_nc_u32_e32 v112, 27, v0
	s_movk_i32 s1, 0xd8
	s_movk_i32 s21, 0x288
	s_mov_b32 s20, 0
.LBB52_262:                             ; =>This Inner Loop Header: Depth=1
	scratch_load_b64 v[114:115], off, s1
	v_dual_mov_b32 v113, s21 :: v_dual_add_nc_u32 v112, -1, v112
	s_add_co_i32 s21, s21, 8
	s_wait_xcnt 0x0
	s_add_co_i32 s1, s1, 8
	ds_load_b64 v[116:117], v113
	v_cmp_eq_u32_e32 vcc_lo, 0, v112
	s_or_b32 s20, vcc_lo, s20
	s_wait_loadcnt_dscnt 0x0
	v_pk_mul_f32 v[118:119], v[116:117], v[114:115] op_sel:[1,1] op_sel_hi:[0,1]
	s_delay_alu instid0(VALU_DEP_1) | instskip(SKIP_1) | instid1(VALU_DEP_2)
	v_pk_fma_f32 v[120:121], v[116:117], v[114:115], v[118:119] op_sel_hi:[1,0,1]
	v_pk_fma_f32 v[114:115], v[116:117], v[114:115], v[118:119] neg_lo:[0,0,1] neg_hi:[0,0,1]
	v_mov_b32_e32 v115, v121
	s_delay_alu instid0(VALU_DEP_1)
	v_pk_add_f32 v[110:111], v[110:111], v[114:115]
	s_and_not1_b32 exec_lo, exec_lo, s20
	s_cbranch_execnz .LBB52_262
; %bb.263:
	s_or_b32 exec_lo, exec_lo, s20
.LBB52_264:
	s_delay_alu instid0(SALU_CYCLE_1) | instskip(SKIP_4) | instid1(VALU_DEP_1)
	s_or_b32 exec_lo, exec_lo, s19
	v_mov_b32_e32 v112, 0
	ds_load_b64 v[112:113], v112 offset:208
	s_wait_dscnt 0x0
	v_pk_mul_f32 v[114:115], v[110:111], v[112:113] op_sel:[1,1] op_sel_hi:[0,1]
	v_pk_fma_f32 v[116:117], v[110:111], v[112:113], v[114:115] op_sel_hi:[1,0,1]
	v_pk_fma_f32 v[110:111], v[110:111], v[112:113], v[114:115] neg_lo:[0,0,1] neg_hi:[0,0,1]
	s_delay_alu instid0(VALU_DEP_2)
	v_mov_b32_e32 v111, v117
	scratch_store_b64 off, v[110:111], off offset:208
.LBB52_265:
	s_wait_xcnt 0x0
	s_or_b32 exec_lo, exec_lo, s2
	scratch_load_b64 v[110:111], off, off offset:200
	v_cmp_lt_u32_e64 s1, 25, v0
	s_wait_loadcnt 0x0
	ds_store_b64 v1, v[110:111]
	s_wait_storecnt_dscnt 0x0
	s_barrier_signal -1
	s_barrier_wait -1
	s_wait_xcnt 0x0
	s_and_saveexec_b32 s2, s1
	s_cbranch_execz .LBB52_275
; %bb.266:
	s_and_not1_b32 vcc_lo, exec_lo, s3
	s_cbranch_vccnz .LBB52_268
; %bb.267:
	scratch_load_b64 v[110:111], v39, off
	ds_load_b64 v[112:113], v1
	s_wait_loadcnt_dscnt 0x0
	v_pk_mul_f32 v[114:115], v[112:113], v[110:111] op_sel:[1,1] op_sel_hi:[0,1]
	s_delay_alu instid0(VALU_DEP_1) | instskip(SKIP_1) | instid1(VALU_DEP_2)
	v_pk_fma_f32 v[116:117], v[112:113], v[110:111], v[114:115] op_sel_hi:[1,0,1]
	v_pk_fma_f32 v[110:111], v[112:113], v[110:111], v[114:115] neg_lo:[0,0,1] neg_hi:[0,0,1]
	v_mov_b32_e32 v111, v117
	s_cbranch_execz .LBB52_269
	s_branch .LBB52_270
.LBB52_268:
                                        ; implicit-def: $vgpr110_vgpr111
.LBB52_269:
	ds_load_b64 v[110:111], v1
.LBB52_270:
	s_and_saveexec_b32 s19, s0
	s_cbranch_execz .LBB52_274
; %bb.271:
	v_subrev_nc_u32_e32 v112, 26, v0
	s_movk_i32 s20, 0x280
	s_mov_b32 s0, 0
.LBB52_272:                             ; =>This Inner Loop Header: Depth=1
	scratch_load_b64 v[114:115], off, s18
	v_dual_mov_b32 v113, s20 :: v_dual_add_nc_u32 v112, -1, v112
	s_add_co_i32 s20, s20, 8
	s_wait_xcnt 0x0
	s_add_co_i32 s18, s18, 8
	ds_load_b64 v[116:117], v113
	v_cmp_eq_u32_e32 vcc_lo, 0, v112
	s_or_b32 s0, vcc_lo, s0
	s_wait_loadcnt_dscnt 0x0
	v_pk_mul_f32 v[118:119], v[116:117], v[114:115] op_sel:[1,1] op_sel_hi:[0,1]
	s_delay_alu instid0(VALU_DEP_1) | instskip(SKIP_1) | instid1(VALU_DEP_2)
	v_pk_fma_f32 v[120:121], v[116:117], v[114:115], v[118:119] op_sel_hi:[1,0,1]
	v_pk_fma_f32 v[114:115], v[116:117], v[114:115], v[118:119] neg_lo:[0,0,1] neg_hi:[0,0,1]
	v_mov_b32_e32 v115, v121
	s_delay_alu instid0(VALU_DEP_1)
	v_pk_add_f32 v[110:111], v[110:111], v[114:115]
	s_and_not1_b32 exec_lo, exec_lo, s0
	s_cbranch_execnz .LBB52_272
; %bb.273:
	s_or_b32 exec_lo, exec_lo, s0
.LBB52_274:
	s_delay_alu instid0(SALU_CYCLE_1) | instskip(SKIP_4) | instid1(VALU_DEP_1)
	s_or_b32 exec_lo, exec_lo, s19
	v_mov_b32_e32 v112, 0
	ds_load_b64 v[112:113], v112 offset:200
	s_wait_dscnt 0x0
	v_pk_mul_f32 v[114:115], v[110:111], v[112:113] op_sel:[1,1] op_sel_hi:[0,1]
	v_pk_fma_f32 v[116:117], v[110:111], v[112:113], v[114:115] op_sel_hi:[1,0,1]
	v_pk_fma_f32 v[110:111], v[110:111], v[112:113], v[114:115] neg_lo:[0,0,1] neg_hi:[0,0,1]
	s_delay_alu instid0(VALU_DEP_2)
	v_mov_b32_e32 v111, v117
	scratch_store_b64 off, v[110:111], off offset:200
.LBB52_275:
	s_wait_xcnt 0x0
	s_or_b32 exec_lo, exec_lo, s2
	scratch_load_b64 v[110:111], off, off offset:192
	v_cmp_lt_u32_e64 s0, 24, v0
	s_wait_loadcnt 0x0
	ds_store_b64 v1, v[110:111]
	s_wait_storecnt_dscnt 0x0
	s_barrier_signal -1
	s_barrier_wait -1
	s_wait_xcnt 0x0
	s_and_saveexec_b32 s2, s0
	s_cbranch_execz .LBB52_285
; %bb.276:
	s_and_not1_b32 vcc_lo, exec_lo, s3
	s_cbranch_vccnz .LBB52_278
; %bb.277:
	scratch_load_b64 v[110:111], v39, off
	ds_load_b64 v[112:113], v1
	s_wait_loadcnt_dscnt 0x0
	v_pk_mul_f32 v[114:115], v[112:113], v[110:111] op_sel:[1,1] op_sel_hi:[0,1]
	s_delay_alu instid0(VALU_DEP_1) | instskip(SKIP_1) | instid1(VALU_DEP_2)
	v_pk_fma_f32 v[116:117], v[112:113], v[110:111], v[114:115] op_sel_hi:[1,0,1]
	v_pk_fma_f32 v[110:111], v[112:113], v[110:111], v[114:115] neg_lo:[0,0,1] neg_hi:[0,0,1]
	v_mov_b32_e32 v111, v117
	s_cbranch_execz .LBB52_279
	s_branch .LBB52_280
.LBB52_278:
                                        ; implicit-def: $vgpr110_vgpr111
.LBB52_279:
	ds_load_b64 v[110:111], v1
.LBB52_280:
	s_and_saveexec_b32 s18, s1
	s_cbranch_execz .LBB52_284
; %bb.281:
	v_subrev_nc_u32_e32 v112, 25, v0
	s_movk_i32 s1, 0xc8
	s_movk_i32 s20, 0x278
	s_mov_b32 s19, 0
.LBB52_282:                             ; =>This Inner Loop Header: Depth=1
	scratch_load_b64 v[114:115], off, s1
	v_dual_mov_b32 v113, s20 :: v_dual_add_nc_u32 v112, -1, v112
	s_add_co_i32 s20, s20, 8
	s_wait_xcnt 0x0
	s_add_co_i32 s1, s1, 8
	ds_load_b64 v[116:117], v113
	v_cmp_eq_u32_e32 vcc_lo, 0, v112
	s_or_b32 s19, vcc_lo, s19
	s_wait_loadcnt_dscnt 0x0
	v_pk_mul_f32 v[118:119], v[116:117], v[114:115] op_sel:[1,1] op_sel_hi:[0,1]
	s_delay_alu instid0(VALU_DEP_1) | instskip(SKIP_1) | instid1(VALU_DEP_2)
	v_pk_fma_f32 v[120:121], v[116:117], v[114:115], v[118:119] op_sel_hi:[1,0,1]
	v_pk_fma_f32 v[114:115], v[116:117], v[114:115], v[118:119] neg_lo:[0,0,1] neg_hi:[0,0,1]
	v_mov_b32_e32 v115, v121
	s_delay_alu instid0(VALU_DEP_1)
	v_pk_add_f32 v[110:111], v[110:111], v[114:115]
	s_and_not1_b32 exec_lo, exec_lo, s19
	s_cbranch_execnz .LBB52_282
; %bb.283:
	s_or_b32 exec_lo, exec_lo, s19
.LBB52_284:
	s_delay_alu instid0(SALU_CYCLE_1) | instskip(SKIP_4) | instid1(VALU_DEP_1)
	s_or_b32 exec_lo, exec_lo, s18
	v_mov_b32_e32 v112, 0
	ds_load_b64 v[112:113], v112 offset:192
	s_wait_dscnt 0x0
	v_pk_mul_f32 v[114:115], v[110:111], v[112:113] op_sel:[1,1] op_sel_hi:[0,1]
	v_pk_fma_f32 v[116:117], v[110:111], v[112:113], v[114:115] op_sel_hi:[1,0,1]
	v_pk_fma_f32 v[110:111], v[110:111], v[112:113], v[114:115] neg_lo:[0,0,1] neg_hi:[0,0,1]
	s_delay_alu instid0(VALU_DEP_2)
	v_mov_b32_e32 v111, v117
	scratch_store_b64 off, v[110:111], off offset:192
.LBB52_285:
	s_wait_xcnt 0x0
	s_or_b32 exec_lo, exec_lo, s2
	scratch_load_b64 v[110:111], off, off offset:184
	v_cmp_lt_u32_e64 s1, 23, v0
	s_wait_loadcnt 0x0
	ds_store_b64 v1, v[110:111]
	s_wait_storecnt_dscnt 0x0
	s_barrier_signal -1
	s_barrier_wait -1
	s_wait_xcnt 0x0
	s_and_saveexec_b32 s2, s1
	s_cbranch_execz .LBB52_295
; %bb.286:
	s_and_not1_b32 vcc_lo, exec_lo, s3
	s_cbranch_vccnz .LBB52_288
; %bb.287:
	scratch_load_b64 v[110:111], v39, off
	ds_load_b64 v[112:113], v1
	s_wait_loadcnt_dscnt 0x0
	v_pk_mul_f32 v[114:115], v[112:113], v[110:111] op_sel:[1,1] op_sel_hi:[0,1]
	s_delay_alu instid0(VALU_DEP_1) | instskip(SKIP_1) | instid1(VALU_DEP_2)
	v_pk_fma_f32 v[116:117], v[112:113], v[110:111], v[114:115] op_sel_hi:[1,0,1]
	v_pk_fma_f32 v[110:111], v[112:113], v[110:111], v[114:115] neg_lo:[0,0,1] neg_hi:[0,0,1]
	v_mov_b32_e32 v111, v117
	s_cbranch_execz .LBB52_289
	s_branch .LBB52_290
.LBB52_288:
                                        ; implicit-def: $vgpr110_vgpr111
.LBB52_289:
	ds_load_b64 v[110:111], v1
.LBB52_290:
	s_and_saveexec_b32 s18, s0
	s_cbranch_execz .LBB52_294
; %bb.291:
	v_subrev_nc_u32_e32 v112, 24, v0
	s_movk_i32 s19, 0x270
	s_mov_b32 s0, 0
.LBB52_292:                             ; =>This Inner Loop Header: Depth=1
	scratch_load_b64 v[114:115], off, s17
	v_dual_mov_b32 v113, s19 :: v_dual_add_nc_u32 v112, -1, v112
	s_add_co_i32 s19, s19, 8
	s_wait_xcnt 0x0
	s_add_co_i32 s17, s17, 8
	ds_load_b64 v[116:117], v113
	v_cmp_eq_u32_e32 vcc_lo, 0, v112
	s_or_b32 s0, vcc_lo, s0
	s_wait_loadcnt_dscnt 0x0
	v_pk_mul_f32 v[118:119], v[116:117], v[114:115] op_sel:[1,1] op_sel_hi:[0,1]
	s_delay_alu instid0(VALU_DEP_1) | instskip(SKIP_1) | instid1(VALU_DEP_2)
	v_pk_fma_f32 v[120:121], v[116:117], v[114:115], v[118:119] op_sel_hi:[1,0,1]
	v_pk_fma_f32 v[114:115], v[116:117], v[114:115], v[118:119] neg_lo:[0,0,1] neg_hi:[0,0,1]
	v_mov_b32_e32 v115, v121
	s_delay_alu instid0(VALU_DEP_1)
	v_pk_add_f32 v[110:111], v[110:111], v[114:115]
	s_and_not1_b32 exec_lo, exec_lo, s0
	s_cbranch_execnz .LBB52_292
; %bb.293:
	s_or_b32 exec_lo, exec_lo, s0
.LBB52_294:
	s_delay_alu instid0(SALU_CYCLE_1) | instskip(SKIP_4) | instid1(VALU_DEP_1)
	s_or_b32 exec_lo, exec_lo, s18
	v_mov_b32_e32 v112, 0
	ds_load_b64 v[112:113], v112 offset:184
	s_wait_dscnt 0x0
	v_pk_mul_f32 v[114:115], v[110:111], v[112:113] op_sel:[1,1] op_sel_hi:[0,1]
	v_pk_fma_f32 v[116:117], v[110:111], v[112:113], v[114:115] op_sel_hi:[1,0,1]
	v_pk_fma_f32 v[110:111], v[110:111], v[112:113], v[114:115] neg_lo:[0,0,1] neg_hi:[0,0,1]
	s_delay_alu instid0(VALU_DEP_2)
	v_mov_b32_e32 v111, v117
	scratch_store_b64 off, v[110:111], off offset:184
.LBB52_295:
	s_wait_xcnt 0x0
	s_or_b32 exec_lo, exec_lo, s2
	scratch_load_b64 v[110:111], off, off offset:176
	v_cmp_lt_u32_e64 s0, 22, v0
	s_wait_loadcnt 0x0
	ds_store_b64 v1, v[110:111]
	s_wait_storecnt_dscnt 0x0
	s_barrier_signal -1
	s_barrier_wait -1
	s_wait_xcnt 0x0
	s_and_saveexec_b32 s2, s0
	s_cbranch_execz .LBB52_305
; %bb.296:
	s_and_not1_b32 vcc_lo, exec_lo, s3
	s_cbranch_vccnz .LBB52_298
; %bb.297:
	scratch_load_b64 v[110:111], v39, off
	ds_load_b64 v[112:113], v1
	s_wait_loadcnt_dscnt 0x0
	v_pk_mul_f32 v[114:115], v[112:113], v[110:111] op_sel:[1,1] op_sel_hi:[0,1]
	s_delay_alu instid0(VALU_DEP_1) | instskip(SKIP_1) | instid1(VALU_DEP_2)
	v_pk_fma_f32 v[116:117], v[112:113], v[110:111], v[114:115] op_sel_hi:[1,0,1]
	v_pk_fma_f32 v[110:111], v[112:113], v[110:111], v[114:115] neg_lo:[0,0,1] neg_hi:[0,0,1]
	v_mov_b32_e32 v111, v117
	s_cbranch_execz .LBB52_299
	s_branch .LBB52_300
.LBB52_298:
                                        ; implicit-def: $vgpr110_vgpr111
.LBB52_299:
	ds_load_b64 v[110:111], v1
.LBB52_300:
	s_and_saveexec_b32 s17, s1
	s_cbranch_execz .LBB52_304
; %bb.301:
	v_subrev_nc_u32_e32 v112, 23, v0
	s_movk_i32 s1, 0xb8
	s_movk_i32 s19, 0x268
	s_mov_b32 s18, 0
.LBB52_302:                             ; =>This Inner Loop Header: Depth=1
	scratch_load_b64 v[114:115], off, s1
	v_dual_mov_b32 v113, s19 :: v_dual_add_nc_u32 v112, -1, v112
	s_add_co_i32 s19, s19, 8
	s_wait_xcnt 0x0
	s_add_co_i32 s1, s1, 8
	ds_load_b64 v[116:117], v113
	v_cmp_eq_u32_e32 vcc_lo, 0, v112
	s_or_b32 s18, vcc_lo, s18
	s_wait_loadcnt_dscnt 0x0
	v_pk_mul_f32 v[118:119], v[116:117], v[114:115] op_sel:[1,1] op_sel_hi:[0,1]
	s_delay_alu instid0(VALU_DEP_1) | instskip(SKIP_1) | instid1(VALU_DEP_2)
	v_pk_fma_f32 v[120:121], v[116:117], v[114:115], v[118:119] op_sel_hi:[1,0,1]
	v_pk_fma_f32 v[114:115], v[116:117], v[114:115], v[118:119] neg_lo:[0,0,1] neg_hi:[0,0,1]
	v_mov_b32_e32 v115, v121
	s_delay_alu instid0(VALU_DEP_1)
	v_pk_add_f32 v[110:111], v[110:111], v[114:115]
	s_and_not1_b32 exec_lo, exec_lo, s18
	s_cbranch_execnz .LBB52_302
; %bb.303:
	s_or_b32 exec_lo, exec_lo, s18
.LBB52_304:
	s_delay_alu instid0(SALU_CYCLE_1) | instskip(SKIP_4) | instid1(VALU_DEP_1)
	s_or_b32 exec_lo, exec_lo, s17
	v_mov_b32_e32 v112, 0
	ds_load_b64 v[112:113], v112 offset:176
	s_wait_dscnt 0x0
	v_pk_mul_f32 v[114:115], v[110:111], v[112:113] op_sel:[1,1] op_sel_hi:[0,1]
	v_pk_fma_f32 v[116:117], v[110:111], v[112:113], v[114:115] op_sel_hi:[1,0,1]
	v_pk_fma_f32 v[110:111], v[110:111], v[112:113], v[114:115] neg_lo:[0,0,1] neg_hi:[0,0,1]
	s_delay_alu instid0(VALU_DEP_2)
	v_mov_b32_e32 v111, v117
	scratch_store_b64 off, v[110:111], off offset:176
.LBB52_305:
	s_wait_xcnt 0x0
	s_or_b32 exec_lo, exec_lo, s2
	scratch_load_b64 v[110:111], off, off offset:168
	v_cmp_lt_u32_e64 s1, 21, v0
	s_wait_loadcnt 0x0
	ds_store_b64 v1, v[110:111]
	s_wait_storecnt_dscnt 0x0
	s_barrier_signal -1
	s_barrier_wait -1
	s_wait_xcnt 0x0
	s_and_saveexec_b32 s2, s1
	s_cbranch_execz .LBB52_315
; %bb.306:
	s_and_not1_b32 vcc_lo, exec_lo, s3
	s_cbranch_vccnz .LBB52_308
; %bb.307:
	scratch_load_b64 v[110:111], v39, off
	ds_load_b64 v[112:113], v1
	s_wait_loadcnt_dscnt 0x0
	v_pk_mul_f32 v[114:115], v[112:113], v[110:111] op_sel:[1,1] op_sel_hi:[0,1]
	s_delay_alu instid0(VALU_DEP_1) | instskip(SKIP_1) | instid1(VALU_DEP_2)
	v_pk_fma_f32 v[116:117], v[112:113], v[110:111], v[114:115] op_sel_hi:[1,0,1]
	v_pk_fma_f32 v[110:111], v[112:113], v[110:111], v[114:115] neg_lo:[0,0,1] neg_hi:[0,0,1]
	v_mov_b32_e32 v111, v117
	s_cbranch_execz .LBB52_309
	s_branch .LBB52_310
.LBB52_308:
                                        ; implicit-def: $vgpr110_vgpr111
.LBB52_309:
	ds_load_b64 v[110:111], v1
.LBB52_310:
	s_and_saveexec_b32 s17, s0
	s_cbranch_execz .LBB52_314
; %bb.311:
	v_subrev_nc_u32_e32 v112, 22, v0
	s_movk_i32 s18, 0x260
	s_mov_b32 s0, 0
.LBB52_312:                             ; =>This Inner Loop Header: Depth=1
	scratch_load_b64 v[114:115], off, s16
	v_dual_mov_b32 v113, s18 :: v_dual_add_nc_u32 v112, -1, v112
	s_add_co_i32 s18, s18, 8
	s_wait_xcnt 0x0
	s_add_co_i32 s16, s16, 8
	ds_load_b64 v[116:117], v113
	v_cmp_eq_u32_e32 vcc_lo, 0, v112
	s_or_b32 s0, vcc_lo, s0
	s_wait_loadcnt_dscnt 0x0
	v_pk_mul_f32 v[118:119], v[116:117], v[114:115] op_sel:[1,1] op_sel_hi:[0,1]
	s_delay_alu instid0(VALU_DEP_1) | instskip(SKIP_1) | instid1(VALU_DEP_2)
	v_pk_fma_f32 v[120:121], v[116:117], v[114:115], v[118:119] op_sel_hi:[1,0,1]
	v_pk_fma_f32 v[114:115], v[116:117], v[114:115], v[118:119] neg_lo:[0,0,1] neg_hi:[0,0,1]
	v_mov_b32_e32 v115, v121
	s_delay_alu instid0(VALU_DEP_1)
	v_pk_add_f32 v[110:111], v[110:111], v[114:115]
	s_and_not1_b32 exec_lo, exec_lo, s0
	s_cbranch_execnz .LBB52_312
; %bb.313:
	s_or_b32 exec_lo, exec_lo, s0
.LBB52_314:
	s_delay_alu instid0(SALU_CYCLE_1) | instskip(SKIP_4) | instid1(VALU_DEP_1)
	s_or_b32 exec_lo, exec_lo, s17
	v_mov_b32_e32 v112, 0
	ds_load_b64 v[112:113], v112 offset:168
	s_wait_dscnt 0x0
	v_pk_mul_f32 v[114:115], v[110:111], v[112:113] op_sel:[1,1] op_sel_hi:[0,1]
	v_pk_fma_f32 v[116:117], v[110:111], v[112:113], v[114:115] op_sel_hi:[1,0,1]
	v_pk_fma_f32 v[110:111], v[110:111], v[112:113], v[114:115] neg_lo:[0,0,1] neg_hi:[0,0,1]
	s_delay_alu instid0(VALU_DEP_2)
	v_mov_b32_e32 v111, v117
	scratch_store_b64 off, v[110:111], off offset:168
.LBB52_315:
	s_wait_xcnt 0x0
	s_or_b32 exec_lo, exec_lo, s2
	scratch_load_b64 v[110:111], off, off offset:160
	v_cmp_lt_u32_e64 s0, 20, v0
	s_wait_loadcnt 0x0
	ds_store_b64 v1, v[110:111]
	s_wait_storecnt_dscnt 0x0
	s_barrier_signal -1
	s_barrier_wait -1
	s_wait_xcnt 0x0
	s_and_saveexec_b32 s2, s0
	s_cbranch_execz .LBB52_325
; %bb.316:
	s_and_not1_b32 vcc_lo, exec_lo, s3
	s_cbranch_vccnz .LBB52_318
; %bb.317:
	scratch_load_b64 v[110:111], v39, off
	ds_load_b64 v[112:113], v1
	s_wait_loadcnt_dscnt 0x0
	v_pk_mul_f32 v[114:115], v[112:113], v[110:111] op_sel:[1,1] op_sel_hi:[0,1]
	s_delay_alu instid0(VALU_DEP_1) | instskip(SKIP_1) | instid1(VALU_DEP_2)
	v_pk_fma_f32 v[116:117], v[112:113], v[110:111], v[114:115] op_sel_hi:[1,0,1]
	v_pk_fma_f32 v[110:111], v[112:113], v[110:111], v[114:115] neg_lo:[0,0,1] neg_hi:[0,0,1]
	v_mov_b32_e32 v111, v117
	s_cbranch_execz .LBB52_319
	s_branch .LBB52_320
.LBB52_318:
                                        ; implicit-def: $vgpr110_vgpr111
.LBB52_319:
	ds_load_b64 v[110:111], v1
.LBB52_320:
	s_and_saveexec_b32 s16, s1
	s_cbranch_execz .LBB52_324
; %bb.321:
	v_subrev_nc_u32_e32 v112, 21, v0
	s_movk_i32 s1, 0xa8
	s_movk_i32 s18, 0x258
	s_mov_b32 s17, 0
.LBB52_322:                             ; =>This Inner Loop Header: Depth=1
	scratch_load_b64 v[114:115], off, s1
	v_dual_mov_b32 v113, s18 :: v_dual_add_nc_u32 v112, -1, v112
	s_add_co_i32 s18, s18, 8
	s_wait_xcnt 0x0
	s_add_co_i32 s1, s1, 8
	ds_load_b64 v[116:117], v113
	v_cmp_eq_u32_e32 vcc_lo, 0, v112
	s_or_b32 s17, vcc_lo, s17
	s_wait_loadcnt_dscnt 0x0
	v_pk_mul_f32 v[118:119], v[116:117], v[114:115] op_sel:[1,1] op_sel_hi:[0,1]
	s_delay_alu instid0(VALU_DEP_1) | instskip(SKIP_1) | instid1(VALU_DEP_2)
	v_pk_fma_f32 v[120:121], v[116:117], v[114:115], v[118:119] op_sel_hi:[1,0,1]
	v_pk_fma_f32 v[114:115], v[116:117], v[114:115], v[118:119] neg_lo:[0,0,1] neg_hi:[0,0,1]
	v_mov_b32_e32 v115, v121
	s_delay_alu instid0(VALU_DEP_1)
	v_pk_add_f32 v[110:111], v[110:111], v[114:115]
	s_and_not1_b32 exec_lo, exec_lo, s17
	s_cbranch_execnz .LBB52_322
; %bb.323:
	s_or_b32 exec_lo, exec_lo, s17
.LBB52_324:
	s_delay_alu instid0(SALU_CYCLE_1) | instskip(SKIP_4) | instid1(VALU_DEP_1)
	s_or_b32 exec_lo, exec_lo, s16
	v_mov_b32_e32 v112, 0
	ds_load_b64 v[112:113], v112 offset:160
	s_wait_dscnt 0x0
	v_pk_mul_f32 v[114:115], v[110:111], v[112:113] op_sel:[1,1] op_sel_hi:[0,1]
	v_pk_fma_f32 v[116:117], v[110:111], v[112:113], v[114:115] op_sel_hi:[1,0,1]
	v_pk_fma_f32 v[110:111], v[110:111], v[112:113], v[114:115] neg_lo:[0,0,1] neg_hi:[0,0,1]
	s_delay_alu instid0(VALU_DEP_2)
	v_mov_b32_e32 v111, v117
	scratch_store_b64 off, v[110:111], off offset:160
.LBB52_325:
	s_wait_xcnt 0x0
	s_or_b32 exec_lo, exec_lo, s2
	scratch_load_b64 v[110:111], off, off offset:152
	v_cmp_lt_u32_e64 s1, 19, v0
	s_wait_loadcnt 0x0
	ds_store_b64 v1, v[110:111]
	s_wait_storecnt_dscnt 0x0
	s_barrier_signal -1
	s_barrier_wait -1
	s_wait_xcnt 0x0
	s_and_saveexec_b32 s2, s1
	s_cbranch_execz .LBB52_335
; %bb.326:
	s_and_not1_b32 vcc_lo, exec_lo, s3
	s_cbranch_vccnz .LBB52_328
; %bb.327:
	scratch_load_b64 v[110:111], v39, off
	ds_load_b64 v[112:113], v1
	s_wait_loadcnt_dscnt 0x0
	v_pk_mul_f32 v[114:115], v[112:113], v[110:111] op_sel:[1,1] op_sel_hi:[0,1]
	s_delay_alu instid0(VALU_DEP_1) | instskip(SKIP_1) | instid1(VALU_DEP_2)
	v_pk_fma_f32 v[116:117], v[112:113], v[110:111], v[114:115] op_sel_hi:[1,0,1]
	v_pk_fma_f32 v[110:111], v[112:113], v[110:111], v[114:115] neg_lo:[0,0,1] neg_hi:[0,0,1]
	v_mov_b32_e32 v111, v117
	s_cbranch_execz .LBB52_329
	s_branch .LBB52_330
.LBB52_328:
                                        ; implicit-def: $vgpr110_vgpr111
.LBB52_329:
	ds_load_b64 v[110:111], v1
.LBB52_330:
	s_and_saveexec_b32 s16, s0
	s_cbranch_execz .LBB52_334
; %bb.331:
	v_subrev_nc_u32_e32 v112, 20, v0
	s_movk_i32 s17, 0x250
	s_mov_b32 s0, 0
.LBB52_332:                             ; =>This Inner Loop Header: Depth=1
	scratch_load_b64 v[114:115], off, s15
	v_dual_mov_b32 v113, s17 :: v_dual_add_nc_u32 v112, -1, v112
	s_add_co_i32 s17, s17, 8
	s_wait_xcnt 0x0
	s_add_co_i32 s15, s15, 8
	ds_load_b64 v[116:117], v113
	v_cmp_eq_u32_e32 vcc_lo, 0, v112
	s_or_b32 s0, vcc_lo, s0
	s_wait_loadcnt_dscnt 0x0
	v_pk_mul_f32 v[118:119], v[116:117], v[114:115] op_sel:[1,1] op_sel_hi:[0,1]
	s_delay_alu instid0(VALU_DEP_1) | instskip(SKIP_1) | instid1(VALU_DEP_2)
	v_pk_fma_f32 v[120:121], v[116:117], v[114:115], v[118:119] op_sel_hi:[1,0,1]
	v_pk_fma_f32 v[114:115], v[116:117], v[114:115], v[118:119] neg_lo:[0,0,1] neg_hi:[0,0,1]
	v_mov_b32_e32 v115, v121
	s_delay_alu instid0(VALU_DEP_1)
	v_pk_add_f32 v[110:111], v[110:111], v[114:115]
	s_and_not1_b32 exec_lo, exec_lo, s0
	s_cbranch_execnz .LBB52_332
; %bb.333:
	s_or_b32 exec_lo, exec_lo, s0
.LBB52_334:
	s_delay_alu instid0(SALU_CYCLE_1) | instskip(SKIP_4) | instid1(VALU_DEP_1)
	s_or_b32 exec_lo, exec_lo, s16
	v_mov_b32_e32 v112, 0
	ds_load_b64 v[112:113], v112 offset:152
	s_wait_dscnt 0x0
	v_pk_mul_f32 v[114:115], v[110:111], v[112:113] op_sel:[1,1] op_sel_hi:[0,1]
	v_pk_fma_f32 v[116:117], v[110:111], v[112:113], v[114:115] op_sel_hi:[1,0,1]
	v_pk_fma_f32 v[110:111], v[110:111], v[112:113], v[114:115] neg_lo:[0,0,1] neg_hi:[0,0,1]
	s_delay_alu instid0(VALU_DEP_2)
	v_mov_b32_e32 v111, v117
	scratch_store_b64 off, v[110:111], off offset:152
.LBB52_335:
	s_wait_xcnt 0x0
	s_or_b32 exec_lo, exec_lo, s2
	scratch_load_b64 v[110:111], off, off offset:144
	v_cmp_lt_u32_e64 s0, 18, v0
	s_wait_loadcnt 0x0
	ds_store_b64 v1, v[110:111]
	s_wait_storecnt_dscnt 0x0
	s_barrier_signal -1
	s_barrier_wait -1
	s_wait_xcnt 0x0
	s_and_saveexec_b32 s2, s0
	s_cbranch_execz .LBB52_345
; %bb.336:
	s_and_not1_b32 vcc_lo, exec_lo, s3
	s_cbranch_vccnz .LBB52_338
; %bb.337:
	scratch_load_b64 v[110:111], v39, off
	ds_load_b64 v[112:113], v1
	s_wait_loadcnt_dscnt 0x0
	v_pk_mul_f32 v[114:115], v[112:113], v[110:111] op_sel:[1,1] op_sel_hi:[0,1]
	s_delay_alu instid0(VALU_DEP_1) | instskip(SKIP_1) | instid1(VALU_DEP_2)
	v_pk_fma_f32 v[116:117], v[112:113], v[110:111], v[114:115] op_sel_hi:[1,0,1]
	v_pk_fma_f32 v[110:111], v[112:113], v[110:111], v[114:115] neg_lo:[0,0,1] neg_hi:[0,0,1]
	v_mov_b32_e32 v111, v117
	s_cbranch_execz .LBB52_339
	s_branch .LBB52_340
.LBB52_338:
                                        ; implicit-def: $vgpr110_vgpr111
.LBB52_339:
	ds_load_b64 v[110:111], v1
.LBB52_340:
	s_and_saveexec_b32 s15, s1
	s_cbranch_execz .LBB52_344
; %bb.341:
	v_subrev_nc_u32_e32 v112, 19, v0
	s_movk_i32 s1, 0x98
	s_movk_i32 s17, 0x248
	s_mov_b32 s16, 0
.LBB52_342:                             ; =>This Inner Loop Header: Depth=1
	scratch_load_b64 v[114:115], off, s1
	v_dual_mov_b32 v113, s17 :: v_dual_add_nc_u32 v112, -1, v112
	s_add_co_i32 s17, s17, 8
	s_wait_xcnt 0x0
	s_add_co_i32 s1, s1, 8
	ds_load_b64 v[116:117], v113
	v_cmp_eq_u32_e32 vcc_lo, 0, v112
	s_or_b32 s16, vcc_lo, s16
	s_wait_loadcnt_dscnt 0x0
	v_pk_mul_f32 v[118:119], v[116:117], v[114:115] op_sel:[1,1] op_sel_hi:[0,1]
	s_delay_alu instid0(VALU_DEP_1) | instskip(SKIP_1) | instid1(VALU_DEP_2)
	v_pk_fma_f32 v[120:121], v[116:117], v[114:115], v[118:119] op_sel_hi:[1,0,1]
	v_pk_fma_f32 v[114:115], v[116:117], v[114:115], v[118:119] neg_lo:[0,0,1] neg_hi:[0,0,1]
	v_mov_b32_e32 v115, v121
	s_delay_alu instid0(VALU_DEP_1)
	v_pk_add_f32 v[110:111], v[110:111], v[114:115]
	s_and_not1_b32 exec_lo, exec_lo, s16
	s_cbranch_execnz .LBB52_342
; %bb.343:
	s_or_b32 exec_lo, exec_lo, s16
.LBB52_344:
	s_delay_alu instid0(SALU_CYCLE_1) | instskip(SKIP_4) | instid1(VALU_DEP_1)
	s_or_b32 exec_lo, exec_lo, s15
	v_mov_b32_e32 v112, 0
	ds_load_b64 v[112:113], v112 offset:144
	s_wait_dscnt 0x0
	v_pk_mul_f32 v[114:115], v[110:111], v[112:113] op_sel:[1,1] op_sel_hi:[0,1]
	v_pk_fma_f32 v[116:117], v[110:111], v[112:113], v[114:115] op_sel_hi:[1,0,1]
	v_pk_fma_f32 v[110:111], v[110:111], v[112:113], v[114:115] neg_lo:[0,0,1] neg_hi:[0,0,1]
	s_delay_alu instid0(VALU_DEP_2)
	v_mov_b32_e32 v111, v117
	scratch_store_b64 off, v[110:111], off offset:144
.LBB52_345:
	s_wait_xcnt 0x0
	s_or_b32 exec_lo, exec_lo, s2
	scratch_load_b64 v[110:111], off, off offset:136
	v_cmp_lt_u32_e64 s1, 17, v0
	s_wait_loadcnt 0x0
	ds_store_b64 v1, v[110:111]
	s_wait_storecnt_dscnt 0x0
	s_barrier_signal -1
	s_barrier_wait -1
	s_wait_xcnt 0x0
	s_and_saveexec_b32 s2, s1
	s_cbranch_execz .LBB52_355
; %bb.346:
	s_and_not1_b32 vcc_lo, exec_lo, s3
	s_cbranch_vccnz .LBB52_348
; %bb.347:
	scratch_load_b64 v[110:111], v39, off
	ds_load_b64 v[112:113], v1
	s_wait_loadcnt_dscnt 0x0
	v_pk_mul_f32 v[114:115], v[112:113], v[110:111] op_sel:[1,1] op_sel_hi:[0,1]
	s_delay_alu instid0(VALU_DEP_1) | instskip(SKIP_1) | instid1(VALU_DEP_2)
	v_pk_fma_f32 v[116:117], v[112:113], v[110:111], v[114:115] op_sel_hi:[1,0,1]
	v_pk_fma_f32 v[110:111], v[112:113], v[110:111], v[114:115] neg_lo:[0,0,1] neg_hi:[0,0,1]
	v_mov_b32_e32 v111, v117
	s_cbranch_execz .LBB52_349
	s_branch .LBB52_350
.LBB52_348:
                                        ; implicit-def: $vgpr110_vgpr111
.LBB52_349:
	ds_load_b64 v[110:111], v1
.LBB52_350:
	s_and_saveexec_b32 s15, s0
	s_cbranch_execz .LBB52_354
; %bb.351:
	v_subrev_nc_u32_e32 v112, 18, v0
	s_movk_i32 s16, 0x240
	s_mov_b32 s0, 0
.LBB52_352:                             ; =>This Inner Loop Header: Depth=1
	scratch_load_b64 v[114:115], off, s14
	v_dual_mov_b32 v113, s16 :: v_dual_add_nc_u32 v112, -1, v112
	s_add_co_i32 s16, s16, 8
	s_wait_xcnt 0x0
	s_add_co_i32 s14, s14, 8
	ds_load_b64 v[116:117], v113
	v_cmp_eq_u32_e32 vcc_lo, 0, v112
	s_or_b32 s0, vcc_lo, s0
	s_wait_loadcnt_dscnt 0x0
	v_pk_mul_f32 v[118:119], v[116:117], v[114:115] op_sel:[1,1] op_sel_hi:[0,1]
	s_delay_alu instid0(VALU_DEP_1) | instskip(SKIP_1) | instid1(VALU_DEP_2)
	v_pk_fma_f32 v[120:121], v[116:117], v[114:115], v[118:119] op_sel_hi:[1,0,1]
	v_pk_fma_f32 v[114:115], v[116:117], v[114:115], v[118:119] neg_lo:[0,0,1] neg_hi:[0,0,1]
	v_mov_b32_e32 v115, v121
	s_delay_alu instid0(VALU_DEP_1)
	v_pk_add_f32 v[110:111], v[110:111], v[114:115]
	s_and_not1_b32 exec_lo, exec_lo, s0
	s_cbranch_execnz .LBB52_352
; %bb.353:
	s_or_b32 exec_lo, exec_lo, s0
.LBB52_354:
	s_delay_alu instid0(SALU_CYCLE_1) | instskip(SKIP_4) | instid1(VALU_DEP_1)
	s_or_b32 exec_lo, exec_lo, s15
	v_mov_b32_e32 v112, 0
	ds_load_b64 v[112:113], v112 offset:136
	s_wait_dscnt 0x0
	v_pk_mul_f32 v[114:115], v[110:111], v[112:113] op_sel:[1,1] op_sel_hi:[0,1]
	v_pk_fma_f32 v[116:117], v[110:111], v[112:113], v[114:115] op_sel_hi:[1,0,1]
	v_pk_fma_f32 v[110:111], v[110:111], v[112:113], v[114:115] neg_lo:[0,0,1] neg_hi:[0,0,1]
	s_delay_alu instid0(VALU_DEP_2)
	v_mov_b32_e32 v111, v117
	scratch_store_b64 off, v[110:111], off offset:136
.LBB52_355:
	s_wait_xcnt 0x0
	s_or_b32 exec_lo, exec_lo, s2
	scratch_load_b64 v[110:111], off, off offset:128
	v_cmp_lt_u32_e64 s0, 16, v0
	s_wait_loadcnt 0x0
	ds_store_b64 v1, v[110:111]
	s_wait_storecnt_dscnt 0x0
	s_barrier_signal -1
	s_barrier_wait -1
	s_wait_xcnt 0x0
	s_and_saveexec_b32 s2, s0
	s_cbranch_execz .LBB52_365
; %bb.356:
	s_and_not1_b32 vcc_lo, exec_lo, s3
	s_cbranch_vccnz .LBB52_358
; %bb.357:
	scratch_load_b64 v[110:111], v39, off
	ds_load_b64 v[112:113], v1
	s_wait_loadcnt_dscnt 0x0
	v_pk_mul_f32 v[114:115], v[112:113], v[110:111] op_sel:[1,1] op_sel_hi:[0,1]
	s_delay_alu instid0(VALU_DEP_1) | instskip(SKIP_1) | instid1(VALU_DEP_2)
	v_pk_fma_f32 v[116:117], v[112:113], v[110:111], v[114:115] op_sel_hi:[1,0,1]
	v_pk_fma_f32 v[110:111], v[112:113], v[110:111], v[114:115] neg_lo:[0,0,1] neg_hi:[0,0,1]
	v_mov_b32_e32 v111, v117
	s_cbranch_execz .LBB52_359
	s_branch .LBB52_360
.LBB52_358:
                                        ; implicit-def: $vgpr110_vgpr111
.LBB52_359:
	ds_load_b64 v[110:111], v1
.LBB52_360:
	s_and_saveexec_b32 s14, s1
	s_cbranch_execz .LBB52_364
; %bb.361:
	v_subrev_nc_u32_e32 v112, 17, v0
	s_movk_i32 s1, 0x88
	s_movk_i32 s16, 0x238
	s_mov_b32 s15, 0
.LBB52_362:                             ; =>This Inner Loop Header: Depth=1
	scratch_load_b64 v[114:115], off, s1
	v_dual_mov_b32 v113, s16 :: v_dual_add_nc_u32 v112, -1, v112
	s_add_co_i32 s16, s16, 8
	s_wait_xcnt 0x0
	s_add_co_i32 s1, s1, 8
	ds_load_b64 v[116:117], v113
	v_cmp_eq_u32_e32 vcc_lo, 0, v112
	s_or_b32 s15, vcc_lo, s15
	s_wait_loadcnt_dscnt 0x0
	v_pk_mul_f32 v[118:119], v[116:117], v[114:115] op_sel:[1,1] op_sel_hi:[0,1]
	s_delay_alu instid0(VALU_DEP_1) | instskip(SKIP_1) | instid1(VALU_DEP_2)
	v_pk_fma_f32 v[120:121], v[116:117], v[114:115], v[118:119] op_sel_hi:[1,0,1]
	v_pk_fma_f32 v[114:115], v[116:117], v[114:115], v[118:119] neg_lo:[0,0,1] neg_hi:[0,0,1]
	v_mov_b32_e32 v115, v121
	s_delay_alu instid0(VALU_DEP_1)
	v_pk_add_f32 v[110:111], v[110:111], v[114:115]
	s_and_not1_b32 exec_lo, exec_lo, s15
	s_cbranch_execnz .LBB52_362
; %bb.363:
	s_or_b32 exec_lo, exec_lo, s15
.LBB52_364:
	s_delay_alu instid0(SALU_CYCLE_1) | instskip(SKIP_4) | instid1(VALU_DEP_1)
	s_or_b32 exec_lo, exec_lo, s14
	v_mov_b32_e32 v112, 0
	ds_load_b64 v[112:113], v112 offset:128
	s_wait_dscnt 0x0
	v_pk_mul_f32 v[114:115], v[110:111], v[112:113] op_sel:[1,1] op_sel_hi:[0,1]
	v_pk_fma_f32 v[116:117], v[110:111], v[112:113], v[114:115] op_sel_hi:[1,0,1]
	v_pk_fma_f32 v[110:111], v[110:111], v[112:113], v[114:115] neg_lo:[0,0,1] neg_hi:[0,0,1]
	s_delay_alu instid0(VALU_DEP_2)
	v_mov_b32_e32 v111, v117
	scratch_store_b64 off, v[110:111], off offset:128
.LBB52_365:
	s_wait_xcnt 0x0
	s_or_b32 exec_lo, exec_lo, s2
	scratch_load_b64 v[110:111], off, off offset:120
	v_cmp_lt_u32_e64 s1, 15, v0
	s_wait_loadcnt 0x0
	ds_store_b64 v1, v[110:111]
	s_wait_storecnt_dscnt 0x0
	s_barrier_signal -1
	s_barrier_wait -1
	s_wait_xcnt 0x0
	s_and_saveexec_b32 s2, s1
	s_cbranch_execz .LBB52_375
; %bb.366:
	s_and_not1_b32 vcc_lo, exec_lo, s3
	s_cbranch_vccnz .LBB52_368
; %bb.367:
	scratch_load_b64 v[110:111], v39, off
	ds_load_b64 v[112:113], v1
	s_wait_loadcnt_dscnt 0x0
	v_pk_mul_f32 v[114:115], v[112:113], v[110:111] op_sel:[1,1] op_sel_hi:[0,1]
	s_delay_alu instid0(VALU_DEP_1) | instskip(SKIP_1) | instid1(VALU_DEP_2)
	v_pk_fma_f32 v[116:117], v[112:113], v[110:111], v[114:115] op_sel_hi:[1,0,1]
	v_pk_fma_f32 v[110:111], v[112:113], v[110:111], v[114:115] neg_lo:[0,0,1] neg_hi:[0,0,1]
	v_mov_b32_e32 v111, v117
	s_cbranch_execz .LBB52_369
	s_branch .LBB52_370
.LBB52_368:
                                        ; implicit-def: $vgpr110_vgpr111
.LBB52_369:
	ds_load_b64 v[110:111], v1
.LBB52_370:
	s_and_saveexec_b32 s14, s0
	s_cbranch_execz .LBB52_374
; %bb.371:
	v_add_nc_u32_e32 v112, -16, v0
	s_movk_i32 s15, 0x230
	s_mov_b32 s0, 0
.LBB52_372:                             ; =>This Inner Loop Header: Depth=1
	scratch_load_b64 v[114:115], off, s13
	v_dual_mov_b32 v113, s15 :: v_dual_add_nc_u32 v112, -1, v112
	s_add_co_i32 s15, s15, 8
	s_wait_xcnt 0x0
	s_add_co_i32 s13, s13, 8
	ds_load_b64 v[116:117], v113
	v_cmp_eq_u32_e32 vcc_lo, 0, v112
	s_or_b32 s0, vcc_lo, s0
	s_wait_loadcnt_dscnt 0x0
	v_pk_mul_f32 v[118:119], v[116:117], v[114:115] op_sel:[1,1] op_sel_hi:[0,1]
	s_delay_alu instid0(VALU_DEP_1) | instskip(SKIP_1) | instid1(VALU_DEP_2)
	v_pk_fma_f32 v[120:121], v[116:117], v[114:115], v[118:119] op_sel_hi:[1,0,1]
	v_pk_fma_f32 v[114:115], v[116:117], v[114:115], v[118:119] neg_lo:[0,0,1] neg_hi:[0,0,1]
	v_mov_b32_e32 v115, v121
	s_delay_alu instid0(VALU_DEP_1)
	v_pk_add_f32 v[110:111], v[110:111], v[114:115]
	s_and_not1_b32 exec_lo, exec_lo, s0
	s_cbranch_execnz .LBB52_372
; %bb.373:
	s_or_b32 exec_lo, exec_lo, s0
.LBB52_374:
	s_delay_alu instid0(SALU_CYCLE_1) | instskip(SKIP_4) | instid1(VALU_DEP_1)
	s_or_b32 exec_lo, exec_lo, s14
	v_mov_b32_e32 v112, 0
	ds_load_b64 v[112:113], v112 offset:120
	s_wait_dscnt 0x0
	v_pk_mul_f32 v[114:115], v[110:111], v[112:113] op_sel:[1,1] op_sel_hi:[0,1]
	v_pk_fma_f32 v[116:117], v[110:111], v[112:113], v[114:115] op_sel_hi:[1,0,1]
	v_pk_fma_f32 v[110:111], v[110:111], v[112:113], v[114:115] neg_lo:[0,0,1] neg_hi:[0,0,1]
	s_delay_alu instid0(VALU_DEP_2)
	v_mov_b32_e32 v111, v117
	scratch_store_b64 off, v[110:111], off offset:120
.LBB52_375:
	s_wait_xcnt 0x0
	s_or_b32 exec_lo, exec_lo, s2
	scratch_load_b64 v[110:111], off, off offset:112
	v_cmp_lt_u32_e64 s0, 14, v0
	s_wait_loadcnt 0x0
	ds_store_b64 v1, v[110:111]
	s_wait_storecnt_dscnt 0x0
	s_barrier_signal -1
	s_barrier_wait -1
	s_wait_xcnt 0x0
	s_and_saveexec_b32 s2, s0
	s_cbranch_execz .LBB52_385
; %bb.376:
	s_and_not1_b32 vcc_lo, exec_lo, s3
	s_cbranch_vccnz .LBB52_378
; %bb.377:
	scratch_load_b64 v[110:111], v39, off
	ds_load_b64 v[112:113], v1
	s_wait_loadcnt_dscnt 0x0
	v_pk_mul_f32 v[114:115], v[112:113], v[110:111] op_sel:[1,1] op_sel_hi:[0,1]
	s_delay_alu instid0(VALU_DEP_1) | instskip(SKIP_1) | instid1(VALU_DEP_2)
	v_pk_fma_f32 v[116:117], v[112:113], v[110:111], v[114:115] op_sel_hi:[1,0,1]
	v_pk_fma_f32 v[110:111], v[112:113], v[110:111], v[114:115] neg_lo:[0,0,1] neg_hi:[0,0,1]
	v_mov_b32_e32 v111, v117
	s_cbranch_execz .LBB52_379
	s_branch .LBB52_380
.LBB52_378:
                                        ; implicit-def: $vgpr110_vgpr111
.LBB52_379:
	ds_load_b64 v[110:111], v1
.LBB52_380:
	s_and_saveexec_b32 s13, s1
	s_cbranch_execz .LBB52_384
; %bb.381:
	v_add_nc_u32_e32 v112, -15, v0
	s_movk_i32 s1, 0x78
	s_movk_i32 s15, 0x228
	s_mov_b32 s14, 0
.LBB52_382:                             ; =>This Inner Loop Header: Depth=1
	scratch_load_b64 v[114:115], off, s1
	v_dual_mov_b32 v113, s15 :: v_dual_add_nc_u32 v112, -1, v112
	s_add_co_i32 s15, s15, 8
	s_wait_xcnt 0x0
	s_add_co_i32 s1, s1, 8
	ds_load_b64 v[116:117], v113
	v_cmp_eq_u32_e32 vcc_lo, 0, v112
	s_or_b32 s14, vcc_lo, s14
	s_wait_loadcnt_dscnt 0x0
	v_pk_mul_f32 v[118:119], v[116:117], v[114:115] op_sel:[1,1] op_sel_hi:[0,1]
	s_delay_alu instid0(VALU_DEP_1) | instskip(SKIP_1) | instid1(VALU_DEP_2)
	v_pk_fma_f32 v[120:121], v[116:117], v[114:115], v[118:119] op_sel_hi:[1,0,1]
	v_pk_fma_f32 v[114:115], v[116:117], v[114:115], v[118:119] neg_lo:[0,0,1] neg_hi:[0,0,1]
	v_mov_b32_e32 v115, v121
	s_delay_alu instid0(VALU_DEP_1)
	v_pk_add_f32 v[110:111], v[110:111], v[114:115]
	s_and_not1_b32 exec_lo, exec_lo, s14
	s_cbranch_execnz .LBB52_382
; %bb.383:
	s_or_b32 exec_lo, exec_lo, s14
.LBB52_384:
	s_delay_alu instid0(SALU_CYCLE_1) | instskip(SKIP_4) | instid1(VALU_DEP_1)
	s_or_b32 exec_lo, exec_lo, s13
	v_mov_b32_e32 v112, 0
	ds_load_b64 v[112:113], v112 offset:112
	s_wait_dscnt 0x0
	v_pk_mul_f32 v[114:115], v[110:111], v[112:113] op_sel:[1,1] op_sel_hi:[0,1]
	v_pk_fma_f32 v[116:117], v[110:111], v[112:113], v[114:115] op_sel_hi:[1,0,1]
	v_pk_fma_f32 v[110:111], v[110:111], v[112:113], v[114:115] neg_lo:[0,0,1] neg_hi:[0,0,1]
	s_delay_alu instid0(VALU_DEP_2)
	v_mov_b32_e32 v111, v117
	scratch_store_b64 off, v[110:111], off offset:112
.LBB52_385:
	s_wait_xcnt 0x0
	s_or_b32 exec_lo, exec_lo, s2
	scratch_load_b64 v[110:111], off, off offset:104
	v_cmp_lt_u32_e64 s1, 13, v0
	s_wait_loadcnt 0x0
	ds_store_b64 v1, v[110:111]
	s_wait_storecnt_dscnt 0x0
	s_barrier_signal -1
	s_barrier_wait -1
	s_wait_xcnt 0x0
	s_and_saveexec_b32 s2, s1
	s_cbranch_execz .LBB52_395
; %bb.386:
	s_and_not1_b32 vcc_lo, exec_lo, s3
	s_cbranch_vccnz .LBB52_388
; %bb.387:
	scratch_load_b64 v[110:111], v39, off
	ds_load_b64 v[112:113], v1
	s_wait_loadcnt_dscnt 0x0
	v_pk_mul_f32 v[114:115], v[112:113], v[110:111] op_sel:[1,1] op_sel_hi:[0,1]
	s_delay_alu instid0(VALU_DEP_1) | instskip(SKIP_1) | instid1(VALU_DEP_2)
	v_pk_fma_f32 v[116:117], v[112:113], v[110:111], v[114:115] op_sel_hi:[1,0,1]
	v_pk_fma_f32 v[110:111], v[112:113], v[110:111], v[114:115] neg_lo:[0,0,1] neg_hi:[0,0,1]
	v_mov_b32_e32 v111, v117
	s_cbranch_execz .LBB52_389
	s_branch .LBB52_390
.LBB52_388:
                                        ; implicit-def: $vgpr110_vgpr111
.LBB52_389:
	ds_load_b64 v[110:111], v1
.LBB52_390:
	s_and_saveexec_b32 s13, s0
	s_cbranch_execz .LBB52_394
; %bb.391:
	v_add_nc_u32_e32 v112, -14, v0
	s_movk_i32 s14, 0x220
	s_mov_b32 s0, 0
.LBB52_392:                             ; =>This Inner Loop Header: Depth=1
	scratch_load_b64 v[114:115], off, s12
	v_dual_mov_b32 v113, s14 :: v_dual_add_nc_u32 v112, -1, v112
	s_add_co_i32 s14, s14, 8
	s_wait_xcnt 0x0
	s_add_co_i32 s12, s12, 8
	ds_load_b64 v[116:117], v113
	v_cmp_eq_u32_e32 vcc_lo, 0, v112
	s_or_b32 s0, vcc_lo, s0
	s_wait_loadcnt_dscnt 0x0
	v_pk_mul_f32 v[118:119], v[116:117], v[114:115] op_sel:[1,1] op_sel_hi:[0,1]
	s_delay_alu instid0(VALU_DEP_1) | instskip(SKIP_1) | instid1(VALU_DEP_2)
	v_pk_fma_f32 v[120:121], v[116:117], v[114:115], v[118:119] op_sel_hi:[1,0,1]
	v_pk_fma_f32 v[114:115], v[116:117], v[114:115], v[118:119] neg_lo:[0,0,1] neg_hi:[0,0,1]
	v_mov_b32_e32 v115, v121
	s_delay_alu instid0(VALU_DEP_1)
	v_pk_add_f32 v[110:111], v[110:111], v[114:115]
	s_and_not1_b32 exec_lo, exec_lo, s0
	s_cbranch_execnz .LBB52_392
; %bb.393:
	s_or_b32 exec_lo, exec_lo, s0
.LBB52_394:
	s_delay_alu instid0(SALU_CYCLE_1) | instskip(SKIP_4) | instid1(VALU_DEP_1)
	s_or_b32 exec_lo, exec_lo, s13
	v_mov_b32_e32 v112, 0
	ds_load_b64 v[112:113], v112 offset:104
	s_wait_dscnt 0x0
	v_pk_mul_f32 v[114:115], v[110:111], v[112:113] op_sel:[1,1] op_sel_hi:[0,1]
	v_pk_fma_f32 v[116:117], v[110:111], v[112:113], v[114:115] op_sel_hi:[1,0,1]
	v_pk_fma_f32 v[110:111], v[110:111], v[112:113], v[114:115] neg_lo:[0,0,1] neg_hi:[0,0,1]
	s_delay_alu instid0(VALU_DEP_2)
	v_mov_b32_e32 v111, v117
	scratch_store_b64 off, v[110:111], off offset:104
.LBB52_395:
	s_wait_xcnt 0x0
	s_or_b32 exec_lo, exec_lo, s2
	scratch_load_b64 v[110:111], off, off offset:96
	v_cmp_lt_u32_e64 s0, 12, v0
	s_wait_loadcnt 0x0
	ds_store_b64 v1, v[110:111]
	s_wait_storecnt_dscnt 0x0
	s_barrier_signal -1
	s_barrier_wait -1
	s_wait_xcnt 0x0
	s_and_saveexec_b32 s2, s0
	s_cbranch_execz .LBB52_405
; %bb.396:
	s_and_not1_b32 vcc_lo, exec_lo, s3
	s_cbranch_vccnz .LBB52_398
; %bb.397:
	scratch_load_b64 v[110:111], v39, off
	ds_load_b64 v[112:113], v1
	s_wait_loadcnt_dscnt 0x0
	v_pk_mul_f32 v[114:115], v[112:113], v[110:111] op_sel:[1,1] op_sel_hi:[0,1]
	s_delay_alu instid0(VALU_DEP_1) | instskip(SKIP_1) | instid1(VALU_DEP_2)
	v_pk_fma_f32 v[116:117], v[112:113], v[110:111], v[114:115] op_sel_hi:[1,0,1]
	v_pk_fma_f32 v[110:111], v[112:113], v[110:111], v[114:115] neg_lo:[0,0,1] neg_hi:[0,0,1]
	v_mov_b32_e32 v111, v117
	s_cbranch_execz .LBB52_399
	s_branch .LBB52_400
.LBB52_398:
                                        ; implicit-def: $vgpr110_vgpr111
.LBB52_399:
	ds_load_b64 v[110:111], v1
.LBB52_400:
	s_and_saveexec_b32 s12, s1
	s_cbranch_execz .LBB52_404
; %bb.401:
	v_add_nc_u32_e32 v112, -13, v0
	s_movk_i32 s1, 0x68
	s_movk_i32 s14, 0x218
	s_mov_b32 s13, 0
.LBB52_402:                             ; =>This Inner Loop Header: Depth=1
	scratch_load_b64 v[114:115], off, s1
	v_dual_mov_b32 v113, s14 :: v_dual_add_nc_u32 v112, -1, v112
	s_add_co_i32 s14, s14, 8
	s_wait_xcnt 0x0
	s_add_co_i32 s1, s1, 8
	ds_load_b64 v[116:117], v113
	v_cmp_eq_u32_e32 vcc_lo, 0, v112
	s_or_b32 s13, vcc_lo, s13
	s_wait_loadcnt_dscnt 0x0
	v_pk_mul_f32 v[118:119], v[116:117], v[114:115] op_sel:[1,1] op_sel_hi:[0,1]
	s_delay_alu instid0(VALU_DEP_1) | instskip(SKIP_1) | instid1(VALU_DEP_2)
	v_pk_fma_f32 v[120:121], v[116:117], v[114:115], v[118:119] op_sel_hi:[1,0,1]
	v_pk_fma_f32 v[114:115], v[116:117], v[114:115], v[118:119] neg_lo:[0,0,1] neg_hi:[0,0,1]
	v_mov_b32_e32 v115, v121
	s_delay_alu instid0(VALU_DEP_1)
	v_pk_add_f32 v[110:111], v[110:111], v[114:115]
	s_and_not1_b32 exec_lo, exec_lo, s13
	s_cbranch_execnz .LBB52_402
; %bb.403:
	s_or_b32 exec_lo, exec_lo, s13
.LBB52_404:
	s_delay_alu instid0(SALU_CYCLE_1) | instskip(SKIP_4) | instid1(VALU_DEP_1)
	s_or_b32 exec_lo, exec_lo, s12
	v_mov_b32_e32 v112, 0
	ds_load_b64 v[112:113], v112 offset:96
	s_wait_dscnt 0x0
	v_pk_mul_f32 v[114:115], v[110:111], v[112:113] op_sel:[1,1] op_sel_hi:[0,1]
	v_pk_fma_f32 v[116:117], v[110:111], v[112:113], v[114:115] op_sel_hi:[1,0,1]
	v_pk_fma_f32 v[110:111], v[110:111], v[112:113], v[114:115] neg_lo:[0,0,1] neg_hi:[0,0,1]
	s_delay_alu instid0(VALU_DEP_2)
	v_mov_b32_e32 v111, v117
	scratch_store_b64 off, v[110:111], off offset:96
.LBB52_405:
	s_wait_xcnt 0x0
	s_or_b32 exec_lo, exec_lo, s2
	scratch_load_b64 v[110:111], off, off offset:88
	v_cmp_lt_u32_e64 s1, 11, v0
	s_wait_loadcnt 0x0
	ds_store_b64 v1, v[110:111]
	s_wait_storecnt_dscnt 0x0
	s_barrier_signal -1
	s_barrier_wait -1
	s_wait_xcnt 0x0
	s_and_saveexec_b32 s2, s1
	s_cbranch_execz .LBB52_415
; %bb.406:
	s_and_not1_b32 vcc_lo, exec_lo, s3
	s_cbranch_vccnz .LBB52_408
; %bb.407:
	scratch_load_b64 v[110:111], v39, off
	ds_load_b64 v[112:113], v1
	s_wait_loadcnt_dscnt 0x0
	v_pk_mul_f32 v[114:115], v[112:113], v[110:111] op_sel:[1,1] op_sel_hi:[0,1]
	s_delay_alu instid0(VALU_DEP_1) | instskip(SKIP_1) | instid1(VALU_DEP_2)
	v_pk_fma_f32 v[116:117], v[112:113], v[110:111], v[114:115] op_sel_hi:[1,0,1]
	v_pk_fma_f32 v[110:111], v[112:113], v[110:111], v[114:115] neg_lo:[0,0,1] neg_hi:[0,0,1]
	v_mov_b32_e32 v111, v117
	s_cbranch_execz .LBB52_409
	s_branch .LBB52_410
.LBB52_408:
                                        ; implicit-def: $vgpr110_vgpr111
.LBB52_409:
	ds_load_b64 v[110:111], v1
.LBB52_410:
	s_and_saveexec_b32 s12, s0
	s_cbranch_execz .LBB52_414
; %bb.411:
	v_add_nc_u32_e32 v112, -12, v0
	s_movk_i32 s13, 0x210
	s_mov_b32 s0, 0
.LBB52_412:                             ; =>This Inner Loop Header: Depth=1
	scratch_load_b64 v[114:115], off, s11
	v_dual_mov_b32 v113, s13 :: v_dual_add_nc_u32 v112, -1, v112
	s_add_co_i32 s13, s13, 8
	s_wait_xcnt 0x0
	s_add_co_i32 s11, s11, 8
	ds_load_b64 v[116:117], v113
	v_cmp_eq_u32_e32 vcc_lo, 0, v112
	s_or_b32 s0, vcc_lo, s0
	s_wait_loadcnt_dscnt 0x0
	v_pk_mul_f32 v[118:119], v[116:117], v[114:115] op_sel:[1,1] op_sel_hi:[0,1]
	s_delay_alu instid0(VALU_DEP_1) | instskip(SKIP_1) | instid1(VALU_DEP_2)
	v_pk_fma_f32 v[120:121], v[116:117], v[114:115], v[118:119] op_sel_hi:[1,0,1]
	v_pk_fma_f32 v[114:115], v[116:117], v[114:115], v[118:119] neg_lo:[0,0,1] neg_hi:[0,0,1]
	v_mov_b32_e32 v115, v121
	s_delay_alu instid0(VALU_DEP_1)
	v_pk_add_f32 v[110:111], v[110:111], v[114:115]
	s_and_not1_b32 exec_lo, exec_lo, s0
	s_cbranch_execnz .LBB52_412
; %bb.413:
	s_or_b32 exec_lo, exec_lo, s0
.LBB52_414:
	s_delay_alu instid0(SALU_CYCLE_1) | instskip(SKIP_4) | instid1(VALU_DEP_1)
	s_or_b32 exec_lo, exec_lo, s12
	v_mov_b32_e32 v112, 0
	ds_load_b64 v[112:113], v112 offset:88
	s_wait_dscnt 0x0
	v_pk_mul_f32 v[114:115], v[110:111], v[112:113] op_sel:[1,1] op_sel_hi:[0,1]
	v_pk_fma_f32 v[116:117], v[110:111], v[112:113], v[114:115] op_sel_hi:[1,0,1]
	v_pk_fma_f32 v[110:111], v[110:111], v[112:113], v[114:115] neg_lo:[0,0,1] neg_hi:[0,0,1]
	s_delay_alu instid0(VALU_DEP_2)
	v_mov_b32_e32 v111, v117
	scratch_store_b64 off, v[110:111], off offset:88
.LBB52_415:
	s_wait_xcnt 0x0
	s_or_b32 exec_lo, exec_lo, s2
	scratch_load_b64 v[110:111], off, off offset:80
	v_cmp_lt_u32_e64 s0, 10, v0
	s_wait_loadcnt 0x0
	ds_store_b64 v1, v[110:111]
	s_wait_storecnt_dscnt 0x0
	s_barrier_signal -1
	s_barrier_wait -1
	s_wait_xcnt 0x0
	s_and_saveexec_b32 s2, s0
	s_cbranch_execz .LBB52_425
; %bb.416:
	s_and_not1_b32 vcc_lo, exec_lo, s3
	s_cbranch_vccnz .LBB52_418
; %bb.417:
	scratch_load_b64 v[110:111], v39, off
	ds_load_b64 v[112:113], v1
	s_wait_loadcnt_dscnt 0x0
	v_pk_mul_f32 v[114:115], v[112:113], v[110:111] op_sel:[1,1] op_sel_hi:[0,1]
	s_delay_alu instid0(VALU_DEP_1) | instskip(SKIP_1) | instid1(VALU_DEP_2)
	v_pk_fma_f32 v[116:117], v[112:113], v[110:111], v[114:115] op_sel_hi:[1,0,1]
	v_pk_fma_f32 v[110:111], v[112:113], v[110:111], v[114:115] neg_lo:[0,0,1] neg_hi:[0,0,1]
	v_mov_b32_e32 v111, v117
	s_cbranch_execz .LBB52_419
	s_branch .LBB52_420
.LBB52_418:
                                        ; implicit-def: $vgpr110_vgpr111
.LBB52_419:
	ds_load_b64 v[110:111], v1
.LBB52_420:
	s_and_saveexec_b32 s11, s1
	s_cbranch_execz .LBB52_424
; %bb.421:
	v_add_nc_u32_e32 v112, -11, v0
	s_movk_i32 s1, 0x58
	s_movk_i32 s13, 0x208
	s_mov_b32 s12, 0
.LBB52_422:                             ; =>This Inner Loop Header: Depth=1
	scratch_load_b64 v[114:115], off, s1
	v_dual_mov_b32 v113, s13 :: v_dual_add_nc_u32 v112, -1, v112
	s_add_co_i32 s13, s13, 8
	s_wait_xcnt 0x0
	s_add_co_i32 s1, s1, 8
	ds_load_b64 v[116:117], v113
	v_cmp_eq_u32_e32 vcc_lo, 0, v112
	s_or_b32 s12, vcc_lo, s12
	s_wait_loadcnt_dscnt 0x0
	v_pk_mul_f32 v[118:119], v[116:117], v[114:115] op_sel:[1,1] op_sel_hi:[0,1]
	s_delay_alu instid0(VALU_DEP_1) | instskip(SKIP_1) | instid1(VALU_DEP_2)
	v_pk_fma_f32 v[120:121], v[116:117], v[114:115], v[118:119] op_sel_hi:[1,0,1]
	v_pk_fma_f32 v[114:115], v[116:117], v[114:115], v[118:119] neg_lo:[0,0,1] neg_hi:[0,0,1]
	v_mov_b32_e32 v115, v121
	s_delay_alu instid0(VALU_DEP_1)
	v_pk_add_f32 v[110:111], v[110:111], v[114:115]
	s_and_not1_b32 exec_lo, exec_lo, s12
	s_cbranch_execnz .LBB52_422
; %bb.423:
	s_or_b32 exec_lo, exec_lo, s12
.LBB52_424:
	s_delay_alu instid0(SALU_CYCLE_1) | instskip(SKIP_4) | instid1(VALU_DEP_1)
	s_or_b32 exec_lo, exec_lo, s11
	v_mov_b32_e32 v112, 0
	ds_load_b64 v[112:113], v112 offset:80
	s_wait_dscnt 0x0
	v_pk_mul_f32 v[114:115], v[110:111], v[112:113] op_sel:[1,1] op_sel_hi:[0,1]
	v_pk_fma_f32 v[116:117], v[110:111], v[112:113], v[114:115] op_sel_hi:[1,0,1]
	v_pk_fma_f32 v[110:111], v[110:111], v[112:113], v[114:115] neg_lo:[0,0,1] neg_hi:[0,0,1]
	s_delay_alu instid0(VALU_DEP_2)
	v_mov_b32_e32 v111, v117
	scratch_store_b64 off, v[110:111], off offset:80
.LBB52_425:
	s_wait_xcnt 0x0
	s_or_b32 exec_lo, exec_lo, s2
	scratch_load_b64 v[110:111], off, off offset:72
	v_cmp_lt_u32_e64 s1, 9, v0
	s_wait_loadcnt 0x0
	ds_store_b64 v1, v[110:111]
	s_wait_storecnt_dscnt 0x0
	s_barrier_signal -1
	s_barrier_wait -1
	s_wait_xcnt 0x0
	s_and_saveexec_b32 s2, s1
	s_cbranch_execz .LBB52_435
; %bb.426:
	s_and_not1_b32 vcc_lo, exec_lo, s3
	s_cbranch_vccnz .LBB52_428
; %bb.427:
	scratch_load_b64 v[110:111], v39, off
	ds_load_b64 v[112:113], v1
	s_wait_loadcnt_dscnt 0x0
	v_pk_mul_f32 v[114:115], v[112:113], v[110:111] op_sel:[1,1] op_sel_hi:[0,1]
	s_delay_alu instid0(VALU_DEP_1) | instskip(SKIP_1) | instid1(VALU_DEP_2)
	v_pk_fma_f32 v[116:117], v[112:113], v[110:111], v[114:115] op_sel_hi:[1,0,1]
	v_pk_fma_f32 v[110:111], v[112:113], v[110:111], v[114:115] neg_lo:[0,0,1] neg_hi:[0,0,1]
	v_mov_b32_e32 v111, v117
	s_cbranch_execz .LBB52_429
	s_branch .LBB52_430
.LBB52_428:
                                        ; implicit-def: $vgpr110_vgpr111
.LBB52_429:
	ds_load_b64 v[110:111], v1
.LBB52_430:
	s_and_saveexec_b32 s11, s0
	s_cbranch_execz .LBB52_434
; %bb.431:
	v_add_nc_u32_e32 v112, -10, v0
	s_movk_i32 s12, 0x200
	s_mov_b32 s0, 0
.LBB52_432:                             ; =>This Inner Loop Header: Depth=1
	scratch_load_b64 v[114:115], off, s10
	v_dual_mov_b32 v113, s12 :: v_dual_add_nc_u32 v112, -1, v112
	s_add_co_i32 s12, s12, 8
	s_wait_xcnt 0x0
	s_add_co_i32 s10, s10, 8
	ds_load_b64 v[116:117], v113
	v_cmp_eq_u32_e32 vcc_lo, 0, v112
	s_or_b32 s0, vcc_lo, s0
	s_wait_loadcnt_dscnt 0x0
	v_pk_mul_f32 v[118:119], v[116:117], v[114:115] op_sel:[1,1] op_sel_hi:[0,1]
	s_delay_alu instid0(VALU_DEP_1) | instskip(SKIP_1) | instid1(VALU_DEP_2)
	v_pk_fma_f32 v[120:121], v[116:117], v[114:115], v[118:119] op_sel_hi:[1,0,1]
	v_pk_fma_f32 v[114:115], v[116:117], v[114:115], v[118:119] neg_lo:[0,0,1] neg_hi:[0,0,1]
	v_mov_b32_e32 v115, v121
	s_delay_alu instid0(VALU_DEP_1)
	v_pk_add_f32 v[110:111], v[110:111], v[114:115]
	s_and_not1_b32 exec_lo, exec_lo, s0
	s_cbranch_execnz .LBB52_432
; %bb.433:
	s_or_b32 exec_lo, exec_lo, s0
.LBB52_434:
	s_delay_alu instid0(SALU_CYCLE_1) | instskip(SKIP_4) | instid1(VALU_DEP_1)
	s_or_b32 exec_lo, exec_lo, s11
	v_mov_b32_e32 v112, 0
	ds_load_b64 v[112:113], v112 offset:72
	s_wait_dscnt 0x0
	v_pk_mul_f32 v[114:115], v[110:111], v[112:113] op_sel:[1,1] op_sel_hi:[0,1]
	v_pk_fma_f32 v[116:117], v[110:111], v[112:113], v[114:115] op_sel_hi:[1,0,1]
	v_pk_fma_f32 v[110:111], v[110:111], v[112:113], v[114:115] neg_lo:[0,0,1] neg_hi:[0,0,1]
	s_delay_alu instid0(VALU_DEP_2)
	v_mov_b32_e32 v111, v117
	scratch_store_b64 off, v[110:111], off offset:72
.LBB52_435:
	s_wait_xcnt 0x0
	s_or_b32 exec_lo, exec_lo, s2
	scratch_load_b64 v[110:111], off, off offset:64
	v_cmp_lt_u32_e64 s0, 8, v0
	s_wait_loadcnt 0x0
	ds_store_b64 v1, v[110:111]
	s_wait_storecnt_dscnt 0x0
	s_barrier_signal -1
	s_barrier_wait -1
	s_wait_xcnt 0x0
	s_and_saveexec_b32 s2, s0
	s_cbranch_execz .LBB52_445
; %bb.436:
	s_and_not1_b32 vcc_lo, exec_lo, s3
	s_cbranch_vccnz .LBB52_438
; %bb.437:
	scratch_load_b64 v[110:111], v39, off
	ds_load_b64 v[112:113], v1
	s_wait_loadcnt_dscnt 0x0
	v_pk_mul_f32 v[114:115], v[112:113], v[110:111] op_sel:[1,1] op_sel_hi:[0,1]
	s_delay_alu instid0(VALU_DEP_1) | instskip(SKIP_1) | instid1(VALU_DEP_2)
	v_pk_fma_f32 v[116:117], v[112:113], v[110:111], v[114:115] op_sel_hi:[1,0,1]
	v_pk_fma_f32 v[110:111], v[112:113], v[110:111], v[114:115] neg_lo:[0,0,1] neg_hi:[0,0,1]
	v_mov_b32_e32 v111, v117
	s_cbranch_execz .LBB52_439
	s_branch .LBB52_440
.LBB52_438:
                                        ; implicit-def: $vgpr110_vgpr111
.LBB52_439:
	ds_load_b64 v[110:111], v1
.LBB52_440:
	s_and_saveexec_b32 s10, s1
	s_cbranch_execz .LBB52_444
; %bb.441:
	v_add_nc_u32_e32 v112, -9, v0
	s_movk_i32 s1, 0x48
	s_movk_i32 s12, 0x1f8
	s_mov_b32 s11, 0
.LBB52_442:                             ; =>This Inner Loop Header: Depth=1
	scratch_load_b64 v[114:115], off, s1
	v_dual_mov_b32 v113, s12 :: v_dual_add_nc_u32 v112, -1, v112
	s_add_co_i32 s12, s12, 8
	s_wait_xcnt 0x0
	s_add_co_i32 s1, s1, 8
	ds_load_b64 v[116:117], v113
	v_cmp_eq_u32_e32 vcc_lo, 0, v112
	s_or_b32 s11, vcc_lo, s11
	s_wait_loadcnt_dscnt 0x0
	v_pk_mul_f32 v[118:119], v[116:117], v[114:115] op_sel:[1,1] op_sel_hi:[0,1]
	s_delay_alu instid0(VALU_DEP_1) | instskip(SKIP_1) | instid1(VALU_DEP_2)
	v_pk_fma_f32 v[120:121], v[116:117], v[114:115], v[118:119] op_sel_hi:[1,0,1]
	v_pk_fma_f32 v[114:115], v[116:117], v[114:115], v[118:119] neg_lo:[0,0,1] neg_hi:[0,0,1]
	v_mov_b32_e32 v115, v121
	s_delay_alu instid0(VALU_DEP_1)
	v_pk_add_f32 v[110:111], v[110:111], v[114:115]
	s_and_not1_b32 exec_lo, exec_lo, s11
	s_cbranch_execnz .LBB52_442
; %bb.443:
	s_or_b32 exec_lo, exec_lo, s11
.LBB52_444:
	s_delay_alu instid0(SALU_CYCLE_1) | instskip(SKIP_4) | instid1(VALU_DEP_1)
	s_or_b32 exec_lo, exec_lo, s10
	v_mov_b32_e32 v112, 0
	ds_load_b64 v[112:113], v112 offset:64
	s_wait_dscnt 0x0
	v_pk_mul_f32 v[114:115], v[110:111], v[112:113] op_sel:[1,1] op_sel_hi:[0,1]
	v_pk_fma_f32 v[116:117], v[110:111], v[112:113], v[114:115] op_sel_hi:[1,0,1]
	v_pk_fma_f32 v[110:111], v[110:111], v[112:113], v[114:115] neg_lo:[0,0,1] neg_hi:[0,0,1]
	s_delay_alu instid0(VALU_DEP_2)
	v_mov_b32_e32 v111, v117
	scratch_store_b64 off, v[110:111], off offset:64
.LBB52_445:
	s_wait_xcnt 0x0
	s_or_b32 exec_lo, exec_lo, s2
	scratch_load_b64 v[110:111], off, off offset:56
	v_cmp_lt_u32_e64 s1, 7, v0
	s_wait_loadcnt 0x0
	ds_store_b64 v1, v[110:111]
	s_wait_storecnt_dscnt 0x0
	s_barrier_signal -1
	s_barrier_wait -1
	s_wait_xcnt 0x0
	s_and_saveexec_b32 s2, s1
	s_cbranch_execz .LBB52_455
; %bb.446:
	s_and_not1_b32 vcc_lo, exec_lo, s3
	s_cbranch_vccnz .LBB52_448
; %bb.447:
	scratch_load_b64 v[110:111], v39, off
	ds_load_b64 v[112:113], v1
	s_wait_loadcnt_dscnt 0x0
	v_pk_mul_f32 v[114:115], v[112:113], v[110:111] op_sel:[1,1] op_sel_hi:[0,1]
	s_delay_alu instid0(VALU_DEP_1) | instskip(SKIP_1) | instid1(VALU_DEP_2)
	v_pk_fma_f32 v[116:117], v[112:113], v[110:111], v[114:115] op_sel_hi:[1,0,1]
	v_pk_fma_f32 v[110:111], v[112:113], v[110:111], v[114:115] neg_lo:[0,0,1] neg_hi:[0,0,1]
	v_mov_b32_e32 v111, v117
	s_cbranch_execz .LBB52_449
	s_branch .LBB52_450
.LBB52_448:
                                        ; implicit-def: $vgpr110_vgpr111
.LBB52_449:
	ds_load_b64 v[110:111], v1
.LBB52_450:
	s_and_saveexec_b32 s10, s0
	s_cbranch_execz .LBB52_454
; %bb.451:
	v_add_nc_u32_e32 v112, -8, v0
	s_movk_i32 s11, 0x1f0
	s_mov_b32 s0, 0
.LBB52_452:                             ; =>This Inner Loop Header: Depth=1
	scratch_load_b64 v[114:115], off, s9
	v_dual_mov_b32 v113, s11 :: v_dual_add_nc_u32 v112, -1, v112
	s_add_co_i32 s11, s11, 8
	s_wait_xcnt 0x0
	s_add_co_i32 s9, s9, 8
	ds_load_b64 v[116:117], v113
	v_cmp_eq_u32_e32 vcc_lo, 0, v112
	s_or_b32 s0, vcc_lo, s0
	s_wait_loadcnt_dscnt 0x0
	v_pk_mul_f32 v[118:119], v[116:117], v[114:115] op_sel:[1,1] op_sel_hi:[0,1]
	s_delay_alu instid0(VALU_DEP_1) | instskip(SKIP_1) | instid1(VALU_DEP_2)
	v_pk_fma_f32 v[120:121], v[116:117], v[114:115], v[118:119] op_sel_hi:[1,0,1]
	v_pk_fma_f32 v[114:115], v[116:117], v[114:115], v[118:119] neg_lo:[0,0,1] neg_hi:[0,0,1]
	v_mov_b32_e32 v115, v121
	s_delay_alu instid0(VALU_DEP_1)
	v_pk_add_f32 v[110:111], v[110:111], v[114:115]
	s_and_not1_b32 exec_lo, exec_lo, s0
	s_cbranch_execnz .LBB52_452
; %bb.453:
	s_or_b32 exec_lo, exec_lo, s0
.LBB52_454:
	s_delay_alu instid0(SALU_CYCLE_1) | instskip(SKIP_4) | instid1(VALU_DEP_1)
	s_or_b32 exec_lo, exec_lo, s10
	v_mov_b32_e32 v112, 0
	ds_load_b64 v[112:113], v112 offset:56
	s_wait_dscnt 0x0
	v_pk_mul_f32 v[114:115], v[110:111], v[112:113] op_sel:[1,1] op_sel_hi:[0,1]
	v_pk_fma_f32 v[116:117], v[110:111], v[112:113], v[114:115] op_sel_hi:[1,0,1]
	v_pk_fma_f32 v[110:111], v[110:111], v[112:113], v[114:115] neg_lo:[0,0,1] neg_hi:[0,0,1]
	s_delay_alu instid0(VALU_DEP_2)
	v_mov_b32_e32 v111, v117
	scratch_store_b64 off, v[110:111], off offset:56
.LBB52_455:
	s_wait_xcnt 0x0
	s_or_b32 exec_lo, exec_lo, s2
	scratch_load_b64 v[110:111], off, off offset:48
	v_cmp_lt_u32_e64 s0, 6, v0
	s_wait_loadcnt 0x0
	ds_store_b64 v1, v[110:111]
	s_wait_storecnt_dscnt 0x0
	s_barrier_signal -1
	s_barrier_wait -1
	s_wait_xcnt 0x0
	s_and_saveexec_b32 s2, s0
	s_cbranch_execz .LBB52_465
; %bb.456:
	s_and_not1_b32 vcc_lo, exec_lo, s3
	s_cbranch_vccnz .LBB52_458
; %bb.457:
	scratch_load_b64 v[110:111], v39, off
	ds_load_b64 v[112:113], v1
	s_wait_loadcnt_dscnt 0x0
	v_pk_mul_f32 v[114:115], v[112:113], v[110:111] op_sel:[1,1] op_sel_hi:[0,1]
	s_delay_alu instid0(VALU_DEP_1) | instskip(SKIP_1) | instid1(VALU_DEP_2)
	v_pk_fma_f32 v[116:117], v[112:113], v[110:111], v[114:115] op_sel_hi:[1,0,1]
	v_pk_fma_f32 v[110:111], v[112:113], v[110:111], v[114:115] neg_lo:[0,0,1] neg_hi:[0,0,1]
	v_mov_b32_e32 v111, v117
	s_cbranch_execz .LBB52_459
	s_branch .LBB52_460
.LBB52_458:
                                        ; implicit-def: $vgpr110_vgpr111
.LBB52_459:
	ds_load_b64 v[110:111], v1
.LBB52_460:
	s_and_saveexec_b32 s9, s1
	s_cbranch_execz .LBB52_464
; %bb.461:
	v_add_nc_u32_e32 v112, -7, v0
	s_mov_b32 s1, 56
	s_movk_i32 s11, 0x1e8
	s_mov_b32 s10, 0
.LBB52_462:                             ; =>This Inner Loop Header: Depth=1
	scratch_load_b64 v[114:115], off, s1
	v_dual_mov_b32 v113, s11 :: v_dual_add_nc_u32 v112, -1, v112
	s_add_co_i32 s11, s11, 8
	s_wait_xcnt 0x0
	s_add_co_i32 s1, s1, 8
	ds_load_b64 v[116:117], v113
	v_cmp_eq_u32_e32 vcc_lo, 0, v112
	s_or_b32 s10, vcc_lo, s10
	s_wait_loadcnt_dscnt 0x0
	v_pk_mul_f32 v[118:119], v[116:117], v[114:115] op_sel:[1,1] op_sel_hi:[0,1]
	s_delay_alu instid0(VALU_DEP_1) | instskip(SKIP_1) | instid1(VALU_DEP_2)
	v_pk_fma_f32 v[120:121], v[116:117], v[114:115], v[118:119] op_sel_hi:[1,0,1]
	v_pk_fma_f32 v[114:115], v[116:117], v[114:115], v[118:119] neg_lo:[0,0,1] neg_hi:[0,0,1]
	v_mov_b32_e32 v115, v121
	s_delay_alu instid0(VALU_DEP_1)
	v_pk_add_f32 v[110:111], v[110:111], v[114:115]
	s_and_not1_b32 exec_lo, exec_lo, s10
	s_cbranch_execnz .LBB52_462
; %bb.463:
	s_or_b32 exec_lo, exec_lo, s10
.LBB52_464:
	s_delay_alu instid0(SALU_CYCLE_1) | instskip(SKIP_4) | instid1(VALU_DEP_1)
	s_or_b32 exec_lo, exec_lo, s9
	v_mov_b32_e32 v112, 0
	ds_load_b64 v[112:113], v112 offset:48
	s_wait_dscnt 0x0
	v_pk_mul_f32 v[114:115], v[110:111], v[112:113] op_sel:[1,1] op_sel_hi:[0,1]
	v_pk_fma_f32 v[116:117], v[110:111], v[112:113], v[114:115] op_sel_hi:[1,0,1]
	v_pk_fma_f32 v[110:111], v[110:111], v[112:113], v[114:115] neg_lo:[0,0,1] neg_hi:[0,0,1]
	s_delay_alu instid0(VALU_DEP_2)
	v_mov_b32_e32 v111, v117
	scratch_store_b64 off, v[110:111], off offset:48
.LBB52_465:
	s_wait_xcnt 0x0
	s_or_b32 exec_lo, exec_lo, s2
	scratch_load_b64 v[110:111], off, off offset:40
	v_cmp_lt_u32_e64 s1, 5, v0
	s_wait_loadcnt 0x0
	ds_store_b64 v1, v[110:111]
	s_wait_storecnt_dscnt 0x0
	s_barrier_signal -1
	s_barrier_wait -1
	s_wait_xcnt 0x0
	s_and_saveexec_b32 s2, s1
	s_cbranch_execz .LBB52_475
; %bb.466:
	s_and_not1_b32 vcc_lo, exec_lo, s3
	s_cbranch_vccnz .LBB52_468
; %bb.467:
	scratch_load_b64 v[110:111], v39, off
	ds_load_b64 v[112:113], v1
	s_wait_loadcnt_dscnt 0x0
	v_pk_mul_f32 v[114:115], v[112:113], v[110:111] op_sel:[1,1] op_sel_hi:[0,1]
	s_delay_alu instid0(VALU_DEP_1) | instskip(SKIP_1) | instid1(VALU_DEP_2)
	v_pk_fma_f32 v[116:117], v[112:113], v[110:111], v[114:115] op_sel_hi:[1,0,1]
	v_pk_fma_f32 v[110:111], v[112:113], v[110:111], v[114:115] neg_lo:[0,0,1] neg_hi:[0,0,1]
	v_mov_b32_e32 v111, v117
	s_cbranch_execz .LBB52_469
	s_branch .LBB52_470
.LBB52_468:
                                        ; implicit-def: $vgpr110_vgpr111
.LBB52_469:
	ds_load_b64 v[110:111], v1
.LBB52_470:
	s_and_saveexec_b32 s9, s0
	s_cbranch_execz .LBB52_474
; %bb.471:
	v_add_nc_u32_e32 v112, -6, v0
	s_movk_i32 s10, 0x1e0
	s_mov_b32 s0, 0
.LBB52_472:                             ; =>This Inner Loop Header: Depth=1
	scratch_load_b64 v[114:115], off, s8
	v_dual_mov_b32 v113, s10 :: v_dual_add_nc_u32 v112, -1, v112
	s_add_co_i32 s10, s10, 8
	s_wait_xcnt 0x0
	s_add_co_i32 s8, s8, 8
	ds_load_b64 v[116:117], v113
	v_cmp_eq_u32_e32 vcc_lo, 0, v112
	s_or_b32 s0, vcc_lo, s0
	s_wait_loadcnt_dscnt 0x0
	v_pk_mul_f32 v[118:119], v[116:117], v[114:115] op_sel:[1,1] op_sel_hi:[0,1]
	s_delay_alu instid0(VALU_DEP_1) | instskip(SKIP_1) | instid1(VALU_DEP_2)
	v_pk_fma_f32 v[120:121], v[116:117], v[114:115], v[118:119] op_sel_hi:[1,0,1]
	v_pk_fma_f32 v[114:115], v[116:117], v[114:115], v[118:119] neg_lo:[0,0,1] neg_hi:[0,0,1]
	v_mov_b32_e32 v115, v121
	s_delay_alu instid0(VALU_DEP_1)
	v_pk_add_f32 v[110:111], v[110:111], v[114:115]
	s_and_not1_b32 exec_lo, exec_lo, s0
	s_cbranch_execnz .LBB52_472
; %bb.473:
	s_or_b32 exec_lo, exec_lo, s0
.LBB52_474:
	s_delay_alu instid0(SALU_CYCLE_1) | instskip(SKIP_4) | instid1(VALU_DEP_1)
	s_or_b32 exec_lo, exec_lo, s9
	v_mov_b32_e32 v112, 0
	ds_load_b64 v[112:113], v112 offset:40
	s_wait_dscnt 0x0
	v_pk_mul_f32 v[114:115], v[110:111], v[112:113] op_sel:[1,1] op_sel_hi:[0,1]
	v_pk_fma_f32 v[116:117], v[110:111], v[112:113], v[114:115] op_sel_hi:[1,0,1]
	v_pk_fma_f32 v[110:111], v[110:111], v[112:113], v[114:115] neg_lo:[0,0,1] neg_hi:[0,0,1]
	s_delay_alu instid0(VALU_DEP_2)
	v_mov_b32_e32 v111, v117
	scratch_store_b64 off, v[110:111], off offset:40
.LBB52_475:
	s_wait_xcnt 0x0
	s_or_b32 exec_lo, exec_lo, s2
	scratch_load_b64 v[110:111], off, off offset:32
	v_cmp_lt_u32_e64 s0, 4, v0
	s_wait_loadcnt 0x0
	ds_store_b64 v1, v[110:111]
	s_wait_storecnt_dscnt 0x0
	s_barrier_signal -1
	s_barrier_wait -1
	s_wait_xcnt 0x0
	s_and_saveexec_b32 s2, s0
	s_cbranch_execz .LBB52_485
; %bb.476:
	s_and_not1_b32 vcc_lo, exec_lo, s3
	s_cbranch_vccnz .LBB52_478
; %bb.477:
	scratch_load_b64 v[110:111], v39, off
	ds_load_b64 v[112:113], v1
	s_wait_loadcnt_dscnt 0x0
	v_pk_mul_f32 v[114:115], v[112:113], v[110:111] op_sel:[1,1] op_sel_hi:[0,1]
	s_delay_alu instid0(VALU_DEP_1) | instskip(SKIP_1) | instid1(VALU_DEP_2)
	v_pk_fma_f32 v[116:117], v[112:113], v[110:111], v[114:115] op_sel_hi:[1,0,1]
	v_pk_fma_f32 v[110:111], v[112:113], v[110:111], v[114:115] neg_lo:[0,0,1] neg_hi:[0,0,1]
	v_mov_b32_e32 v111, v117
	s_cbranch_execz .LBB52_479
	s_branch .LBB52_480
.LBB52_478:
                                        ; implicit-def: $vgpr110_vgpr111
.LBB52_479:
	ds_load_b64 v[110:111], v1
.LBB52_480:
	s_and_saveexec_b32 s8, s1
	s_cbranch_execz .LBB52_484
; %bb.481:
	v_add_nc_u32_e32 v112, -5, v0
	s_mov_b32 s1, 40
	s_movk_i32 s10, 0x1d8
	s_mov_b32 s9, 0
.LBB52_482:                             ; =>This Inner Loop Header: Depth=1
	scratch_load_b64 v[114:115], off, s1
	v_dual_mov_b32 v113, s10 :: v_dual_add_nc_u32 v112, -1, v112
	s_add_co_i32 s10, s10, 8
	s_wait_xcnt 0x0
	s_add_co_i32 s1, s1, 8
	ds_load_b64 v[116:117], v113
	v_cmp_eq_u32_e32 vcc_lo, 0, v112
	s_or_b32 s9, vcc_lo, s9
	s_wait_loadcnt_dscnt 0x0
	v_pk_mul_f32 v[118:119], v[116:117], v[114:115] op_sel:[1,1] op_sel_hi:[0,1]
	s_delay_alu instid0(VALU_DEP_1) | instskip(SKIP_1) | instid1(VALU_DEP_2)
	v_pk_fma_f32 v[120:121], v[116:117], v[114:115], v[118:119] op_sel_hi:[1,0,1]
	v_pk_fma_f32 v[114:115], v[116:117], v[114:115], v[118:119] neg_lo:[0,0,1] neg_hi:[0,0,1]
	v_mov_b32_e32 v115, v121
	s_delay_alu instid0(VALU_DEP_1)
	v_pk_add_f32 v[110:111], v[110:111], v[114:115]
	s_and_not1_b32 exec_lo, exec_lo, s9
	s_cbranch_execnz .LBB52_482
; %bb.483:
	s_or_b32 exec_lo, exec_lo, s9
.LBB52_484:
	s_delay_alu instid0(SALU_CYCLE_1) | instskip(SKIP_4) | instid1(VALU_DEP_1)
	s_or_b32 exec_lo, exec_lo, s8
	v_mov_b32_e32 v112, 0
	ds_load_b64 v[112:113], v112 offset:32
	s_wait_dscnt 0x0
	v_pk_mul_f32 v[114:115], v[110:111], v[112:113] op_sel:[1,1] op_sel_hi:[0,1]
	v_pk_fma_f32 v[116:117], v[110:111], v[112:113], v[114:115] op_sel_hi:[1,0,1]
	v_pk_fma_f32 v[110:111], v[110:111], v[112:113], v[114:115] neg_lo:[0,0,1] neg_hi:[0,0,1]
	s_delay_alu instid0(VALU_DEP_2)
	v_mov_b32_e32 v111, v117
	scratch_store_b64 off, v[110:111], off offset:32
.LBB52_485:
	s_wait_xcnt 0x0
	s_or_b32 exec_lo, exec_lo, s2
	scratch_load_b64 v[110:111], off, off offset:24
	v_cmp_lt_u32_e64 s2, 3, v0
	s_wait_loadcnt 0x0
	ds_store_b64 v1, v[110:111]
	s_wait_storecnt_dscnt 0x0
	s_barrier_signal -1
	s_barrier_wait -1
	s_wait_xcnt 0x0
	s_and_saveexec_b32 s1, s2
	s_cbranch_execz .LBB52_495
; %bb.486:
	s_and_not1_b32 vcc_lo, exec_lo, s3
	s_cbranch_vccnz .LBB52_488
; %bb.487:
	scratch_load_b64 v[110:111], v39, off
	ds_load_b64 v[112:113], v1
	s_wait_loadcnt_dscnt 0x0
	v_pk_mul_f32 v[114:115], v[112:113], v[110:111] op_sel:[1,1] op_sel_hi:[0,1]
	s_delay_alu instid0(VALU_DEP_1) | instskip(SKIP_1) | instid1(VALU_DEP_2)
	v_pk_fma_f32 v[116:117], v[112:113], v[110:111], v[114:115] op_sel_hi:[1,0,1]
	v_pk_fma_f32 v[110:111], v[112:113], v[110:111], v[114:115] neg_lo:[0,0,1] neg_hi:[0,0,1]
	v_mov_b32_e32 v111, v117
	s_cbranch_execz .LBB52_489
	s_branch .LBB52_490
.LBB52_488:
                                        ; implicit-def: $vgpr110_vgpr111
.LBB52_489:
	ds_load_b64 v[110:111], v1
.LBB52_490:
	s_and_saveexec_b32 s8, s0
	s_cbranch_execz .LBB52_494
; %bb.491:
	v_add_nc_u32_e32 v112, -4, v0
	s_movk_i32 s9, 0x1d0
	s_mov_b32 s0, 0
.LBB52_492:                             ; =>This Inner Loop Header: Depth=1
	scratch_load_b64 v[114:115], off, s5
	v_dual_mov_b32 v113, s9 :: v_dual_add_nc_u32 v112, -1, v112
	s_add_co_i32 s9, s9, 8
	s_wait_xcnt 0x0
	s_add_co_i32 s5, s5, 8
	ds_load_b64 v[116:117], v113
	v_cmp_eq_u32_e32 vcc_lo, 0, v112
	s_or_b32 s0, vcc_lo, s0
	s_wait_loadcnt_dscnt 0x0
	v_pk_mul_f32 v[118:119], v[116:117], v[114:115] op_sel:[1,1] op_sel_hi:[0,1]
	s_delay_alu instid0(VALU_DEP_1) | instskip(SKIP_1) | instid1(VALU_DEP_2)
	v_pk_fma_f32 v[120:121], v[116:117], v[114:115], v[118:119] op_sel_hi:[1,0,1]
	v_pk_fma_f32 v[114:115], v[116:117], v[114:115], v[118:119] neg_lo:[0,0,1] neg_hi:[0,0,1]
	v_mov_b32_e32 v115, v121
	s_delay_alu instid0(VALU_DEP_1)
	v_pk_add_f32 v[110:111], v[110:111], v[114:115]
	s_and_not1_b32 exec_lo, exec_lo, s0
	s_cbranch_execnz .LBB52_492
; %bb.493:
	s_or_b32 exec_lo, exec_lo, s0
.LBB52_494:
	s_delay_alu instid0(SALU_CYCLE_1) | instskip(SKIP_4) | instid1(VALU_DEP_1)
	s_or_b32 exec_lo, exec_lo, s8
	v_mov_b32_e32 v112, 0
	ds_load_b64 v[112:113], v112 offset:24
	s_wait_dscnt 0x0
	v_pk_mul_f32 v[114:115], v[110:111], v[112:113] op_sel:[1,1] op_sel_hi:[0,1]
	v_pk_fma_f32 v[116:117], v[110:111], v[112:113], v[114:115] op_sel_hi:[1,0,1]
	v_pk_fma_f32 v[110:111], v[110:111], v[112:113], v[114:115] neg_lo:[0,0,1] neg_hi:[0,0,1]
	s_delay_alu instid0(VALU_DEP_2)
	v_mov_b32_e32 v111, v117
	scratch_store_b64 off, v[110:111], off offset:24
.LBB52_495:
	s_wait_xcnt 0x0
	s_or_b32 exec_lo, exec_lo, s1
	scratch_load_b64 v[110:111], off, off offset:16
	v_cmp_lt_u32_e64 s1, 2, v0
	s_wait_loadcnt 0x0
	ds_store_b64 v1, v[110:111]
	s_wait_storecnt_dscnt 0x0
	s_barrier_signal -1
	s_barrier_wait -1
	s_wait_xcnt 0x0
	s_and_saveexec_b32 s0, s1
	s_cbranch_execz .LBB52_505
; %bb.496:
	s_and_not1_b32 vcc_lo, exec_lo, s3
	s_cbranch_vccnz .LBB52_498
; %bb.497:
	scratch_load_b64 v[110:111], v39, off
	ds_load_b64 v[112:113], v1
	s_wait_loadcnt_dscnt 0x0
	v_pk_mul_f32 v[114:115], v[112:113], v[110:111] op_sel:[1,1] op_sel_hi:[0,1]
	s_delay_alu instid0(VALU_DEP_1) | instskip(SKIP_1) | instid1(VALU_DEP_2)
	v_pk_fma_f32 v[116:117], v[112:113], v[110:111], v[114:115] op_sel_hi:[1,0,1]
	v_pk_fma_f32 v[110:111], v[112:113], v[110:111], v[114:115] neg_lo:[0,0,1] neg_hi:[0,0,1]
	v_mov_b32_e32 v111, v117
	s_cbranch_execz .LBB52_499
	s_branch .LBB52_500
.LBB52_498:
                                        ; implicit-def: $vgpr110_vgpr111
.LBB52_499:
	ds_load_b64 v[110:111], v1
.LBB52_500:
	s_and_saveexec_b32 s5, s2
	s_cbranch_execz .LBB52_504
; %bb.501:
	v_add_nc_u32_e32 v112, -3, v0
	s_mov_b32 s2, 24
	s_movk_i32 s9, 0x1c8
	s_mov_b32 s8, 0
.LBB52_502:                             ; =>This Inner Loop Header: Depth=1
	scratch_load_b64 v[114:115], off, s2
	v_dual_mov_b32 v113, s9 :: v_dual_add_nc_u32 v112, -1, v112
	s_add_co_i32 s9, s9, 8
	s_wait_xcnt 0x0
	s_add_co_i32 s2, s2, 8
	ds_load_b64 v[116:117], v113
	v_cmp_eq_u32_e32 vcc_lo, 0, v112
	s_or_b32 s8, vcc_lo, s8
	s_wait_loadcnt_dscnt 0x0
	v_pk_mul_f32 v[118:119], v[116:117], v[114:115] op_sel:[1,1] op_sel_hi:[0,1]
	s_delay_alu instid0(VALU_DEP_1) | instskip(SKIP_1) | instid1(VALU_DEP_2)
	v_pk_fma_f32 v[120:121], v[116:117], v[114:115], v[118:119] op_sel_hi:[1,0,1]
	v_pk_fma_f32 v[114:115], v[116:117], v[114:115], v[118:119] neg_lo:[0,0,1] neg_hi:[0,0,1]
	v_mov_b32_e32 v115, v121
	s_delay_alu instid0(VALU_DEP_1)
	v_pk_add_f32 v[110:111], v[110:111], v[114:115]
	s_and_not1_b32 exec_lo, exec_lo, s8
	s_cbranch_execnz .LBB52_502
; %bb.503:
	s_or_b32 exec_lo, exec_lo, s8
.LBB52_504:
	s_delay_alu instid0(SALU_CYCLE_1) | instskip(SKIP_4) | instid1(VALU_DEP_1)
	s_or_b32 exec_lo, exec_lo, s5
	v_mov_b32_e32 v112, 0
	ds_load_b64 v[112:113], v112 offset:16
	s_wait_dscnt 0x0
	v_pk_mul_f32 v[114:115], v[110:111], v[112:113] op_sel:[1,1] op_sel_hi:[0,1]
	v_pk_fma_f32 v[116:117], v[110:111], v[112:113], v[114:115] op_sel_hi:[1,0,1]
	v_pk_fma_f32 v[110:111], v[110:111], v[112:113], v[114:115] neg_lo:[0,0,1] neg_hi:[0,0,1]
	s_delay_alu instid0(VALU_DEP_2)
	v_mov_b32_e32 v111, v117
	scratch_store_b64 off, v[110:111], off offset:16
.LBB52_505:
	s_wait_xcnt 0x0
	s_or_b32 exec_lo, exec_lo, s0
	scratch_load_b64 v[110:111], off, off offset:8
	v_cmp_lt_u32_e64 s0, 1, v0
	s_wait_loadcnt 0x0
	ds_store_b64 v1, v[110:111]
	s_wait_storecnt_dscnt 0x0
	s_barrier_signal -1
	s_barrier_wait -1
	s_wait_xcnt 0x0
	s_and_saveexec_b32 s2, s0
	s_cbranch_execz .LBB52_515
; %bb.506:
	s_and_not1_b32 vcc_lo, exec_lo, s3
	s_cbranch_vccnz .LBB52_508
; %bb.507:
	scratch_load_b64 v[110:111], v39, off
	ds_load_b64 v[112:113], v1
	s_wait_loadcnt_dscnt 0x0
	v_pk_mul_f32 v[114:115], v[112:113], v[110:111] op_sel:[1,1] op_sel_hi:[0,1]
	s_delay_alu instid0(VALU_DEP_1) | instskip(SKIP_1) | instid1(VALU_DEP_2)
	v_pk_fma_f32 v[116:117], v[112:113], v[110:111], v[114:115] op_sel_hi:[1,0,1]
	v_pk_fma_f32 v[110:111], v[112:113], v[110:111], v[114:115] neg_lo:[0,0,1] neg_hi:[0,0,1]
	v_mov_b32_e32 v111, v117
	s_cbranch_execz .LBB52_509
	s_branch .LBB52_510
.LBB52_508:
                                        ; implicit-def: $vgpr110_vgpr111
.LBB52_509:
	ds_load_b64 v[110:111], v1
.LBB52_510:
	s_and_saveexec_b32 s5, s1
	s_cbranch_execz .LBB52_514
; %bb.511:
	v_add_nc_u32_e32 v112, -2, v0
	s_movk_i32 s8, 0x1c0
	s_mov_b32 s1, 0
.LBB52_512:                             ; =>This Inner Loop Header: Depth=1
	scratch_load_b64 v[114:115], off, s4
	v_dual_mov_b32 v113, s8 :: v_dual_add_nc_u32 v112, -1, v112
	s_add_co_i32 s8, s8, 8
	s_wait_xcnt 0x0
	s_add_co_i32 s4, s4, 8
	ds_load_b64 v[116:117], v113
	v_cmp_eq_u32_e32 vcc_lo, 0, v112
	s_or_b32 s1, vcc_lo, s1
	s_wait_loadcnt_dscnt 0x0
	v_pk_mul_f32 v[118:119], v[116:117], v[114:115] op_sel:[1,1] op_sel_hi:[0,1]
	s_delay_alu instid0(VALU_DEP_1) | instskip(SKIP_1) | instid1(VALU_DEP_2)
	v_pk_fma_f32 v[120:121], v[116:117], v[114:115], v[118:119] op_sel_hi:[1,0,1]
	v_pk_fma_f32 v[114:115], v[116:117], v[114:115], v[118:119] neg_lo:[0,0,1] neg_hi:[0,0,1]
	v_mov_b32_e32 v115, v121
	s_delay_alu instid0(VALU_DEP_1)
	v_pk_add_f32 v[110:111], v[110:111], v[114:115]
	s_and_not1_b32 exec_lo, exec_lo, s1
	s_cbranch_execnz .LBB52_512
; %bb.513:
	s_or_b32 exec_lo, exec_lo, s1
.LBB52_514:
	s_delay_alu instid0(SALU_CYCLE_1) | instskip(SKIP_4) | instid1(VALU_DEP_1)
	s_or_b32 exec_lo, exec_lo, s5
	v_mov_b32_e32 v112, 0
	ds_load_b64 v[112:113], v112 offset:8
	s_wait_dscnt 0x0
	v_pk_mul_f32 v[114:115], v[110:111], v[112:113] op_sel:[1,1] op_sel_hi:[0,1]
	v_pk_fma_f32 v[116:117], v[110:111], v[112:113], v[114:115] op_sel_hi:[1,0,1]
	v_pk_fma_f32 v[110:111], v[110:111], v[112:113], v[114:115] neg_lo:[0,0,1] neg_hi:[0,0,1]
	s_delay_alu instid0(VALU_DEP_2)
	v_mov_b32_e32 v111, v117
	scratch_store_b64 off, v[110:111], off offset:8
.LBB52_515:
	s_wait_xcnt 0x0
	s_or_b32 exec_lo, exec_lo, s2
	scratch_load_b64 v[110:111], off, off
	s_mov_b32 s2, 0
	s_mov_b32 s1, 0
	s_mov_b32 s5, exec_lo
                                        ; implicit-def: $vgpr150
                                        ; implicit-def: $sgpr4
	s_wait_loadcnt 0x0
	ds_store_b64 v1, v[110:111]
	s_wait_storecnt_dscnt 0x0
	s_barrier_signal -1
	s_barrier_wait -1
	s_wait_xcnt 0x0
	v_cmpx_ne_u32_e32 0, v0
	s_cbranch_execz .LBB52_525
; %bb.516:
	s_and_not1_b32 vcc_lo, exec_lo, s3
	s_cbranch_vccnz .LBB52_518
; %bb.517:
	scratch_load_b64 v[112:113], v39, off
	ds_load_b64 v[114:115], v1
	s_wait_loadcnt_dscnt 0x0
	v_dual_mul_f32 v110, v115, v113 :: v_dual_mul_f32 v111, v114, v113
	s_delay_alu instid0(VALU_DEP_1)
	v_dual_fma_f32 v110, v114, v112, -v110 :: v_dual_fmac_f32 v111, v115, v112
	s_and_not1_b32 vcc_lo, exec_lo, s1
	s_cbranch_vccz .LBB52_519
	s_branch .LBB52_520
.LBB52_518:
                                        ; implicit-def: $vgpr110
.LBB52_519:
	ds_load_b64 v[110:111], v1
.LBB52_520:
	s_and_saveexec_b32 s1, s0
	s_cbranch_execz .LBB52_524
; %bb.521:
	v_add_nc_u32_e32 v112, -1, v0
	s_or_b32 s0, 0, 8
	s_movk_i32 s8, 0x1b8
	s_mov_b32 s4, 0
.LBB52_522:                             ; =>This Inner Loop Header: Depth=1
	scratch_load_b64 v[114:115], off, s0
	v_mov_b32_e32 v113, s8
	s_add_co_i32 s8, s8, 8
	s_wait_xcnt 0x0
	s_add_co_i32 s0, s0, 8
	v_add_nc_u32_e32 v112, -1, v112
	ds_load_b64 v[116:117], v113
	v_cmp_eq_u32_e32 vcc_lo, 0, v112
	s_or_b32 s4, vcc_lo, s4
	s_wait_loadcnt_dscnt 0x0
	v_dual_mul_f32 v113, v117, v115 :: v_dual_mul_f32 v115, v116, v115
	s_delay_alu instid0(VALU_DEP_1) | instskip(NEXT) | instid1(VALU_DEP_1)
	v_dual_fma_f32 v113, v116, v114, -v113 :: v_dual_fmac_f32 v115, v117, v114
	v_dual_add_f32 v110, v110, v113 :: v_dual_add_f32 v111, v111, v115
	s_and_not1_b32 exec_lo, exec_lo, s4
	s_cbranch_execnz .LBB52_522
; %bb.523:
	s_or_b32 exec_lo, exec_lo, s4
.LBB52_524:
	s_delay_alu instid0(SALU_CYCLE_1)
	s_or_b32 exec_lo, exec_lo, s1
	v_mov_b32_e32 v112, 0
	s_mov_b32 s1, exec_lo
	s_or_b32 s4, 0, 4
	ds_load_b64 v[112:113], v112
	s_wait_dscnt 0x0
	v_dual_mul_f32 v114, v111, v113 :: v_dual_mul_f32 v150, v110, v113
	s_delay_alu instid0(VALU_DEP_1) | instskip(NEXT) | instid1(VALU_DEP_2)
	v_fma_f32 v110, v110, v112, -v114
	v_fmac_f32_e32 v150, v111, v112
	scratch_store_b32 off, v110, off
.LBB52_525:
	s_wait_xcnt 0x0
	s_or_b32 exec_lo, exec_lo, s5
	s_delay_alu instid0(SALU_CYCLE_1)
	s_and_b32 vcc_lo, exec_lo, s2
	s_cbranch_vccz .LBB52_1041
.LBB52_526:
	scratch_load_b64 v[110:111], off, off offset:8
	v_cmp_eq_u32_e64 s0, 0, v0
	s_wait_loadcnt 0x0
	ds_store_b64 v1, v[110:111]
	s_wait_storecnt_dscnt 0x0
	s_barrier_signal -1
	s_barrier_wait -1
	s_wait_xcnt 0x0
	s_and_saveexec_b32 s2, s0
	s_cbranch_execz .LBB52_532
; %bb.527:
	s_and_b32 vcc_lo, exec_lo, s3
	s_cbranch_vccz .LBB52_529
; %bb.528:
	scratch_load_b64 v[110:111], v39, off
	ds_load_b64 v[112:113], v1
	s_wait_loadcnt_dscnt 0x0
	v_pk_mul_f32 v[114:115], v[112:113], v[110:111] op_sel:[1,1] op_sel_hi:[0,1]
	v_pk_mul_f32 v[116:117], v[112:113], v[110:111] op_sel_hi:[1,0]
	s_delay_alu instid0(VALU_DEP_2) | instskip(NEXT) | instid1(VALU_DEP_2)
	v_pk_fma_f32 v[110:111], v[112:113], v[110:111], v[114:115] op_sel_hi:[1,0,1]
	v_sub_f32_e32 v110, v116, v114
	s_cbranch_execz .LBB52_530
	s_branch .LBB52_531
.LBB52_529:
                                        ; implicit-def: $vgpr111
.LBB52_530:
	ds_load_b64 v[110:111], v1
.LBB52_531:
	s_wait_dscnt 0x0
	v_dual_mov_b32 v112, 0 :: v_dual_mov_b32 v114, v111
	v_mov_b32_e32 v115, v110
	ds_load_b64 v[112:113], v112 offset:8
	s_wait_dscnt 0x0
	v_pk_mul_f32 v[114:115], v[114:115], v[112:113] op_sel:[0,1]
	s_delay_alu instid0(VALU_DEP_1) | instskip(SKIP_1) | instid1(VALU_DEP_2)
	v_pk_fma_f32 v[116:117], v[110:111], v[112:113], v[114:115] op_sel_hi:[1,0,1]
	v_pk_fma_f32 v[110:111], v[110:111], v[112:113], v[114:115] neg_lo:[0,0,1] neg_hi:[0,0,1]
	v_mov_b32_e32 v111, v117
	scratch_store_b64 off, v[110:111], off offset:8
.LBB52_532:
	s_wait_xcnt 0x0
	s_or_b32 exec_lo, exec_lo, s2
	scratch_load_b64 v[110:111], off, off offset:16
	v_cndmask_b32_e64 v112, 0, 1, s3
	s_mov_b32 s2, exec_lo
	s_wait_loadcnt 0x0
	ds_store_b64 v1, v[110:111]
	s_wait_storecnt_dscnt 0x0
	s_barrier_signal -1
	s_barrier_wait -1
	s_wait_xcnt 0x0
	v_cmpx_gt_u32_e32 2, v0
	s_cbranch_execz .LBB52_540
; %bb.533:
	s_and_not1_b32 vcc_lo, exec_lo, s3
	s_cbranch_vccnz .LBB52_535
; %bb.534:
	scratch_load_b64 v[110:111], v39, off
	ds_load_b64 v[114:115], v1
	s_wait_loadcnt_dscnt 0x0
	v_pk_mul_f32 v[116:117], v[114:115], v[110:111] op_sel:[1,1] op_sel_hi:[0,1]
	s_delay_alu instid0(VALU_DEP_1) | instskip(SKIP_1) | instid1(VALU_DEP_2)
	v_pk_fma_f32 v[118:119], v[114:115], v[110:111], v[116:117] op_sel_hi:[1,0,1]
	v_pk_fma_f32 v[110:111], v[114:115], v[110:111], v[116:117] neg_lo:[0,0,1] neg_hi:[0,0,1]
	v_mov_b32_e32 v111, v119
	s_cbranch_execz .LBB52_536
	s_branch .LBB52_537
.LBB52_535:
                                        ; implicit-def: $vgpr110_vgpr111
.LBB52_536:
	ds_load_b64 v[110:111], v1
.LBB52_537:
	s_and_saveexec_b32 s3, s0
	s_cbranch_execz .LBB52_539
; %bb.538:
	scratch_load_b64 v[114:115], off, off offset:8
	v_mov_b32_e32 v113, 0
	ds_load_b64 v[116:117], v113 offset:440
	s_wait_loadcnt_dscnt 0x0
	v_pk_mul_f32 v[118:119], v[116:117], v[114:115] op_sel:[1,1] op_sel_hi:[0,1]
	s_delay_alu instid0(VALU_DEP_1) | instskip(SKIP_1) | instid1(VALU_DEP_2)
	v_pk_fma_f32 v[120:121], v[116:117], v[114:115], v[118:119] op_sel_hi:[1,0,1]
	v_pk_fma_f32 v[114:115], v[116:117], v[114:115], v[118:119] neg_lo:[0,0,1] neg_hi:[0,0,1]
	v_mov_b32_e32 v115, v121
	s_delay_alu instid0(VALU_DEP_1)
	v_pk_add_f32 v[110:111], v[110:111], v[114:115]
.LBB52_539:
	s_or_b32 exec_lo, exec_lo, s3
	v_mov_b32_e32 v113, 0
	ds_load_b64 v[114:115], v113 offset:16
	s_wait_dscnt 0x0
	v_pk_mul_f32 v[116:117], v[110:111], v[114:115] op_sel:[1,1] op_sel_hi:[0,1]
	s_delay_alu instid0(VALU_DEP_1) | instskip(SKIP_1) | instid1(VALU_DEP_2)
	v_pk_fma_f32 v[118:119], v[110:111], v[114:115], v[116:117] op_sel_hi:[1,0,1]
	v_pk_fma_f32 v[110:111], v[110:111], v[114:115], v[116:117] neg_lo:[0,0,1] neg_hi:[0,0,1]
	v_mov_b32_e32 v111, v119
	scratch_store_b64 off, v[110:111], off offset:16
.LBB52_540:
	s_wait_xcnt 0x0
	s_or_b32 exec_lo, exec_lo, s2
	scratch_load_b64 v[110:111], off, off offset:24
	s_mov_b32 s2, exec_lo
	s_wait_loadcnt 0x0
	ds_store_b64 v1, v[110:111]
	s_wait_storecnt_dscnt 0x0
	s_barrier_signal -1
	s_barrier_wait -1
	s_wait_xcnt 0x0
	v_cmpx_gt_u32_e32 3, v0
	s_cbranch_execz .LBB52_550
; %bb.541:
	v_cmp_ne_u32_e32 vcc_lo, 1, v112
	s_cbranch_vccnz .LBB52_543
; %bb.542:
	scratch_load_b64 v[110:111], v39, off
	ds_load_b64 v[114:115], v1
	s_wait_loadcnt_dscnt 0x0
	v_pk_mul_f32 v[116:117], v[114:115], v[110:111] op_sel:[1,1] op_sel_hi:[0,1]
	s_delay_alu instid0(VALU_DEP_1) | instskip(SKIP_1) | instid1(VALU_DEP_2)
	v_pk_fma_f32 v[118:119], v[114:115], v[110:111], v[116:117] op_sel_hi:[1,0,1]
	v_pk_fma_f32 v[110:111], v[114:115], v[110:111], v[116:117] neg_lo:[0,0,1] neg_hi:[0,0,1]
	v_mov_b32_e32 v111, v119
	s_cbranch_execz .LBB52_544
	s_branch .LBB52_545
.LBB52_543:
                                        ; implicit-def: $vgpr110_vgpr111
.LBB52_544:
	ds_load_b64 v[110:111], v1
.LBB52_545:
	s_mov_b32 s3, exec_lo
	v_cmpx_ne_u32_e32 2, v0
	s_cbranch_execz .LBB52_549
; %bb.546:
	scratch_load_b64 v[114:115], v39, off offset:8
	ds_load_b64 v[116:117], v1 offset:8
	s_wait_loadcnt_dscnt 0x0
	v_pk_mul_f32 v[118:119], v[116:117], v[114:115] op_sel:[1,1] op_sel_hi:[0,1]
	s_delay_alu instid0(VALU_DEP_1) | instskip(SKIP_1) | instid1(VALU_DEP_2)
	v_pk_fma_f32 v[120:121], v[116:117], v[114:115], v[118:119] op_sel_hi:[1,0,1]
	v_pk_fma_f32 v[114:115], v[116:117], v[114:115], v[118:119] neg_lo:[0,0,1] neg_hi:[0,0,1]
	v_mov_b32_e32 v115, v121
	s_delay_alu instid0(VALU_DEP_1)
	v_pk_add_f32 v[110:111], v[110:111], v[114:115]
	s_and_saveexec_b32 s4, s0
	s_cbranch_execz .LBB52_548
; %bb.547:
	scratch_load_b64 v[114:115], off, off offset:16
	v_mov_b32_e32 v113, 0
	ds_load_b64 v[116:117], v113 offset:448
	s_wait_loadcnt_dscnt 0x0
	v_pk_mul_f32 v[118:119], v[116:117], v[114:115] op_sel:[1,1] op_sel_hi:[0,1]
	s_delay_alu instid0(VALU_DEP_1) | instskip(SKIP_1) | instid1(VALU_DEP_2)
	v_pk_fma_f32 v[120:121], v[116:117], v[114:115], v[118:119] op_sel_hi:[1,0,1]
	v_pk_fma_f32 v[114:115], v[116:117], v[114:115], v[118:119] neg_lo:[0,0,1] neg_hi:[0,0,1]
	v_mov_b32_e32 v115, v121
	s_delay_alu instid0(VALU_DEP_1)
	v_pk_add_f32 v[110:111], v[110:111], v[114:115]
.LBB52_548:
	s_or_b32 exec_lo, exec_lo, s4
.LBB52_549:
	s_delay_alu instid0(SALU_CYCLE_1) | instskip(SKIP_4) | instid1(VALU_DEP_1)
	s_or_b32 exec_lo, exec_lo, s3
	v_mov_b32_e32 v113, 0
	ds_load_b64 v[114:115], v113 offset:24
	s_wait_dscnt 0x0
	v_pk_mul_f32 v[116:117], v[110:111], v[114:115] op_sel:[1,1] op_sel_hi:[0,1]
	v_pk_fma_f32 v[118:119], v[110:111], v[114:115], v[116:117] op_sel_hi:[1,0,1]
	v_pk_fma_f32 v[110:111], v[110:111], v[114:115], v[116:117] neg_lo:[0,0,1] neg_hi:[0,0,1]
	s_delay_alu instid0(VALU_DEP_2)
	v_mov_b32_e32 v111, v119
	scratch_store_b64 off, v[110:111], off offset:24
.LBB52_550:
	s_wait_xcnt 0x0
	s_or_b32 exec_lo, exec_lo, s2
	scratch_load_b64 v[110:111], off, off offset:32
	s_mov_b32 s0, exec_lo
	s_wait_loadcnt 0x0
	ds_store_b64 v1, v[110:111]
	s_wait_storecnt_dscnt 0x0
	s_barrier_signal -1
	s_barrier_wait -1
	s_wait_xcnt 0x0
	v_cmpx_gt_u32_e32 4, v0
	s_cbranch_execz .LBB52_560
; %bb.551:
	v_cmp_ne_u32_e32 vcc_lo, 1, v112
	s_cbranch_vccnz .LBB52_553
; %bb.552:
	scratch_load_b64 v[110:111], v39, off
	ds_load_b64 v[114:115], v1
	s_wait_loadcnt_dscnt 0x0
	v_pk_mul_f32 v[116:117], v[114:115], v[110:111] op_sel:[1,1] op_sel_hi:[0,1]
	s_delay_alu instid0(VALU_DEP_1) | instskip(SKIP_1) | instid1(VALU_DEP_2)
	v_pk_fma_f32 v[118:119], v[114:115], v[110:111], v[116:117] op_sel_hi:[1,0,1]
	v_pk_fma_f32 v[110:111], v[114:115], v[110:111], v[116:117] neg_lo:[0,0,1] neg_hi:[0,0,1]
	v_mov_b32_e32 v111, v119
	s_cbranch_execz .LBB52_554
	s_branch .LBB52_555
.LBB52_553:
                                        ; implicit-def: $vgpr110_vgpr111
.LBB52_554:
	ds_load_b64 v[110:111], v1
.LBB52_555:
	s_mov_b32 s2, exec_lo
	v_cmpx_ne_u32_e32 3, v0
	s_cbranch_execz .LBB52_559
; %bb.556:
	v_add_nc_u32_e32 v113, 0x1b8, v38
	v_add3_u32 v114, 0, v38, 8
	v_mov_b32_e32 v115, v0
	s_mov_b32 s3, 0
.LBB52_557:                             ; =>This Inner Loop Header: Depth=1
	scratch_load_b64 v[116:117], v114, off
	ds_load_b64 v[118:119], v113
	s_wait_xcnt 0x0
	v_dual_add_nc_u32 v113, 8, v113 :: v_dual_add_nc_u32 v114, 8, v114
	s_wait_loadcnt_dscnt 0x0
	v_pk_mul_f32 v[120:121], v[118:119], v[116:117] op_sel:[1,1] op_sel_hi:[0,1]
	s_delay_alu instid0(VALU_DEP_1) | instskip(SKIP_2) | instid1(VALU_DEP_3)
	v_pk_fma_f32 v[122:123], v[118:119], v[116:117], v[120:121] op_sel_hi:[1,0,1]
	v_add_nc_u32_e32 v115, 1, v115
	v_pk_fma_f32 v[116:117], v[118:119], v[116:117], v[120:121] neg_lo:[0,0,1] neg_hi:[0,0,1]
	v_mov_b32_e32 v117, v123
	s_delay_alu instid0(VALU_DEP_3) | instskip(NEXT) | instid1(VALU_DEP_2)
	v_cmp_lt_u32_e32 vcc_lo, 2, v115
	v_pk_add_f32 v[110:111], v[110:111], v[116:117]
	s_or_b32 s3, vcc_lo, s3
	s_delay_alu instid0(SALU_CYCLE_1)
	s_and_not1_b32 exec_lo, exec_lo, s3
	s_cbranch_execnz .LBB52_557
; %bb.558:
	s_or_b32 exec_lo, exec_lo, s3
.LBB52_559:
	s_delay_alu instid0(SALU_CYCLE_1) | instskip(SKIP_4) | instid1(VALU_DEP_1)
	s_or_b32 exec_lo, exec_lo, s2
	v_mov_b32_e32 v113, 0
	ds_load_b64 v[114:115], v113 offset:32
	s_wait_dscnt 0x0
	v_pk_mul_f32 v[116:117], v[110:111], v[114:115] op_sel:[1,1] op_sel_hi:[0,1]
	v_pk_fma_f32 v[118:119], v[110:111], v[114:115], v[116:117] op_sel_hi:[1,0,1]
	v_pk_fma_f32 v[110:111], v[110:111], v[114:115], v[116:117] neg_lo:[0,0,1] neg_hi:[0,0,1]
	s_delay_alu instid0(VALU_DEP_2)
	v_mov_b32_e32 v111, v119
	scratch_store_b64 off, v[110:111], off offset:32
.LBB52_560:
	s_wait_xcnt 0x0
	s_or_b32 exec_lo, exec_lo, s0
	scratch_load_b64 v[110:111], off, off offset:40
	s_mov_b32 s0, exec_lo
	s_wait_loadcnt 0x0
	ds_store_b64 v1, v[110:111]
	s_wait_storecnt_dscnt 0x0
	s_barrier_signal -1
	s_barrier_wait -1
	s_wait_xcnt 0x0
	v_cmpx_gt_u32_e32 5, v0
	s_cbranch_execz .LBB52_570
; %bb.561:
	v_cmp_ne_u32_e32 vcc_lo, 1, v112
	s_cbranch_vccnz .LBB52_563
; %bb.562:
	scratch_load_b64 v[110:111], v39, off
	ds_load_b64 v[114:115], v1
	s_wait_loadcnt_dscnt 0x0
	v_pk_mul_f32 v[116:117], v[114:115], v[110:111] op_sel:[1,1] op_sel_hi:[0,1]
	s_delay_alu instid0(VALU_DEP_1) | instskip(SKIP_1) | instid1(VALU_DEP_2)
	v_pk_fma_f32 v[118:119], v[114:115], v[110:111], v[116:117] op_sel_hi:[1,0,1]
	v_pk_fma_f32 v[110:111], v[114:115], v[110:111], v[116:117] neg_lo:[0,0,1] neg_hi:[0,0,1]
	v_mov_b32_e32 v111, v119
	s_cbranch_execz .LBB52_564
	s_branch .LBB52_565
.LBB52_563:
                                        ; implicit-def: $vgpr110_vgpr111
.LBB52_564:
	ds_load_b64 v[110:111], v1
.LBB52_565:
	s_mov_b32 s2, exec_lo
	v_cmpx_ne_u32_e32 4, v0
	s_cbranch_execz .LBB52_569
; %bb.566:
	v_add_nc_u32_e32 v113, 0x1b8, v38
	v_add3_u32 v114, 0, v38, 8
	v_mov_b32_e32 v115, v0
	s_mov_b32 s3, 0
.LBB52_567:                             ; =>This Inner Loop Header: Depth=1
	scratch_load_b64 v[116:117], v114, off
	ds_load_b64 v[118:119], v113
	s_wait_xcnt 0x0
	v_dual_add_nc_u32 v113, 8, v113 :: v_dual_add_nc_u32 v114, 8, v114
	s_wait_loadcnt_dscnt 0x0
	v_pk_mul_f32 v[120:121], v[118:119], v[116:117] op_sel:[1,1] op_sel_hi:[0,1]
	s_delay_alu instid0(VALU_DEP_1) | instskip(SKIP_2) | instid1(VALU_DEP_3)
	v_pk_fma_f32 v[122:123], v[118:119], v[116:117], v[120:121] op_sel_hi:[1,0,1]
	v_add_nc_u32_e32 v115, 1, v115
	v_pk_fma_f32 v[116:117], v[118:119], v[116:117], v[120:121] neg_lo:[0,0,1] neg_hi:[0,0,1]
	v_mov_b32_e32 v117, v123
	s_delay_alu instid0(VALU_DEP_3) | instskip(NEXT) | instid1(VALU_DEP_2)
	v_cmp_lt_u32_e32 vcc_lo, 3, v115
	v_pk_add_f32 v[110:111], v[110:111], v[116:117]
	s_or_b32 s3, vcc_lo, s3
	s_delay_alu instid0(SALU_CYCLE_1)
	s_and_not1_b32 exec_lo, exec_lo, s3
	s_cbranch_execnz .LBB52_567
; %bb.568:
	s_or_b32 exec_lo, exec_lo, s3
.LBB52_569:
	s_delay_alu instid0(SALU_CYCLE_1) | instskip(SKIP_4) | instid1(VALU_DEP_1)
	s_or_b32 exec_lo, exec_lo, s2
	v_mov_b32_e32 v113, 0
	ds_load_b64 v[114:115], v113 offset:40
	s_wait_dscnt 0x0
	v_pk_mul_f32 v[116:117], v[110:111], v[114:115] op_sel:[1,1] op_sel_hi:[0,1]
	v_pk_fma_f32 v[118:119], v[110:111], v[114:115], v[116:117] op_sel_hi:[1,0,1]
	v_pk_fma_f32 v[110:111], v[110:111], v[114:115], v[116:117] neg_lo:[0,0,1] neg_hi:[0,0,1]
	s_delay_alu instid0(VALU_DEP_2)
	v_mov_b32_e32 v111, v119
	scratch_store_b64 off, v[110:111], off offset:40
.LBB52_570:
	s_wait_xcnt 0x0
	s_or_b32 exec_lo, exec_lo, s0
	scratch_load_b64 v[110:111], off, off offset:48
	s_mov_b32 s0, exec_lo
	s_wait_loadcnt 0x0
	ds_store_b64 v1, v[110:111]
	s_wait_storecnt_dscnt 0x0
	s_barrier_signal -1
	s_barrier_wait -1
	s_wait_xcnt 0x0
	v_cmpx_gt_u32_e32 6, v0
	s_cbranch_execz .LBB52_580
; %bb.571:
	v_cmp_ne_u32_e32 vcc_lo, 1, v112
	s_cbranch_vccnz .LBB52_573
; %bb.572:
	scratch_load_b64 v[110:111], v39, off
	ds_load_b64 v[114:115], v1
	s_wait_loadcnt_dscnt 0x0
	v_pk_mul_f32 v[116:117], v[114:115], v[110:111] op_sel:[1,1] op_sel_hi:[0,1]
	s_delay_alu instid0(VALU_DEP_1) | instskip(SKIP_1) | instid1(VALU_DEP_2)
	v_pk_fma_f32 v[118:119], v[114:115], v[110:111], v[116:117] op_sel_hi:[1,0,1]
	v_pk_fma_f32 v[110:111], v[114:115], v[110:111], v[116:117] neg_lo:[0,0,1] neg_hi:[0,0,1]
	v_mov_b32_e32 v111, v119
	s_cbranch_execz .LBB52_574
	s_branch .LBB52_575
.LBB52_573:
                                        ; implicit-def: $vgpr110_vgpr111
.LBB52_574:
	ds_load_b64 v[110:111], v1
.LBB52_575:
	s_mov_b32 s2, exec_lo
	v_cmpx_ne_u32_e32 5, v0
	s_cbranch_execz .LBB52_579
; %bb.576:
	v_add_nc_u32_e32 v113, 0x1b8, v38
	v_add3_u32 v114, 0, v38, 8
	v_mov_b32_e32 v115, v0
	s_mov_b32 s3, 0
.LBB52_577:                             ; =>This Inner Loop Header: Depth=1
	scratch_load_b64 v[116:117], v114, off
	ds_load_b64 v[118:119], v113
	s_wait_xcnt 0x0
	v_dual_add_nc_u32 v113, 8, v113 :: v_dual_add_nc_u32 v114, 8, v114
	s_wait_loadcnt_dscnt 0x0
	v_pk_mul_f32 v[120:121], v[118:119], v[116:117] op_sel:[1,1] op_sel_hi:[0,1]
	s_delay_alu instid0(VALU_DEP_1) | instskip(SKIP_2) | instid1(VALU_DEP_3)
	v_pk_fma_f32 v[122:123], v[118:119], v[116:117], v[120:121] op_sel_hi:[1,0,1]
	v_add_nc_u32_e32 v115, 1, v115
	v_pk_fma_f32 v[116:117], v[118:119], v[116:117], v[120:121] neg_lo:[0,0,1] neg_hi:[0,0,1]
	v_mov_b32_e32 v117, v123
	s_delay_alu instid0(VALU_DEP_3) | instskip(NEXT) | instid1(VALU_DEP_2)
	v_cmp_lt_u32_e32 vcc_lo, 4, v115
	v_pk_add_f32 v[110:111], v[110:111], v[116:117]
	s_or_b32 s3, vcc_lo, s3
	s_delay_alu instid0(SALU_CYCLE_1)
	s_and_not1_b32 exec_lo, exec_lo, s3
	s_cbranch_execnz .LBB52_577
; %bb.578:
	s_or_b32 exec_lo, exec_lo, s3
.LBB52_579:
	s_delay_alu instid0(SALU_CYCLE_1) | instskip(SKIP_4) | instid1(VALU_DEP_1)
	s_or_b32 exec_lo, exec_lo, s2
	v_mov_b32_e32 v113, 0
	ds_load_b64 v[114:115], v113 offset:48
	s_wait_dscnt 0x0
	v_pk_mul_f32 v[116:117], v[110:111], v[114:115] op_sel:[1,1] op_sel_hi:[0,1]
	v_pk_fma_f32 v[118:119], v[110:111], v[114:115], v[116:117] op_sel_hi:[1,0,1]
	v_pk_fma_f32 v[110:111], v[110:111], v[114:115], v[116:117] neg_lo:[0,0,1] neg_hi:[0,0,1]
	s_delay_alu instid0(VALU_DEP_2)
	v_mov_b32_e32 v111, v119
	scratch_store_b64 off, v[110:111], off offset:48
.LBB52_580:
	s_wait_xcnt 0x0
	s_or_b32 exec_lo, exec_lo, s0
	scratch_load_b64 v[110:111], off, off offset:56
	s_mov_b32 s0, exec_lo
	s_wait_loadcnt 0x0
	ds_store_b64 v1, v[110:111]
	s_wait_storecnt_dscnt 0x0
	s_barrier_signal -1
	s_barrier_wait -1
	s_wait_xcnt 0x0
	v_cmpx_gt_u32_e32 7, v0
	s_cbranch_execz .LBB52_590
; %bb.581:
	v_cmp_ne_u32_e32 vcc_lo, 1, v112
	s_cbranch_vccnz .LBB52_583
; %bb.582:
	scratch_load_b64 v[110:111], v39, off
	ds_load_b64 v[114:115], v1
	s_wait_loadcnt_dscnt 0x0
	v_pk_mul_f32 v[116:117], v[114:115], v[110:111] op_sel:[1,1] op_sel_hi:[0,1]
	s_delay_alu instid0(VALU_DEP_1) | instskip(SKIP_1) | instid1(VALU_DEP_2)
	v_pk_fma_f32 v[118:119], v[114:115], v[110:111], v[116:117] op_sel_hi:[1,0,1]
	v_pk_fma_f32 v[110:111], v[114:115], v[110:111], v[116:117] neg_lo:[0,0,1] neg_hi:[0,0,1]
	v_mov_b32_e32 v111, v119
	s_cbranch_execz .LBB52_584
	s_branch .LBB52_585
.LBB52_583:
                                        ; implicit-def: $vgpr110_vgpr111
.LBB52_584:
	ds_load_b64 v[110:111], v1
.LBB52_585:
	s_mov_b32 s2, exec_lo
	v_cmpx_ne_u32_e32 6, v0
	s_cbranch_execz .LBB52_589
; %bb.586:
	v_add_nc_u32_e32 v113, 0x1b8, v38
	v_add3_u32 v114, 0, v38, 8
	v_mov_b32_e32 v115, v0
	s_mov_b32 s3, 0
.LBB52_587:                             ; =>This Inner Loop Header: Depth=1
	scratch_load_b64 v[116:117], v114, off
	ds_load_b64 v[118:119], v113
	s_wait_xcnt 0x0
	v_dual_add_nc_u32 v113, 8, v113 :: v_dual_add_nc_u32 v114, 8, v114
	s_wait_loadcnt_dscnt 0x0
	v_pk_mul_f32 v[120:121], v[118:119], v[116:117] op_sel:[1,1] op_sel_hi:[0,1]
	s_delay_alu instid0(VALU_DEP_1) | instskip(SKIP_2) | instid1(VALU_DEP_3)
	v_pk_fma_f32 v[122:123], v[118:119], v[116:117], v[120:121] op_sel_hi:[1,0,1]
	v_add_nc_u32_e32 v115, 1, v115
	v_pk_fma_f32 v[116:117], v[118:119], v[116:117], v[120:121] neg_lo:[0,0,1] neg_hi:[0,0,1]
	v_mov_b32_e32 v117, v123
	s_delay_alu instid0(VALU_DEP_3) | instskip(NEXT) | instid1(VALU_DEP_2)
	v_cmp_lt_u32_e32 vcc_lo, 5, v115
	v_pk_add_f32 v[110:111], v[110:111], v[116:117]
	s_or_b32 s3, vcc_lo, s3
	s_delay_alu instid0(SALU_CYCLE_1)
	s_and_not1_b32 exec_lo, exec_lo, s3
	s_cbranch_execnz .LBB52_587
; %bb.588:
	s_or_b32 exec_lo, exec_lo, s3
.LBB52_589:
	s_delay_alu instid0(SALU_CYCLE_1) | instskip(SKIP_4) | instid1(VALU_DEP_1)
	s_or_b32 exec_lo, exec_lo, s2
	v_mov_b32_e32 v113, 0
	ds_load_b64 v[114:115], v113 offset:56
	s_wait_dscnt 0x0
	v_pk_mul_f32 v[116:117], v[110:111], v[114:115] op_sel:[1,1] op_sel_hi:[0,1]
	v_pk_fma_f32 v[118:119], v[110:111], v[114:115], v[116:117] op_sel_hi:[1,0,1]
	v_pk_fma_f32 v[110:111], v[110:111], v[114:115], v[116:117] neg_lo:[0,0,1] neg_hi:[0,0,1]
	s_delay_alu instid0(VALU_DEP_2)
	v_mov_b32_e32 v111, v119
	scratch_store_b64 off, v[110:111], off offset:56
.LBB52_590:
	s_wait_xcnt 0x0
	s_or_b32 exec_lo, exec_lo, s0
	scratch_load_b64 v[110:111], off, off offset:64
	s_mov_b32 s0, exec_lo
	s_wait_loadcnt 0x0
	ds_store_b64 v1, v[110:111]
	s_wait_storecnt_dscnt 0x0
	s_barrier_signal -1
	s_barrier_wait -1
	s_wait_xcnt 0x0
	v_cmpx_gt_u32_e32 8, v0
	s_cbranch_execz .LBB52_600
; %bb.591:
	v_cmp_ne_u32_e32 vcc_lo, 1, v112
	s_cbranch_vccnz .LBB52_593
; %bb.592:
	scratch_load_b64 v[110:111], v39, off
	ds_load_b64 v[114:115], v1
	s_wait_loadcnt_dscnt 0x0
	v_pk_mul_f32 v[116:117], v[114:115], v[110:111] op_sel:[1,1] op_sel_hi:[0,1]
	s_delay_alu instid0(VALU_DEP_1) | instskip(SKIP_1) | instid1(VALU_DEP_2)
	v_pk_fma_f32 v[118:119], v[114:115], v[110:111], v[116:117] op_sel_hi:[1,0,1]
	v_pk_fma_f32 v[110:111], v[114:115], v[110:111], v[116:117] neg_lo:[0,0,1] neg_hi:[0,0,1]
	v_mov_b32_e32 v111, v119
	s_cbranch_execz .LBB52_594
	s_branch .LBB52_595
.LBB52_593:
                                        ; implicit-def: $vgpr110_vgpr111
.LBB52_594:
	ds_load_b64 v[110:111], v1
.LBB52_595:
	s_mov_b32 s2, exec_lo
	v_cmpx_ne_u32_e32 7, v0
	s_cbranch_execz .LBB52_599
; %bb.596:
	v_add_nc_u32_e32 v113, 0x1b8, v38
	v_add3_u32 v114, 0, v38, 8
	v_mov_b32_e32 v115, v0
	s_mov_b32 s3, 0
.LBB52_597:                             ; =>This Inner Loop Header: Depth=1
	scratch_load_b64 v[116:117], v114, off
	ds_load_b64 v[118:119], v113
	s_wait_xcnt 0x0
	v_dual_add_nc_u32 v113, 8, v113 :: v_dual_add_nc_u32 v114, 8, v114
	s_wait_loadcnt_dscnt 0x0
	v_pk_mul_f32 v[120:121], v[118:119], v[116:117] op_sel:[1,1] op_sel_hi:[0,1]
	s_delay_alu instid0(VALU_DEP_1) | instskip(SKIP_2) | instid1(VALU_DEP_3)
	v_pk_fma_f32 v[122:123], v[118:119], v[116:117], v[120:121] op_sel_hi:[1,0,1]
	v_add_nc_u32_e32 v115, 1, v115
	v_pk_fma_f32 v[116:117], v[118:119], v[116:117], v[120:121] neg_lo:[0,0,1] neg_hi:[0,0,1]
	v_mov_b32_e32 v117, v123
	s_delay_alu instid0(VALU_DEP_3) | instskip(NEXT) | instid1(VALU_DEP_2)
	v_cmp_lt_u32_e32 vcc_lo, 6, v115
	v_pk_add_f32 v[110:111], v[110:111], v[116:117]
	s_or_b32 s3, vcc_lo, s3
	s_delay_alu instid0(SALU_CYCLE_1)
	s_and_not1_b32 exec_lo, exec_lo, s3
	s_cbranch_execnz .LBB52_597
; %bb.598:
	s_or_b32 exec_lo, exec_lo, s3
.LBB52_599:
	s_delay_alu instid0(SALU_CYCLE_1) | instskip(SKIP_4) | instid1(VALU_DEP_1)
	s_or_b32 exec_lo, exec_lo, s2
	v_mov_b32_e32 v113, 0
	ds_load_b64 v[114:115], v113 offset:64
	s_wait_dscnt 0x0
	v_pk_mul_f32 v[116:117], v[110:111], v[114:115] op_sel:[1,1] op_sel_hi:[0,1]
	v_pk_fma_f32 v[118:119], v[110:111], v[114:115], v[116:117] op_sel_hi:[1,0,1]
	v_pk_fma_f32 v[110:111], v[110:111], v[114:115], v[116:117] neg_lo:[0,0,1] neg_hi:[0,0,1]
	s_delay_alu instid0(VALU_DEP_2)
	v_mov_b32_e32 v111, v119
	scratch_store_b64 off, v[110:111], off offset:64
.LBB52_600:
	s_wait_xcnt 0x0
	s_or_b32 exec_lo, exec_lo, s0
	scratch_load_b64 v[110:111], off, off offset:72
	s_mov_b32 s0, exec_lo
	s_wait_loadcnt 0x0
	ds_store_b64 v1, v[110:111]
	s_wait_storecnt_dscnt 0x0
	s_barrier_signal -1
	s_barrier_wait -1
	s_wait_xcnt 0x0
	v_cmpx_gt_u32_e32 9, v0
	s_cbranch_execz .LBB52_610
; %bb.601:
	v_cmp_ne_u32_e32 vcc_lo, 1, v112
	s_cbranch_vccnz .LBB52_603
; %bb.602:
	scratch_load_b64 v[110:111], v39, off
	ds_load_b64 v[114:115], v1
	s_wait_loadcnt_dscnt 0x0
	v_pk_mul_f32 v[116:117], v[114:115], v[110:111] op_sel:[1,1] op_sel_hi:[0,1]
	s_delay_alu instid0(VALU_DEP_1) | instskip(SKIP_1) | instid1(VALU_DEP_2)
	v_pk_fma_f32 v[118:119], v[114:115], v[110:111], v[116:117] op_sel_hi:[1,0,1]
	v_pk_fma_f32 v[110:111], v[114:115], v[110:111], v[116:117] neg_lo:[0,0,1] neg_hi:[0,0,1]
	v_mov_b32_e32 v111, v119
	s_cbranch_execz .LBB52_604
	s_branch .LBB52_605
.LBB52_603:
                                        ; implicit-def: $vgpr110_vgpr111
.LBB52_604:
	ds_load_b64 v[110:111], v1
.LBB52_605:
	s_mov_b32 s2, exec_lo
	v_cmpx_ne_u32_e32 8, v0
	s_cbranch_execz .LBB52_609
; %bb.606:
	v_add_nc_u32_e32 v113, 0x1b8, v38
	v_add3_u32 v114, 0, v38, 8
	v_mov_b32_e32 v115, v0
	s_mov_b32 s3, 0
.LBB52_607:                             ; =>This Inner Loop Header: Depth=1
	scratch_load_b64 v[116:117], v114, off
	ds_load_b64 v[118:119], v113
	s_wait_xcnt 0x0
	v_dual_add_nc_u32 v113, 8, v113 :: v_dual_add_nc_u32 v114, 8, v114
	s_wait_loadcnt_dscnt 0x0
	v_pk_mul_f32 v[120:121], v[118:119], v[116:117] op_sel:[1,1] op_sel_hi:[0,1]
	s_delay_alu instid0(VALU_DEP_1) | instskip(SKIP_2) | instid1(VALU_DEP_3)
	v_pk_fma_f32 v[122:123], v[118:119], v[116:117], v[120:121] op_sel_hi:[1,0,1]
	v_add_nc_u32_e32 v115, 1, v115
	v_pk_fma_f32 v[116:117], v[118:119], v[116:117], v[120:121] neg_lo:[0,0,1] neg_hi:[0,0,1]
	v_mov_b32_e32 v117, v123
	s_delay_alu instid0(VALU_DEP_3) | instskip(NEXT) | instid1(VALU_DEP_2)
	v_cmp_lt_u32_e32 vcc_lo, 7, v115
	v_pk_add_f32 v[110:111], v[110:111], v[116:117]
	s_or_b32 s3, vcc_lo, s3
	s_delay_alu instid0(SALU_CYCLE_1)
	s_and_not1_b32 exec_lo, exec_lo, s3
	s_cbranch_execnz .LBB52_607
; %bb.608:
	s_or_b32 exec_lo, exec_lo, s3
.LBB52_609:
	s_delay_alu instid0(SALU_CYCLE_1) | instskip(SKIP_4) | instid1(VALU_DEP_1)
	s_or_b32 exec_lo, exec_lo, s2
	v_mov_b32_e32 v113, 0
	ds_load_b64 v[114:115], v113 offset:72
	s_wait_dscnt 0x0
	v_pk_mul_f32 v[116:117], v[110:111], v[114:115] op_sel:[1,1] op_sel_hi:[0,1]
	v_pk_fma_f32 v[118:119], v[110:111], v[114:115], v[116:117] op_sel_hi:[1,0,1]
	v_pk_fma_f32 v[110:111], v[110:111], v[114:115], v[116:117] neg_lo:[0,0,1] neg_hi:[0,0,1]
	s_delay_alu instid0(VALU_DEP_2)
	v_mov_b32_e32 v111, v119
	scratch_store_b64 off, v[110:111], off offset:72
.LBB52_610:
	s_wait_xcnt 0x0
	s_or_b32 exec_lo, exec_lo, s0
	scratch_load_b64 v[110:111], off, off offset:80
	s_mov_b32 s0, exec_lo
	s_wait_loadcnt 0x0
	ds_store_b64 v1, v[110:111]
	s_wait_storecnt_dscnt 0x0
	s_barrier_signal -1
	s_barrier_wait -1
	s_wait_xcnt 0x0
	v_cmpx_gt_u32_e32 10, v0
	s_cbranch_execz .LBB52_620
; %bb.611:
	v_cmp_ne_u32_e32 vcc_lo, 1, v112
	s_cbranch_vccnz .LBB52_613
; %bb.612:
	scratch_load_b64 v[110:111], v39, off
	ds_load_b64 v[114:115], v1
	s_wait_loadcnt_dscnt 0x0
	v_pk_mul_f32 v[116:117], v[114:115], v[110:111] op_sel:[1,1] op_sel_hi:[0,1]
	s_delay_alu instid0(VALU_DEP_1) | instskip(SKIP_1) | instid1(VALU_DEP_2)
	v_pk_fma_f32 v[118:119], v[114:115], v[110:111], v[116:117] op_sel_hi:[1,0,1]
	v_pk_fma_f32 v[110:111], v[114:115], v[110:111], v[116:117] neg_lo:[0,0,1] neg_hi:[0,0,1]
	v_mov_b32_e32 v111, v119
	s_cbranch_execz .LBB52_614
	s_branch .LBB52_615
.LBB52_613:
                                        ; implicit-def: $vgpr110_vgpr111
.LBB52_614:
	ds_load_b64 v[110:111], v1
.LBB52_615:
	s_mov_b32 s2, exec_lo
	v_cmpx_ne_u32_e32 9, v0
	s_cbranch_execz .LBB52_619
; %bb.616:
	v_add_nc_u32_e32 v113, 0x1b8, v38
	v_add3_u32 v114, 0, v38, 8
	v_mov_b32_e32 v115, v0
	s_mov_b32 s3, 0
.LBB52_617:                             ; =>This Inner Loop Header: Depth=1
	scratch_load_b64 v[116:117], v114, off
	ds_load_b64 v[118:119], v113
	s_wait_xcnt 0x0
	v_dual_add_nc_u32 v113, 8, v113 :: v_dual_add_nc_u32 v114, 8, v114
	s_wait_loadcnt_dscnt 0x0
	v_pk_mul_f32 v[120:121], v[118:119], v[116:117] op_sel:[1,1] op_sel_hi:[0,1]
	s_delay_alu instid0(VALU_DEP_1) | instskip(SKIP_2) | instid1(VALU_DEP_3)
	v_pk_fma_f32 v[122:123], v[118:119], v[116:117], v[120:121] op_sel_hi:[1,0,1]
	v_add_nc_u32_e32 v115, 1, v115
	v_pk_fma_f32 v[116:117], v[118:119], v[116:117], v[120:121] neg_lo:[0,0,1] neg_hi:[0,0,1]
	v_mov_b32_e32 v117, v123
	s_delay_alu instid0(VALU_DEP_3) | instskip(NEXT) | instid1(VALU_DEP_2)
	v_cmp_lt_u32_e32 vcc_lo, 8, v115
	v_pk_add_f32 v[110:111], v[110:111], v[116:117]
	s_or_b32 s3, vcc_lo, s3
	s_delay_alu instid0(SALU_CYCLE_1)
	s_and_not1_b32 exec_lo, exec_lo, s3
	s_cbranch_execnz .LBB52_617
; %bb.618:
	s_or_b32 exec_lo, exec_lo, s3
.LBB52_619:
	s_delay_alu instid0(SALU_CYCLE_1) | instskip(SKIP_4) | instid1(VALU_DEP_1)
	s_or_b32 exec_lo, exec_lo, s2
	v_mov_b32_e32 v113, 0
	ds_load_b64 v[114:115], v113 offset:80
	s_wait_dscnt 0x0
	v_pk_mul_f32 v[116:117], v[110:111], v[114:115] op_sel:[1,1] op_sel_hi:[0,1]
	v_pk_fma_f32 v[118:119], v[110:111], v[114:115], v[116:117] op_sel_hi:[1,0,1]
	v_pk_fma_f32 v[110:111], v[110:111], v[114:115], v[116:117] neg_lo:[0,0,1] neg_hi:[0,0,1]
	s_delay_alu instid0(VALU_DEP_2)
	v_mov_b32_e32 v111, v119
	scratch_store_b64 off, v[110:111], off offset:80
.LBB52_620:
	s_wait_xcnt 0x0
	s_or_b32 exec_lo, exec_lo, s0
	scratch_load_b64 v[110:111], off, off offset:88
	s_mov_b32 s0, exec_lo
	s_wait_loadcnt 0x0
	ds_store_b64 v1, v[110:111]
	s_wait_storecnt_dscnt 0x0
	s_barrier_signal -1
	s_barrier_wait -1
	s_wait_xcnt 0x0
	v_cmpx_gt_u32_e32 11, v0
	s_cbranch_execz .LBB52_630
; %bb.621:
	v_cmp_ne_u32_e32 vcc_lo, 1, v112
	s_cbranch_vccnz .LBB52_623
; %bb.622:
	scratch_load_b64 v[110:111], v39, off
	ds_load_b64 v[114:115], v1
	s_wait_loadcnt_dscnt 0x0
	v_pk_mul_f32 v[116:117], v[114:115], v[110:111] op_sel:[1,1] op_sel_hi:[0,1]
	s_delay_alu instid0(VALU_DEP_1) | instskip(SKIP_1) | instid1(VALU_DEP_2)
	v_pk_fma_f32 v[118:119], v[114:115], v[110:111], v[116:117] op_sel_hi:[1,0,1]
	v_pk_fma_f32 v[110:111], v[114:115], v[110:111], v[116:117] neg_lo:[0,0,1] neg_hi:[0,0,1]
	v_mov_b32_e32 v111, v119
	s_cbranch_execz .LBB52_624
	s_branch .LBB52_625
.LBB52_623:
                                        ; implicit-def: $vgpr110_vgpr111
.LBB52_624:
	ds_load_b64 v[110:111], v1
.LBB52_625:
	s_mov_b32 s2, exec_lo
	v_cmpx_ne_u32_e32 10, v0
	s_cbranch_execz .LBB52_629
; %bb.626:
	v_add_nc_u32_e32 v113, 0x1b8, v38
	v_add3_u32 v114, 0, v38, 8
	v_mov_b32_e32 v115, v0
	s_mov_b32 s3, 0
.LBB52_627:                             ; =>This Inner Loop Header: Depth=1
	scratch_load_b64 v[116:117], v114, off
	ds_load_b64 v[118:119], v113
	s_wait_xcnt 0x0
	v_dual_add_nc_u32 v113, 8, v113 :: v_dual_add_nc_u32 v114, 8, v114
	s_wait_loadcnt_dscnt 0x0
	v_pk_mul_f32 v[120:121], v[118:119], v[116:117] op_sel:[1,1] op_sel_hi:[0,1]
	s_delay_alu instid0(VALU_DEP_1) | instskip(SKIP_2) | instid1(VALU_DEP_3)
	v_pk_fma_f32 v[122:123], v[118:119], v[116:117], v[120:121] op_sel_hi:[1,0,1]
	v_add_nc_u32_e32 v115, 1, v115
	v_pk_fma_f32 v[116:117], v[118:119], v[116:117], v[120:121] neg_lo:[0,0,1] neg_hi:[0,0,1]
	v_mov_b32_e32 v117, v123
	s_delay_alu instid0(VALU_DEP_3) | instskip(NEXT) | instid1(VALU_DEP_2)
	v_cmp_lt_u32_e32 vcc_lo, 9, v115
	v_pk_add_f32 v[110:111], v[110:111], v[116:117]
	s_or_b32 s3, vcc_lo, s3
	s_delay_alu instid0(SALU_CYCLE_1)
	s_and_not1_b32 exec_lo, exec_lo, s3
	s_cbranch_execnz .LBB52_627
; %bb.628:
	s_or_b32 exec_lo, exec_lo, s3
.LBB52_629:
	s_delay_alu instid0(SALU_CYCLE_1) | instskip(SKIP_4) | instid1(VALU_DEP_1)
	s_or_b32 exec_lo, exec_lo, s2
	v_mov_b32_e32 v113, 0
	ds_load_b64 v[114:115], v113 offset:88
	s_wait_dscnt 0x0
	v_pk_mul_f32 v[116:117], v[110:111], v[114:115] op_sel:[1,1] op_sel_hi:[0,1]
	v_pk_fma_f32 v[118:119], v[110:111], v[114:115], v[116:117] op_sel_hi:[1,0,1]
	v_pk_fma_f32 v[110:111], v[110:111], v[114:115], v[116:117] neg_lo:[0,0,1] neg_hi:[0,0,1]
	s_delay_alu instid0(VALU_DEP_2)
	v_mov_b32_e32 v111, v119
	scratch_store_b64 off, v[110:111], off offset:88
.LBB52_630:
	s_wait_xcnt 0x0
	s_or_b32 exec_lo, exec_lo, s0
	scratch_load_b64 v[110:111], off, off offset:96
	s_mov_b32 s0, exec_lo
	s_wait_loadcnt 0x0
	ds_store_b64 v1, v[110:111]
	s_wait_storecnt_dscnt 0x0
	s_barrier_signal -1
	s_barrier_wait -1
	s_wait_xcnt 0x0
	v_cmpx_gt_u32_e32 12, v0
	s_cbranch_execz .LBB52_640
; %bb.631:
	v_cmp_ne_u32_e32 vcc_lo, 1, v112
	s_cbranch_vccnz .LBB52_633
; %bb.632:
	scratch_load_b64 v[110:111], v39, off
	ds_load_b64 v[114:115], v1
	s_wait_loadcnt_dscnt 0x0
	v_pk_mul_f32 v[116:117], v[114:115], v[110:111] op_sel:[1,1] op_sel_hi:[0,1]
	s_delay_alu instid0(VALU_DEP_1) | instskip(SKIP_1) | instid1(VALU_DEP_2)
	v_pk_fma_f32 v[118:119], v[114:115], v[110:111], v[116:117] op_sel_hi:[1,0,1]
	v_pk_fma_f32 v[110:111], v[114:115], v[110:111], v[116:117] neg_lo:[0,0,1] neg_hi:[0,0,1]
	v_mov_b32_e32 v111, v119
	s_cbranch_execz .LBB52_634
	s_branch .LBB52_635
.LBB52_633:
                                        ; implicit-def: $vgpr110_vgpr111
.LBB52_634:
	ds_load_b64 v[110:111], v1
.LBB52_635:
	s_mov_b32 s2, exec_lo
	v_cmpx_ne_u32_e32 11, v0
	s_cbranch_execz .LBB52_639
; %bb.636:
	v_add_nc_u32_e32 v113, 0x1b8, v38
	v_add3_u32 v114, 0, v38, 8
	v_mov_b32_e32 v115, v0
	s_mov_b32 s3, 0
.LBB52_637:                             ; =>This Inner Loop Header: Depth=1
	scratch_load_b64 v[116:117], v114, off
	ds_load_b64 v[118:119], v113
	s_wait_xcnt 0x0
	v_dual_add_nc_u32 v113, 8, v113 :: v_dual_add_nc_u32 v114, 8, v114
	s_wait_loadcnt_dscnt 0x0
	v_pk_mul_f32 v[120:121], v[118:119], v[116:117] op_sel:[1,1] op_sel_hi:[0,1]
	s_delay_alu instid0(VALU_DEP_1) | instskip(SKIP_2) | instid1(VALU_DEP_3)
	v_pk_fma_f32 v[122:123], v[118:119], v[116:117], v[120:121] op_sel_hi:[1,0,1]
	v_add_nc_u32_e32 v115, 1, v115
	v_pk_fma_f32 v[116:117], v[118:119], v[116:117], v[120:121] neg_lo:[0,0,1] neg_hi:[0,0,1]
	v_mov_b32_e32 v117, v123
	s_delay_alu instid0(VALU_DEP_3) | instskip(NEXT) | instid1(VALU_DEP_2)
	v_cmp_lt_u32_e32 vcc_lo, 10, v115
	v_pk_add_f32 v[110:111], v[110:111], v[116:117]
	s_or_b32 s3, vcc_lo, s3
	s_delay_alu instid0(SALU_CYCLE_1)
	s_and_not1_b32 exec_lo, exec_lo, s3
	s_cbranch_execnz .LBB52_637
; %bb.638:
	s_or_b32 exec_lo, exec_lo, s3
.LBB52_639:
	s_delay_alu instid0(SALU_CYCLE_1) | instskip(SKIP_4) | instid1(VALU_DEP_1)
	s_or_b32 exec_lo, exec_lo, s2
	v_mov_b32_e32 v113, 0
	ds_load_b64 v[114:115], v113 offset:96
	s_wait_dscnt 0x0
	v_pk_mul_f32 v[116:117], v[110:111], v[114:115] op_sel:[1,1] op_sel_hi:[0,1]
	v_pk_fma_f32 v[118:119], v[110:111], v[114:115], v[116:117] op_sel_hi:[1,0,1]
	v_pk_fma_f32 v[110:111], v[110:111], v[114:115], v[116:117] neg_lo:[0,0,1] neg_hi:[0,0,1]
	s_delay_alu instid0(VALU_DEP_2)
	v_mov_b32_e32 v111, v119
	scratch_store_b64 off, v[110:111], off offset:96
.LBB52_640:
	s_wait_xcnt 0x0
	s_or_b32 exec_lo, exec_lo, s0
	scratch_load_b64 v[110:111], off, off offset:104
	s_mov_b32 s0, exec_lo
	s_wait_loadcnt 0x0
	ds_store_b64 v1, v[110:111]
	s_wait_storecnt_dscnt 0x0
	s_barrier_signal -1
	s_barrier_wait -1
	s_wait_xcnt 0x0
	v_cmpx_gt_u32_e32 13, v0
	s_cbranch_execz .LBB52_650
; %bb.641:
	v_cmp_ne_u32_e32 vcc_lo, 1, v112
	s_cbranch_vccnz .LBB52_643
; %bb.642:
	scratch_load_b64 v[110:111], v39, off
	ds_load_b64 v[114:115], v1
	s_wait_loadcnt_dscnt 0x0
	v_pk_mul_f32 v[116:117], v[114:115], v[110:111] op_sel:[1,1] op_sel_hi:[0,1]
	s_delay_alu instid0(VALU_DEP_1) | instskip(SKIP_1) | instid1(VALU_DEP_2)
	v_pk_fma_f32 v[118:119], v[114:115], v[110:111], v[116:117] op_sel_hi:[1,0,1]
	v_pk_fma_f32 v[110:111], v[114:115], v[110:111], v[116:117] neg_lo:[0,0,1] neg_hi:[0,0,1]
	v_mov_b32_e32 v111, v119
	s_cbranch_execz .LBB52_644
	s_branch .LBB52_645
.LBB52_643:
                                        ; implicit-def: $vgpr110_vgpr111
.LBB52_644:
	ds_load_b64 v[110:111], v1
.LBB52_645:
	s_mov_b32 s2, exec_lo
	v_cmpx_ne_u32_e32 12, v0
	s_cbranch_execz .LBB52_649
; %bb.646:
	v_add_nc_u32_e32 v113, 0x1b8, v38
	v_add3_u32 v114, 0, v38, 8
	v_mov_b32_e32 v115, v0
	s_mov_b32 s3, 0
.LBB52_647:                             ; =>This Inner Loop Header: Depth=1
	scratch_load_b64 v[116:117], v114, off
	ds_load_b64 v[118:119], v113
	s_wait_xcnt 0x0
	v_dual_add_nc_u32 v113, 8, v113 :: v_dual_add_nc_u32 v114, 8, v114
	s_wait_loadcnt_dscnt 0x0
	v_pk_mul_f32 v[120:121], v[118:119], v[116:117] op_sel:[1,1] op_sel_hi:[0,1]
	s_delay_alu instid0(VALU_DEP_1) | instskip(SKIP_2) | instid1(VALU_DEP_3)
	v_pk_fma_f32 v[122:123], v[118:119], v[116:117], v[120:121] op_sel_hi:[1,0,1]
	v_add_nc_u32_e32 v115, 1, v115
	v_pk_fma_f32 v[116:117], v[118:119], v[116:117], v[120:121] neg_lo:[0,0,1] neg_hi:[0,0,1]
	v_mov_b32_e32 v117, v123
	s_delay_alu instid0(VALU_DEP_3) | instskip(NEXT) | instid1(VALU_DEP_2)
	v_cmp_lt_u32_e32 vcc_lo, 11, v115
	v_pk_add_f32 v[110:111], v[110:111], v[116:117]
	s_or_b32 s3, vcc_lo, s3
	s_delay_alu instid0(SALU_CYCLE_1)
	s_and_not1_b32 exec_lo, exec_lo, s3
	s_cbranch_execnz .LBB52_647
; %bb.648:
	s_or_b32 exec_lo, exec_lo, s3
.LBB52_649:
	s_delay_alu instid0(SALU_CYCLE_1) | instskip(SKIP_4) | instid1(VALU_DEP_1)
	s_or_b32 exec_lo, exec_lo, s2
	v_mov_b32_e32 v113, 0
	ds_load_b64 v[114:115], v113 offset:104
	s_wait_dscnt 0x0
	v_pk_mul_f32 v[116:117], v[110:111], v[114:115] op_sel:[1,1] op_sel_hi:[0,1]
	v_pk_fma_f32 v[118:119], v[110:111], v[114:115], v[116:117] op_sel_hi:[1,0,1]
	v_pk_fma_f32 v[110:111], v[110:111], v[114:115], v[116:117] neg_lo:[0,0,1] neg_hi:[0,0,1]
	s_delay_alu instid0(VALU_DEP_2)
	v_mov_b32_e32 v111, v119
	scratch_store_b64 off, v[110:111], off offset:104
.LBB52_650:
	s_wait_xcnt 0x0
	s_or_b32 exec_lo, exec_lo, s0
	scratch_load_b64 v[110:111], off, off offset:112
	s_mov_b32 s0, exec_lo
	s_wait_loadcnt 0x0
	ds_store_b64 v1, v[110:111]
	s_wait_storecnt_dscnt 0x0
	s_barrier_signal -1
	s_barrier_wait -1
	s_wait_xcnt 0x0
	v_cmpx_gt_u32_e32 14, v0
	s_cbranch_execz .LBB52_660
; %bb.651:
	v_cmp_ne_u32_e32 vcc_lo, 1, v112
	s_cbranch_vccnz .LBB52_653
; %bb.652:
	scratch_load_b64 v[110:111], v39, off
	ds_load_b64 v[114:115], v1
	s_wait_loadcnt_dscnt 0x0
	v_pk_mul_f32 v[116:117], v[114:115], v[110:111] op_sel:[1,1] op_sel_hi:[0,1]
	s_delay_alu instid0(VALU_DEP_1) | instskip(SKIP_1) | instid1(VALU_DEP_2)
	v_pk_fma_f32 v[118:119], v[114:115], v[110:111], v[116:117] op_sel_hi:[1,0,1]
	v_pk_fma_f32 v[110:111], v[114:115], v[110:111], v[116:117] neg_lo:[0,0,1] neg_hi:[0,0,1]
	v_mov_b32_e32 v111, v119
	s_cbranch_execz .LBB52_654
	s_branch .LBB52_655
.LBB52_653:
                                        ; implicit-def: $vgpr110_vgpr111
.LBB52_654:
	ds_load_b64 v[110:111], v1
.LBB52_655:
	s_mov_b32 s2, exec_lo
	v_cmpx_ne_u32_e32 13, v0
	s_cbranch_execz .LBB52_659
; %bb.656:
	v_add_nc_u32_e32 v113, 0x1b8, v38
	v_add3_u32 v114, 0, v38, 8
	v_mov_b32_e32 v115, v0
	s_mov_b32 s3, 0
.LBB52_657:                             ; =>This Inner Loop Header: Depth=1
	scratch_load_b64 v[116:117], v114, off
	ds_load_b64 v[118:119], v113
	s_wait_xcnt 0x0
	v_dual_add_nc_u32 v113, 8, v113 :: v_dual_add_nc_u32 v114, 8, v114
	s_wait_loadcnt_dscnt 0x0
	v_pk_mul_f32 v[120:121], v[118:119], v[116:117] op_sel:[1,1] op_sel_hi:[0,1]
	s_delay_alu instid0(VALU_DEP_1) | instskip(SKIP_2) | instid1(VALU_DEP_3)
	v_pk_fma_f32 v[122:123], v[118:119], v[116:117], v[120:121] op_sel_hi:[1,0,1]
	v_add_nc_u32_e32 v115, 1, v115
	v_pk_fma_f32 v[116:117], v[118:119], v[116:117], v[120:121] neg_lo:[0,0,1] neg_hi:[0,0,1]
	v_mov_b32_e32 v117, v123
	s_delay_alu instid0(VALU_DEP_3) | instskip(NEXT) | instid1(VALU_DEP_2)
	v_cmp_lt_u32_e32 vcc_lo, 12, v115
	v_pk_add_f32 v[110:111], v[110:111], v[116:117]
	s_or_b32 s3, vcc_lo, s3
	s_delay_alu instid0(SALU_CYCLE_1)
	s_and_not1_b32 exec_lo, exec_lo, s3
	s_cbranch_execnz .LBB52_657
; %bb.658:
	s_or_b32 exec_lo, exec_lo, s3
.LBB52_659:
	s_delay_alu instid0(SALU_CYCLE_1) | instskip(SKIP_4) | instid1(VALU_DEP_1)
	s_or_b32 exec_lo, exec_lo, s2
	v_mov_b32_e32 v113, 0
	ds_load_b64 v[114:115], v113 offset:112
	s_wait_dscnt 0x0
	v_pk_mul_f32 v[116:117], v[110:111], v[114:115] op_sel:[1,1] op_sel_hi:[0,1]
	v_pk_fma_f32 v[118:119], v[110:111], v[114:115], v[116:117] op_sel_hi:[1,0,1]
	v_pk_fma_f32 v[110:111], v[110:111], v[114:115], v[116:117] neg_lo:[0,0,1] neg_hi:[0,0,1]
	s_delay_alu instid0(VALU_DEP_2)
	v_mov_b32_e32 v111, v119
	scratch_store_b64 off, v[110:111], off offset:112
.LBB52_660:
	s_wait_xcnt 0x0
	s_or_b32 exec_lo, exec_lo, s0
	scratch_load_b64 v[110:111], off, off offset:120
	s_mov_b32 s0, exec_lo
	s_wait_loadcnt 0x0
	ds_store_b64 v1, v[110:111]
	s_wait_storecnt_dscnt 0x0
	s_barrier_signal -1
	s_barrier_wait -1
	s_wait_xcnt 0x0
	v_cmpx_gt_u32_e32 15, v0
	s_cbranch_execz .LBB52_670
; %bb.661:
	v_cmp_ne_u32_e32 vcc_lo, 1, v112
	s_cbranch_vccnz .LBB52_663
; %bb.662:
	scratch_load_b64 v[110:111], v39, off
	ds_load_b64 v[114:115], v1
	s_wait_loadcnt_dscnt 0x0
	v_pk_mul_f32 v[116:117], v[114:115], v[110:111] op_sel:[1,1] op_sel_hi:[0,1]
	s_delay_alu instid0(VALU_DEP_1) | instskip(SKIP_1) | instid1(VALU_DEP_2)
	v_pk_fma_f32 v[118:119], v[114:115], v[110:111], v[116:117] op_sel_hi:[1,0,1]
	v_pk_fma_f32 v[110:111], v[114:115], v[110:111], v[116:117] neg_lo:[0,0,1] neg_hi:[0,0,1]
	v_mov_b32_e32 v111, v119
	s_cbranch_execz .LBB52_664
	s_branch .LBB52_665
.LBB52_663:
                                        ; implicit-def: $vgpr110_vgpr111
.LBB52_664:
	ds_load_b64 v[110:111], v1
.LBB52_665:
	s_mov_b32 s2, exec_lo
	v_cmpx_ne_u32_e32 14, v0
	s_cbranch_execz .LBB52_669
; %bb.666:
	v_add_nc_u32_e32 v113, 0x1b8, v38
	v_add3_u32 v114, 0, v38, 8
	v_mov_b32_e32 v115, v0
	s_mov_b32 s3, 0
.LBB52_667:                             ; =>This Inner Loop Header: Depth=1
	scratch_load_b64 v[116:117], v114, off
	ds_load_b64 v[118:119], v113
	s_wait_xcnt 0x0
	v_dual_add_nc_u32 v113, 8, v113 :: v_dual_add_nc_u32 v114, 8, v114
	s_wait_loadcnt_dscnt 0x0
	v_pk_mul_f32 v[120:121], v[118:119], v[116:117] op_sel:[1,1] op_sel_hi:[0,1]
	s_delay_alu instid0(VALU_DEP_1) | instskip(SKIP_2) | instid1(VALU_DEP_3)
	v_pk_fma_f32 v[122:123], v[118:119], v[116:117], v[120:121] op_sel_hi:[1,0,1]
	v_add_nc_u32_e32 v115, 1, v115
	v_pk_fma_f32 v[116:117], v[118:119], v[116:117], v[120:121] neg_lo:[0,0,1] neg_hi:[0,0,1]
	v_mov_b32_e32 v117, v123
	s_delay_alu instid0(VALU_DEP_3) | instskip(NEXT) | instid1(VALU_DEP_2)
	v_cmp_lt_u32_e32 vcc_lo, 13, v115
	v_pk_add_f32 v[110:111], v[110:111], v[116:117]
	s_or_b32 s3, vcc_lo, s3
	s_delay_alu instid0(SALU_CYCLE_1)
	s_and_not1_b32 exec_lo, exec_lo, s3
	s_cbranch_execnz .LBB52_667
; %bb.668:
	s_or_b32 exec_lo, exec_lo, s3
.LBB52_669:
	s_delay_alu instid0(SALU_CYCLE_1) | instskip(SKIP_4) | instid1(VALU_DEP_1)
	s_or_b32 exec_lo, exec_lo, s2
	v_mov_b32_e32 v113, 0
	ds_load_b64 v[114:115], v113 offset:120
	s_wait_dscnt 0x0
	v_pk_mul_f32 v[116:117], v[110:111], v[114:115] op_sel:[1,1] op_sel_hi:[0,1]
	v_pk_fma_f32 v[118:119], v[110:111], v[114:115], v[116:117] op_sel_hi:[1,0,1]
	v_pk_fma_f32 v[110:111], v[110:111], v[114:115], v[116:117] neg_lo:[0,0,1] neg_hi:[0,0,1]
	s_delay_alu instid0(VALU_DEP_2)
	v_mov_b32_e32 v111, v119
	scratch_store_b64 off, v[110:111], off offset:120
.LBB52_670:
	s_wait_xcnt 0x0
	s_or_b32 exec_lo, exec_lo, s0
	scratch_load_b64 v[110:111], off, off offset:128
	s_mov_b32 s0, exec_lo
	s_wait_loadcnt 0x0
	ds_store_b64 v1, v[110:111]
	s_wait_storecnt_dscnt 0x0
	s_barrier_signal -1
	s_barrier_wait -1
	s_wait_xcnt 0x0
	v_cmpx_gt_u32_e32 16, v0
	s_cbranch_execz .LBB52_680
; %bb.671:
	v_cmp_ne_u32_e32 vcc_lo, 1, v112
	s_cbranch_vccnz .LBB52_673
; %bb.672:
	scratch_load_b64 v[110:111], v39, off
	ds_load_b64 v[114:115], v1
	s_wait_loadcnt_dscnt 0x0
	v_pk_mul_f32 v[116:117], v[114:115], v[110:111] op_sel:[1,1] op_sel_hi:[0,1]
	s_delay_alu instid0(VALU_DEP_1) | instskip(SKIP_1) | instid1(VALU_DEP_2)
	v_pk_fma_f32 v[118:119], v[114:115], v[110:111], v[116:117] op_sel_hi:[1,0,1]
	v_pk_fma_f32 v[110:111], v[114:115], v[110:111], v[116:117] neg_lo:[0,0,1] neg_hi:[0,0,1]
	v_mov_b32_e32 v111, v119
	s_cbranch_execz .LBB52_674
	s_branch .LBB52_675
.LBB52_673:
                                        ; implicit-def: $vgpr110_vgpr111
.LBB52_674:
	ds_load_b64 v[110:111], v1
.LBB52_675:
	s_mov_b32 s2, exec_lo
	v_cmpx_ne_u32_e32 15, v0
	s_cbranch_execz .LBB52_679
; %bb.676:
	v_add_nc_u32_e32 v113, 0x1b8, v38
	v_add3_u32 v114, 0, v38, 8
	v_mov_b32_e32 v115, v0
	s_mov_b32 s3, 0
.LBB52_677:                             ; =>This Inner Loop Header: Depth=1
	scratch_load_b64 v[116:117], v114, off
	ds_load_b64 v[118:119], v113
	s_wait_xcnt 0x0
	v_dual_add_nc_u32 v113, 8, v113 :: v_dual_add_nc_u32 v114, 8, v114
	s_wait_loadcnt_dscnt 0x0
	v_pk_mul_f32 v[120:121], v[118:119], v[116:117] op_sel:[1,1] op_sel_hi:[0,1]
	s_delay_alu instid0(VALU_DEP_1) | instskip(SKIP_2) | instid1(VALU_DEP_3)
	v_pk_fma_f32 v[122:123], v[118:119], v[116:117], v[120:121] op_sel_hi:[1,0,1]
	v_add_nc_u32_e32 v115, 1, v115
	v_pk_fma_f32 v[116:117], v[118:119], v[116:117], v[120:121] neg_lo:[0,0,1] neg_hi:[0,0,1]
	v_mov_b32_e32 v117, v123
	s_delay_alu instid0(VALU_DEP_3) | instskip(NEXT) | instid1(VALU_DEP_2)
	v_cmp_lt_u32_e32 vcc_lo, 14, v115
	v_pk_add_f32 v[110:111], v[110:111], v[116:117]
	s_or_b32 s3, vcc_lo, s3
	s_delay_alu instid0(SALU_CYCLE_1)
	s_and_not1_b32 exec_lo, exec_lo, s3
	s_cbranch_execnz .LBB52_677
; %bb.678:
	s_or_b32 exec_lo, exec_lo, s3
.LBB52_679:
	s_delay_alu instid0(SALU_CYCLE_1) | instskip(SKIP_4) | instid1(VALU_DEP_1)
	s_or_b32 exec_lo, exec_lo, s2
	v_mov_b32_e32 v113, 0
	ds_load_b64 v[114:115], v113 offset:128
	s_wait_dscnt 0x0
	v_pk_mul_f32 v[116:117], v[110:111], v[114:115] op_sel:[1,1] op_sel_hi:[0,1]
	v_pk_fma_f32 v[118:119], v[110:111], v[114:115], v[116:117] op_sel_hi:[1,0,1]
	v_pk_fma_f32 v[110:111], v[110:111], v[114:115], v[116:117] neg_lo:[0,0,1] neg_hi:[0,0,1]
	s_delay_alu instid0(VALU_DEP_2)
	v_mov_b32_e32 v111, v119
	scratch_store_b64 off, v[110:111], off offset:128
.LBB52_680:
	s_wait_xcnt 0x0
	s_or_b32 exec_lo, exec_lo, s0
	scratch_load_b64 v[110:111], off, off offset:136
	s_mov_b32 s0, exec_lo
	s_wait_loadcnt 0x0
	ds_store_b64 v1, v[110:111]
	s_wait_storecnt_dscnt 0x0
	s_barrier_signal -1
	s_barrier_wait -1
	s_wait_xcnt 0x0
	v_cmpx_gt_u32_e32 17, v0
	s_cbranch_execz .LBB52_690
; %bb.681:
	v_cmp_ne_u32_e32 vcc_lo, 1, v112
	s_cbranch_vccnz .LBB52_683
; %bb.682:
	scratch_load_b64 v[110:111], v39, off
	ds_load_b64 v[114:115], v1
	s_wait_loadcnt_dscnt 0x0
	v_pk_mul_f32 v[116:117], v[114:115], v[110:111] op_sel:[1,1] op_sel_hi:[0,1]
	s_delay_alu instid0(VALU_DEP_1) | instskip(SKIP_1) | instid1(VALU_DEP_2)
	v_pk_fma_f32 v[118:119], v[114:115], v[110:111], v[116:117] op_sel_hi:[1,0,1]
	v_pk_fma_f32 v[110:111], v[114:115], v[110:111], v[116:117] neg_lo:[0,0,1] neg_hi:[0,0,1]
	v_mov_b32_e32 v111, v119
	s_cbranch_execz .LBB52_684
	s_branch .LBB52_685
.LBB52_683:
                                        ; implicit-def: $vgpr110_vgpr111
.LBB52_684:
	ds_load_b64 v[110:111], v1
.LBB52_685:
	s_mov_b32 s2, exec_lo
	v_cmpx_ne_u32_e32 16, v0
	s_cbranch_execz .LBB52_689
; %bb.686:
	v_add_nc_u32_e32 v113, 0x1b8, v38
	v_add3_u32 v114, 0, v38, 8
	v_mov_b32_e32 v115, v0
	s_mov_b32 s3, 0
.LBB52_687:                             ; =>This Inner Loop Header: Depth=1
	scratch_load_b64 v[116:117], v114, off
	ds_load_b64 v[118:119], v113
	s_wait_xcnt 0x0
	v_dual_add_nc_u32 v113, 8, v113 :: v_dual_add_nc_u32 v114, 8, v114
	s_wait_loadcnt_dscnt 0x0
	v_pk_mul_f32 v[120:121], v[118:119], v[116:117] op_sel:[1,1] op_sel_hi:[0,1]
	s_delay_alu instid0(VALU_DEP_1) | instskip(SKIP_2) | instid1(VALU_DEP_3)
	v_pk_fma_f32 v[122:123], v[118:119], v[116:117], v[120:121] op_sel_hi:[1,0,1]
	v_add_nc_u32_e32 v115, 1, v115
	v_pk_fma_f32 v[116:117], v[118:119], v[116:117], v[120:121] neg_lo:[0,0,1] neg_hi:[0,0,1]
	v_mov_b32_e32 v117, v123
	s_delay_alu instid0(VALU_DEP_3) | instskip(NEXT) | instid1(VALU_DEP_2)
	v_cmp_lt_u32_e32 vcc_lo, 15, v115
	v_pk_add_f32 v[110:111], v[110:111], v[116:117]
	s_or_b32 s3, vcc_lo, s3
	s_delay_alu instid0(SALU_CYCLE_1)
	s_and_not1_b32 exec_lo, exec_lo, s3
	s_cbranch_execnz .LBB52_687
; %bb.688:
	s_or_b32 exec_lo, exec_lo, s3
.LBB52_689:
	s_delay_alu instid0(SALU_CYCLE_1) | instskip(SKIP_4) | instid1(VALU_DEP_1)
	s_or_b32 exec_lo, exec_lo, s2
	v_mov_b32_e32 v113, 0
	ds_load_b64 v[114:115], v113 offset:136
	s_wait_dscnt 0x0
	v_pk_mul_f32 v[116:117], v[110:111], v[114:115] op_sel:[1,1] op_sel_hi:[0,1]
	v_pk_fma_f32 v[118:119], v[110:111], v[114:115], v[116:117] op_sel_hi:[1,0,1]
	v_pk_fma_f32 v[110:111], v[110:111], v[114:115], v[116:117] neg_lo:[0,0,1] neg_hi:[0,0,1]
	s_delay_alu instid0(VALU_DEP_2)
	v_mov_b32_e32 v111, v119
	scratch_store_b64 off, v[110:111], off offset:136
.LBB52_690:
	s_wait_xcnt 0x0
	s_or_b32 exec_lo, exec_lo, s0
	scratch_load_b64 v[110:111], off, off offset:144
	s_mov_b32 s0, exec_lo
	s_wait_loadcnt 0x0
	ds_store_b64 v1, v[110:111]
	s_wait_storecnt_dscnt 0x0
	s_barrier_signal -1
	s_barrier_wait -1
	s_wait_xcnt 0x0
	v_cmpx_gt_u32_e32 18, v0
	s_cbranch_execz .LBB52_700
; %bb.691:
	v_cmp_ne_u32_e32 vcc_lo, 1, v112
	s_cbranch_vccnz .LBB52_693
; %bb.692:
	scratch_load_b64 v[110:111], v39, off
	ds_load_b64 v[114:115], v1
	s_wait_loadcnt_dscnt 0x0
	v_pk_mul_f32 v[116:117], v[114:115], v[110:111] op_sel:[1,1] op_sel_hi:[0,1]
	s_delay_alu instid0(VALU_DEP_1) | instskip(SKIP_1) | instid1(VALU_DEP_2)
	v_pk_fma_f32 v[118:119], v[114:115], v[110:111], v[116:117] op_sel_hi:[1,0,1]
	v_pk_fma_f32 v[110:111], v[114:115], v[110:111], v[116:117] neg_lo:[0,0,1] neg_hi:[0,0,1]
	v_mov_b32_e32 v111, v119
	s_cbranch_execz .LBB52_694
	s_branch .LBB52_695
.LBB52_693:
                                        ; implicit-def: $vgpr110_vgpr111
.LBB52_694:
	ds_load_b64 v[110:111], v1
.LBB52_695:
	s_mov_b32 s2, exec_lo
	v_cmpx_ne_u32_e32 17, v0
	s_cbranch_execz .LBB52_699
; %bb.696:
	v_add_nc_u32_e32 v113, 0x1b8, v38
	v_add3_u32 v114, 0, v38, 8
	v_mov_b32_e32 v115, v0
	s_mov_b32 s3, 0
.LBB52_697:                             ; =>This Inner Loop Header: Depth=1
	scratch_load_b64 v[116:117], v114, off
	ds_load_b64 v[118:119], v113
	s_wait_xcnt 0x0
	v_dual_add_nc_u32 v113, 8, v113 :: v_dual_add_nc_u32 v114, 8, v114
	s_wait_loadcnt_dscnt 0x0
	v_pk_mul_f32 v[120:121], v[118:119], v[116:117] op_sel:[1,1] op_sel_hi:[0,1]
	s_delay_alu instid0(VALU_DEP_1) | instskip(SKIP_2) | instid1(VALU_DEP_3)
	v_pk_fma_f32 v[122:123], v[118:119], v[116:117], v[120:121] op_sel_hi:[1,0,1]
	v_add_nc_u32_e32 v115, 1, v115
	v_pk_fma_f32 v[116:117], v[118:119], v[116:117], v[120:121] neg_lo:[0,0,1] neg_hi:[0,0,1]
	v_mov_b32_e32 v117, v123
	s_delay_alu instid0(VALU_DEP_3) | instskip(NEXT) | instid1(VALU_DEP_2)
	v_cmp_lt_u32_e32 vcc_lo, 16, v115
	v_pk_add_f32 v[110:111], v[110:111], v[116:117]
	s_or_b32 s3, vcc_lo, s3
	s_delay_alu instid0(SALU_CYCLE_1)
	s_and_not1_b32 exec_lo, exec_lo, s3
	s_cbranch_execnz .LBB52_697
; %bb.698:
	s_or_b32 exec_lo, exec_lo, s3
.LBB52_699:
	s_delay_alu instid0(SALU_CYCLE_1) | instskip(SKIP_4) | instid1(VALU_DEP_1)
	s_or_b32 exec_lo, exec_lo, s2
	v_mov_b32_e32 v113, 0
	ds_load_b64 v[114:115], v113 offset:144
	s_wait_dscnt 0x0
	v_pk_mul_f32 v[116:117], v[110:111], v[114:115] op_sel:[1,1] op_sel_hi:[0,1]
	v_pk_fma_f32 v[118:119], v[110:111], v[114:115], v[116:117] op_sel_hi:[1,0,1]
	v_pk_fma_f32 v[110:111], v[110:111], v[114:115], v[116:117] neg_lo:[0,0,1] neg_hi:[0,0,1]
	s_delay_alu instid0(VALU_DEP_2)
	v_mov_b32_e32 v111, v119
	scratch_store_b64 off, v[110:111], off offset:144
.LBB52_700:
	s_wait_xcnt 0x0
	s_or_b32 exec_lo, exec_lo, s0
	scratch_load_b64 v[110:111], off, off offset:152
	s_mov_b32 s0, exec_lo
	s_wait_loadcnt 0x0
	ds_store_b64 v1, v[110:111]
	s_wait_storecnt_dscnt 0x0
	s_barrier_signal -1
	s_barrier_wait -1
	s_wait_xcnt 0x0
	v_cmpx_gt_u32_e32 19, v0
	s_cbranch_execz .LBB52_710
; %bb.701:
	v_cmp_ne_u32_e32 vcc_lo, 1, v112
	s_cbranch_vccnz .LBB52_703
; %bb.702:
	scratch_load_b64 v[110:111], v39, off
	ds_load_b64 v[114:115], v1
	s_wait_loadcnt_dscnt 0x0
	v_pk_mul_f32 v[116:117], v[114:115], v[110:111] op_sel:[1,1] op_sel_hi:[0,1]
	s_delay_alu instid0(VALU_DEP_1) | instskip(SKIP_1) | instid1(VALU_DEP_2)
	v_pk_fma_f32 v[118:119], v[114:115], v[110:111], v[116:117] op_sel_hi:[1,0,1]
	v_pk_fma_f32 v[110:111], v[114:115], v[110:111], v[116:117] neg_lo:[0,0,1] neg_hi:[0,0,1]
	v_mov_b32_e32 v111, v119
	s_cbranch_execz .LBB52_704
	s_branch .LBB52_705
.LBB52_703:
                                        ; implicit-def: $vgpr110_vgpr111
.LBB52_704:
	ds_load_b64 v[110:111], v1
.LBB52_705:
	s_mov_b32 s2, exec_lo
	v_cmpx_ne_u32_e32 18, v0
	s_cbranch_execz .LBB52_709
; %bb.706:
	v_add_nc_u32_e32 v113, 0x1b8, v38
	v_add3_u32 v114, 0, v38, 8
	v_mov_b32_e32 v115, v0
	s_mov_b32 s3, 0
.LBB52_707:                             ; =>This Inner Loop Header: Depth=1
	scratch_load_b64 v[116:117], v114, off
	ds_load_b64 v[118:119], v113
	s_wait_xcnt 0x0
	v_dual_add_nc_u32 v113, 8, v113 :: v_dual_add_nc_u32 v114, 8, v114
	s_wait_loadcnt_dscnt 0x0
	v_pk_mul_f32 v[120:121], v[118:119], v[116:117] op_sel:[1,1] op_sel_hi:[0,1]
	s_delay_alu instid0(VALU_DEP_1) | instskip(SKIP_2) | instid1(VALU_DEP_3)
	v_pk_fma_f32 v[122:123], v[118:119], v[116:117], v[120:121] op_sel_hi:[1,0,1]
	v_add_nc_u32_e32 v115, 1, v115
	v_pk_fma_f32 v[116:117], v[118:119], v[116:117], v[120:121] neg_lo:[0,0,1] neg_hi:[0,0,1]
	v_mov_b32_e32 v117, v123
	s_delay_alu instid0(VALU_DEP_3) | instskip(NEXT) | instid1(VALU_DEP_2)
	v_cmp_lt_u32_e32 vcc_lo, 17, v115
	v_pk_add_f32 v[110:111], v[110:111], v[116:117]
	s_or_b32 s3, vcc_lo, s3
	s_delay_alu instid0(SALU_CYCLE_1)
	s_and_not1_b32 exec_lo, exec_lo, s3
	s_cbranch_execnz .LBB52_707
; %bb.708:
	s_or_b32 exec_lo, exec_lo, s3
.LBB52_709:
	s_delay_alu instid0(SALU_CYCLE_1) | instskip(SKIP_4) | instid1(VALU_DEP_1)
	s_or_b32 exec_lo, exec_lo, s2
	v_mov_b32_e32 v113, 0
	ds_load_b64 v[114:115], v113 offset:152
	s_wait_dscnt 0x0
	v_pk_mul_f32 v[116:117], v[110:111], v[114:115] op_sel:[1,1] op_sel_hi:[0,1]
	v_pk_fma_f32 v[118:119], v[110:111], v[114:115], v[116:117] op_sel_hi:[1,0,1]
	v_pk_fma_f32 v[110:111], v[110:111], v[114:115], v[116:117] neg_lo:[0,0,1] neg_hi:[0,0,1]
	s_delay_alu instid0(VALU_DEP_2)
	v_mov_b32_e32 v111, v119
	scratch_store_b64 off, v[110:111], off offset:152
.LBB52_710:
	s_wait_xcnt 0x0
	s_or_b32 exec_lo, exec_lo, s0
	scratch_load_b64 v[110:111], off, off offset:160
	s_mov_b32 s0, exec_lo
	s_wait_loadcnt 0x0
	ds_store_b64 v1, v[110:111]
	s_wait_storecnt_dscnt 0x0
	s_barrier_signal -1
	s_barrier_wait -1
	s_wait_xcnt 0x0
	v_cmpx_gt_u32_e32 20, v0
	s_cbranch_execz .LBB52_720
; %bb.711:
	v_cmp_ne_u32_e32 vcc_lo, 1, v112
	s_cbranch_vccnz .LBB52_713
; %bb.712:
	scratch_load_b64 v[110:111], v39, off
	ds_load_b64 v[114:115], v1
	s_wait_loadcnt_dscnt 0x0
	v_pk_mul_f32 v[116:117], v[114:115], v[110:111] op_sel:[1,1] op_sel_hi:[0,1]
	s_delay_alu instid0(VALU_DEP_1) | instskip(SKIP_1) | instid1(VALU_DEP_2)
	v_pk_fma_f32 v[118:119], v[114:115], v[110:111], v[116:117] op_sel_hi:[1,0,1]
	v_pk_fma_f32 v[110:111], v[114:115], v[110:111], v[116:117] neg_lo:[0,0,1] neg_hi:[0,0,1]
	v_mov_b32_e32 v111, v119
	s_cbranch_execz .LBB52_714
	s_branch .LBB52_715
.LBB52_713:
                                        ; implicit-def: $vgpr110_vgpr111
.LBB52_714:
	ds_load_b64 v[110:111], v1
.LBB52_715:
	s_mov_b32 s2, exec_lo
	v_cmpx_ne_u32_e32 19, v0
	s_cbranch_execz .LBB52_719
; %bb.716:
	v_add_nc_u32_e32 v113, 0x1b8, v38
	v_add3_u32 v114, 0, v38, 8
	v_mov_b32_e32 v115, v0
	s_mov_b32 s3, 0
.LBB52_717:                             ; =>This Inner Loop Header: Depth=1
	scratch_load_b64 v[116:117], v114, off
	ds_load_b64 v[118:119], v113
	s_wait_xcnt 0x0
	v_dual_add_nc_u32 v113, 8, v113 :: v_dual_add_nc_u32 v114, 8, v114
	s_wait_loadcnt_dscnt 0x0
	v_pk_mul_f32 v[120:121], v[118:119], v[116:117] op_sel:[1,1] op_sel_hi:[0,1]
	s_delay_alu instid0(VALU_DEP_1) | instskip(SKIP_2) | instid1(VALU_DEP_3)
	v_pk_fma_f32 v[122:123], v[118:119], v[116:117], v[120:121] op_sel_hi:[1,0,1]
	v_add_nc_u32_e32 v115, 1, v115
	v_pk_fma_f32 v[116:117], v[118:119], v[116:117], v[120:121] neg_lo:[0,0,1] neg_hi:[0,0,1]
	v_mov_b32_e32 v117, v123
	s_delay_alu instid0(VALU_DEP_3) | instskip(NEXT) | instid1(VALU_DEP_2)
	v_cmp_lt_u32_e32 vcc_lo, 18, v115
	v_pk_add_f32 v[110:111], v[110:111], v[116:117]
	s_or_b32 s3, vcc_lo, s3
	s_delay_alu instid0(SALU_CYCLE_1)
	s_and_not1_b32 exec_lo, exec_lo, s3
	s_cbranch_execnz .LBB52_717
; %bb.718:
	s_or_b32 exec_lo, exec_lo, s3
.LBB52_719:
	s_delay_alu instid0(SALU_CYCLE_1) | instskip(SKIP_4) | instid1(VALU_DEP_1)
	s_or_b32 exec_lo, exec_lo, s2
	v_mov_b32_e32 v113, 0
	ds_load_b64 v[114:115], v113 offset:160
	s_wait_dscnt 0x0
	v_pk_mul_f32 v[116:117], v[110:111], v[114:115] op_sel:[1,1] op_sel_hi:[0,1]
	v_pk_fma_f32 v[118:119], v[110:111], v[114:115], v[116:117] op_sel_hi:[1,0,1]
	v_pk_fma_f32 v[110:111], v[110:111], v[114:115], v[116:117] neg_lo:[0,0,1] neg_hi:[0,0,1]
	s_delay_alu instid0(VALU_DEP_2)
	v_mov_b32_e32 v111, v119
	scratch_store_b64 off, v[110:111], off offset:160
.LBB52_720:
	s_wait_xcnt 0x0
	s_or_b32 exec_lo, exec_lo, s0
	scratch_load_b64 v[110:111], off, off offset:168
	s_mov_b32 s0, exec_lo
	s_wait_loadcnt 0x0
	ds_store_b64 v1, v[110:111]
	s_wait_storecnt_dscnt 0x0
	s_barrier_signal -1
	s_barrier_wait -1
	s_wait_xcnt 0x0
	v_cmpx_gt_u32_e32 21, v0
	s_cbranch_execz .LBB52_730
; %bb.721:
	v_cmp_ne_u32_e32 vcc_lo, 1, v112
	s_cbranch_vccnz .LBB52_723
; %bb.722:
	scratch_load_b64 v[110:111], v39, off
	ds_load_b64 v[114:115], v1
	s_wait_loadcnt_dscnt 0x0
	v_pk_mul_f32 v[116:117], v[114:115], v[110:111] op_sel:[1,1] op_sel_hi:[0,1]
	s_delay_alu instid0(VALU_DEP_1) | instskip(SKIP_1) | instid1(VALU_DEP_2)
	v_pk_fma_f32 v[118:119], v[114:115], v[110:111], v[116:117] op_sel_hi:[1,0,1]
	v_pk_fma_f32 v[110:111], v[114:115], v[110:111], v[116:117] neg_lo:[0,0,1] neg_hi:[0,0,1]
	v_mov_b32_e32 v111, v119
	s_cbranch_execz .LBB52_724
	s_branch .LBB52_725
.LBB52_723:
                                        ; implicit-def: $vgpr110_vgpr111
.LBB52_724:
	ds_load_b64 v[110:111], v1
.LBB52_725:
	s_mov_b32 s2, exec_lo
	v_cmpx_ne_u32_e32 20, v0
	s_cbranch_execz .LBB52_729
; %bb.726:
	v_add_nc_u32_e32 v113, 0x1b8, v38
	v_add3_u32 v114, 0, v38, 8
	v_mov_b32_e32 v115, v0
	s_mov_b32 s3, 0
.LBB52_727:                             ; =>This Inner Loop Header: Depth=1
	scratch_load_b64 v[116:117], v114, off
	ds_load_b64 v[118:119], v113
	s_wait_xcnt 0x0
	v_dual_add_nc_u32 v113, 8, v113 :: v_dual_add_nc_u32 v114, 8, v114
	s_wait_loadcnt_dscnt 0x0
	v_pk_mul_f32 v[120:121], v[118:119], v[116:117] op_sel:[1,1] op_sel_hi:[0,1]
	s_delay_alu instid0(VALU_DEP_1) | instskip(SKIP_2) | instid1(VALU_DEP_3)
	v_pk_fma_f32 v[122:123], v[118:119], v[116:117], v[120:121] op_sel_hi:[1,0,1]
	v_add_nc_u32_e32 v115, 1, v115
	v_pk_fma_f32 v[116:117], v[118:119], v[116:117], v[120:121] neg_lo:[0,0,1] neg_hi:[0,0,1]
	v_mov_b32_e32 v117, v123
	s_delay_alu instid0(VALU_DEP_3) | instskip(NEXT) | instid1(VALU_DEP_2)
	v_cmp_lt_u32_e32 vcc_lo, 19, v115
	v_pk_add_f32 v[110:111], v[110:111], v[116:117]
	s_or_b32 s3, vcc_lo, s3
	s_delay_alu instid0(SALU_CYCLE_1)
	s_and_not1_b32 exec_lo, exec_lo, s3
	s_cbranch_execnz .LBB52_727
; %bb.728:
	s_or_b32 exec_lo, exec_lo, s3
.LBB52_729:
	s_delay_alu instid0(SALU_CYCLE_1) | instskip(SKIP_4) | instid1(VALU_DEP_1)
	s_or_b32 exec_lo, exec_lo, s2
	v_mov_b32_e32 v113, 0
	ds_load_b64 v[114:115], v113 offset:168
	s_wait_dscnt 0x0
	v_pk_mul_f32 v[116:117], v[110:111], v[114:115] op_sel:[1,1] op_sel_hi:[0,1]
	v_pk_fma_f32 v[118:119], v[110:111], v[114:115], v[116:117] op_sel_hi:[1,0,1]
	v_pk_fma_f32 v[110:111], v[110:111], v[114:115], v[116:117] neg_lo:[0,0,1] neg_hi:[0,0,1]
	s_delay_alu instid0(VALU_DEP_2)
	v_mov_b32_e32 v111, v119
	scratch_store_b64 off, v[110:111], off offset:168
.LBB52_730:
	s_wait_xcnt 0x0
	s_or_b32 exec_lo, exec_lo, s0
	scratch_load_b64 v[110:111], off, off offset:176
	s_mov_b32 s0, exec_lo
	s_wait_loadcnt 0x0
	ds_store_b64 v1, v[110:111]
	s_wait_storecnt_dscnt 0x0
	s_barrier_signal -1
	s_barrier_wait -1
	s_wait_xcnt 0x0
	v_cmpx_gt_u32_e32 22, v0
	s_cbranch_execz .LBB52_740
; %bb.731:
	v_cmp_ne_u32_e32 vcc_lo, 1, v112
	s_cbranch_vccnz .LBB52_733
; %bb.732:
	scratch_load_b64 v[110:111], v39, off
	ds_load_b64 v[114:115], v1
	s_wait_loadcnt_dscnt 0x0
	v_pk_mul_f32 v[116:117], v[114:115], v[110:111] op_sel:[1,1] op_sel_hi:[0,1]
	s_delay_alu instid0(VALU_DEP_1) | instskip(SKIP_1) | instid1(VALU_DEP_2)
	v_pk_fma_f32 v[118:119], v[114:115], v[110:111], v[116:117] op_sel_hi:[1,0,1]
	v_pk_fma_f32 v[110:111], v[114:115], v[110:111], v[116:117] neg_lo:[0,0,1] neg_hi:[0,0,1]
	v_mov_b32_e32 v111, v119
	s_cbranch_execz .LBB52_734
	s_branch .LBB52_735
.LBB52_733:
                                        ; implicit-def: $vgpr110_vgpr111
.LBB52_734:
	ds_load_b64 v[110:111], v1
.LBB52_735:
	s_mov_b32 s2, exec_lo
	v_cmpx_ne_u32_e32 21, v0
	s_cbranch_execz .LBB52_739
; %bb.736:
	v_add_nc_u32_e32 v113, 0x1b8, v38
	v_add3_u32 v114, 0, v38, 8
	v_mov_b32_e32 v115, v0
	s_mov_b32 s3, 0
.LBB52_737:                             ; =>This Inner Loop Header: Depth=1
	scratch_load_b64 v[116:117], v114, off
	ds_load_b64 v[118:119], v113
	s_wait_xcnt 0x0
	v_dual_add_nc_u32 v113, 8, v113 :: v_dual_add_nc_u32 v114, 8, v114
	s_wait_loadcnt_dscnt 0x0
	v_pk_mul_f32 v[120:121], v[118:119], v[116:117] op_sel:[1,1] op_sel_hi:[0,1]
	s_delay_alu instid0(VALU_DEP_1) | instskip(SKIP_2) | instid1(VALU_DEP_3)
	v_pk_fma_f32 v[122:123], v[118:119], v[116:117], v[120:121] op_sel_hi:[1,0,1]
	v_add_nc_u32_e32 v115, 1, v115
	v_pk_fma_f32 v[116:117], v[118:119], v[116:117], v[120:121] neg_lo:[0,0,1] neg_hi:[0,0,1]
	v_mov_b32_e32 v117, v123
	s_delay_alu instid0(VALU_DEP_3) | instskip(NEXT) | instid1(VALU_DEP_2)
	v_cmp_lt_u32_e32 vcc_lo, 20, v115
	v_pk_add_f32 v[110:111], v[110:111], v[116:117]
	s_or_b32 s3, vcc_lo, s3
	s_delay_alu instid0(SALU_CYCLE_1)
	s_and_not1_b32 exec_lo, exec_lo, s3
	s_cbranch_execnz .LBB52_737
; %bb.738:
	s_or_b32 exec_lo, exec_lo, s3
.LBB52_739:
	s_delay_alu instid0(SALU_CYCLE_1) | instskip(SKIP_4) | instid1(VALU_DEP_1)
	s_or_b32 exec_lo, exec_lo, s2
	v_mov_b32_e32 v113, 0
	ds_load_b64 v[114:115], v113 offset:176
	s_wait_dscnt 0x0
	v_pk_mul_f32 v[116:117], v[110:111], v[114:115] op_sel:[1,1] op_sel_hi:[0,1]
	v_pk_fma_f32 v[118:119], v[110:111], v[114:115], v[116:117] op_sel_hi:[1,0,1]
	v_pk_fma_f32 v[110:111], v[110:111], v[114:115], v[116:117] neg_lo:[0,0,1] neg_hi:[0,0,1]
	s_delay_alu instid0(VALU_DEP_2)
	v_mov_b32_e32 v111, v119
	scratch_store_b64 off, v[110:111], off offset:176
.LBB52_740:
	s_wait_xcnt 0x0
	s_or_b32 exec_lo, exec_lo, s0
	scratch_load_b64 v[110:111], off, off offset:184
	s_mov_b32 s0, exec_lo
	s_wait_loadcnt 0x0
	ds_store_b64 v1, v[110:111]
	s_wait_storecnt_dscnt 0x0
	s_barrier_signal -1
	s_barrier_wait -1
	s_wait_xcnt 0x0
	v_cmpx_gt_u32_e32 23, v0
	s_cbranch_execz .LBB52_750
; %bb.741:
	v_cmp_ne_u32_e32 vcc_lo, 1, v112
	s_cbranch_vccnz .LBB52_743
; %bb.742:
	scratch_load_b64 v[110:111], v39, off
	ds_load_b64 v[114:115], v1
	s_wait_loadcnt_dscnt 0x0
	v_pk_mul_f32 v[116:117], v[114:115], v[110:111] op_sel:[1,1] op_sel_hi:[0,1]
	s_delay_alu instid0(VALU_DEP_1) | instskip(SKIP_1) | instid1(VALU_DEP_2)
	v_pk_fma_f32 v[118:119], v[114:115], v[110:111], v[116:117] op_sel_hi:[1,0,1]
	v_pk_fma_f32 v[110:111], v[114:115], v[110:111], v[116:117] neg_lo:[0,0,1] neg_hi:[0,0,1]
	v_mov_b32_e32 v111, v119
	s_cbranch_execz .LBB52_744
	s_branch .LBB52_745
.LBB52_743:
                                        ; implicit-def: $vgpr110_vgpr111
.LBB52_744:
	ds_load_b64 v[110:111], v1
.LBB52_745:
	s_mov_b32 s2, exec_lo
	v_cmpx_ne_u32_e32 22, v0
	s_cbranch_execz .LBB52_749
; %bb.746:
	v_add_nc_u32_e32 v113, 0x1b8, v38
	v_add3_u32 v114, 0, v38, 8
	v_mov_b32_e32 v115, v0
	s_mov_b32 s3, 0
.LBB52_747:                             ; =>This Inner Loop Header: Depth=1
	scratch_load_b64 v[116:117], v114, off
	ds_load_b64 v[118:119], v113
	s_wait_xcnt 0x0
	v_dual_add_nc_u32 v113, 8, v113 :: v_dual_add_nc_u32 v114, 8, v114
	s_wait_loadcnt_dscnt 0x0
	v_pk_mul_f32 v[120:121], v[118:119], v[116:117] op_sel:[1,1] op_sel_hi:[0,1]
	s_delay_alu instid0(VALU_DEP_1) | instskip(SKIP_2) | instid1(VALU_DEP_3)
	v_pk_fma_f32 v[122:123], v[118:119], v[116:117], v[120:121] op_sel_hi:[1,0,1]
	v_add_nc_u32_e32 v115, 1, v115
	v_pk_fma_f32 v[116:117], v[118:119], v[116:117], v[120:121] neg_lo:[0,0,1] neg_hi:[0,0,1]
	v_mov_b32_e32 v117, v123
	s_delay_alu instid0(VALU_DEP_3) | instskip(NEXT) | instid1(VALU_DEP_2)
	v_cmp_lt_u32_e32 vcc_lo, 21, v115
	v_pk_add_f32 v[110:111], v[110:111], v[116:117]
	s_or_b32 s3, vcc_lo, s3
	s_delay_alu instid0(SALU_CYCLE_1)
	s_and_not1_b32 exec_lo, exec_lo, s3
	s_cbranch_execnz .LBB52_747
; %bb.748:
	s_or_b32 exec_lo, exec_lo, s3
.LBB52_749:
	s_delay_alu instid0(SALU_CYCLE_1) | instskip(SKIP_4) | instid1(VALU_DEP_1)
	s_or_b32 exec_lo, exec_lo, s2
	v_mov_b32_e32 v113, 0
	ds_load_b64 v[114:115], v113 offset:184
	s_wait_dscnt 0x0
	v_pk_mul_f32 v[116:117], v[110:111], v[114:115] op_sel:[1,1] op_sel_hi:[0,1]
	v_pk_fma_f32 v[118:119], v[110:111], v[114:115], v[116:117] op_sel_hi:[1,0,1]
	v_pk_fma_f32 v[110:111], v[110:111], v[114:115], v[116:117] neg_lo:[0,0,1] neg_hi:[0,0,1]
	s_delay_alu instid0(VALU_DEP_2)
	v_mov_b32_e32 v111, v119
	scratch_store_b64 off, v[110:111], off offset:184
.LBB52_750:
	s_wait_xcnt 0x0
	s_or_b32 exec_lo, exec_lo, s0
	scratch_load_b64 v[110:111], off, off offset:192
	s_mov_b32 s0, exec_lo
	s_wait_loadcnt 0x0
	ds_store_b64 v1, v[110:111]
	s_wait_storecnt_dscnt 0x0
	s_barrier_signal -1
	s_barrier_wait -1
	s_wait_xcnt 0x0
	v_cmpx_gt_u32_e32 24, v0
	s_cbranch_execz .LBB52_760
; %bb.751:
	v_cmp_ne_u32_e32 vcc_lo, 1, v112
	s_cbranch_vccnz .LBB52_753
; %bb.752:
	scratch_load_b64 v[110:111], v39, off
	ds_load_b64 v[114:115], v1
	s_wait_loadcnt_dscnt 0x0
	v_pk_mul_f32 v[116:117], v[114:115], v[110:111] op_sel:[1,1] op_sel_hi:[0,1]
	s_delay_alu instid0(VALU_DEP_1) | instskip(SKIP_1) | instid1(VALU_DEP_2)
	v_pk_fma_f32 v[118:119], v[114:115], v[110:111], v[116:117] op_sel_hi:[1,0,1]
	v_pk_fma_f32 v[110:111], v[114:115], v[110:111], v[116:117] neg_lo:[0,0,1] neg_hi:[0,0,1]
	v_mov_b32_e32 v111, v119
	s_cbranch_execz .LBB52_754
	s_branch .LBB52_755
.LBB52_753:
                                        ; implicit-def: $vgpr110_vgpr111
.LBB52_754:
	ds_load_b64 v[110:111], v1
.LBB52_755:
	s_mov_b32 s2, exec_lo
	v_cmpx_ne_u32_e32 23, v0
	s_cbranch_execz .LBB52_759
; %bb.756:
	v_add_nc_u32_e32 v113, 0x1b8, v38
	v_add3_u32 v114, 0, v38, 8
	v_mov_b32_e32 v115, v0
	s_mov_b32 s3, 0
.LBB52_757:                             ; =>This Inner Loop Header: Depth=1
	scratch_load_b64 v[116:117], v114, off
	ds_load_b64 v[118:119], v113
	s_wait_xcnt 0x0
	v_dual_add_nc_u32 v113, 8, v113 :: v_dual_add_nc_u32 v114, 8, v114
	s_wait_loadcnt_dscnt 0x0
	v_pk_mul_f32 v[120:121], v[118:119], v[116:117] op_sel:[1,1] op_sel_hi:[0,1]
	s_delay_alu instid0(VALU_DEP_1) | instskip(SKIP_2) | instid1(VALU_DEP_3)
	v_pk_fma_f32 v[122:123], v[118:119], v[116:117], v[120:121] op_sel_hi:[1,0,1]
	v_add_nc_u32_e32 v115, 1, v115
	v_pk_fma_f32 v[116:117], v[118:119], v[116:117], v[120:121] neg_lo:[0,0,1] neg_hi:[0,0,1]
	v_mov_b32_e32 v117, v123
	s_delay_alu instid0(VALU_DEP_3) | instskip(NEXT) | instid1(VALU_DEP_2)
	v_cmp_lt_u32_e32 vcc_lo, 22, v115
	v_pk_add_f32 v[110:111], v[110:111], v[116:117]
	s_or_b32 s3, vcc_lo, s3
	s_delay_alu instid0(SALU_CYCLE_1)
	s_and_not1_b32 exec_lo, exec_lo, s3
	s_cbranch_execnz .LBB52_757
; %bb.758:
	s_or_b32 exec_lo, exec_lo, s3
.LBB52_759:
	s_delay_alu instid0(SALU_CYCLE_1) | instskip(SKIP_4) | instid1(VALU_DEP_1)
	s_or_b32 exec_lo, exec_lo, s2
	v_mov_b32_e32 v113, 0
	ds_load_b64 v[114:115], v113 offset:192
	s_wait_dscnt 0x0
	v_pk_mul_f32 v[116:117], v[110:111], v[114:115] op_sel:[1,1] op_sel_hi:[0,1]
	v_pk_fma_f32 v[118:119], v[110:111], v[114:115], v[116:117] op_sel_hi:[1,0,1]
	v_pk_fma_f32 v[110:111], v[110:111], v[114:115], v[116:117] neg_lo:[0,0,1] neg_hi:[0,0,1]
	s_delay_alu instid0(VALU_DEP_2)
	v_mov_b32_e32 v111, v119
	scratch_store_b64 off, v[110:111], off offset:192
.LBB52_760:
	s_wait_xcnt 0x0
	s_or_b32 exec_lo, exec_lo, s0
	scratch_load_b64 v[110:111], off, off offset:200
	s_mov_b32 s0, exec_lo
	s_wait_loadcnt 0x0
	ds_store_b64 v1, v[110:111]
	s_wait_storecnt_dscnt 0x0
	s_barrier_signal -1
	s_barrier_wait -1
	s_wait_xcnt 0x0
	v_cmpx_gt_u32_e32 25, v0
	s_cbranch_execz .LBB52_770
; %bb.761:
	v_cmp_ne_u32_e32 vcc_lo, 1, v112
	s_cbranch_vccnz .LBB52_763
; %bb.762:
	scratch_load_b64 v[110:111], v39, off
	ds_load_b64 v[114:115], v1
	s_wait_loadcnt_dscnt 0x0
	v_pk_mul_f32 v[116:117], v[114:115], v[110:111] op_sel:[1,1] op_sel_hi:[0,1]
	s_delay_alu instid0(VALU_DEP_1) | instskip(SKIP_1) | instid1(VALU_DEP_2)
	v_pk_fma_f32 v[118:119], v[114:115], v[110:111], v[116:117] op_sel_hi:[1,0,1]
	v_pk_fma_f32 v[110:111], v[114:115], v[110:111], v[116:117] neg_lo:[0,0,1] neg_hi:[0,0,1]
	v_mov_b32_e32 v111, v119
	s_cbranch_execz .LBB52_764
	s_branch .LBB52_765
.LBB52_763:
                                        ; implicit-def: $vgpr110_vgpr111
.LBB52_764:
	ds_load_b64 v[110:111], v1
.LBB52_765:
	s_mov_b32 s2, exec_lo
	v_cmpx_ne_u32_e32 24, v0
	s_cbranch_execz .LBB52_769
; %bb.766:
	v_add_nc_u32_e32 v113, 0x1b8, v38
	v_add3_u32 v114, 0, v38, 8
	v_mov_b32_e32 v115, v0
	s_mov_b32 s3, 0
.LBB52_767:                             ; =>This Inner Loop Header: Depth=1
	scratch_load_b64 v[116:117], v114, off
	ds_load_b64 v[118:119], v113
	s_wait_xcnt 0x0
	v_dual_add_nc_u32 v113, 8, v113 :: v_dual_add_nc_u32 v114, 8, v114
	s_wait_loadcnt_dscnt 0x0
	v_pk_mul_f32 v[120:121], v[118:119], v[116:117] op_sel:[1,1] op_sel_hi:[0,1]
	s_delay_alu instid0(VALU_DEP_1) | instskip(SKIP_2) | instid1(VALU_DEP_3)
	v_pk_fma_f32 v[122:123], v[118:119], v[116:117], v[120:121] op_sel_hi:[1,0,1]
	v_add_nc_u32_e32 v115, 1, v115
	v_pk_fma_f32 v[116:117], v[118:119], v[116:117], v[120:121] neg_lo:[0,0,1] neg_hi:[0,0,1]
	v_mov_b32_e32 v117, v123
	s_delay_alu instid0(VALU_DEP_3) | instskip(NEXT) | instid1(VALU_DEP_2)
	v_cmp_lt_u32_e32 vcc_lo, 23, v115
	v_pk_add_f32 v[110:111], v[110:111], v[116:117]
	s_or_b32 s3, vcc_lo, s3
	s_delay_alu instid0(SALU_CYCLE_1)
	s_and_not1_b32 exec_lo, exec_lo, s3
	s_cbranch_execnz .LBB52_767
; %bb.768:
	s_or_b32 exec_lo, exec_lo, s3
.LBB52_769:
	s_delay_alu instid0(SALU_CYCLE_1) | instskip(SKIP_4) | instid1(VALU_DEP_1)
	s_or_b32 exec_lo, exec_lo, s2
	v_mov_b32_e32 v113, 0
	ds_load_b64 v[114:115], v113 offset:200
	s_wait_dscnt 0x0
	v_pk_mul_f32 v[116:117], v[110:111], v[114:115] op_sel:[1,1] op_sel_hi:[0,1]
	v_pk_fma_f32 v[118:119], v[110:111], v[114:115], v[116:117] op_sel_hi:[1,0,1]
	v_pk_fma_f32 v[110:111], v[110:111], v[114:115], v[116:117] neg_lo:[0,0,1] neg_hi:[0,0,1]
	s_delay_alu instid0(VALU_DEP_2)
	v_mov_b32_e32 v111, v119
	scratch_store_b64 off, v[110:111], off offset:200
.LBB52_770:
	s_wait_xcnt 0x0
	s_or_b32 exec_lo, exec_lo, s0
	scratch_load_b64 v[110:111], off, off offset:208
	s_mov_b32 s0, exec_lo
	s_wait_loadcnt 0x0
	ds_store_b64 v1, v[110:111]
	s_wait_storecnt_dscnt 0x0
	s_barrier_signal -1
	s_barrier_wait -1
	s_wait_xcnt 0x0
	v_cmpx_gt_u32_e32 26, v0
	s_cbranch_execz .LBB52_780
; %bb.771:
	v_cmp_ne_u32_e32 vcc_lo, 1, v112
	s_cbranch_vccnz .LBB52_773
; %bb.772:
	scratch_load_b64 v[110:111], v39, off
	ds_load_b64 v[114:115], v1
	s_wait_loadcnt_dscnt 0x0
	v_pk_mul_f32 v[116:117], v[114:115], v[110:111] op_sel:[1,1] op_sel_hi:[0,1]
	s_delay_alu instid0(VALU_DEP_1) | instskip(SKIP_1) | instid1(VALU_DEP_2)
	v_pk_fma_f32 v[118:119], v[114:115], v[110:111], v[116:117] op_sel_hi:[1,0,1]
	v_pk_fma_f32 v[110:111], v[114:115], v[110:111], v[116:117] neg_lo:[0,0,1] neg_hi:[0,0,1]
	v_mov_b32_e32 v111, v119
	s_cbranch_execz .LBB52_774
	s_branch .LBB52_775
.LBB52_773:
                                        ; implicit-def: $vgpr110_vgpr111
.LBB52_774:
	ds_load_b64 v[110:111], v1
.LBB52_775:
	s_mov_b32 s2, exec_lo
	v_cmpx_ne_u32_e32 25, v0
	s_cbranch_execz .LBB52_779
; %bb.776:
	v_add_nc_u32_e32 v113, 0x1b8, v38
	v_add3_u32 v114, 0, v38, 8
	v_mov_b32_e32 v115, v0
	s_mov_b32 s3, 0
.LBB52_777:                             ; =>This Inner Loop Header: Depth=1
	scratch_load_b64 v[116:117], v114, off
	ds_load_b64 v[118:119], v113
	s_wait_xcnt 0x0
	v_dual_add_nc_u32 v113, 8, v113 :: v_dual_add_nc_u32 v114, 8, v114
	s_wait_loadcnt_dscnt 0x0
	v_pk_mul_f32 v[120:121], v[118:119], v[116:117] op_sel:[1,1] op_sel_hi:[0,1]
	s_delay_alu instid0(VALU_DEP_1) | instskip(SKIP_2) | instid1(VALU_DEP_3)
	v_pk_fma_f32 v[122:123], v[118:119], v[116:117], v[120:121] op_sel_hi:[1,0,1]
	v_add_nc_u32_e32 v115, 1, v115
	v_pk_fma_f32 v[116:117], v[118:119], v[116:117], v[120:121] neg_lo:[0,0,1] neg_hi:[0,0,1]
	v_mov_b32_e32 v117, v123
	s_delay_alu instid0(VALU_DEP_3) | instskip(NEXT) | instid1(VALU_DEP_2)
	v_cmp_lt_u32_e32 vcc_lo, 24, v115
	v_pk_add_f32 v[110:111], v[110:111], v[116:117]
	s_or_b32 s3, vcc_lo, s3
	s_delay_alu instid0(SALU_CYCLE_1)
	s_and_not1_b32 exec_lo, exec_lo, s3
	s_cbranch_execnz .LBB52_777
; %bb.778:
	s_or_b32 exec_lo, exec_lo, s3
.LBB52_779:
	s_delay_alu instid0(SALU_CYCLE_1) | instskip(SKIP_4) | instid1(VALU_DEP_1)
	s_or_b32 exec_lo, exec_lo, s2
	v_mov_b32_e32 v113, 0
	ds_load_b64 v[114:115], v113 offset:208
	s_wait_dscnt 0x0
	v_pk_mul_f32 v[116:117], v[110:111], v[114:115] op_sel:[1,1] op_sel_hi:[0,1]
	v_pk_fma_f32 v[118:119], v[110:111], v[114:115], v[116:117] op_sel_hi:[1,0,1]
	v_pk_fma_f32 v[110:111], v[110:111], v[114:115], v[116:117] neg_lo:[0,0,1] neg_hi:[0,0,1]
	s_delay_alu instid0(VALU_DEP_2)
	v_mov_b32_e32 v111, v119
	scratch_store_b64 off, v[110:111], off offset:208
.LBB52_780:
	s_wait_xcnt 0x0
	s_or_b32 exec_lo, exec_lo, s0
	scratch_load_b64 v[110:111], off, off offset:216
	s_mov_b32 s0, exec_lo
	s_wait_loadcnt 0x0
	ds_store_b64 v1, v[110:111]
	s_wait_storecnt_dscnt 0x0
	s_barrier_signal -1
	s_barrier_wait -1
	s_wait_xcnt 0x0
	v_cmpx_gt_u32_e32 27, v0
	s_cbranch_execz .LBB52_790
; %bb.781:
	v_cmp_ne_u32_e32 vcc_lo, 1, v112
	s_cbranch_vccnz .LBB52_783
; %bb.782:
	scratch_load_b64 v[110:111], v39, off
	ds_load_b64 v[114:115], v1
	s_wait_loadcnt_dscnt 0x0
	v_pk_mul_f32 v[116:117], v[114:115], v[110:111] op_sel:[1,1] op_sel_hi:[0,1]
	s_delay_alu instid0(VALU_DEP_1) | instskip(SKIP_1) | instid1(VALU_DEP_2)
	v_pk_fma_f32 v[118:119], v[114:115], v[110:111], v[116:117] op_sel_hi:[1,0,1]
	v_pk_fma_f32 v[110:111], v[114:115], v[110:111], v[116:117] neg_lo:[0,0,1] neg_hi:[0,0,1]
	v_mov_b32_e32 v111, v119
	s_cbranch_execz .LBB52_784
	s_branch .LBB52_785
.LBB52_783:
                                        ; implicit-def: $vgpr110_vgpr111
.LBB52_784:
	ds_load_b64 v[110:111], v1
.LBB52_785:
	s_mov_b32 s2, exec_lo
	v_cmpx_ne_u32_e32 26, v0
	s_cbranch_execz .LBB52_789
; %bb.786:
	v_add_nc_u32_e32 v113, 0x1b8, v38
	v_add3_u32 v114, 0, v38, 8
	v_mov_b32_e32 v115, v0
	s_mov_b32 s3, 0
.LBB52_787:                             ; =>This Inner Loop Header: Depth=1
	scratch_load_b64 v[116:117], v114, off
	ds_load_b64 v[118:119], v113
	s_wait_xcnt 0x0
	v_dual_add_nc_u32 v113, 8, v113 :: v_dual_add_nc_u32 v114, 8, v114
	s_wait_loadcnt_dscnt 0x0
	v_pk_mul_f32 v[120:121], v[118:119], v[116:117] op_sel:[1,1] op_sel_hi:[0,1]
	s_delay_alu instid0(VALU_DEP_1) | instskip(SKIP_2) | instid1(VALU_DEP_3)
	v_pk_fma_f32 v[122:123], v[118:119], v[116:117], v[120:121] op_sel_hi:[1,0,1]
	v_add_nc_u32_e32 v115, 1, v115
	v_pk_fma_f32 v[116:117], v[118:119], v[116:117], v[120:121] neg_lo:[0,0,1] neg_hi:[0,0,1]
	v_mov_b32_e32 v117, v123
	s_delay_alu instid0(VALU_DEP_3) | instskip(NEXT) | instid1(VALU_DEP_2)
	v_cmp_lt_u32_e32 vcc_lo, 25, v115
	v_pk_add_f32 v[110:111], v[110:111], v[116:117]
	s_or_b32 s3, vcc_lo, s3
	s_delay_alu instid0(SALU_CYCLE_1)
	s_and_not1_b32 exec_lo, exec_lo, s3
	s_cbranch_execnz .LBB52_787
; %bb.788:
	s_or_b32 exec_lo, exec_lo, s3
.LBB52_789:
	s_delay_alu instid0(SALU_CYCLE_1) | instskip(SKIP_4) | instid1(VALU_DEP_1)
	s_or_b32 exec_lo, exec_lo, s2
	v_mov_b32_e32 v113, 0
	ds_load_b64 v[114:115], v113 offset:216
	s_wait_dscnt 0x0
	v_pk_mul_f32 v[116:117], v[110:111], v[114:115] op_sel:[1,1] op_sel_hi:[0,1]
	v_pk_fma_f32 v[118:119], v[110:111], v[114:115], v[116:117] op_sel_hi:[1,0,1]
	v_pk_fma_f32 v[110:111], v[110:111], v[114:115], v[116:117] neg_lo:[0,0,1] neg_hi:[0,0,1]
	s_delay_alu instid0(VALU_DEP_2)
	v_mov_b32_e32 v111, v119
	scratch_store_b64 off, v[110:111], off offset:216
.LBB52_790:
	s_wait_xcnt 0x0
	s_or_b32 exec_lo, exec_lo, s0
	scratch_load_b64 v[110:111], off, off offset:224
	s_mov_b32 s0, exec_lo
	s_wait_loadcnt 0x0
	ds_store_b64 v1, v[110:111]
	s_wait_storecnt_dscnt 0x0
	s_barrier_signal -1
	s_barrier_wait -1
	s_wait_xcnt 0x0
	v_cmpx_gt_u32_e32 28, v0
	s_cbranch_execz .LBB52_800
; %bb.791:
	v_cmp_ne_u32_e32 vcc_lo, 1, v112
	s_cbranch_vccnz .LBB52_793
; %bb.792:
	scratch_load_b64 v[110:111], v39, off
	ds_load_b64 v[114:115], v1
	s_wait_loadcnt_dscnt 0x0
	v_pk_mul_f32 v[116:117], v[114:115], v[110:111] op_sel:[1,1] op_sel_hi:[0,1]
	s_delay_alu instid0(VALU_DEP_1) | instskip(SKIP_1) | instid1(VALU_DEP_2)
	v_pk_fma_f32 v[118:119], v[114:115], v[110:111], v[116:117] op_sel_hi:[1,0,1]
	v_pk_fma_f32 v[110:111], v[114:115], v[110:111], v[116:117] neg_lo:[0,0,1] neg_hi:[0,0,1]
	v_mov_b32_e32 v111, v119
	s_cbranch_execz .LBB52_794
	s_branch .LBB52_795
.LBB52_793:
                                        ; implicit-def: $vgpr110_vgpr111
.LBB52_794:
	ds_load_b64 v[110:111], v1
.LBB52_795:
	s_mov_b32 s2, exec_lo
	v_cmpx_ne_u32_e32 27, v0
	s_cbranch_execz .LBB52_799
; %bb.796:
	v_add_nc_u32_e32 v113, 0x1b8, v38
	v_add3_u32 v114, 0, v38, 8
	v_mov_b32_e32 v115, v0
	s_mov_b32 s3, 0
.LBB52_797:                             ; =>This Inner Loop Header: Depth=1
	scratch_load_b64 v[116:117], v114, off
	ds_load_b64 v[118:119], v113
	s_wait_xcnt 0x0
	v_dual_add_nc_u32 v113, 8, v113 :: v_dual_add_nc_u32 v114, 8, v114
	s_wait_loadcnt_dscnt 0x0
	v_pk_mul_f32 v[120:121], v[118:119], v[116:117] op_sel:[1,1] op_sel_hi:[0,1]
	s_delay_alu instid0(VALU_DEP_1) | instskip(SKIP_2) | instid1(VALU_DEP_3)
	v_pk_fma_f32 v[122:123], v[118:119], v[116:117], v[120:121] op_sel_hi:[1,0,1]
	v_add_nc_u32_e32 v115, 1, v115
	v_pk_fma_f32 v[116:117], v[118:119], v[116:117], v[120:121] neg_lo:[0,0,1] neg_hi:[0,0,1]
	v_mov_b32_e32 v117, v123
	s_delay_alu instid0(VALU_DEP_3) | instskip(NEXT) | instid1(VALU_DEP_2)
	v_cmp_lt_u32_e32 vcc_lo, 26, v115
	v_pk_add_f32 v[110:111], v[110:111], v[116:117]
	s_or_b32 s3, vcc_lo, s3
	s_delay_alu instid0(SALU_CYCLE_1)
	s_and_not1_b32 exec_lo, exec_lo, s3
	s_cbranch_execnz .LBB52_797
; %bb.798:
	s_or_b32 exec_lo, exec_lo, s3
.LBB52_799:
	s_delay_alu instid0(SALU_CYCLE_1) | instskip(SKIP_4) | instid1(VALU_DEP_1)
	s_or_b32 exec_lo, exec_lo, s2
	v_mov_b32_e32 v113, 0
	ds_load_b64 v[114:115], v113 offset:224
	s_wait_dscnt 0x0
	v_pk_mul_f32 v[116:117], v[110:111], v[114:115] op_sel:[1,1] op_sel_hi:[0,1]
	v_pk_fma_f32 v[118:119], v[110:111], v[114:115], v[116:117] op_sel_hi:[1,0,1]
	v_pk_fma_f32 v[110:111], v[110:111], v[114:115], v[116:117] neg_lo:[0,0,1] neg_hi:[0,0,1]
	s_delay_alu instid0(VALU_DEP_2)
	v_mov_b32_e32 v111, v119
	scratch_store_b64 off, v[110:111], off offset:224
.LBB52_800:
	s_wait_xcnt 0x0
	s_or_b32 exec_lo, exec_lo, s0
	scratch_load_b64 v[110:111], off, off offset:232
	s_mov_b32 s0, exec_lo
	s_wait_loadcnt 0x0
	ds_store_b64 v1, v[110:111]
	s_wait_storecnt_dscnt 0x0
	s_barrier_signal -1
	s_barrier_wait -1
	s_wait_xcnt 0x0
	v_cmpx_gt_u32_e32 29, v0
	s_cbranch_execz .LBB52_810
; %bb.801:
	v_cmp_ne_u32_e32 vcc_lo, 1, v112
	s_cbranch_vccnz .LBB52_803
; %bb.802:
	scratch_load_b64 v[110:111], v39, off
	ds_load_b64 v[114:115], v1
	s_wait_loadcnt_dscnt 0x0
	v_pk_mul_f32 v[116:117], v[114:115], v[110:111] op_sel:[1,1] op_sel_hi:[0,1]
	s_delay_alu instid0(VALU_DEP_1) | instskip(SKIP_1) | instid1(VALU_DEP_2)
	v_pk_fma_f32 v[118:119], v[114:115], v[110:111], v[116:117] op_sel_hi:[1,0,1]
	v_pk_fma_f32 v[110:111], v[114:115], v[110:111], v[116:117] neg_lo:[0,0,1] neg_hi:[0,0,1]
	v_mov_b32_e32 v111, v119
	s_cbranch_execz .LBB52_804
	s_branch .LBB52_805
.LBB52_803:
                                        ; implicit-def: $vgpr110_vgpr111
.LBB52_804:
	ds_load_b64 v[110:111], v1
.LBB52_805:
	s_mov_b32 s2, exec_lo
	v_cmpx_ne_u32_e32 28, v0
	s_cbranch_execz .LBB52_809
; %bb.806:
	v_add_nc_u32_e32 v113, 0x1b8, v38
	v_add3_u32 v114, 0, v38, 8
	v_mov_b32_e32 v115, v0
	s_mov_b32 s3, 0
.LBB52_807:                             ; =>This Inner Loop Header: Depth=1
	scratch_load_b64 v[116:117], v114, off
	ds_load_b64 v[118:119], v113
	s_wait_xcnt 0x0
	v_dual_add_nc_u32 v113, 8, v113 :: v_dual_add_nc_u32 v114, 8, v114
	s_wait_loadcnt_dscnt 0x0
	v_pk_mul_f32 v[120:121], v[118:119], v[116:117] op_sel:[1,1] op_sel_hi:[0,1]
	s_delay_alu instid0(VALU_DEP_1) | instskip(SKIP_2) | instid1(VALU_DEP_3)
	v_pk_fma_f32 v[122:123], v[118:119], v[116:117], v[120:121] op_sel_hi:[1,0,1]
	v_add_nc_u32_e32 v115, 1, v115
	v_pk_fma_f32 v[116:117], v[118:119], v[116:117], v[120:121] neg_lo:[0,0,1] neg_hi:[0,0,1]
	v_mov_b32_e32 v117, v123
	s_delay_alu instid0(VALU_DEP_3) | instskip(NEXT) | instid1(VALU_DEP_2)
	v_cmp_lt_u32_e32 vcc_lo, 27, v115
	v_pk_add_f32 v[110:111], v[110:111], v[116:117]
	s_or_b32 s3, vcc_lo, s3
	s_delay_alu instid0(SALU_CYCLE_1)
	s_and_not1_b32 exec_lo, exec_lo, s3
	s_cbranch_execnz .LBB52_807
; %bb.808:
	s_or_b32 exec_lo, exec_lo, s3
.LBB52_809:
	s_delay_alu instid0(SALU_CYCLE_1) | instskip(SKIP_4) | instid1(VALU_DEP_1)
	s_or_b32 exec_lo, exec_lo, s2
	v_mov_b32_e32 v113, 0
	ds_load_b64 v[114:115], v113 offset:232
	s_wait_dscnt 0x0
	v_pk_mul_f32 v[116:117], v[110:111], v[114:115] op_sel:[1,1] op_sel_hi:[0,1]
	v_pk_fma_f32 v[118:119], v[110:111], v[114:115], v[116:117] op_sel_hi:[1,0,1]
	v_pk_fma_f32 v[110:111], v[110:111], v[114:115], v[116:117] neg_lo:[0,0,1] neg_hi:[0,0,1]
	s_delay_alu instid0(VALU_DEP_2)
	v_mov_b32_e32 v111, v119
	scratch_store_b64 off, v[110:111], off offset:232
.LBB52_810:
	s_wait_xcnt 0x0
	s_or_b32 exec_lo, exec_lo, s0
	scratch_load_b64 v[110:111], off, off offset:240
	s_mov_b32 s0, exec_lo
	s_wait_loadcnt 0x0
	ds_store_b64 v1, v[110:111]
	s_wait_storecnt_dscnt 0x0
	s_barrier_signal -1
	s_barrier_wait -1
	s_wait_xcnt 0x0
	v_cmpx_gt_u32_e32 30, v0
	s_cbranch_execz .LBB52_820
; %bb.811:
	v_cmp_ne_u32_e32 vcc_lo, 1, v112
	s_cbranch_vccnz .LBB52_813
; %bb.812:
	scratch_load_b64 v[110:111], v39, off
	ds_load_b64 v[114:115], v1
	s_wait_loadcnt_dscnt 0x0
	v_pk_mul_f32 v[116:117], v[114:115], v[110:111] op_sel:[1,1] op_sel_hi:[0,1]
	s_delay_alu instid0(VALU_DEP_1) | instskip(SKIP_1) | instid1(VALU_DEP_2)
	v_pk_fma_f32 v[118:119], v[114:115], v[110:111], v[116:117] op_sel_hi:[1,0,1]
	v_pk_fma_f32 v[110:111], v[114:115], v[110:111], v[116:117] neg_lo:[0,0,1] neg_hi:[0,0,1]
	v_mov_b32_e32 v111, v119
	s_cbranch_execz .LBB52_814
	s_branch .LBB52_815
.LBB52_813:
                                        ; implicit-def: $vgpr110_vgpr111
.LBB52_814:
	ds_load_b64 v[110:111], v1
.LBB52_815:
	s_mov_b32 s2, exec_lo
	v_cmpx_ne_u32_e32 29, v0
	s_cbranch_execz .LBB52_819
; %bb.816:
	v_add_nc_u32_e32 v113, 0x1b8, v38
	v_add3_u32 v114, 0, v38, 8
	v_mov_b32_e32 v115, v0
	s_mov_b32 s3, 0
.LBB52_817:                             ; =>This Inner Loop Header: Depth=1
	scratch_load_b64 v[116:117], v114, off
	ds_load_b64 v[118:119], v113
	s_wait_xcnt 0x0
	v_dual_add_nc_u32 v113, 8, v113 :: v_dual_add_nc_u32 v114, 8, v114
	s_wait_loadcnt_dscnt 0x0
	v_pk_mul_f32 v[120:121], v[118:119], v[116:117] op_sel:[1,1] op_sel_hi:[0,1]
	s_delay_alu instid0(VALU_DEP_1) | instskip(SKIP_2) | instid1(VALU_DEP_3)
	v_pk_fma_f32 v[122:123], v[118:119], v[116:117], v[120:121] op_sel_hi:[1,0,1]
	v_add_nc_u32_e32 v115, 1, v115
	v_pk_fma_f32 v[116:117], v[118:119], v[116:117], v[120:121] neg_lo:[0,0,1] neg_hi:[0,0,1]
	v_mov_b32_e32 v117, v123
	s_delay_alu instid0(VALU_DEP_3) | instskip(NEXT) | instid1(VALU_DEP_2)
	v_cmp_lt_u32_e32 vcc_lo, 28, v115
	v_pk_add_f32 v[110:111], v[110:111], v[116:117]
	s_or_b32 s3, vcc_lo, s3
	s_delay_alu instid0(SALU_CYCLE_1)
	s_and_not1_b32 exec_lo, exec_lo, s3
	s_cbranch_execnz .LBB52_817
; %bb.818:
	s_or_b32 exec_lo, exec_lo, s3
.LBB52_819:
	s_delay_alu instid0(SALU_CYCLE_1) | instskip(SKIP_4) | instid1(VALU_DEP_1)
	s_or_b32 exec_lo, exec_lo, s2
	v_mov_b32_e32 v113, 0
	ds_load_b64 v[114:115], v113 offset:240
	s_wait_dscnt 0x0
	v_pk_mul_f32 v[116:117], v[110:111], v[114:115] op_sel:[1,1] op_sel_hi:[0,1]
	v_pk_fma_f32 v[118:119], v[110:111], v[114:115], v[116:117] op_sel_hi:[1,0,1]
	v_pk_fma_f32 v[110:111], v[110:111], v[114:115], v[116:117] neg_lo:[0,0,1] neg_hi:[0,0,1]
	s_delay_alu instid0(VALU_DEP_2)
	v_mov_b32_e32 v111, v119
	scratch_store_b64 off, v[110:111], off offset:240
.LBB52_820:
	s_wait_xcnt 0x0
	s_or_b32 exec_lo, exec_lo, s0
	scratch_load_b64 v[110:111], off, off offset:248
	s_mov_b32 s0, exec_lo
	s_wait_loadcnt 0x0
	ds_store_b64 v1, v[110:111]
	s_wait_storecnt_dscnt 0x0
	s_barrier_signal -1
	s_barrier_wait -1
	s_wait_xcnt 0x0
	v_cmpx_gt_u32_e32 31, v0
	s_cbranch_execz .LBB52_830
; %bb.821:
	v_cmp_ne_u32_e32 vcc_lo, 1, v112
	s_cbranch_vccnz .LBB52_823
; %bb.822:
	scratch_load_b64 v[110:111], v39, off
	ds_load_b64 v[114:115], v1
	s_wait_loadcnt_dscnt 0x0
	v_pk_mul_f32 v[116:117], v[114:115], v[110:111] op_sel:[1,1] op_sel_hi:[0,1]
	s_delay_alu instid0(VALU_DEP_1) | instskip(SKIP_1) | instid1(VALU_DEP_2)
	v_pk_fma_f32 v[118:119], v[114:115], v[110:111], v[116:117] op_sel_hi:[1,0,1]
	v_pk_fma_f32 v[110:111], v[114:115], v[110:111], v[116:117] neg_lo:[0,0,1] neg_hi:[0,0,1]
	v_mov_b32_e32 v111, v119
	s_cbranch_execz .LBB52_824
	s_branch .LBB52_825
.LBB52_823:
                                        ; implicit-def: $vgpr110_vgpr111
.LBB52_824:
	ds_load_b64 v[110:111], v1
.LBB52_825:
	s_mov_b32 s2, exec_lo
	v_cmpx_ne_u32_e32 30, v0
	s_cbranch_execz .LBB52_829
; %bb.826:
	v_add_nc_u32_e32 v113, 0x1b8, v38
	v_add3_u32 v114, 0, v38, 8
	v_mov_b32_e32 v115, v0
	s_mov_b32 s3, 0
.LBB52_827:                             ; =>This Inner Loop Header: Depth=1
	scratch_load_b64 v[116:117], v114, off
	ds_load_b64 v[118:119], v113
	s_wait_xcnt 0x0
	v_dual_add_nc_u32 v113, 8, v113 :: v_dual_add_nc_u32 v114, 8, v114
	s_wait_loadcnt_dscnt 0x0
	v_pk_mul_f32 v[120:121], v[118:119], v[116:117] op_sel:[1,1] op_sel_hi:[0,1]
	s_delay_alu instid0(VALU_DEP_1) | instskip(SKIP_2) | instid1(VALU_DEP_3)
	v_pk_fma_f32 v[122:123], v[118:119], v[116:117], v[120:121] op_sel_hi:[1,0,1]
	v_add_nc_u32_e32 v115, 1, v115
	v_pk_fma_f32 v[116:117], v[118:119], v[116:117], v[120:121] neg_lo:[0,0,1] neg_hi:[0,0,1]
	v_mov_b32_e32 v117, v123
	s_delay_alu instid0(VALU_DEP_3) | instskip(NEXT) | instid1(VALU_DEP_2)
	v_cmp_lt_u32_e32 vcc_lo, 29, v115
	v_pk_add_f32 v[110:111], v[110:111], v[116:117]
	s_or_b32 s3, vcc_lo, s3
	s_delay_alu instid0(SALU_CYCLE_1)
	s_and_not1_b32 exec_lo, exec_lo, s3
	s_cbranch_execnz .LBB52_827
; %bb.828:
	s_or_b32 exec_lo, exec_lo, s3
.LBB52_829:
	s_delay_alu instid0(SALU_CYCLE_1) | instskip(SKIP_4) | instid1(VALU_DEP_1)
	s_or_b32 exec_lo, exec_lo, s2
	v_mov_b32_e32 v113, 0
	ds_load_b64 v[114:115], v113 offset:248
	s_wait_dscnt 0x0
	v_pk_mul_f32 v[116:117], v[110:111], v[114:115] op_sel:[1,1] op_sel_hi:[0,1]
	v_pk_fma_f32 v[118:119], v[110:111], v[114:115], v[116:117] op_sel_hi:[1,0,1]
	v_pk_fma_f32 v[110:111], v[110:111], v[114:115], v[116:117] neg_lo:[0,0,1] neg_hi:[0,0,1]
	s_delay_alu instid0(VALU_DEP_2)
	v_mov_b32_e32 v111, v119
	scratch_store_b64 off, v[110:111], off offset:248
.LBB52_830:
	s_wait_xcnt 0x0
	s_or_b32 exec_lo, exec_lo, s0
	scratch_load_b64 v[110:111], off, off offset:256
	s_mov_b32 s0, exec_lo
	s_wait_loadcnt 0x0
	ds_store_b64 v1, v[110:111]
	s_wait_storecnt_dscnt 0x0
	s_barrier_signal -1
	s_barrier_wait -1
	s_wait_xcnt 0x0
	v_cmpx_gt_u32_e32 32, v0
	s_cbranch_execz .LBB52_840
; %bb.831:
	v_cmp_ne_u32_e32 vcc_lo, 1, v112
	s_cbranch_vccnz .LBB52_833
; %bb.832:
	scratch_load_b64 v[110:111], v39, off
	ds_load_b64 v[114:115], v1
	s_wait_loadcnt_dscnt 0x0
	v_pk_mul_f32 v[116:117], v[114:115], v[110:111] op_sel:[1,1] op_sel_hi:[0,1]
	s_delay_alu instid0(VALU_DEP_1) | instskip(SKIP_1) | instid1(VALU_DEP_2)
	v_pk_fma_f32 v[118:119], v[114:115], v[110:111], v[116:117] op_sel_hi:[1,0,1]
	v_pk_fma_f32 v[110:111], v[114:115], v[110:111], v[116:117] neg_lo:[0,0,1] neg_hi:[0,0,1]
	v_mov_b32_e32 v111, v119
	s_cbranch_execz .LBB52_834
	s_branch .LBB52_835
.LBB52_833:
                                        ; implicit-def: $vgpr110_vgpr111
.LBB52_834:
	ds_load_b64 v[110:111], v1
.LBB52_835:
	s_mov_b32 s2, exec_lo
	v_cmpx_ne_u32_e32 31, v0
	s_cbranch_execz .LBB52_839
; %bb.836:
	v_add_nc_u32_e32 v113, 0x1b8, v38
	v_add3_u32 v114, 0, v38, 8
	v_mov_b32_e32 v115, v0
	s_mov_b32 s3, 0
.LBB52_837:                             ; =>This Inner Loop Header: Depth=1
	scratch_load_b64 v[116:117], v114, off
	ds_load_b64 v[118:119], v113
	s_wait_xcnt 0x0
	v_dual_add_nc_u32 v113, 8, v113 :: v_dual_add_nc_u32 v114, 8, v114
	s_wait_loadcnt_dscnt 0x0
	v_pk_mul_f32 v[120:121], v[118:119], v[116:117] op_sel:[1,1] op_sel_hi:[0,1]
	s_delay_alu instid0(VALU_DEP_1) | instskip(SKIP_2) | instid1(VALU_DEP_3)
	v_pk_fma_f32 v[122:123], v[118:119], v[116:117], v[120:121] op_sel_hi:[1,0,1]
	v_add_nc_u32_e32 v115, 1, v115
	v_pk_fma_f32 v[116:117], v[118:119], v[116:117], v[120:121] neg_lo:[0,0,1] neg_hi:[0,0,1]
	v_mov_b32_e32 v117, v123
	s_delay_alu instid0(VALU_DEP_3) | instskip(NEXT) | instid1(VALU_DEP_2)
	v_cmp_lt_u32_e32 vcc_lo, 30, v115
	v_pk_add_f32 v[110:111], v[110:111], v[116:117]
	s_or_b32 s3, vcc_lo, s3
	s_delay_alu instid0(SALU_CYCLE_1)
	s_and_not1_b32 exec_lo, exec_lo, s3
	s_cbranch_execnz .LBB52_837
; %bb.838:
	s_or_b32 exec_lo, exec_lo, s3
.LBB52_839:
	s_delay_alu instid0(SALU_CYCLE_1) | instskip(SKIP_4) | instid1(VALU_DEP_1)
	s_or_b32 exec_lo, exec_lo, s2
	v_mov_b32_e32 v113, 0
	ds_load_b64 v[114:115], v113 offset:256
	s_wait_dscnt 0x0
	v_pk_mul_f32 v[116:117], v[110:111], v[114:115] op_sel:[1,1] op_sel_hi:[0,1]
	v_pk_fma_f32 v[118:119], v[110:111], v[114:115], v[116:117] op_sel_hi:[1,0,1]
	v_pk_fma_f32 v[110:111], v[110:111], v[114:115], v[116:117] neg_lo:[0,0,1] neg_hi:[0,0,1]
	s_delay_alu instid0(VALU_DEP_2)
	v_mov_b32_e32 v111, v119
	scratch_store_b64 off, v[110:111], off offset:256
.LBB52_840:
	s_wait_xcnt 0x0
	s_or_b32 exec_lo, exec_lo, s0
	scratch_load_b64 v[110:111], off, off offset:264
	s_mov_b32 s0, exec_lo
	s_wait_loadcnt 0x0
	ds_store_b64 v1, v[110:111]
	s_wait_storecnt_dscnt 0x0
	s_barrier_signal -1
	s_barrier_wait -1
	s_wait_xcnt 0x0
	v_cmpx_gt_u32_e32 33, v0
	s_cbranch_execz .LBB52_850
; %bb.841:
	v_cmp_ne_u32_e32 vcc_lo, 1, v112
	s_cbranch_vccnz .LBB52_843
; %bb.842:
	scratch_load_b64 v[110:111], v39, off
	ds_load_b64 v[114:115], v1
	s_wait_loadcnt_dscnt 0x0
	v_pk_mul_f32 v[116:117], v[114:115], v[110:111] op_sel:[1,1] op_sel_hi:[0,1]
	s_delay_alu instid0(VALU_DEP_1) | instskip(SKIP_1) | instid1(VALU_DEP_2)
	v_pk_fma_f32 v[118:119], v[114:115], v[110:111], v[116:117] op_sel_hi:[1,0,1]
	v_pk_fma_f32 v[110:111], v[114:115], v[110:111], v[116:117] neg_lo:[0,0,1] neg_hi:[0,0,1]
	v_mov_b32_e32 v111, v119
	s_cbranch_execz .LBB52_844
	s_branch .LBB52_845
.LBB52_843:
                                        ; implicit-def: $vgpr110_vgpr111
.LBB52_844:
	ds_load_b64 v[110:111], v1
.LBB52_845:
	s_mov_b32 s2, exec_lo
	v_cmpx_ne_u32_e32 32, v0
	s_cbranch_execz .LBB52_849
; %bb.846:
	v_add_nc_u32_e32 v113, 0x1b8, v38
	v_add3_u32 v114, 0, v38, 8
	v_mov_b32_e32 v115, v0
	s_mov_b32 s3, 0
.LBB52_847:                             ; =>This Inner Loop Header: Depth=1
	scratch_load_b64 v[116:117], v114, off
	ds_load_b64 v[118:119], v113
	s_wait_xcnt 0x0
	v_dual_add_nc_u32 v113, 8, v113 :: v_dual_add_nc_u32 v114, 8, v114
	s_wait_loadcnt_dscnt 0x0
	v_pk_mul_f32 v[120:121], v[118:119], v[116:117] op_sel:[1,1] op_sel_hi:[0,1]
	s_delay_alu instid0(VALU_DEP_1) | instskip(SKIP_2) | instid1(VALU_DEP_3)
	v_pk_fma_f32 v[122:123], v[118:119], v[116:117], v[120:121] op_sel_hi:[1,0,1]
	v_add_nc_u32_e32 v115, 1, v115
	v_pk_fma_f32 v[116:117], v[118:119], v[116:117], v[120:121] neg_lo:[0,0,1] neg_hi:[0,0,1]
	v_mov_b32_e32 v117, v123
	s_delay_alu instid0(VALU_DEP_3) | instskip(NEXT) | instid1(VALU_DEP_2)
	v_cmp_lt_u32_e32 vcc_lo, 31, v115
	v_pk_add_f32 v[110:111], v[110:111], v[116:117]
	s_or_b32 s3, vcc_lo, s3
	s_delay_alu instid0(SALU_CYCLE_1)
	s_and_not1_b32 exec_lo, exec_lo, s3
	s_cbranch_execnz .LBB52_847
; %bb.848:
	s_or_b32 exec_lo, exec_lo, s3
.LBB52_849:
	s_delay_alu instid0(SALU_CYCLE_1) | instskip(SKIP_4) | instid1(VALU_DEP_1)
	s_or_b32 exec_lo, exec_lo, s2
	v_mov_b32_e32 v113, 0
	ds_load_b64 v[114:115], v113 offset:264
	s_wait_dscnt 0x0
	v_pk_mul_f32 v[116:117], v[110:111], v[114:115] op_sel:[1,1] op_sel_hi:[0,1]
	v_pk_fma_f32 v[118:119], v[110:111], v[114:115], v[116:117] op_sel_hi:[1,0,1]
	v_pk_fma_f32 v[110:111], v[110:111], v[114:115], v[116:117] neg_lo:[0,0,1] neg_hi:[0,0,1]
	s_delay_alu instid0(VALU_DEP_2)
	v_mov_b32_e32 v111, v119
	scratch_store_b64 off, v[110:111], off offset:264
.LBB52_850:
	s_wait_xcnt 0x0
	s_or_b32 exec_lo, exec_lo, s0
	scratch_load_b64 v[110:111], off, off offset:272
	s_mov_b32 s0, exec_lo
	s_wait_loadcnt 0x0
	ds_store_b64 v1, v[110:111]
	s_wait_storecnt_dscnt 0x0
	s_barrier_signal -1
	s_barrier_wait -1
	s_wait_xcnt 0x0
	v_cmpx_gt_u32_e32 34, v0
	s_cbranch_execz .LBB52_860
; %bb.851:
	v_cmp_ne_u32_e32 vcc_lo, 1, v112
	s_cbranch_vccnz .LBB52_853
; %bb.852:
	scratch_load_b64 v[110:111], v39, off
	ds_load_b64 v[114:115], v1
	s_wait_loadcnt_dscnt 0x0
	v_pk_mul_f32 v[116:117], v[114:115], v[110:111] op_sel:[1,1] op_sel_hi:[0,1]
	s_delay_alu instid0(VALU_DEP_1) | instskip(SKIP_1) | instid1(VALU_DEP_2)
	v_pk_fma_f32 v[118:119], v[114:115], v[110:111], v[116:117] op_sel_hi:[1,0,1]
	v_pk_fma_f32 v[110:111], v[114:115], v[110:111], v[116:117] neg_lo:[0,0,1] neg_hi:[0,0,1]
	v_mov_b32_e32 v111, v119
	s_cbranch_execz .LBB52_854
	s_branch .LBB52_855
.LBB52_853:
                                        ; implicit-def: $vgpr110_vgpr111
.LBB52_854:
	ds_load_b64 v[110:111], v1
.LBB52_855:
	s_mov_b32 s2, exec_lo
	v_cmpx_ne_u32_e32 33, v0
	s_cbranch_execz .LBB52_859
; %bb.856:
	v_add_nc_u32_e32 v113, 0x1b8, v38
	v_add3_u32 v114, 0, v38, 8
	v_mov_b32_e32 v115, v0
	s_mov_b32 s3, 0
.LBB52_857:                             ; =>This Inner Loop Header: Depth=1
	scratch_load_b64 v[116:117], v114, off
	ds_load_b64 v[118:119], v113
	s_wait_xcnt 0x0
	v_dual_add_nc_u32 v113, 8, v113 :: v_dual_add_nc_u32 v114, 8, v114
	s_wait_loadcnt_dscnt 0x0
	v_pk_mul_f32 v[120:121], v[118:119], v[116:117] op_sel:[1,1] op_sel_hi:[0,1]
	s_delay_alu instid0(VALU_DEP_1) | instskip(SKIP_2) | instid1(VALU_DEP_3)
	v_pk_fma_f32 v[122:123], v[118:119], v[116:117], v[120:121] op_sel_hi:[1,0,1]
	v_add_nc_u32_e32 v115, 1, v115
	v_pk_fma_f32 v[116:117], v[118:119], v[116:117], v[120:121] neg_lo:[0,0,1] neg_hi:[0,0,1]
	v_mov_b32_e32 v117, v123
	s_delay_alu instid0(VALU_DEP_3) | instskip(NEXT) | instid1(VALU_DEP_2)
	v_cmp_lt_u32_e32 vcc_lo, 32, v115
	v_pk_add_f32 v[110:111], v[110:111], v[116:117]
	s_or_b32 s3, vcc_lo, s3
	s_delay_alu instid0(SALU_CYCLE_1)
	s_and_not1_b32 exec_lo, exec_lo, s3
	s_cbranch_execnz .LBB52_857
; %bb.858:
	s_or_b32 exec_lo, exec_lo, s3
.LBB52_859:
	s_delay_alu instid0(SALU_CYCLE_1) | instskip(SKIP_4) | instid1(VALU_DEP_1)
	s_or_b32 exec_lo, exec_lo, s2
	v_mov_b32_e32 v113, 0
	ds_load_b64 v[114:115], v113 offset:272
	s_wait_dscnt 0x0
	v_pk_mul_f32 v[116:117], v[110:111], v[114:115] op_sel:[1,1] op_sel_hi:[0,1]
	v_pk_fma_f32 v[118:119], v[110:111], v[114:115], v[116:117] op_sel_hi:[1,0,1]
	v_pk_fma_f32 v[110:111], v[110:111], v[114:115], v[116:117] neg_lo:[0,0,1] neg_hi:[0,0,1]
	s_delay_alu instid0(VALU_DEP_2)
	v_mov_b32_e32 v111, v119
	scratch_store_b64 off, v[110:111], off offset:272
.LBB52_860:
	s_wait_xcnt 0x0
	s_or_b32 exec_lo, exec_lo, s0
	scratch_load_b64 v[110:111], off, off offset:280
	s_mov_b32 s0, exec_lo
	s_wait_loadcnt 0x0
	ds_store_b64 v1, v[110:111]
	s_wait_storecnt_dscnt 0x0
	s_barrier_signal -1
	s_barrier_wait -1
	s_wait_xcnt 0x0
	v_cmpx_gt_u32_e32 35, v0
	s_cbranch_execz .LBB52_870
; %bb.861:
	v_cmp_ne_u32_e32 vcc_lo, 1, v112
	s_cbranch_vccnz .LBB52_863
; %bb.862:
	scratch_load_b64 v[110:111], v39, off
	ds_load_b64 v[114:115], v1
	s_wait_loadcnt_dscnt 0x0
	v_pk_mul_f32 v[116:117], v[114:115], v[110:111] op_sel:[1,1] op_sel_hi:[0,1]
	s_delay_alu instid0(VALU_DEP_1) | instskip(SKIP_1) | instid1(VALU_DEP_2)
	v_pk_fma_f32 v[118:119], v[114:115], v[110:111], v[116:117] op_sel_hi:[1,0,1]
	v_pk_fma_f32 v[110:111], v[114:115], v[110:111], v[116:117] neg_lo:[0,0,1] neg_hi:[0,0,1]
	v_mov_b32_e32 v111, v119
	s_cbranch_execz .LBB52_864
	s_branch .LBB52_865
.LBB52_863:
                                        ; implicit-def: $vgpr110_vgpr111
.LBB52_864:
	ds_load_b64 v[110:111], v1
.LBB52_865:
	s_mov_b32 s2, exec_lo
	v_cmpx_ne_u32_e32 34, v0
	s_cbranch_execz .LBB52_869
; %bb.866:
	v_add_nc_u32_e32 v113, 0x1b8, v38
	v_add3_u32 v114, 0, v38, 8
	v_mov_b32_e32 v115, v0
	s_mov_b32 s3, 0
.LBB52_867:                             ; =>This Inner Loop Header: Depth=1
	scratch_load_b64 v[116:117], v114, off
	ds_load_b64 v[118:119], v113
	s_wait_xcnt 0x0
	v_dual_add_nc_u32 v113, 8, v113 :: v_dual_add_nc_u32 v114, 8, v114
	s_wait_loadcnt_dscnt 0x0
	v_pk_mul_f32 v[120:121], v[118:119], v[116:117] op_sel:[1,1] op_sel_hi:[0,1]
	s_delay_alu instid0(VALU_DEP_1) | instskip(SKIP_2) | instid1(VALU_DEP_3)
	v_pk_fma_f32 v[122:123], v[118:119], v[116:117], v[120:121] op_sel_hi:[1,0,1]
	v_add_nc_u32_e32 v115, 1, v115
	v_pk_fma_f32 v[116:117], v[118:119], v[116:117], v[120:121] neg_lo:[0,0,1] neg_hi:[0,0,1]
	v_mov_b32_e32 v117, v123
	s_delay_alu instid0(VALU_DEP_3) | instskip(NEXT) | instid1(VALU_DEP_2)
	v_cmp_lt_u32_e32 vcc_lo, 33, v115
	v_pk_add_f32 v[110:111], v[110:111], v[116:117]
	s_or_b32 s3, vcc_lo, s3
	s_delay_alu instid0(SALU_CYCLE_1)
	s_and_not1_b32 exec_lo, exec_lo, s3
	s_cbranch_execnz .LBB52_867
; %bb.868:
	s_or_b32 exec_lo, exec_lo, s3
.LBB52_869:
	s_delay_alu instid0(SALU_CYCLE_1) | instskip(SKIP_4) | instid1(VALU_DEP_1)
	s_or_b32 exec_lo, exec_lo, s2
	v_mov_b32_e32 v113, 0
	ds_load_b64 v[114:115], v113 offset:280
	s_wait_dscnt 0x0
	v_pk_mul_f32 v[116:117], v[110:111], v[114:115] op_sel:[1,1] op_sel_hi:[0,1]
	v_pk_fma_f32 v[118:119], v[110:111], v[114:115], v[116:117] op_sel_hi:[1,0,1]
	v_pk_fma_f32 v[110:111], v[110:111], v[114:115], v[116:117] neg_lo:[0,0,1] neg_hi:[0,0,1]
	s_delay_alu instid0(VALU_DEP_2)
	v_mov_b32_e32 v111, v119
	scratch_store_b64 off, v[110:111], off offset:280
.LBB52_870:
	s_wait_xcnt 0x0
	s_or_b32 exec_lo, exec_lo, s0
	scratch_load_b64 v[110:111], off, off offset:288
	s_mov_b32 s0, exec_lo
	s_wait_loadcnt 0x0
	ds_store_b64 v1, v[110:111]
	s_wait_storecnt_dscnt 0x0
	s_barrier_signal -1
	s_barrier_wait -1
	s_wait_xcnt 0x0
	v_cmpx_gt_u32_e32 36, v0
	s_cbranch_execz .LBB52_880
; %bb.871:
	v_cmp_ne_u32_e32 vcc_lo, 1, v112
	s_cbranch_vccnz .LBB52_873
; %bb.872:
	scratch_load_b64 v[110:111], v39, off
	ds_load_b64 v[114:115], v1
	s_wait_loadcnt_dscnt 0x0
	v_pk_mul_f32 v[116:117], v[114:115], v[110:111] op_sel:[1,1] op_sel_hi:[0,1]
	s_delay_alu instid0(VALU_DEP_1) | instskip(SKIP_1) | instid1(VALU_DEP_2)
	v_pk_fma_f32 v[118:119], v[114:115], v[110:111], v[116:117] op_sel_hi:[1,0,1]
	v_pk_fma_f32 v[110:111], v[114:115], v[110:111], v[116:117] neg_lo:[0,0,1] neg_hi:[0,0,1]
	v_mov_b32_e32 v111, v119
	s_cbranch_execz .LBB52_874
	s_branch .LBB52_875
.LBB52_873:
                                        ; implicit-def: $vgpr110_vgpr111
.LBB52_874:
	ds_load_b64 v[110:111], v1
.LBB52_875:
	s_mov_b32 s2, exec_lo
	v_cmpx_ne_u32_e32 35, v0
	s_cbranch_execz .LBB52_879
; %bb.876:
	v_add_nc_u32_e32 v113, 0x1b8, v38
	v_add3_u32 v114, 0, v38, 8
	v_mov_b32_e32 v115, v0
	s_mov_b32 s3, 0
.LBB52_877:                             ; =>This Inner Loop Header: Depth=1
	scratch_load_b64 v[116:117], v114, off
	ds_load_b64 v[118:119], v113
	s_wait_xcnt 0x0
	v_dual_add_nc_u32 v113, 8, v113 :: v_dual_add_nc_u32 v114, 8, v114
	s_wait_loadcnt_dscnt 0x0
	v_pk_mul_f32 v[120:121], v[118:119], v[116:117] op_sel:[1,1] op_sel_hi:[0,1]
	s_delay_alu instid0(VALU_DEP_1) | instskip(SKIP_2) | instid1(VALU_DEP_3)
	v_pk_fma_f32 v[122:123], v[118:119], v[116:117], v[120:121] op_sel_hi:[1,0,1]
	v_add_nc_u32_e32 v115, 1, v115
	v_pk_fma_f32 v[116:117], v[118:119], v[116:117], v[120:121] neg_lo:[0,0,1] neg_hi:[0,0,1]
	v_mov_b32_e32 v117, v123
	s_delay_alu instid0(VALU_DEP_3) | instskip(NEXT) | instid1(VALU_DEP_2)
	v_cmp_lt_u32_e32 vcc_lo, 34, v115
	v_pk_add_f32 v[110:111], v[110:111], v[116:117]
	s_or_b32 s3, vcc_lo, s3
	s_delay_alu instid0(SALU_CYCLE_1)
	s_and_not1_b32 exec_lo, exec_lo, s3
	s_cbranch_execnz .LBB52_877
; %bb.878:
	s_or_b32 exec_lo, exec_lo, s3
.LBB52_879:
	s_delay_alu instid0(SALU_CYCLE_1) | instskip(SKIP_4) | instid1(VALU_DEP_1)
	s_or_b32 exec_lo, exec_lo, s2
	v_mov_b32_e32 v113, 0
	ds_load_b64 v[114:115], v113 offset:288
	s_wait_dscnt 0x0
	v_pk_mul_f32 v[116:117], v[110:111], v[114:115] op_sel:[1,1] op_sel_hi:[0,1]
	v_pk_fma_f32 v[118:119], v[110:111], v[114:115], v[116:117] op_sel_hi:[1,0,1]
	v_pk_fma_f32 v[110:111], v[110:111], v[114:115], v[116:117] neg_lo:[0,0,1] neg_hi:[0,0,1]
	s_delay_alu instid0(VALU_DEP_2)
	v_mov_b32_e32 v111, v119
	scratch_store_b64 off, v[110:111], off offset:288
.LBB52_880:
	s_wait_xcnt 0x0
	s_or_b32 exec_lo, exec_lo, s0
	scratch_load_b64 v[110:111], off, off offset:296
	s_mov_b32 s0, exec_lo
	s_wait_loadcnt 0x0
	ds_store_b64 v1, v[110:111]
	s_wait_storecnt_dscnt 0x0
	s_barrier_signal -1
	s_barrier_wait -1
	s_wait_xcnt 0x0
	v_cmpx_gt_u32_e32 37, v0
	s_cbranch_execz .LBB52_890
; %bb.881:
	v_cmp_ne_u32_e32 vcc_lo, 1, v112
	s_cbranch_vccnz .LBB52_883
; %bb.882:
	scratch_load_b64 v[110:111], v39, off
	ds_load_b64 v[114:115], v1
	s_wait_loadcnt_dscnt 0x0
	v_pk_mul_f32 v[116:117], v[114:115], v[110:111] op_sel:[1,1] op_sel_hi:[0,1]
	s_delay_alu instid0(VALU_DEP_1) | instskip(SKIP_1) | instid1(VALU_DEP_2)
	v_pk_fma_f32 v[118:119], v[114:115], v[110:111], v[116:117] op_sel_hi:[1,0,1]
	v_pk_fma_f32 v[110:111], v[114:115], v[110:111], v[116:117] neg_lo:[0,0,1] neg_hi:[0,0,1]
	v_mov_b32_e32 v111, v119
	s_cbranch_execz .LBB52_884
	s_branch .LBB52_885
.LBB52_883:
                                        ; implicit-def: $vgpr110_vgpr111
.LBB52_884:
	ds_load_b64 v[110:111], v1
.LBB52_885:
	s_mov_b32 s2, exec_lo
	v_cmpx_ne_u32_e32 36, v0
	s_cbranch_execz .LBB52_889
; %bb.886:
	v_add_nc_u32_e32 v113, 0x1b8, v38
	v_add3_u32 v114, 0, v38, 8
	v_mov_b32_e32 v115, v0
	s_mov_b32 s3, 0
.LBB52_887:                             ; =>This Inner Loop Header: Depth=1
	scratch_load_b64 v[116:117], v114, off
	ds_load_b64 v[118:119], v113
	s_wait_xcnt 0x0
	v_dual_add_nc_u32 v113, 8, v113 :: v_dual_add_nc_u32 v114, 8, v114
	s_wait_loadcnt_dscnt 0x0
	v_pk_mul_f32 v[120:121], v[118:119], v[116:117] op_sel:[1,1] op_sel_hi:[0,1]
	s_delay_alu instid0(VALU_DEP_1) | instskip(SKIP_2) | instid1(VALU_DEP_3)
	v_pk_fma_f32 v[122:123], v[118:119], v[116:117], v[120:121] op_sel_hi:[1,0,1]
	v_add_nc_u32_e32 v115, 1, v115
	v_pk_fma_f32 v[116:117], v[118:119], v[116:117], v[120:121] neg_lo:[0,0,1] neg_hi:[0,0,1]
	v_mov_b32_e32 v117, v123
	s_delay_alu instid0(VALU_DEP_3) | instskip(NEXT) | instid1(VALU_DEP_2)
	v_cmp_lt_u32_e32 vcc_lo, 35, v115
	v_pk_add_f32 v[110:111], v[110:111], v[116:117]
	s_or_b32 s3, vcc_lo, s3
	s_delay_alu instid0(SALU_CYCLE_1)
	s_and_not1_b32 exec_lo, exec_lo, s3
	s_cbranch_execnz .LBB52_887
; %bb.888:
	s_or_b32 exec_lo, exec_lo, s3
.LBB52_889:
	s_delay_alu instid0(SALU_CYCLE_1) | instskip(SKIP_4) | instid1(VALU_DEP_1)
	s_or_b32 exec_lo, exec_lo, s2
	v_mov_b32_e32 v113, 0
	ds_load_b64 v[114:115], v113 offset:296
	s_wait_dscnt 0x0
	v_pk_mul_f32 v[116:117], v[110:111], v[114:115] op_sel:[1,1] op_sel_hi:[0,1]
	v_pk_fma_f32 v[118:119], v[110:111], v[114:115], v[116:117] op_sel_hi:[1,0,1]
	v_pk_fma_f32 v[110:111], v[110:111], v[114:115], v[116:117] neg_lo:[0,0,1] neg_hi:[0,0,1]
	s_delay_alu instid0(VALU_DEP_2)
	v_mov_b32_e32 v111, v119
	scratch_store_b64 off, v[110:111], off offset:296
.LBB52_890:
	s_wait_xcnt 0x0
	s_or_b32 exec_lo, exec_lo, s0
	scratch_load_b64 v[110:111], off, off offset:304
	s_mov_b32 s0, exec_lo
	s_wait_loadcnt 0x0
	ds_store_b64 v1, v[110:111]
	s_wait_storecnt_dscnt 0x0
	s_barrier_signal -1
	s_barrier_wait -1
	s_wait_xcnt 0x0
	v_cmpx_gt_u32_e32 38, v0
	s_cbranch_execz .LBB52_900
; %bb.891:
	v_cmp_ne_u32_e32 vcc_lo, 1, v112
	s_cbranch_vccnz .LBB52_893
; %bb.892:
	scratch_load_b64 v[110:111], v39, off
	ds_load_b64 v[114:115], v1
	s_wait_loadcnt_dscnt 0x0
	v_pk_mul_f32 v[116:117], v[114:115], v[110:111] op_sel:[1,1] op_sel_hi:[0,1]
	s_delay_alu instid0(VALU_DEP_1) | instskip(SKIP_1) | instid1(VALU_DEP_2)
	v_pk_fma_f32 v[118:119], v[114:115], v[110:111], v[116:117] op_sel_hi:[1,0,1]
	v_pk_fma_f32 v[110:111], v[114:115], v[110:111], v[116:117] neg_lo:[0,0,1] neg_hi:[0,0,1]
	v_mov_b32_e32 v111, v119
	s_cbranch_execz .LBB52_894
	s_branch .LBB52_895
.LBB52_893:
                                        ; implicit-def: $vgpr110_vgpr111
.LBB52_894:
	ds_load_b64 v[110:111], v1
.LBB52_895:
	s_mov_b32 s2, exec_lo
	v_cmpx_ne_u32_e32 37, v0
	s_cbranch_execz .LBB52_899
; %bb.896:
	v_add_nc_u32_e32 v113, 0x1b8, v38
	v_add3_u32 v114, 0, v38, 8
	v_mov_b32_e32 v115, v0
	s_mov_b32 s3, 0
.LBB52_897:                             ; =>This Inner Loop Header: Depth=1
	scratch_load_b64 v[116:117], v114, off
	ds_load_b64 v[118:119], v113
	s_wait_xcnt 0x0
	v_dual_add_nc_u32 v113, 8, v113 :: v_dual_add_nc_u32 v114, 8, v114
	s_wait_loadcnt_dscnt 0x0
	v_pk_mul_f32 v[120:121], v[118:119], v[116:117] op_sel:[1,1] op_sel_hi:[0,1]
	s_delay_alu instid0(VALU_DEP_1) | instskip(SKIP_2) | instid1(VALU_DEP_3)
	v_pk_fma_f32 v[122:123], v[118:119], v[116:117], v[120:121] op_sel_hi:[1,0,1]
	v_add_nc_u32_e32 v115, 1, v115
	v_pk_fma_f32 v[116:117], v[118:119], v[116:117], v[120:121] neg_lo:[0,0,1] neg_hi:[0,0,1]
	v_mov_b32_e32 v117, v123
	s_delay_alu instid0(VALU_DEP_3) | instskip(NEXT) | instid1(VALU_DEP_2)
	v_cmp_lt_u32_e32 vcc_lo, 36, v115
	v_pk_add_f32 v[110:111], v[110:111], v[116:117]
	s_or_b32 s3, vcc_lo, s3
	s_delay_alu instid0(SALU_CYCLE_1)
	s_and_not1_b32 exec_lo, exec_lo, s3
	s_cbranch_execnz .LBB52_897
; %bb.898:
	s_or_b32 exec_lo, exec_lo, s3
.LBB52_899:
	s_delay_alu instid0(SALU_CYCLE_1) | instskip(SKIP_4) | instid1(VALU_DEP_1)
	s_or_b32 exec_lo, exec_lo, s2
	v_mov_b32_e32 v113, 0
	ds_load_b64 v[114:115], v113 offset:304
	s_wait_dscnt 0x0
	v_pk_mul_f32 v[116:117], v[110:111], v[114:115] op_sel:[1,1] op_sel_hi:[0,1]
	v_pk_fma_f32 v[118:119], v[110:111], v[114:115], v[116:117] op_sel_hi:[1,0,1]
	v_pk_fma_f32 v[110:111], v[110:111], v[114:115], v[116:117] neg_lo:[0,0,1] neg_hi:[0,0,1]
	s_delay_alu instid0(VALU_DEP_2)
	v_mov_b32_e32 v111, v119
	scratch_store_b64 off, v[110:111], off offset:304
.LBB52_900:
	s_wait_xcnt 0x0
	s_or_b32 exec_lo, exec_lo, s0
	scratch_load_b64 v[110:111], off, off offset:312
	s_mov_b32 s0, exec_lo
	s_wait_loadcnt 0x0
	ds_store_b64 v1, v[110:111]
	s_wait_storecnt_dscnt 0x0
	s_barrier_signal -1
	s_barrier_wait -1
	s_wait_xcnt 0x0
	v_cmpx_gt_u32_e32 39, v0
	s_cbranch_execz .LBB52_910
; %bb.901:
	v_cmp_ne_u32_e32 vcc_lo, 1, v112
	s_cbranch_vccnz .LBB52_903
; %bb.902:
	scratch_load_b64 v[110:111], v39, off
	ds_load_b64 v[114:115], v1
	s_wait_loadcnt_dscnt 0x0
	v_pk_mul_f32 v[116:117], v[114:115], v[110:111] op_sel:[1,1] op_sel_hi:[0,1]
	s_delay_alu instid0(VALU_DEP_1) | instskip(SKIP_1) | instid1(VALU_DEP_2)
	v_pk_fma_f32 v[118:119], v[114:115], v[110:111], v[116:117] op_sel_hi:[1,0,1]
	v_pk_fma_f32 v[110:111], v[114:115], v[110:111], v[116:117] neg_lo:[0,0,1] neg_hi:[0,0,1]
	v_mov_b32_e32 v111, v119
	s_cbranch_execz .LBB52_904
	s_branch .LBB52_905
.LBB52_903:
                                        ; implicit-def: $vgpr110_vgpr111
.LBB52_904:
	ds_load_b64 v[110:111], v1
.LBB52_905:
	s_mov_b32 s2, exec_lo
	v_cmpx_ne_u32_e32 38, v0
	s_cbranch_execz .LBB52_909
; %bb.906:
	v_add_nc_u32_e32 v113, 0x1b8, v38
	v_add3_u32 v114, 0, v38, 8
	v_mov_b32_e32 v115, v0
	s_mov_b32 s3, 0
.LBB52_907:                             ; =>This Inner Loop Header: Depth=1
	scratch_load_b64 v[116:117], v114, off
	ds_load_b64 v[118:119], v113
	s_wait_xcnt 0x0
	v_dual_add_nc_u32 v113, 8, v113 :: v_dual_add_nc_u32 v114, 8, v114
	s_wait_loadcnt_dscnt 0x0
	v_pk_mul_f32 v[120:121], v[118:119], v[116:117] op_sel:[1,1] op_sel_hi:[0,1]
	s_delay_alu instid0(VALU_DEP_1) | instskip(SKIP_2) | instid1(VALU_DEP_3)
	v_pk_fma_f32 v[122:123], v[118:119], v[116:117], v[120:121] op_sel_hi:[1,0,1]
	v_add_nc_u32_e32 v115, 1, v115
	v_pk_fma_f32 v[116:117], v[118:119], v[116:117], v[120:121] neg_lo:[0,0,1] neg_hi:[0,0,1]
	v_mov_b32_e32 v117, v123
	s_delay_alu instid0(VALU_DEP_3) | instskip(NEXT) | instid1(VALU_DEP_2)
	v_cmp_lt_u32_e32 vcc_lo, 37, v115
	v_pk_add_f32 v[110:111], v[110:111], v[116:117]
	s_or_b32 s3, vcc_lo, s3
	s_delay_alu instid0(SALU_CYCLE_1)
	s_and_not1_b32 exec_lo, exec_lo, s3
	s_cbranch_execnz .LBB52_907
; %bb.908:
	s_or_b32 exec_lo, exec_lo, s3
.LBB52_909:
	s_delay_alu instid0(SALU_CYCLE_1) | instskip(SKIP_4) | instid1(VALU_DEP_1)
	s_or_b32 exec_lo, exec_lo, s2
	v_mov_b32_e32 v113, 0
	ds_load_b64 v[114:115], v113 offset:312
	s_wait_dscnt 0x0
	v_pk_mul_f32 v[116:117], v[110:111], v[114:115] op_sel:[1,1] op_sel_hi:[0,1]
	v_pk_fma_f32 v[118:119], v[110:111], v[114:115], v[116:117] op_sel_hi:[1,0,1]
	v_pk_fma_f32 v[110:111], v[110:111], v[114:115], v[116:117] neg_lo:[0,0,1] neg_hi:[0,0,1]
	s_delay_alu instid0(VALU_DEP_2)
	v_mov_b32_e32 v111, v119
	scratch_store_b64 off, v[110:111], off offset:312
.LBB52_910:
	s_wait_xcnt 0x0
	s_or_b32 exec_lo, exec_lo, s0
	scratch_load_b64 v[110:111], off, off offset:320
	s_mov_b32 s0, exec_lo
	s_wait_loadcnt 0x0
	ds_store_b64 v1, v[110:111]
	s_wait_storecnt_dscnt 0x0
	s_barrier_signal -1
	s_barrier_wait -1
	s_wait_xcnt 0x0
	v_cmpx_gt_u32_e32 40, v0
	s_cbranch_execz .LBB52_920
; %bb.911:
	v_cmp_ne_u32_e32 vcc_lo, 1, v112
	s_cbranch_vccnz .LBB52_913
; %bb.912:
	scratch_load_b64 v[110:111], v39, off
	ds_load_b64 v[114:115], v1
	s_wait_loadcnt_dscnt 0x0
	v_pk_mul_f32 v[116:117], v[114:115], v[110:111] op_sel:[1,1] op_sel_hi:[0,1]
	s_delay_alu instid0(VALU_DEP_1) | instskip(SKIP_1) | instid1(VALU_DEP_2)
	v_pk_fma_f32 v[118:119], v[114:115], v[110:111], v[116:117] op_sel_hi:[1,0,1]
	v_pk_fma_f32 v[110:111], v[114:115], v[110:111], v[116:117] neg_lo:[0,0,1] neg_hi:[0,0,1]
	v_mov_b32_e32 v111, v119
	s_cbranch_execz .LBB52_914
	s_branch .LBB52_915
.LBB52_913:
                                        ; implicit-def: $vgpr110_vgpr111
.LBB52_914:
	ds_load_b64 v[110:111], v1
.LBB52_915:
	s_mov_b32 s2, exec_lo
	v_cmpx_ne_u32_e32 39, v0
	s_cbranch_execz .LBB52_919
; %bb.916:
	v_add_nc_u32_e32 v113, 0x1b8, v38
	v_add3_u32 v114, 0, v38, 8
	v_mov_b32_e32 v115, v0
	s_mov_b32 s3, 0
.LBB52_917:                             ; =>This Inner Loop Header: Depth=1
	scratch_load_b64 v[116:117], v114, off
	ds_load_b64 v[118:119], v113
	s_wait_xcnt 0x0
	v_dual_add_nc_u32 v113, 8, v113 :: v_dual_add_nc_u32 v114, 8, v114
	s_wait_loadcnt_dscnt 0x0
	v_pk_mul_f32 v[120:121], v[118:119], v[116:117] op_sel:[1,1] op_sel_hi:[0,1]
	s_delay_alu instid0(VALU_DEP_1) | instskip(SKIP_2) | instid1(VALU_DEP_3)
	v_pk_fma_f32 v[122:123], v[118:119], v[116:117], v[120:121] op_sel_hi:[1,0,1]
	v_add_nc_u32_e32 v115, 1, v115
	v_pk_fma_f32 v[116:117], v[118:119], v[116:117], v[120:121] neg_lo:[0,0,1] neg_hi:[0,0,1]
	v_mov_b32_e32 v117, v123
	s_delay_alu instid0(VALU_DEP_3) | instskip(NEXT) | instid1(VALU_DEP_2)
	v_cmp_lt_u32_e32 vcc_lo, 38, v115
	v_pk_add_f32 v[110:111], v[110:111], v[116:117]
	s_or_b32 s3, vcc_lo, s3
	s_delay_alu instid0(SALU_CYCLE_1)
	s_and_not1_b32 exec_lo, exec_lo, s3
	s_cbranch_execnz .LBB52_917
; %bb.918:
	s_or_b32 exec_lo, exec_lo, s3
.LBB52_919:
	s_delay_alu instid0(SALU_CYCLE_1) | instskip(SKIP_4) | instid1(VALU_DEP_1)
	s_or_b32 exec_lo, exec_lo, s2
	v_mov_b32_e32 v113, 0
	ds_load_b64 v[114:115], v113 offset:320
	s_wait_dscnt 0x0
	v_pk_mul_f32 v[116:117], v[110:111], v[114:115] op_sel:[1,1] op_sel_hi:[0,1]
	v_pk_fma_f32 v[118:119], v[110:111], v[114:115], v[116:117] op_sel_hi:[1,0,1]
	v_pk_fma_f32 v[110:111], v[110:111], v[114:115], v[116:117] neg_lo:[0,0,1] neg_hi:[0,0,1]
	s_delay_alu instid0(VALU_DEP_2)
	v_mov_b32_e32 v111, v119
	scratch_store_b64 off, v[110:111], off offset:320
.LBB52_920:
	s_wait_xcnt 0x0
	s_or_b32 exec_lo, exec_lo, s0
	scratch_load_b64 v[110:111], off, off offset:328
	s_mov_b32 s0, exec_lo
	s_wait_loadcnt 0x0
	ds_store_b64 v1, v[110:111]
	s_wait_storecnt_dscnt 0x0
	s_barrier_signal -1
	s_barrier_wait -1
	s_wait_xcnt 0x0
	v_cmpx_gt_u32_e32 41, v0
	s_cbranch_execz .LBB52_930
; %bb.921:
	v_cmp_ne_u32_e32 vcc_lo, 1, v112
	s_cbranch_vccnz .LBB52_923
; %bb.922:
	scratch_load_b64 v[110:111], v39, off
	ds_load_b64 v[114:115], v1
	s_wait_loadcnt_dscnt 0x0
	v_pk_mul_f32 v[116:117], v[114:115], v[110:111] op_sel:[1,1] op_sel_hi:[0,1]
	s_delay_alu instid0(VALU_DEP_1) | instskip(SKIP_1) | instid1(VALU_DEP_2)
	v_pk_fma_f32 v[118:119], v[114:115], v[110:111], v[116:117] op_sel_hi:[1,0,1]
	v_pk_fma_f32 v[110:111], v[114:115], v[110:111], v[116:117] neg_lo:[0,0,1] neg_hi:[0,0,1]
	v_mov_b32_e32 v111, v119
	s_cbranch_execz .LBB52_924
	s_branch .LBB52_925
.LBB52_923:
                                        ; implicit-def: $vgpr110_vgpr111
.LBB52_924:
	ds_load_b64 v[110:111], v1
.LBB52_925:
	s_mov_b32 s2, exec_lo
	v_cmpx_ne_u32_e32 40, v0
	s_cbranch_execz .LBB52_929
; %bb.926:
	v_add_nc_u32_e32 v113, 0x1b8, v38
	v_add3_u32 v114, 0, v38, 8
	v_mov_b32_e32 v115, v0
	s_mov_b32 s3, 0
.LBB52_927:                             ; =>This Inner Loop Header: Depth=1
	scratch_load_b64 v[116:117], v114, off
	ds_load_b64 v[118:119], v113
	s_wait_xcnt 0x0
	v_dual_add_nc_u32 v113, 8, v113 :: v_dual_add_nc_u32 v114, 8, v114
	s_wait_loadcnt_dscnt 0x0
	v_pk_mul_f32 v[120:121], v[118:119], v[116:117] op_sel:[1,1] op_sel_hi:[0,1]
	s_delay_alu instid0(VALU_DEP_1) | instskip(SKIP_2) | instid1(VALU_DEP_3)
	v_pk_fma_f32 v[122:123], v[118:119], v[116:117], v[120:121] op_sel_hi:[1,0,1]
	v_add_nc_u32_e32 v115, 1, v115
	v_pk_fma_f32 v[116:117], v[118:119], v[116:117], v[120:121] neg_lo:[0,0,1] neg_hi:[0,0,1]
	v_mov_b32_e32 v117, v123
	s_delay_alu instid0(VALU_DEP_3) | instskip(NEXT) | instid1(VALU_DEP_2)
	v_cmp_lt_u32_e32 vcc_lo, 39, v115
	v_pk_add_f32 v[110:111], v[110:111], v[116:117]
	s_or_b32 s3, vcc_lo, s3
	s_delay_alu instid0(SALU_CYCLE_1)
	s_and_not1_b32 exec_lo, exec_lo, s3
	s_cbranch_execnz .LBB52_927
; %bb.928:
	s_or_b32 exec_lo, exec_lo, s3
.LBB52_929:
	s_delay_alu instid0(SALU_CYCLE_1) | instskip(SKIP_4) | instid1(VALU_DEP_1)
	s_or_b32 exec_lo, exec_lo, s2
	v_mov_b32_e32 v113, 0
	ds_load_b64 v[114:115], v113 offset:328
	s_wait_dscnt 0x0
	v_pk_mul_f32 v[116:117], v[110:111], v[114:115] op_sel:[1,1] op_sel_hi:[0,1]
	v_pk_fma_f32 v[118:119], v[110:111], v[114:115], v[116:117] op_sel_hi:[1,0,1]
	v_pk_fma_f32 v[110:111], v[110:111], v[114:115], v[116:117] neg_lo:[0,0,1] neg_hi:[0,0,1]
	s_delay_alu instid0(VALU_DEP_2)
	v_mov_b32_e32 v111, v119
	scratch_store_b64 off, v[110:111], off offset:328
.LBB52_930:
	s_wait_xcnt 0x0
	s_or_b32 exec_lo, exec_lo, s0
	scratch_load_b64 v[110:111], off, off offset:336
	s_mov_b32 s0, exec_lo
	s_wait_loadcnt 0x0
	ds_store_b64 v1, v[110:111]
	s_wait_storecnt_dscnt 0x0
	s_barrier_signal -1
	s_barrier_wait -1
	s_wait_xcnt 0x0
	v_cmpx_gt_u32_e32 42, v0
	s_cbranch_execz .LBB52_940
; %bb.931:
	v_cmp_ne_u32_e32 vcc_lo, 1, v112
	s_cbranch_vccnz .LBB52_933
; %bb.932:
	scratch_load_b64 v[110:111], v39, off
	ds_load_b64 v[114:115], v1
	s_wait_loadcnt_dscnt 0x0
	v_pk_mul_f32 v[116:117], v[114:115], v[110:111] op_sel:[1,1] op_sel_hi:[0,1]
	s_delay_alu instid0(VALU_DEP_1) | instskip(SKIP_1) | instid1(VALU_DEP_2)
	v_pk_fma_f32 v[118:119], v[114:115], v[110:111], v[116:117] op_sel_hi:[1,0,1]
	v_pk_fma_f32 v[110:111], v[114:115], v[110:111], v[116:117] neg_lo:[0,0,1] neg_hi:[0,0,1]
	v_mov_b32_e32 v111, v119
	s_cbranch_execz .LBB52_934
	s_branch .LBB52_935
.LBB52_933:
                                        ; implicit-def: $vgpr110_vgpr111
.LBB52_934:
	ds_load_b64 v[110:111], v1
.LBB52_935:
	s_mov_b32 s2, exec_lo
	v_cmpx_ne_u32_e32 41, v0
	s_cbranch_execz .LBB52_939
; %bb.936:
	v_add_nc_u32_e32 v113, 0x1b8, v38
	v_add3_u32 v114, 0, v38, 8
	v_mov_b32_e32 v115, v0
	s_mov_b32 s3, 0
.LBB52_937:                             ; =>This Inner Loop Header: Depth=1
	scratch_load_b64 v[116:117], v114, off
	ds_load_b64 v[118:119], v113
	s_wait_xcnt 0x0
	v_dual_add_nc_u32 v113, 8, v113 :: v_dual_add_nc_u32 v114, 8, v114
	s_wait_loadcnt_dscnt 0x0
	v_pk_mul_f32 v[120:121], v[118:119], v[116:117] op_sel:[1,1] op_sel_hi:[0,1]
	s_delay_alu instid0(VALU_DEP_1) | instskip(SKIP_2) | instid1(VALU_DEP_3)
	v_pk_fma_f32 v[122:123], v[118:119], v[116:117], v[120:121] op_sel_hi:[1,0,1]
	v_add_nc_u32_e32 v115, 1, v115
	v_pk_fma_f32 v[116:117], v[118:119], v[116:117], v[120:121] neg_lo:[0,0,1] neg_hi:[0,0,1]
	v_mov_b32_e32 v117, v123
	s_delay_alu instid0(VALU_DEP_3) | instskip(NEXT) | instid1(VALU_DEP_2)
	v_cmp_lt_u32_e32 vcc_lo, 40, v115
	v_pk_add_f32 v[110:111], v[110:111], v[116:117]
	s_or_b32 s3, vcc_lo, s3
	s_delay_alu instid0(SALU_CYCLE_1)
	s_and_not1_b32 exec_lo, exec_lo, s3
	s_cbranch_execnz .LBB52_937
; %bb.938:
	s_or_b32 exec_lo, exec_lo, s3
.LBB52_939:
	s_delay_alu instid0(SALU_CYCLE_1) | instskip(SKIP_4) | instid1(VALU_DEP_1)
	s_or_b32 exec_lo, exec_lo, s2
	v_mov_b32_e32 v113, 0
	ds_load_b64 v[114:115], v113 offset:336
	s_wait_dscnt 0x0
	v_pk_mul_f32 v[116:117], v[110:111], v[114:115] op_sel:[1,1] op_sel_hi:[0,1]
	v_pk_fma_f32 v[118:119], v[110:111], v[114:115], v[116:117] op_sel_hi:[1,0,1]
	v_pk_fma_f32 v[110:111], v[110:111], v[114:115], v[116:117] neg_lo:[0,0,1] neg_hi:[0,0,1]
	s_delay_alu instid0(VALU_DEP_2)
	v_mov_b32_e32 v111, v119
	scratch_store_b64 off, v[110:111], off offset:336
.LBB52_940:
	s_wait_xcnt 0x0
	s_or_b32 exec_lo, exec_lo, s0
	scratch_load_b64 v[110:111], off, off offset:344
	s_mov_b32 s0, exec_lo
	s_wait_loadcnt 0x0
	ds_store_b64 v1, v[110:111]
	s_wait_storecnt_dscnt 0x0
	s_barrier_signal -1
	s_barrier_wait -1
	s_wait_xcnt 0x0
	v_cmpx_gt_u32_e32 43, v0
	s_cbranch_execz .LBB52_950
; %bb.941:
	v_cmp_ne_u32_e32 vcc_lo, 1, v112
	s_cbranch_vccnz .LBB52_943
; %bb.942:
	scratch_load_b64 v[110:111], v39, off
	ds_load_b64 v[114:115], v1
	s_wait_loadcnt_dscnt 0x0
	v_pk_mul_f32 v[116:117], v[114:115], v[110:111] op_sel:[1,1] op_sel_hi:[0,1]
	s_delay_alu instid0(VALU_DEP_1) | instskip(SKIP_1) | instid1(VALU_DEP_2)
	v_pk_fma_f32 v[118:119], v[114:115], v[110:111], v[116:117] op_sel_hi:[1,0,1]
	v_pk_fma_f32 v[110:111], v[114:115], v[110:111], v[116:117] neg_lo:[0,0,1] neg_hi:[0,0,1]
	v_mov_b32_e32 v111, v119
	s_cbranch_execz .LBB52_944
	s_branch .LBB52_945
.LBB52_943:
                                        ; implicit-def: $vgpr110_vgpr111
.LBB52_944:
	ds_load_b64 v[110:111], v1
.LBB52_945:
	s_mov_b32 s2, exec_lo
	v_cmpx_ne_u32_e32 42, v0
	s_cbranch_execz .LBB52_949
; %bb.946:
	v_add_nc_u32_e32 v113, 0x1b8, v38
	v_add3_u32 v114, 0, v38, 8
	v_mov_b32_e32 v115, v0
	s_mov_b32 s3, 0
.LBB52_947:                             ; =>This Inner Loop Header: Depth=1
	scratch_load_b64 v[116:117], v114, off
	ds_load_b64 v[118:119], v113
	s_wait_xcnt 0x0
	v_dual_add_nc_u32 v113, 8, v113 :: v_dual_add_nc_u32 v114, 8, v114
	s_wait_loadcnt_dscnt 0x0
	v_pk_mul_f32 v[120:121], v[118:119], v[116:117] op_sel:[1,1] op_sel_hi:[0,1]
	s_delay_alu instid0(VALU_DEP_1) | instskip(SKIP_2) | instid1(VALU_DEP_3)
	v_pk_fma_f32 v[122:123], v[118:119], v[116:117], v[120:121] op_sel_hi:[1,0,1]
	v_add_nc_u32_e32 v115, 1, v115
	v_pk_fma_f32 v[116:117], v[118:119], v[116:117], v[120:121] neg_lo:[0,0,1] neg_hi:[0,0,1]
	v_mov_b32_e32 v117, v123
	s_delay_alu instid0(VALU_DEP_3) | instskip(NEXT) | instid1(VALU_DEP_2)
	v_cmp_lt_u32_e32 vcc_lo, 41, v115
	v_pk_add_f32 v[110:111], v[110:111], v[116:117]
	s_or_b32 s3, vcc_lo, s3
	s_delay_alu instid0(SALU_CYCLE_1)
	s_and_not1_b32 exec_lo, exec_lo, s3
	s_cbranch_execnz .LBB52_947
; %bb.948:
	s_or_b32 exec_lo, exec_lo, s3
.LBB52_949:
	s_delay_alu instid0(SALU_CYCLE_1) | instskip(SKIP_4) | instid1(VALU_DEP_1)
	s_or_b32 exec_lo, exec_lo, s2
	v_mov_b32_e32 v113, 0
	ds_load_b64 v[114:115], v113 offset:344
	s_wait_dscnt 0x0
	v_pk_mul_f32 v[116:117], v[110:111], v[114:115] op_sel:[1,1] op_sel_hi:[0,1]
	v_pk_fma_f32 v[118:119], v[110:111], v[114:115], v[116:117] op_sel_hi:[1,0,1]
	v_pk_fma_f32 v[110:111], v[110:111], v[114:115], v[116:117] neg_lo:[0,0,1] neg_hi:[0,0,1]
	s_delay_alu instid0(VALU_DEP_2)
	v_mov_b32_e32 v111, v119
	scratch_store_b64 off, v[110:111], off offset:344
.LBB52_950:
	s_wait_xcnt 0x0
	s_or_b32 exec_lo, exec_lo, s0
	scratch_load_b64 v[110:111], off, off offset:352
	s_mov_b32 s0, exec_lo
	s_wait_loadcnt 0x0
	ds_store_b64 v1, v[110:111]
	s_wait_storecnt_dscnt 0x0
	s_barrier_signal -1
	s_barrier_wait -1
	s_wait_xcnt 0x0
	v_cmpx_gt_u32_e32 44, v0
	s_cbranch_execz .LBB52_960
; %bb.951:
	v_cmp_ne_u32_e32 vcc_lo, 1, v112
	s_cbranch_vccnz .LBB52_953
; %bb.952:
	scratch_load_b64 v[110:111], v39, off
	ds_load_b64 v[114:115], v1
	s_wait_loadcnt_dscnt 0x0
	v_pk_mul_f32 v[116:117], v[114:115], v[110:111] op_sel:[1,1] op_sel_hi:[0,1]
	s_delay_alu instid0(VALU_DEP_1) | instskip(SKIP_1) | instid1(VALU_DEP_2)
	v_pk_fma_f32 v[118:119], v[114:115], v[110:111], v[116:117] op_sel_hi:[1,0,1]
	v_pk_fma_f32 v[110:111], v[114:115], v[110:111], v[116:117] neg_lo:[0,0,1] neg_hi:[0,0,1]
	v_mov_b32_e32 v111, v119
	s_cbranch_execz .LBB52_954
	s_branch .LBB52_955
.LBB52_953:
                                        ; implicit-def: $vgpr110_vgpr111
.LBB52_954:
	ds_load_b64 v[110:111], v1
.LBB52_955:
	s_mov_b32 s2, exec_lo
	v_cmpx_ne_u32_e32 43, v0
	s_cbranch_execz .LBB52_959
; %bb.956:
	v_add_nc_u32_e32 v113, 0x1b8, v38
	v_add3_u32 v114, 0, v38, 8
	v_mov_b32_e32 v115, v0
	s_mov_b32 s3, 0
.LBB52_957:                             ; =>This Inner Loop Header: Depth=1
	scratch_load_b64 v[116:117], v114, off
	ds_load_b64 v[118:119], v113
	s_wait_xcnt 0x0
	v_dual_add_nc_u32 v113, 8, v113 :: v_dual_add_nc_u32 v114, 8, v114
	s_wait_loadcnt_dscnt 0x0
	v_pk_mul_f32 v[120:121], v[118:119], v[116:117] op_sel:[1,1] op_sel_hi:[0,1]
	s_delay_alu instid0(VALU_DEP_1) | instskip(SKIP_2) | instid1(VALU_DEP_3)
	v_pk_fma_f32 v[122:123], v[118:119], v[116:117], v[120:121] op_sel_hi:[1,0,1]
	v_add_nc_u32_e32 v115, 1, v115
	v_pk_fma_f32 v[116:117], v[118:119], v[116:117], v[120:121] neg_lo:[0,0,1] neg_hi:[0,0,1]
	v_mov_b32_e32 v117, v123
	s_delay_alu instid0(VALU_DEP_3) | instskip(NEXT) | instid1(VALU_DEP_2)
	v_cmp_lt_u32_e32 vcc_lo, 42, v115
	v_pk_add_f32 v[110:111], v[110:111], v[116:117]
	s_or_b32 s3, vcc_lo, s3
	s_delay_alu instid0(SALU_CYCLE_1)
	s_and_not1_b32 exec_lo, exec_lo, s3
	s_cbranch_execnz .LBB52_957
; %bb.958:
	s_or_b32 exec_lo, exec_lo, s3
.LBB52_959:
	s_delay_alu instid0(SALU_CYCLE_1) | instskip(SKIP_4) | instid1(VALU_DEP_1)
	s_or_b32 exec_lo, exec_lo, s2
	v_mov_b32_e32 v113, 0
	ds_load_b64 v[114:115], v113 offset:352
	s_wait_dscnt 0x0
	v_pk_mul_f32 v[116:117], v[110:111], v[114:115] op_sel:[1,1] op_sel_hi:[0,1]
	v_pk_fma_f32 v[118:119], v[110:111], v[114:115], v[116:117] op_sel_hi:[1,0,1]
	v_pk_fma_f32 v[110:111], v[110:111], v[114:115], v[116:117] neg_lo:[0,0,1] neg_hi:[0,0,1]
	s_delay_alu instid0(VALU_DEP_2)
	v_mov_b32_e32 v111, v119
	scratch_store_b64 off, v[110:111], off offset:352
.LBB52_960:
	s_wait_xcnt 0x0
	s_or_b32 exec_lo, exec_lo, s0
	scratch_load_b64 v[110:111], off, off offset:360
	s_mov_b32 s0, exec_lo
	s_wait_loadcnt 0x0
	ds_store_b64 v1, v[110:111]
	s_wait_storecnt_dscnt 0x0
	s_barrier_signal -1
	s_barrier_wait -1
	s_wait_xcnt 0x0
	v_cmpx_gt_u32_e32 45, v0
	s_cbranch_execz .LBB52_970
; %bb.961:
	v_cmp_ne_u32_e32 vcc_lo, 1, v112
	s_cbranch_vccnz .LBB52_963
; %bb.962:
	scratch_load_b64 v[110:111], v39, off
	ds_load_b64 v[114:115], v1
	s_wait_loadcnt_dscnt 0x0
	v_pk_mul_f32 v[116:117], v[114:115], v[110:111] op_sel:[1,1] op_sel_hi:[0,1]
	s_delay_alu instid0(VALU_DEP_1) | instskip(SKIP_1) | instid1(VALU_DEP_2)
	v_pk_fma_f32 v[118:119], v[114:115], v[110:111], v[116:117] op_sel_hi:[1,0,1]
	v_pk_fma_f32 v[110:111], v[114:115], v[110:111], v[116:117] neg_lo:[0,0,1] neg_hi:[0,0,1]
	v_mov_b32_e32 v111, v119
	s_cbranch_execz .LBB52_964
	s_branch .LBB52_965
.LBB52_963:
                                        ; implicit-def: $vgpr110_vgpr111
.LBB52_964:
	ds_load_b64 v[110:111], v1
.LBB52_965:
	s_mov_b32 s2, exec_lo
	v_cmpx_ne_u32_e32 44, v0
	s_cbranch_execz .LBB52_969
; %bb.966:
	v_add_nc_u32_e32 v113, 0x1b8, v38
	v_add3_u32 v114, 0, v38, 8
	v_mov_b32_e32 v115, v0
	s_mov_b32 s3, 0
.LBB52_967:                             ; =>This Inner Loop Header: Depth=1
	scratch_load_b64 v[116:117], v114, off
	ds_load_b64 v[118:119], v113
	s_wait_xcnt 0x0
	v_dual_add_nc_u32 v113, 8, v113 :: v_dual_add_nc_u32 v114, 8, v114
	s_wait_loadcnt_dscnt 0x0
	v_pk_mul_f32 v[120:121], v[118:119], v[116:117] op_sel:[1,1] op_sel_hi:[0,1]
	s_delay_alu instid0(VALU_DEP_1) | instskip(SKIP_2) | instid1(VALU_DEP_3)
	v_pk_fma_f32 v[122:123], v[118:119], v[116:117], v[120:121] op_sel_hi:[1,0,1]
	v_add_nc_u32_e32 v115, 1, v115
	v_pk_fma_f32 v[116:117], v[118:119], v[116:117], v[120:121] neg_lo:[0,0,1] neg_hi:[0,0,1]
	v_mov_b32_e32 v117, v123
	s_delay_alu instid0(VALU_DEP_3) | instskip(NEXT) | instid1(VALU_DEP_2)
	v_cmp_lt_u32_e32 vcc_lo, 43, v115
	v_pk_add_f32 v[110:111], v[110:111], v[116:117]
	s_or_b32 s3, vcc_lo, s3
	s_delay_alu instid0(SALU_CYCLE_1)
	s_and_not1_b32 exec_lo, exec_lo, s3
	s_cbranch_execnz .LBB52_967
; %bb.968:
	s_or_b32 exec_lo, exec_lo, s3
.LBB52_969:
	s_delay_alu instid0(SALU_CYCLE_1) | instskip(SKIP_4) | instid1(VALU_DEP_1)
	s_or_b32 exec_lo, exec_lo, s2
	v_mov_b32_e32 v113, 0
	ds_load_b64 v[114:115], v113 offset:360
	s_wait_dscnt 0x0
	v_pk_mul_f32 v[116:117], v[110:111], v[114:115] op_sel:[1,1] op_sel_hi:[0,1]
	v_pk_fma_f32 v[118:119], v[110:111], v[114:115], v[116:117] op_sel_hi:[1,0,1]
	v_pk_fma_f32 v[110:111], v[110:111], v[114:115], v[116:117] neg_lo:[0,0,1] neg_hi:[0,0,1]
	s_delay_alu instid0(VALU_DEP_2)
	v_mov_b32_e32 v111, v119
	scratch_store_b64 off, v[110:111], off offset:360
.LBB52_970:
	s_wait_xcnt 0x0
	s_or_b32 exec_lo, exec_lo, s0
	scratch_load_b64 v[110:111], off, off offset:368
	s_mov_b32 s0, exec_lo
	s_wait_loadcnt 0x0
	ds_store_b64 v1, v[110:111]
	s_wait_storecnt_dscnt 0x0
	s_barrier_signal -1
	s_barrier_wait -1
	s_wait_xcnt 0x0
	v_cmpx_gt_u32_e32 46, v0
	s_cbranch_execz .LBB52_980
; %bb.971:
	v_cmp_ne_u32_e32 vcc_lo, 1, v112
	s_cbranch_vccnz .LBB52_973
; %bb.972:
	scratch_load_b64 v[110:111], v39, off
	ds_load_b64 v[114:115], v1
	s_wait_loadcnt_dscnt 0x0
	v_pk_mul_f32 v[116:117], v[114:115], v[110:111] op_sel:[1,1] op_sel_hi:[0,1]
	s_delay_alu instid0(VALU_DEP_1) | instskip(SKIP_1) | instid1(VALU_DEP_2)
	v_pk_fma_f32 v[118:119], v[114:115], v[110:111], v[116:117] op_sel_hi:[1,0,1]
	v_pk_fma_f32 v[110:111], v[114:115], v[110:111], v[116:117] neg_lo:[0,0,1] neg_hi:[0,0,1]
	v_mov_b32_e32 v111, v119
	s_cbranch_execz .LBB52_974
	s_branch .LBB52_975
.LBB52_973:
                                        ; implicit-def: $vgpr110_vgpr111
.LBB52_974:
	ds_load_b64 v[110:111], v1
.LBB52_975:
	s_mov_b32 s2, exec_lo
	v_cmpx_ne_u32_e32 45, v0
	s_cbranch_execz .LBB52_979
; %bb.976:
	v_add_nc_u32_e32 v113, 0x1b8, v38
	v_add3_u32 v114, 0, v38, 8
	v_mov_b32_e32 v115, v0
	s_mov_b32 s3, 0
.LBB52_977:                             ; =>This Inner Loop Header: Depth=1
	scratch_load_b64 v[116:117], v114, off
	ds_load_b64 v[118:119], v113
	s_wait_xcnt 0x0
	v_dual_add_nc_u32 v113, 8, v113 :: v_dual_add_nc_u32 v114, 8, v114
	s_wait_loadcnt_dscnt 0x0
	v_pk_mul_f32 v[120:121], v[118:119], v[116:117] op_sel:[1,1] op_sel_hi:[0,1]
	s_delay_alu instid0(VALU_DEP_1) | instskip(SKIP_2) | instid1(VALU_DEP_3)
	v_pk_fma_f32 v[122:123], v[118:119], v[116:117], v[120:121] op_sel_hi:[1,0,1]
	v_add_nc_u32_e32 v115, 1, v115
	v_pk_fma_f32 v[116:117], v[118:119], v[116:117], v[120:121] neg_lo:[0,0,1] neg_hi:[0,0,1]
	v_mov_b32_e32 v117, v123
	s_delay_alu instid0(VALU_DEP_3) | instskip(NEXT) | instid1(VALU_DEP_2)
	v_cmp_lt_u32_e32 vcc_lo, 44, v115
	v_pk_add_f32 v[110:111], v[110:111], v[116:117]
	s_or_b32 s3, vcc_lo, s3
	s_delay_alu instid0(SALU_CYCLE_1)
	s_and_not1_b32 exec_lo, exec_lo, s3
	s_cbranch_execnz .LBB52_977
; %bb.978:
	s_or_b32 exec_lo, exec_lo, s3
.LBB52_979:
	s_delay_alu instid0(SALU_CYCLE_1) | instskip(SKIP_4) | instid1(VALU_DEP_1)
	s_or_b32 exec_lo, exec_lo, s2
	v_mov_b32_e32 v113, 0
	ds_load_b64 v[114:115], v113 offset:368
	s_wait_dscnt 0x0
	v_pk_mul_f32 v[116:117], v[110:111], v[114:115] op_sel:[1,1] op_sel_hi:[0,1]
	v_pk_fma_f32 v[118:119], v[110:111], v[114:115], v[116:117] op_sel_hi:[1,0,1]
	v_pk_fma_f32 v[110:111], v[110:111], v[114:115], v[116:117] neg_lo:[0,0,1] neg_hi:[0,0,1]
	s_delay_alu instid0(VALU_DEP_2)
	v_mov_b32_e32 v111, v119
	scratch_store_b64 off, v[110:111], off offset:368
.LBB52_980:
	s_wait_xcnt 0x0
	s_or_b32 exec_lo, exec_lo, s0
	scratch_load_b64 v[110:111], off, off offset:376
	s_mov_b32 s0, exec_lo
	s_wait_loadcnt 0x0
	ds_store_b64 v1, v[110:111]
	s_wait_storecnt_dscnt 0x0
	s_barrier_signal -1
	s_barrier_wait -1
	s_wait_xcnt 0x0
	v_cmpx_gt_u32_e32 47, v0
	s_cbranch_execz .LBB52_990
; %bb.981:
	v_cmp_ne_u32_e32 vcc_lo, 1, v112
	s_cbranch_vccnz .LBB52_983
; %bb.982:
	scratch_load_b64 v[110:111], v39, off
	ds_load_b64 v[114:115], v1
	s_wait_loadcnt_dscnt 0x0
	v_pk_mul_f32 v[116:117], v[114:115], v[110:111] op_sel:[1,1] op_sel_hi:[0,1]
	s_delay_alu instid0(VALU_DEP_1) | instskip(SKIP_1) | instid1(VALU_DEP_2)
	v_pk_fma_f32 v[118:119], v[114:115], v[110:111], v[116:117] op_sel_hi:[1,0,1]
	v_pk_fma_f32 v[110:111], v[114:115], v[110:111], v[116:117] neg_lo:[0,0,1] neg_hi:[0,0,1]
	v_mov_b32_e32 v111, v119
	s_cbranch_execz .LBB52_984
	s_branch .LBB52_985
.LBB52_983:
                                        ; implicit-def: $vgpr110_vgpr111
.LBB52_984:
	ds_load_b64 v[110:111], v1
.LBB52_985:
	s_mov_b32 s2, exec_lo
	v_cmpx_ne_u32_e32 46, v0
	s_cbranch_execz .LBB52_989
; %bb.986:
	v_add_nc_u32_e32 v113, 0x1b8, v38
	v_add3_u32 v114, 0, v38, 8
	v_mov_b32_e32 v115, v0
	s_mov_b32 s3, 0
.LBB52_987:                             ; =>This Inner Loop Header: Depth=1
	scratch_load_b64 v[116:117], v114, off
	ds_load_b64 v[118:119], v113
	s_wait_xcnt 0x0
	v_dual_add_nc_u32 v113, 8, v113 :: v_dual_add_nc_u32 v114, 8, v114
	s_wait_loadcnt_dscnt 0x0
	v_pk_mul_f32 v[120:121], v[118:119], v[116:117] op_sel:[1,1] op_sel_hi:[0,1]
	s_delay_alu instid0(VALU_DEP_1) | instskip(SKIP_2) | instid1(VALU_DEP_3)
	v_pk_fma_f32 v[122:123], v[118:119], v[116:117], v[120:121] op_sel_hi:[1,0,1]
	v_add_nc_u32_e32 v115, 1, v115
	v_pk_fma_f32 v[116:117], v[118:119], v[116:117], v[120:121] neg_lo:[0,0,1] neg_hi:[0,0,1]
	v_mov_b32_e32 v117, v123
	s_delay_alu instid0(VALU_DEP_3) | instskip(NEXT) | instid1(VALU_DEP_2)
	v_cmp_lt_u32_e32 vcc_lo, 45, v115
	v_pk_add_f32 v[110:111], v[110:111], v[116:117]
	s_or_b32 s3, vcc_lo, s3
	s_delay_alu instid0(SALU_CYCLE_1)
	s_and_not1_b32 exec_lo, exec_lo, s3
	s_cbranch_execnz .LBB52_987
; %bb.988:
	s_or_b32 exec_lo, exec_lo, s3
.LBB52_989:
	s_delay_alu instid0(SALU_CYCLE_1) | instskip(SKIP_4) | instid1(VALU_DEP_1)
	s_or_b32 exec_lo, exec_lo, s2
	v_mov_b32_e32 v113, 0
	ds_load_b64 v[114:115], v113 offset:376
	s_wait_dscnt 0x0
	v_pk_mul_f32 v[116:117], v[110:111], v[114:115] op_sel:[1,1] op_sel_hi:[0,1]
	v_pk_fma_f32 v[118:119], v[110:111], v[114:115], v[116:117] op_sel_hi:[1,0,1]
	v_pk_fma_f32 v[110:111], v[110:111], v[114:115], v[116:117] neg_lo:[0,0,1] neg_hi:[0,0,1]
	s_delay_alu instid0(VALU_DEP_2)
	v_mov_b32_e32 v111, v119
	scratch_store_b64 off, v[110:111], off offset:376
.LBB52_990:
	s_wait_xcnt 0x0
	s_or_b32 exec_lo, exec_lo, s0
	scratch_load_b64 v[110:111], off, off offset:384
	s_mov_b32 s0, exec_lo
	s_wait_loadcnt 0x0
	ds_store_b64 v1, v[110:111]
	s_wait_storecnt_dscnt 0x0
	s_barrier_signal -1
	s_barrier_wait -1
	s_wait_xcnt 0x0
	v_cmpx_gt_u32_e32 48, v0
	s_cbranch_execz .LBB52_1000
; %bb.991:
	v_cmp_ne_u32_e32 vcc_lo, 1, v112
	s_cbranch_vccnz .LBB52_993
; %bb.992:
	scratch_load_b64 v[110:111], v39, off
	ds_load_b64 v[114:115], v1
	s_wait_loadcnt_dscnt 0x0
	v_pk_mul_f32 v[116:117], v[114:115], v[110:111] op_sel:[1,1] op_sel_hi:[0,1]
	s_delay_alu instid0(VALU_DEP_1) | instskip(SKIP_1) | instid1(VALU_DEP_2)
	v_pk_fma_f32 v[118:119], v[114:115], v[110:111], v[116:117] op_sel_hi:[1,0,1]
	v_pk_fma_f32 v[110:111], v[114:115], v[110:111], v[116:117] neg_lo:[0,0,1] neg_hi:[0,0,1]
	v_mov_b32_e32 v111, v119
	s_cbranch_execz .LBB52_994
	s_branch .LBB52_995
.LBB52_993:
                                        ; implicit-def: $vgpr110_vgpr111
.LBB52_994:
	ds_load_b64 v[110:111], v1
.LBB52_995:
	s_mov_b32 s2, exec_lo
	v_cmpx_ne_u32_e32 47, v0
	s_cbranch_execz .LBB52_999
; %bb.996:
	v_add_nc_u32_e32 v113, 0x1b8, v38
	v_add3_u32 v114, 0, v38, 8
	v_mov_b32_e32 v115, v0
	s_mov_b32 s3, 0
.LBB52_997:                             ; =>This Inner Loop Header: Depth=1
	scratch_load_b64 v[116:117], v114, off
	ds_load_b64 v[118:119], v113
	s_wait_xcnt 0x0
	v_dual_add_nc_u32 v113, 8, v113 :: v_dual_add_nc_u32 v114, 8, v114
	s_wait_loadcnt_dscnt 0x0
	v_pk_mul_f32 v[120:121], v[118:119], v[116:117] op_sel:[1,1] op_sel_hi:[0,1]
	s_delay_alu instid0(VALU_DEP_1) | instskip(SKIP_2) | instid1(VALU_DEP_3)
	v_pk_fma_f32 v[122:123], v[118:119], v[116:117], v[120:121] op_sel_hi:[1,0,1]
	v_add_nc_u32_e32 v115, 1, v115
	v_pk_fma_f32 v[116:117], v[118:119], v[116:117], v[120:121] neg_lo:[0,0,1] neg_hi:[0,0,1]
	v_mov_b32_e32 v117, v123
	s_delay_alu instid0(VALU_DEP_3) | instskip(NEXT) | instid1(VALU_DEP_2)
	v_cmp_lt_u32_e32 vcc_lo, 46, v115
	v_pk_add_f32 v[110:111], v[110:111], v[116:117]
	s_or_b32 s3, vcc_lo, s3
	s_delay_alu instid0(SALU_CYCLE_1)
	s_and_not1_b32 exec_lo, exec_lo, s3
	s_cbranch_execnz .LBB52_997
; %bb.998:
	s_or_b32 exec_lo, exec_lo, s3
.LBB52_999:
	s_delay_alu instid0(SALU_CYCLE_1) | instskip(SKIP_4) | instid1(VALU_DEP_1)
	s_or_b32 exec_lo, exec_lo, s2
	v_mov_b32_e32 v113, 0
	ds_load_b64 v[114:115], v113 offset:384
	s_wait_dscnt 0x0
	v_pk_mul_f32 v[116:117], v[110:111], v[114:115] op_sel:[1,1] op_sel_hi:[0,1]
	v_pk_fma_f32 v[118:119], v[110:111], v[114:115], v[116:117] op_sel_hi:[1,0,1]
	v_pk_fma_f32 v[110:111], v[110:111], v[114:115], v[116:117] neg_lo:[0,0,1] neg_hi:[0,0,1]
	s_delay_alu instid0(VALU_DEP_2)
	v_mov_b32_e32 v111, v119
	scratch_store_b64 off, v[110:111], off offset:384
.LBB52_1000:
	s_wait_xcnt 0x0
	s_or_b32 exec_lo, exec_lo, s0
	scratch_load_b64 v[110:111], off, off offset:392
	s_mov_b32 s0, exec_lo
	s_wait_loadcnt 0x0
	ds_store_b64 v1, v[110:111]
	s_wait_storecnt_dscnt 0x0
	s_barrier_signal -1
	s_barrier_wait -1
	s_wait_xcnt 0x0
	v_cmpx_gt_u32_e32 49, v0
	s_cbranch_execz .LBB52_1010
; %bb.1001:
	v_cmp_ne_u32_e32 vcc_lo, 1, v112
	s_cbranch_vccnz .LBB52_1003
; %bb.1002:
	scratch_load_b64 v[110:111], v39, off
	ds_load_b64 v[114:115], v1
	s_wait_loadcnt_dscnt 0x0
	v_pk_mul_f32 v[116:117], v[114:115], v[110:111] op_sel:[1,1] op_sel_hi:[0,1]
	s_delay_alu instid0(VALU_DEP_1) | instskip(SKIP_1) | instid1(VALU_DEP_2)
	v_pk_fma_f32 v[118:119], v[114:115], v[110:111], v[116:117] op_sel_hi:[1,0,1]
	v_pk_fma_f32 v[110:111], v[114:115], v[110:111], v[116:117] neg_lo:[0,0,1] neg_hi:[0,0,1]
	v_mov_b32_e32 v111, v119
	s_cbranch_execz .LBB52_1004
	s_branch .LBB52_1005
.LBB52_1003:
                                        ; implicit-def: $vgpr110_vgpr111
.LBB52_1004:
	ds_load_b64 v[110:111], v1
.LBB52_1005:
	s_mov_b32 s2, exec_lo
	v_cmpx_ne_u32_e32 48, v0
	s_cbranch_execz .LBB52_1009
; %bb.1006:
	v_add_nc_u32_e32 v113, 0x1b8, v38
	v_add3_u32 v114, 0, v38, 8
	v_mov_b32_e32 v115, v0
	s_mov_b32 s3, 0
.LBB52_1007:                            ; =>This Inner Loop Header: Depth=1
	scratch_load_b64 v[116:117], v114, off
	ds_load_b64 v[118:119], v113
	s_wait_xcnt 0x0
	v_dual_add_nc_u32 v113, 8, v113 :: v_dual_add_nc_u32 v114, 8, v114
	s_wait_loadcnt_dscnt 0x0
	v_pk_mul_f32 v[120:121], v[118:119], v[116:117] op_sel:[1,1] op_sel_hi:[0,1]
	s_delay_alu instid0(VALU_DEP_1) | instskip(SKIP_2) | instid1(VALU_DEP_3)
	v_pk_fma_f32 v[122:123], v[118:119], v[116:117], v[120:121] op_sel_hi:[1,0,1]
	v_add_nc_u32_e32 v115, 1, v115
	v_pk_fma_f32 v[116:117], v[118:119], v[116:117], v[120:121] neg_lo:[0,0,1] neg_hi:[0,0,1]
	v_mov_b32_e32 v117, v123
	s_delay_alu instid0(VALU_DEP_3) | instskip(NEXT) | instid1(VALU_DEP_2)
	v_cmp_lt_u32_e32 vcc_lo, 47, v115
	v_pk_add_f32 v[110:111], v[110:111], v[116:117]
	s_or_b32 s3, vcc_lo, s3
	s_delay_alu instid0(SALU_CYCLE_1)
	s_and_not1_b32 exec_lo, exec_lo, s3
	s_cbranch_execnz .LBB52_1007
; %bb.1008:
	s_or_b32 exec_lo, exec_lo, s3
.LBB52_1009:
	s_delay_alu instid0(SALU_CYCLE_1) | instskip(SKIP_4) | instid1(VALU_DEP_1)
	s_or_b32 exec_lo, exec_lo, s2
	v_mov_b32_e32 v113, 0
	ds_load_b64 v[114:115], v113 offset:392
	s_wait_dscnt 0x0
	v_pk_mul_f32 v[116:117], v[110:111], v[114:115] op_sel:[1,1] op_sel_hi:[0,1]
	v_pk_fma_f32 v[118:119], v[110:111], v[114:115], v[116:117] op_sel_hi:[1,0,1]
	v_pk_fma_f32 v[110:111], v[110:111], v[114:115], v[116:117] neg_lo:[0,0,1] neg_hi:[0,0,1]
	s_delay_alu instid0(VALU_DEP_2)
	v_mov_b32_e32 v111, v119
	scratch_store_b64 off, v[110:111], off offset:392
.LBB52_1010:
	s_wait_xcnt 0x0
	s_or_b32 exec_lo, exec_lo, s0
	scratch_load_b64 v[110:111], off, off offset:400
	s_mov_b32 s0, exec_lo
	s_wait_loadcnt 0x0
	ds_store_b64 v1, v[110:111]
	s_wait_storecnt_dscnt 0x0
	s_barrier_signal -1
	s_barrier_wait -1
	s_wait_xcnt 0x0
	v_cmpx_gt_u32_e32 50, v0
	s_cbranch_execz .LBB52_1020
; %bb.1011:
	v_cmp_ne_u32_e32 vcc_lo, 1, v112
	s_cbranch_vccnz .LBB52_1013
; %bb.1012:
	scratch_load_b64 v[110:111], v39, off
	ds_load_b64 v[114:115], v1
	s_wait_loadcnt_dscnt 0x0
	v_pk_mul_f32 v[116:117], v[114:115], v[110:111] op_sel:[1,1] op_sel_hi:[0,1]
	s_delay_alu instid0(VALU_DEP_1) | instskip(SKIP_1) | instid1(VALU_DEP_2)
	v_pk_fma_f32 v[118:119], v[114:115], v[110:111], v[116:117] op_sel_hi:[1,0,1]
	v_pk_fma_f32 v[110:111], v[114:115], v[110:111], v[116:117] neg_lo:[0,0,1] neg_hi:[0,0,1]
	v_mov_b32_e32 v111, v119
	s_cbranch_execz .LBB52_1014
	s_branch .LBB52_1015
.LBB52_1013:
                                        ; implicit-def: $vgpr110_vgpr111
.LBB52_1014:
	ds_load_b64 v[110:111], v1
.LBB52_1015:
	s_mov_b32 s2, exec_lo
	v_cmpx_ne_u32_e32 49, v0
	s_cbranch_execz .LBB52_1019
; %bb.1016:
	v_add_nc_u32_e32 v113, 0x1b8, v38
	v_add3_u32 v114, 0, v38, 8
	v_mov_b32_e32 v115, v0
	s_mov_b32 s3, 0
.LBB52_1017:                            ; =>This Inner Loop Header: Depth=1
	scratch_load_b64 v[116:117], v114, off
	ds_load_b64 v[118:119], v113
	s_wait_xcnt 0x0
	v_dual_add_nc_u32 v113, 8, v113 :: v_dual_add_nc_u32 v114, 8, v114
	s_wait_loadcnt_dscnt 0x0
	v_pk_mul_f32 v[120:121], v[118:119], v[116:117] op_sel:[1,1] op_sel_hi:[0,1]
	s_delay_alu instid0(VALU_DEP_1) | instskip(SKIP_2) | instid1(VALU_DEP_3)
	v_pk_fma_f32 v[122:123], v[118:119], v[116:117], v[120:121] op_sel_hi:[1,0,1]
	v_add_nc_u32_e32 v115, 1, v115
	v_pk_fma_f32 v[116:117], v[118:119], v[116:117], v[120:121] neg_lo:[0,0,1] neg_hi:[0,0,1]
	v_mov_b32_e32 v117, v123
	s_delay_alu instid0(VALU_DEP_3) | instskip(NEXT) | instid1(VALU_DEP_2)
	v_cmp_lt_u32_e32 vcc_lo, 48, v115
	v_pk_add_f32 v[110:111], v[110:111], v[116:117]
	s_or_b32 s3, vcc_lo, s3
	s_delay_alu instid0(SALU_CYCLE_1)
	s_and_not1_b32 exec_lo, exec_lo, s3
	s_cbranch_execnz .LBB52_1017
; %bb.1018:
	s_or_b32 exec_lo, exec_lo, s3
.LBB52_1019:
	s_delay_alu instid0(SALU_CYCLE_1) | instskip(SKIP_4) | instid1(VALU_DEP_1)
	s_or_b32 exec_lo, exec_lo, s2
	v_mov_b32_e32 v113, 0
	ds_load_b64 v[114:115], v113 offset:400
	s_wait_dscnt 0x0
	v_pk_mul_f32 v[116:117], v[110:111], v[114:115] op_sel:[1,1] op_sel_hi:[0,1]
	v_pk_fma_f32 v[118:119], v[110:111], v[114:115], v[116:117] op_sel_hi:[1,0,1]
	v_pk_fma_f32 v[110:111], v[110:111], v[114:115], v[116:117] neg_lo:[0,0,1] neg_hi:[0,0,1]
	s_delay_alu instid0(VALU_DEP_2)
	v_mov_b32_e32 v111, v119
	scratch_store_b64 off, v[110:111], off offset:400
.LBB52_1020:
	s_wait_xcnt 0x0
	s_or_b32 exec_lo, exec_lo, s0
	scratch_load_b64 v[110:111], off, off offset:408
	v_cmp_gt_u32_e64 s0, 51, v0
	s_wait_loadcnt 0x0
	ds_store_b64 v1, v[110:111]
	s_wait_storecnt_dscnt 0x0
	s_barrier_signal -1
	s_barrier_wait -1
	s_wait_xcnt 0x0
	s_and_saveexec_b32 s2, s0
	s_cbranch_execz .LBB52_1030
; %bb.1021:
	v_cmp_ne_u32_e32 vcc_lo, 1, v112
	s_cbranch_vccnz .LBB52_1023
; %bb.1022:
	scratch_load_b64 v[110:111], v39, off
	ds_load_b64 v[114:115], v1
	s_wait_loadcnt_dscnt 0x0
	v_pk_mul_f32 v[116:117], v[114:115], v[110:111] op_sel:[1,1] op_sel_hi:[0,1]
	s_delay_alu instid0(VALU_DEP_1) | instskip(SKIP_1) | instid1(VALU_DEP_2)
	v_pk_fma_f32 v[118:119], v[114:115], v[110:111], v[116:117] op_sel_hi:[1,0,1]
	v_pk_fma_f32 v[110:111], v[114:115], v[110:111], v[116:117] neg_lo:[0,0,1] neg_hi:[0,0,1]
	v_mov_b32_e32 v111, v119
	s_cbranch_execz .LBB52_1024
	s_branch .LBB52_1025
.LBB52_1023:
                                        ; implicit-def: $vgpr110_vgpr111
.LBB52_1024:
	ds_load_b64 v[110:111], v1
.LBB52_1025:
	s_mov_b32 s3, exec_lo
	v_cmpx_ne_u32_e32 50, v0
	s_cbranch_execz .LBB52_1029
; %bb.1026:
	v_add_nc_u32_e32 v113, 0x1b8, v38
	v_add3_u32 v114, 0, v38, 8
	v_mov_b32_e32 v115, v0
	s_mov_b32 s4, 0
.LBB52_1027:                            ; =>This Inner Loop Header: Depth=1
	scratch_load_b64 v[116:117], v114, off
	ds_load_b64 v[118:119], v113
	s_wait_xcnt 0x0
	v_dual_add_nc_u32 v113, 8, v113 :: v_dual_add_nc_u32 v114, 8, v114
	s_wait_loadcnt_dscnt 0x0
	v_pk_mul_f32 v[120:121], v[118:119], v[116:117] op_sel:[1,1] op_sel_hi:[0,1]
	s_delay_alu instid0(VALU_DEP_1) | instskip(SKIP_2) | instid1(VALU_DEP_3)
	v_pk_fma_f32 v[122:123], v[118:119], v[116:117], v[120:121] op_sel_hi:[1,0,1]
	v_add_nc_u32_e32 v115, 1, v115
	v_pk_fma_f32 v[116:117], v[118:119], v[116:117], v[120:121] neg_lo:[0,0,1] neg_hi:[0,0,1]
	v_mov_b32_e32 v117, v123
	s_delay_alu instid0(VALU_DEP_3) | instskip(NEXT) | instid1(VALU_DEP_2)
	v_cmp_lt_u32_e32 vcc_lo, 49, v115
	v_pk_add_f32 v[110:111], v[110:111], v[116:117]
	s_or_b32 s4, vcc_lo, s4
	s_delay_alu instid0(SALU_CYCLE_1)
	s_and_not1_b32 exec_lo, exec_lo, s4
	s_cbranch_execnz .LBB52_1027
; %bb.1028:
	s_or_b32 exec_lo, exec_lo, s4
.LBB52_1029:
	s_delay_alu instid0(SALU_CYCLE_1) | instskip(SKIP_4) | instid1(VALU_DEP_1)
	s_or_b32 exec_lo, exec_lo, s3
	v_mov_b32_e32 v113, 0
	ds_load_b64 v[114:115], v113 offset:408
	s_wait_dscnt 0x0
	v_pk_mul_f32 v[116:117], v[110:111], v[114:115] op_sel:[1,1] op_sel_hi:[0,1]
	v_pk_fma_f32 v[118:119], v[110:111], v[114:115], v[116:117] op_sel_hi:[1,0,1]
	v_pk_fma_f32 v[110:111], v[110:111], v[114:115], v[116:117] neg_lo:[0,0,1] neg_hi:[0,0,1]
	s_delay_alu instid0(VALU_DEP_2)
	v_mov_b32_e32 v111, v119
	scratch_store_b64 off, v[110:111], off offset:408
.LBB52_1030:
	s_wait_xcnt 0x0
	s_or_b32 exec_lo, exec_lo, s2
	scratch_load_b64 v[110:111], off, off offset:416
	s_mov_b32 s2, exec_lo
                                        ; implicit-def: $vgpr150
                                        ; implicit-def: $sgpr4
	s_wait_loadcnt 0x0
	ds_store_b64 v1, v[110:111]
	s_wait_storecnt_dscnt 0x0
	s_barrier_signal -1
	s_barrier_wait -1
	s_wait_xcnt 0x0
	v_cmpx_ne_u32_e32 52, v0
	s_cbranch_execz .LBB52_1040
; %bb.1031:
	v_cmp_ne_u32_e32 vcc_lo, 1, v112
	s_cbranch_vccnz .LBB52_1033
; %bb.1032:
	scratch_load_b64 v[112:113], v39, off
	ds_load_b64 v[114:115], v1
	s_wait_loadcnt_dscnt 0x0
	v_dual_mul_f32 v39, v115, v113 :: v_dual_mul_f32 v111, v114, v113
	s_delay_alu instid0(VALU_DEP_1) | instskip(NEXT) | instid1(VALU_DEP_2)
	v_fma_f32 v110, v114, v112, -v39
	v_fmac_f32_e32 v111, v115, v112
	s_cbranch_execz .LBB52_1034
	s_branch .LBB52_1035
.LBB52_1033:
                                        ; implicit-def: $vgpr111
.LBB52_1034:
	ds_load_b64 v[110:111], v1
.LBB52_1035:
	s_and_saveexec_b32 s3, s0
	s_cbranch_execz .LBB52_1039
; %bb.1036:
	v_add_nc_u32_e32 v1, 0x1b8, v38
	v_add3_u32 v38, 0, v38, 8
	s_mov_b32 s0, 0
.LBB52_1037:                            ; =>This Inner Loop Header: Depth=1
	scratch_load_b64 v[112:113], v38, off
	ds_load_b64 v[114:115], v1
	v_dual_add_nc_u32 v0, 1, v0 :: v_dual_add_nc_u32 v1, 8, v1
	s_delay_alu instid0(VALU_DEP_1) | instskip(SKIP_3) | instid1(VALU_DEP_1)
	v_cmp_lt_u32_e32 vcc_lo, 50, v0
	s_or_b32 s0, vcc_lo, s0
	s_wait_loadcnt_dscnt 0x0
	v_dual_mul_f32 v39, v115, v113 :: v_dual_mul_f32 v113, v114, v113
	v_dual_fma_f32 v39, v114, v112, -v39 :: v_dual_fmac_f32 v113, v115, v112
	s_delay_alu instid0(VALU_DEP_1) | instskip(NEXT) | instid1(VALU_DEP_2)
	v_dual_add_nc_u32 v38, 8, v38 :: v_dual_add_f32 v110, v110, v39
	v_add_f32_e32 v111, v111, v113
	s_and_not1_b32 exec_lo, exec_lo, s0
	s_cbranch_execnz .LBB52_1037
; %bb.1038:
	s_or_b32 exec_lo, exec_lo, s0
.LBB52_1039:
	s_delay_alu instid0(SALU_CYCLE_1)
	s_or_b32 exec_lo, exec_lo, s3
	v_mov_b32_e32 v0, 0
	s_movk_i32 s4, 0x1a4
	s_or_b32 s1, s1, exec_lo
	ds_load_b64 v[0:1], v0 offset:416
	s_wait_dscnt 0x0
	v_dual_mul_f32 v38, v111, v1 :: v_dual_mul_f32 v150, v110, v1
	s_delay_alu instid0(VALU_DEP_1) | instskip(NEXT) | instid1(VALU_DEP_2)
	v_fma_f32 v1, v110, v0, -v38
	v_fmac_f32_e32 v150, v111, v0
	scratch_store_b32 off, v1, off offset:416
.LBB52_1040:
	s_wait_xcnt 0x0
	s_or_b32 exec_lo, exec_lo, s2
.LBB52_1041:
	v_lshl_add_u64 v[148:149], v[6:7], 3, s[6:7]
	v_lshl_add_u64 v[146:147], v[8:9], 3, s[6:7]
	;; [unrolled: 1-line block ×51, first 2 shown]
	s_and_saveexec_b32 s0, s1
	s_cbranch_execz .LBB52_1043
; %bb.1042:
	scratch_store_b32 off, v150, s4
.LBB52_1043:
	s_wait_xcnt 0x0
	s_or_b32 exec_lo, exec_lo, s0
	s_clause 0xa
	scratch_load_b128 v[66:69], off, off
	scratch_load_b128 v[70:73], off, off offset:16
	scratch_load_b128 v[74:77], off, off offset:32
	;; [unrolled: 1-line block ×10, first 2 shown]
	s_wait_loadcnt 0xa
	s_clause 0x1
	global_store_b64 v[2:3], v[66:67], off
	global_store_b64 v[4:5], v[68:69], off
	scratch_load_b128 v[2:5], off, off offset:80
	s_wait_loadcnt 0xa
	global_store_b64 v[148:149], v[70:71], off
	scratch_load_b128 v[66:69], off, off offset:96
	global_store_b64 v[146:147], v[72:73], off
	scratch_load_b128 v[70:73], off, off offset:112
	s_wait_loadcnt 0xb
	s_clause 0x1
	global_store_b64 v[144:145], v[74:75], off
	global_store_b64 v[142:143], v[76:77], off
	scratch_load_b128 v[74:77], off, off offset:144
	s_wait_loadcnt 0xb
	s_clause 0x1
	global_store_b64 v[140:141], v[78:79], off
	;; [unrolled: 5-line block ×4, first 2 shown]
	global_store_b64 v[130:131], v[4:5], off
	s_wait_loadcnt 0x4
	s_clause 0x1
	global_store_b64 v[128:129], v[66:67], off
	global_store_b64 v[126:127], v[68:69], off
	s_wait_loadcnt 0x3
	s_clause 0x3
	global_store_b64 v[124:125], v[70:71], off
	global_store_b64 v[122:123], v[72:73], off
	;; [unrolled: 1-line block ×4, first 2 shown]
	s_wait_loadcnt 0x2
	s_clause 0x3
	global_store_b64 v[116:117], v[74:75], off
	global_store_b64 v[114:115], v[76:77], off
	;; [unrolled: 1-line block ×4, first 2 shown]
	s_clause 0x9
	scratch_load_b128 v[2:5], off, off offset:240
	scratch_load_b128 v[66:69], off, off offset:272
	;; [unrolled: 1-line block ×9, first 2 shown]
	scratch_load_b64 v[110:111], off, off offset:416
	s_wait_loadcnt 0xb
	s_clause 0x3
	global_store_b64 v[0:1], v[78:79], off
	global_store_b64 v[6:7], v[80:81], off
	global_store_b64 v[8:9], v[94:95], off
	global_store_b64 v[10:11], v[96:97], off
	s_wait_loadcnt 0xa
	s_clause 0x3
	global_store_b64 v[12:13], v[82:83], off
	global_store_b64 v[14:15], v[84:85], off
	global_store_b64 v[16:17], v[98:99], off
	global_store_b64 v[18:19], v[100:101], off
	;; [unrolled: 6-line block ×4, first 2 shown]
	s_wait_loadcnt 0x7
	s_clause 0x1
	global_store_b64 v[36:37], v[70:71], off
	global_store_b64 v[38:39], v[72:73], off
	s_wait_loadcnt 0x6
	s_clause 0x1
	global_store_b64 v[40:41], v[120:121], off
	global_store_b64 v[42:43], v[122:123], off
	;; [unrolled: 4-line block ×7, first 2 shown]
	s_wait_loadcnt 0x0
	global_store_b64 v[64:65], v[110:111], off
.LBB52_1044:
	s_sendmsg sendmsg(MSG_DEALLOC_VGPRS)
	s_endpgm
	.section	.rodata,"a",@progbits
	.p2align	6, 0x0
	.amdhsa_kernel _ZN9rocsolver6v33100L18trti2_kernel_smallILi53E19rocblas_complex_numIfEPS3_EEv13rocblas_fill_17rocblas_diagonal_T1_iil
		.amdhsa_group_segment_fixed_size 856
		.amdhsa_private_segment_fixed_size 432
		.amdhsa_kernarg_size 32
		.amdhsa_user_sgpr_count 2
		.amdhsa_user_sgpr_dispatch_ptr 0
		.amdhsa_user_sgpr_queue_ptr 0
		.amdhsa_user_sgpr_kernarg_segment_ptr 1
		.amdhsa_user_sgpr_dispatch_id 0
		.amdhsa_user_sgpr_kernarg_preload_length 0
		.amdhsa_user_sgpr_kernarg_preload_offset 0
		.amdhsa_user_sgpr_private_segment_size 0
		.amdhsa_wavefront_size32 1
		.amdhsa_uses_dynamic_stack 0
		.amdhsa_enable_private_segment 1
		.amdhsa_system_sgpr_workgroup_id_x 1
		.amdhsa_system_sgpr_workgroup_id_y 0
		.amdhsa_system_sgpr_workgroup_id_z 0
		.amdhsa_system_sgpr_workgroup_info 0
		.amdhsa_system_vgpr_workitem_id 0
		.amdhsa_next_free_vgpr 151
		.amdhsa_next_free_sgpr 34
		.amdhsa_named_barrier_count 0
		.amdhsa_reserve_vcc 1
		.amdhsa_float_round_mode_32 0
		.amdhsa_float_round_mode_16_64 0
		.amdhsa_float_denorm_mode_32 3
		.amdhsa_float_denorm_mode_16_64 3
		.amdhsa_fp16_overflow 0
		.amdhsa_memory_ordered 1
		.amdhsa_forward_progress 1
		.amdhsa_inst_pref_size 255
		.amdhsa_round_robin_scheduling 0
		.amdhsa_exception_fp_ieee_invalid_op 0
		.amdhsa_exception_fp_denorm_src 0
		.amdhsa_exception_fp_ieee_div_zero 0
		.amdhsa_exception_fp_ieee_overflow 0
		.amdhsa_exception_fp_ieee_underflow 0
		.amdhsa_exception_fp_ieee_inexact 0
		.amdhsa_exception_int_div_zero 0
	.end_amdhsa_kernel
	.section	.text._ZN9rocsolver6v33100L18trti2_kernel_smallILi53E19rocblas_complex_numIfEPS3_EEv13rocblas_fill_17rocblas_diagonal_T1_iil,"axG",@progbits,_ZN9rocsolver6v33100L18trti2_kernel_smallILi53E19rocblas_complex_numIfEPS3_EEv13rocblas_fill_17rocblas_diagonal_T1_iil,comdat
.Lfunc_end52:
	.size	_ZN9rocsolver6v33100L18trti2_kernel_smallILi53E19rocblas_complex_numIfEPS3_EEv13rocblas_fill_17rocblas_diagonal_T1_iil, .Lfunc_end52-_ZN9rocsolver6v33100L18trti2_kernel_smallILi53E19rocblas_complex_numIfEPS3_EEv13rocblas_fill_17rocblas_diagonal_T1_iil
                                        ; -- End function
	.set _ZN9rocsolver6v33100L18trti2_kernel_smallILi53E19rocblas_complex_numIfEPS3_EEv13rocblas_fill_17rocblas_diagonal_T1_iil.num_vgpr, 151
	.set _ZN9rocsolver6v33100L18trti2_kernel_smallILi53E19rocblas_complex_numIfEPS3_EEv13rocblas_fill_17rocblas_diagonal_T1_iil.num_agpr, 0
	.set _ZN9rocsolver6v33100L18trti2_kernel_smallILi53E19rocblas_complex_numIfEPS3_EEv13rocblas_fill_17rocblas_diagonal_T1_iil.numbered_sgpr, 34
	.set _ZN9rocsolver6v33100L18trti2_kernel_smallILi53E19rocblas_complex_numIfEPS3_EEv13rocblas_fill_17rocblas_diagonal_T1_iil.num_named_barrier, 0
	.set _ZN9rocsolver6v33100L18trti2_kernel_smallILi53E19rocblas_complex_numIfEPS3_EEv13rocblas_fill_17rocblas_diagonal_T1_iil.private_seg_size, 432
	.set _ZN9rocsolver6v33100L18trti2_kernel_smallILi53E19rocblas_complex_numIfEPS3_EEv13rocblas_fill_17rocblas_diagonal_T1_iil.uses_vcc, 1
	.set _ZN9rocsolver6v33100L18trti2_kernel_smallILi53E19rocblas_complex_numIfEPS3_EEv13rocblas_fill_17rocblas_diagonal_T1_iil.uses_flat_scratch, 1
	.set _ZN9rocsolver6v33100L18trti2_kernel_smallILi53E19rocblas_complex_numIfEPS3_EEv13rocblas_fill_17rocblas_diagonal_T1_iil.has_dyn_sized_stack, 0
	.set _ZN9rocsolver6v33100L18trti2_kernel_smallILi53E19rocblas_complex_numIfEPS3_EEv13rocblas_fill_17rocblas_diagonal_T1_iil.has_recursion, 0
	.set _ZN9rocsolver6v33100L18trti2_kernel_smallILi53E19rocblas_complex_numIfEPS3_EEv13rocblas_fill_17rocblas_diagonal_T1_iil.has_indirect_call, 0
	.section	.AMDGPU.csdata,"",@progbits
; Kernel info:
; codeLenInByte = 40144
; TotalNumSgprs: 36
; NumVgprs: 151
; ScratchSize: 432
; MemoryBound: 0
; FloatMode: 240
; IeeeMode: 1
; LDSByteSize: 856 bytes/workgroup (compile time only)
; SGPRBlocks: 0
; VGPRBlocks: 9
; NumSGPRsForWavesPerEU: 36
; NumVGPRsForWavesPerEU: 151
; NamedBarCnt: 0
; Occupancy: 6
; WaveLimiterHint : 0
; COMPUTE_PGM_RSRC2:SCRATCH_EN: 1
; COMPUTE_PGM_RSRC2:USER_SGPR: 2
; COMPUTE_PGM_RSRC2:TRAP_HANDLER: 0
; COMPUTE_PGM_RSRC2:TGID_X_EN: 1
; COMPUTE_PGM_RSRC2:TGID_Y_EN: 0
; COMPUTE_PGM_RSRC2:TGID_Z_EN: 0
; COMPUTE_PGM_RSRC2:TIDIG_COMP_CNT: 0
	.section	.text._ZN9rocsolver6v33100L18trti2_kernel_smallILi54E19rocblas_complex_numIfEPS3_EEv13rocblas_fill_17rocblas_diagonal_T1_iil,"axG",@progbits,_ZN9rocsolver6v33100L18trti2_kernel_smallILi54E19rocblas_complex_numIfEPS3_EEv13rocblas_fill_17rocblas_diagonal_T1_iil,comdat
	.globl	_ZN9rocsolver6v33100L18trti2_kernel_smallILi54E19rocblas_complex_numIfEPS3_EEv13rocblas_fill_17rocblas_diagonal_T1_iil ; -- Begin function _ZN9rocsolver6v33100L18trti2_kernel_smallILi54E19rocblas_complex_numIfEPS3_EEv13rocblas_fill_17rocblas_diagonal_T1_iil
	.p2align	8
	.type	_ZN9rocsolver6v33100L18trti2_kernel_smallILi54E19rocblas_complex_numIfEPS3_EEv13rocblas_fill_17rocblas_diagonal_T1_iil,@function
_ZN9rocsolver6v33100L18trti2_kernel_smallILi54E19rocblas_complex_numIfEPS3_EEv13rocblas_fill_17rocblas_diagonal_T1_iil: ; @_ZN9rocsolver6v33100L18trti2_kernel_smallILi54E19rocblas_complex_numIfEPS3_EEv13rocblas_fill_17rocblas_diagonal_T1_iil
; %bb.0:
	s_mov_b32 s2, exec_lo
	v_cmpx_gt_u32_e32 54, v0
	s_cbranch_execz .LBB53_1064
; %bb.1:
	s_load_b256 s[4:11], s[0:1], 0x0
	s_wait_xcnt 0x0
	s_bfe_u32 s0, ttmp6, 0x4000c
	s_and_b32 s1, ttmp6, 15
	s_add_co_i32 s0, s0, 1
	s_getreg_b32 s2, hwreg(HW_REG_IB_STS2, 6, 4)
	s_mul_i32 s0, ttmp9, s0
	v_lshlrev_b32_e32 v38, 3, v0
	s_add_co_i32 s0, s1, s0
	s_wait_kmcnt 0x0
	v_add3_u32 v6, s9, s9, v0
	s_ashr_i32 s1, s8, 31
	s_cmp_eq_u32 s2, 0
	s_cselect_b32 s2, ttmp9, s0
	s_delay_alu instid0(VALU_DEP_1) | instskip(SKIP_3) | instid1(VALU_DEP_1)
	v_dual_mov_b32 v39, 0 :: v_dual_add_nc_u32 v8, s9, v6
	s_ashr_i32 s3, s2, 31
	s_mov_b32 s0, s8
	s_mul_u64 s[2:3], s[10:11], s[2:3]
	v_add_nc_u32_e32 v10, s9, v8
	s_lshl_b64 s[2:3], s[2:3], 3
	s_lshl_b64 s[0:1], s[0:1], 3
	s_add_nc_u64 s[2:3], s[6:7], s[2:3]
	s_delay_alu instid0(SALU_CYCLE_1)
	s_add_nc_u64 s[6:7], s[2:3], s[0:1]
	v_add_nc_u32_e32 v12, s9, v10
	v_add_nc_u64_e32 v[2:3], s[6:7], v[38:39]
	s_mov_b32 s0, s9
	s_ashr_i32 s1, s9, 31
	s_cmp_lg_u32 s5, 0x84
	v_add_nc_u32_e32 v14, s9, v12
	s_cselect_b32 s3, -1, 0
	s_delay_alu instid0(VALU_DEP_2) | instskip(SKIP_1) | instid1(VALU_DEP_2)
	v_lshl_add_u64 v[4:5], s[0:1], 3, v[2:3]
	s_mov_b32 s0, -1
	v_add_nc_u32_e32 v16, s9, v14
	s_clause 0x3
	global_load_b64 v[72:73], v0, s[6:7] scale_offset
	global_load_b64 v[74:75], v[4:5], off
	global_load_b64 v[76:77], v6, s[6:7] scale_offset
	global_load_b64 v[78:79], v8, s[6:7] scale_offset
	s_and_b32 vcc_lo, exec_lo, s3
	v_add_nc_u32_e32 v18, s9, v16
	s_delay_alu instid0(VALU_DEP_1) | instskip(NEXT) | instid1(VALU_DEP_1)
	v_add_nc_u32_e32 v20, s9, v18
	v_add_nc_u32_e32 v22, s9, v20
	s_clause 0x5
	global_load_b64 v[80:81], v10, s[6:7] scale_offset
	global_load_b64 v[82:83], v12, s[6:7] scale_offset
	;; [unrolled: 1-line block ×6, first 2 shown]
	v_add_nc_u32_e32 v24, s9, v22
	s_delay_alu instid0(VALU_DEP_1) | instskip(NEXT) | instid1(VALU_DEP_1)
	v_add_nc_u32_e32 v26, s9, v24
	v_add_nc_u32_e32 v28, s9, v26
	s_delay_alu instid0(VALU_DEP_1) | instskip(SKIP_4) | instid1(VALU_DEP_1)
	v_add_nc_u32_e32 v30, s9, v28
	s_clause 0x1
	global_load_b64 v[92:93], v22, s[6:7] scale_offset
	global_load_b64 v[94:95], v24, s[6:7] scale_offset
	v_add_nc_u32_e32 v32, s9, v30
	v_add_nc_u32_e32 v34, s9, v32
	s_clause 0x3
	global_load_b64 v[96:97], v26, s[6:7] scale_offset
	global_load_b64 v[98:99], v28, s[6:7] scale_offset
	;; [unrolled: 1-line block ×4, first 2 shown]
	v_add_nc_u32_e32 v36, s9, v34
	s_delay_alu instid0(VALU_DEP_1) | instskip(NEXT) | instid1(VALU_DEP_1)
	v_add_nc_u32_e32 v40, s9, v36
	v_add_nc_u32_e32 v42, s9, v40
	s_clause 0x1
	global_load_b64 v[104:105], v34, s[6:7] scale_offset
	global_load_b64 v[106:107], v36, s[6:7] scale_offset
	v_add_nc_u32_e32 v44, s9, v42
	s_delay_alu instid0(VALU_DEP_1) | instskip(NEXT) | instid1(VALU_DEP_1)
	v_add_nc_u32_e32 v46, s9, v44
	v_add_nc_u32_e32 v48, s9, v46
	s_delay_alu instid0(VALU_DEP_1) | instskip(NEXT) | instid1(VALU_DEP_1)
	v_add_nc_u32_e32 v50, s9, v48
	v_add_nc_u32_e32 v52, s9, v50
	s_clause 0x3
	global_load_b64 v[108:109], v40, s[6:7] scale_offset
	global_load_b64 v[110:111], v42, s[6:7] scale_offset
	;; [unrolled: 1-line block ×4, first 2 shown]
	v_add_nc_u32_e32 v54, s9, v52
	s_delay_alu instid0(VALU_DEP_1)
	v_add_nc_u32_e32 v56, s9, v54
	s_clause 0x3
	global_load_b64 v[116:117], v48, s[6:7] scale_offset
	global_load_b64 v[118:119], v50, s[6:7] scale_offset
	;; [unrolled: 1-line block ×4, first 2 shown]
	v_add_nc_u32_e32 v58, s9, v56
	s_delay_alu instid0(VALU_DEP_1) | instskip(NEXT) | instid1(VALU_DEP_1)
	v_add_nc_u32_e32 v60, s9, v58
	v_add_nc_u32_e32 v62, s9, v60
	s_delay_alu instid0(VALU_DEP_1) | instskip(NEXT) | instid1(VALU_DEP_1)
	v_add_nc_u32_e32 v64, s9, v62
	;; [unrolled: 3-line block ×3, first 2 shown]
	v_add_nc_u32_e32 v70, s9, v68
	s_wait_loadcnt 0x18
	scratch_store_b128 off, v[72:75], off
	s_wait_xcnt 0x0
	v_add_nc_u32_e32 v72, s9, v70
	s_clause 0x1
	global_load_b64 v[124:125], v56, s[6:7] scale_offset
	global_load_b64 v[126:127], v58, s[6:7] scale_offset
	s_wait_loadcnt 0x18
	scratch_store_b128 off, v[76:79], off offset:16
	s_wait_loadcnt 0x16
	scratch_store_b128 off, v[80:83], off offset:32
	;; [unrolled: 2-line block ×3, first 2 shown]
	v_add_nc_u32_e32 v74, s9, v72
	s_clause 0x3
	global_load_b64 v[128:129], v60, s[6:7] scale_offset
	global_load_b64 v[130:131], v62, s[6:7] scale_offset
	;; [unrolled: 1-line block ×4, first 2 shown]
	s_wait_loadcnt 0x16
	scratch_store_b128 off, v[88:91], off offset:64
	s_wait_xcnt 0x7
	v_add_nc_u32_e32 v76, s9, v74
	s_clause 0x1
	global_load_b64 v[136:137], v68, s[6:7] scale_offset
	global_load_b64 v[138:139], v70, s[6:7] scale_offset
	v_add_nc_u32_e32 v78, s9, v76
	s_wait_xcnt 0x8
	s_delay_alu instid0(VALU_DEP_1)
	v_add_nc_u32_e32 v80, s9, v78
	s_wait_loadcnt 0x16
	scratch_store_b128 off, v[92:95], off offset:80
	s_clause 0x1
	global_load_b64 v[140:141], v72, s[6:7] scale_offset
	global_load_b64 v[142:143], v74, s[6:7] scale_offset
	v_add_nc_u32_e32 v82, s9, v80
	s_wait_xcnt 0xa
	s_delay_alu instid0(VALU_DEP_1)
	v_add_nc_u32_e32 v84, s9, v82
	s_wait_loadcnt 0x16
	scratch_store_b128 off, v[96:99], off offset:96
	s_wait_loadcnt 0x14
	scratch_store_b128 off, v[100:103], off offset:112
	v_add_nc_u32_e32 v86, s9, v84
	s_wait_xcnt 0x7
	s_delay_alu instid0(VALU_DEP_1) | instskip(NEXT) | instid1(VALU_DEP_1)
	v_add_nc_u32_e32 v88, s9, v86
	v_add_nc_u32_e32 v90, s9, v88
	s_wait_loadcnt 0x12
	scratch_store_b128 off, v[104:107], off offset:128
	s_wait_xcnt 0x5
	v_add_nc_u32_e32 v92, s9, v90
	s_delay_alu instid0(VALU_DEP_1) | instskip(SKIP_1) | instid1(VALU_DEP_1)
	v_add_nc_u32_e32 v94, s9, v92
	s_wait_xcnt 0x2
	v_add_nc_u32_e32 v96, s9, v94
	s_delay_alu instid0(VALU_DEP_1)
	v_add_nc_u32_e32 v98, s9, v96
	s_wait_loadcnt 0x10
	scratch_store_b128 off, v[108:111], off offset:144
	s_clause 0x1
	global_load_b64 v[100:101], v76, s[6:7] scale_offset
	global_load_b64 v[102:103], v78, s[6:7] scale_offset
	s_wait_loadcnt 0x10
	scratch_store_b128 off, v[112:115], off offset:160
	s_wait_loadcnt 0xe
	scratch_store_b128 off, v[116:119], off offset:176
	s_clause 0x1
	global_load_b64 v[104:105], v80, s[6:7] scale_offset
	global_load_b64 v[106:107], v82, s[6:7] scale_offset
	s_wait_loadcnt 0xe
	scratch_store_b128 off, v[120:123], off offset:192
	;; [unrolled: 7-line block ×4, first 2 shown]
	s_clause 0x1
	global_load_b64 v[116:117], v92, s[6:7] scale_offset
	global_load_b64 v[118:119], v94, s[6:7] scale_offset
	s_wait_loadcnt 0xa
	scratch_store_b128 off, v[140:143], off offset:272
	s_clause 0x1
	global_load_b64 v[120:121], v96, s[6:7] scale_offset
	global_load_b64 v[122:123], v98, s[6:7] scale_offset
	s_wait_loadcnt 0xa
	scratch_store_b128 off, v[100:103], off offset:288
	s_wait_xcnt 0x0
	v_add_nc_u32_e32 v100, s9, v98
	s_delay_alu instid0(VALU_DEP_1) | instskip(SKIP_4) | instid1(VALU_DEP_1)
	v_add_nc_u32_e32 v102, s9, v100
	s_wait_loadcnt 0x8
	scratch_store_b128 off, v[104:107], off offset:304
	s_wait_xcnt 0x0
	v_add_nc_u32_e32 v104, s9, v102
	v_add_nc_u32_e32 v106, s9, v104
	s_wait_loadcnt 0x6
	scratch_store_b128 off, v[108:111], off offset:320
	s_wait_xcnt 0x0
	v_add_nc_u32_e32 v108, s9, v106
	s_wait_loadcnt 0x4
	scratch_store_b128 off, v[112:115], off offset:336
	s_wait_loadcnt 0x2
	scratch_store_b128 off, v[116:119], off offset:352
	v_add_nc_u32_e32 v110, s9, v108
	s_clause 0x3
	global_load_b64 v[112:113], v100, s[6:7] scale_offset
	global_load_b64 v[114:115], v102, s[6:7] scale_offset
	;; [unrolled: 1-line block ×4, first 2 shown]
	s_wait_loadcnt 0x4
	scratch_store_b128 off, v[120:123], off offset:368
	s_clause 0x1
	global_load_b64 v[120:121], v108, s[6:7] scale_offset
	global_load_b64 v[122:123], v110, s[6:7] scale_offset
	s_wait_loadcnt 0x4
	scratch_store_b128 off, v[112:115], off offset:384
	s_wait_loadcnt 0x2
	scratch_store_b128 off, v[116:119], off offset:400
	;; [unrolled: 2-line block ×3, first 2 shown]
	s_cbranch_vccz .LBB53_7
; %bb.2:
	scratch_load_b64 v[112:113], v0, off scale_offset
                                        ; implicit-def: $vgpr117
                                        ; implicit-def: $vgpr114
	s_wait_loadcnt 0x0
	v_cmp_ngt_f32_e64 s0, |v112|, |v113|
	s_wait_xcnt 0x0
	s_and_saveexec_b32 s1, s0
	s_delay_alu instid0(SALU_CYCLE_1)
	s_xor_b32 s0, exec_lo, s1
	s_cbranch_execz .LBB53_4
; %bb.3:
	v_div_scale_f32 v1, null, v113, v113, v112
	v_div_scale_f32 v11, vcc_lo, v112, v113, v112
	s_delay_alu instid0(VALU_DEP_2) | instskip(SKIP_1) | instid1(TRANS32_DEP_1)
	v_rcp_f32_e32 v7, v1
	v_nop
	v_fma_f32 v9, -v1, v7, 1.0
	s_delay_alu instid0(VALU_DEP_1) | instskip(NEXT) | instid1(VALU_DEP_1)
	v_fmac_f32_e32 v7, v9, v7
	v_mul_f32_e32 v9, v11, v7
	s_delay_alu instid0(VALU_DEP_1) | instskip(NEXT) | instid1(VALU_DEP_1)
	v_fma_f32 v13, -v1, v9, v11
	v_fmac_f32_e32 v9, v13, v7
	s_delay_alu instid0(VALU_DEP_1) | instskip(NEXT) | instid1(VALU_DEP_1)
	v_fma_f32 v1, -v1, v9, v11
	v_div_fmas_f32 v1, v1, v7, v9
	s_delay_alu instid0(VALU_DEP_1) | instskip(NEXT) | instid1(VALU_DEP_1)
	v_div_fixup_f32 v1, v1, v113, v112
	v_fmac_f32_e32 v113, v112, v1
	s_delay_alu instid0(VALU_DEP_1) | instskip(NEXT) | instid1(VALU_DEP_1)
	v_div_scale_f32 v7, null, v113, v113, -1.0
	v_rcp_f32_e32 v9, v7
	v_nop
	s_delay_alu instid0(TRANS32_DEP_1) | instskip(NEXT) | instid1(VALU_DEP_1)
	v_fma_f32 v11, -v7, v9, 1.0
	v_fmac_f32_e32 v9, v11, v9
	v_div_scale_f32 v11, vcc_lo, -1.0, v113, -1.0
	s_delay_alu instid0(VALU_DEP_1) | instskip(NEXT) | instid1(VALU_DEP_1)
	v_mul_f32_e32 v13, v11, v9
	v_fma_f32 v15, -v7, v13, v11
	s_delay_alu instid0(VALU_DEP_1) | instskip(NEXT) | instid1(VALU_DEP_1)
	v_fmac_f32_e32 v13, v15, v9
	v_fma_f32 v7, -v7, v13, v11
	s_delay_alu instid0(VALU_DEP_1) | instskip(NEXT) | instid1(VALU_DEP_1)
	v_div_fmas_f32 v7, v7, v9, v13
	v_div_fixup_f32 v117, v7, v113, -1.0
                                        ; implicit-def: $vgpr112_vgpr113
	s_delay_alu instid0(VALU_DEP_1) | instskip(NEXT) | instid1(VALU_DEP_1)
	v_mul_f32_e32 v114, v1, v117
	v_xor_b32_e32 v116, 0x80000000, v114
.LBB53_4:
	s_or_saveexec_b32 s0, s0
	v_lshl_add_u32 v1, v0, 3, 0
	s_xor_b32 exec_lo, exec_lo, s0
	s_cbranch_execz .LBB53_6
; %bb.5:
	v_div_scale_f32 v7, null, v112, v112, v113
	v_div_scale_f32 v13, vcc_lo, v113, v112, v113
	s_delay_alu instid0(VALU_DEP_2) | instskip(SKIP_1) | instid1(TRANS32_DEP_1)
	v_rcp_f32_e32 v9, v7
	v_nop
	v_fma_f32 v11, -v7, v9, 1.0
	s_delay_alu instid0(VALU_DEP_1) | instskip(NEXT) | instid1(VALU_DEP_1)
	v_fmac_f32_e32 v9, v11, v9
	v_mul_f32_e32 v11, v13, v9
	s_delay_alu instid0(VALU_DEP_1) | instskip(NEXT) | instid1(VALU_DEP_1)
	v_fma_f32 v15, -v7, v11, v13
	v_fmac_f32_e32 v11, v15, v9
	s_delay_alu instid0(VALU_DEP_1) | instskip(NEXT) | instid1(VALU_DEP_1)
	v_fma_f32 v7, -v7, v11, v13
	v_div_fmas_f32 v7, v7, v9, v11
	s_delay_alu instid0(VALU_DEP_1) | instskip(NEXT) | instid1(VALU_DEP_1)
	v_div_fixup_f32 v7, v7, v112, v113
	v_fmac_f32_e32 v112, v113, v7
	s_delay_alu instid0(VALU_DEP_1) | instskip(SKIP_1) | instid1(VALU_DEP_2)
	v_div_scale_f32 v9, null, v112, v112, 1.0
	v_div_scale_f32 v15, vcc_lo, 1.0, v112, 1.0
	v_rcp_f32_e32 v11, v9
	v_nop
	s_delay_alu instid0(TRANS32_DEP_1) | instskip(NEXT) | instid1(VALU_DEP_1)
	v_fma_f32 v13, -v9, v11, 1.0
	v_fmac_f32_e32 v11, v13, v11
	s_delay_alu instid0(VALU_DEP_1) | instskip(NEXT) | instid1(VALU_DEP_1)
	v_mul_f32_e32 v13, v15, v11
	v_fma_f32 v17, -v9, v13, v15
	s_delay_alu instid0(VALU_DEP_1) | instskip(NEXT) | instid1(VALU_DEP_1)
	v_fmac_f32_e32 v13, v17, v11
	v_fma_f32 v9, -v9, v13, v15
	s_delay_alu instid0(VALU_DEP_1) | instskip(NEXT) | instid1(VALU_DEP_1)
	v_div_fmas_f32 v9, v9, v11, v13
	v_div_fixup_f32 v116, v9, v112, 1.0
	s_delay_alu instid0(VALU_DEP_1)
	v_xor_b32_e32 v114, 0x80000000, v116
	v_mul_f32_e64 v117, v7, -v116
.LBB53_6:
	s_or_b32 exec_lo, exec_lo, s0
	s_delay_alu instid0(VALU_DEP_1)
	v_xor_b32_e32 v115, 0x80000000, v117
	s_mov_b32 s0, 0
	scratch_store_b64 v1, v[116:117], off
	ds_store_b64 v38, v[114:115]
.LBB53_7:
	s_and_b32 vcc_lo, exec_lo, s0
	s_cbranch_vccz .LBB53_9
; %bb.8:
	s_mov_b64 s[0:1], 0xbf800000
	s_wait_xcnt 0x2
	v_mov_b64_e32 v[112:113], s[0:1]
	ds_store_b64 v38, v[112:113]
.LBB53_9:
	v_dual_ashrrev_i32 v7, 31, v6 :: v_dual_ashrrev_i32 v9, 31, v8
	v_dual_ashrrev_i32 v11, 31, v10 :: v_dual_ashrrev_i32 v13, 31, v12
	;; [unrolled: 1-line block ×26, first 2 shown]
	s_wait_xcnt 0x0
	v_add_nc_u32_e32 v1, 0x1b0, v38
	v_mov_b32_e32 v39, v38
	s_cmp_eq_u32 s4, 0x79
	s_cbranch_scc1 .LBB53_13
; %bb.10:
	scratch_load_b64 v[112:113], off, off offset:416
	v_cmp_eq_u32_e64 s0, 53, v0
	s_movk_i32 s1, 0x50
	s_movk_i32 s10, 0x60
	;; [unrolled: 1-line block ×21, first 2 shown]
	s_wait_loadcnt 0x0
	ds_store_b64 v1, v[112:113]
	s_wait_storecnt_dscnt 0x0
	s_barrier_signal -1
	s_barrier_wait -1
	s_wait_xcnt 0x0
	s_and_saveexec_b32 s2, s0
	s_cbranch_execz .LBB53_17
; %bb.11:
	s_and_b32 vcc_lo, exec_lo, s3
	s_cbranch_vccz .LBB53_14
; %bb.12:
	scratch_load_b64 v[112:113], v39, off
	ds_load_b64 v[114:115], v1
	s_wait_loadcnt_dscnt 0x0
	v_pk_mul_f32 v[116:117], v[114:115], v[112:113] op_sel:[1,1] op_sel_hi:[0,1]
	v_pk_mul_f32 v[118:119], v[114:115], v[112:113] op_sel_hi:[1,0]
	s_delay_alu instid0(VALU_DEP_2) | instskip(NEXT) | instid1(VALU_DEP_2)
	v_pk_fma_f32 v[112:113], v[114:115], v[112:113], v[116:117] op_sel_hi:[1,0,1]
	v_sub_f32_e32 v112, v118, v116
	s_cbranch_execz .LBB53_15
	s_branch .LBB53_16
.LBB53_13:
	s_mov_b32 s1, 0
                                        ; implicit-def: $vgpr156
                                        ; implicit-def: $sgpr4
	s_cbranch_execnz .LBB53_536
	s_branch .LBB53_1061
.LBB53_14:
                                        ; implicit-def: $vgpr113
.LBB53_15:
	ds_load_b64 v[112:113], v1
.LBB53_16:
	s_wait_dscnt 0x0
	v_dual_mov_b32 v114, 0 :: v_dual_mov_b32 v116, v113
	v_mov_b32_e32 v117, v112
	ds_load_b64 v[114:115], v114 offset:416
	s_wait_dscnt 0x0
	v_pk_mul_f32 v[116:117], v[116:117], v[114:115] op_sel:[0,1]
	s_delay_alu instid0(VALU_DEP_1) | instskip(SKIP_1) | instid1(VALU_DEP_2)
	v_pk_fma_f32 v[118:119], v[112:113], v[114:115], v[116:117] op_sel_hi:[1,0,1]
	v_pk_fma_f32 v[112:113], v[112:113], v[114:115], v[116:117] neg_lo:[0,0,1] neg_hi:[0,0,1]
	v_mov_b32_e32 v113, v119
	scratch_store_b64 off, v[112:113], off offset:416
.LBB53_17:
	s_wait_xcnt 0x0
	s_or_b32 exec_lo, exec_lo, s2
	scratch_load_b64 v[112:113], off, off offset:408
	s_mov_b32 s9, s1
	v_cmp_lt_u32_e64 s1, 51, v0
	s_mov_b32 s4, 16
	s_mov_b32 s5, 32
	s_mov_b32 s2, 48
	s_mov_b32 s8, 64
	s_wait_loadcnt 0x0
	ds_store_b64 v1, v[112:113]
	s_wait_storecnt_dscnt 0x0
	s_barrier_signal -1
	s_barrier_wait -1
	s_wait_xcnt 0x0
	s_and_saveexec_b32 s30, s1
	s_cbranch_execz .LBB53_25
; %bb.18:
	s_and_not1_b32 vcc_lo, exec_lo, s3
	s_cbranch_vccnz .LBB53_20
; %bb.19:
	scratch_load_b64 v[112:113], v39, off
	ds_load_b64 v[114:115], v1
	s_wait_loadcnt_dscnt 0x0
	v_pk_mul_f32 v[116:117], v[114:115], v[112:113] op_sel:[1,1] op_sel_hi:[0,1]
	s_delay_alu instid0(VALU_DEP_1) | instskip(SKIP_1) | instid1(VALU_DEP_2)
	v_pk_fma_f32 v[118:119], v[114:115], v[112:113], v[116:117] op_sel_hi:[1,0,1]
	v_pk_fma_f32 v[112:113], v[114:115], v[112:113], v[116:117] neg_lo:[0,0,1] neg_hi:[0,0,1]
	v_mov_b32_e32 v113, v119
	s_cbranch_execz .LBB53_21
	s_branch .LBB53_22
.LBB53_20:
                                        ; implicit-def: $vgpr112_vgpr113
.LBB53_21:
	ds_load_b64 v[112:113], v1
.LBB53_22:
	s_and_saveexec_b32 s31, s0
	s_cbranch_execz .LBB53_24
; %bb.23:
	scratch_load_b64 v[114:115], off, off offset:416
	v_mov_b32_e32 v116, 0
	ds_load_b64 v[116:117], v116 offset:848
	s_wait_loadcnt_dscnt 0x0
	v_pk_mul_f32 v[118:119], v[116:117], v[114:115] op_sel:[1,1] op_sel_hi:[0,1]
	s_delay_alu instid0(VALU_DEP_1) | instskip(SKIP_1) | instid1(VALU_DEP_2)
	v_pk_fma_f32 v[120:121], v[116:117], v[114:115], v[118:119] op_sel_hi:[1,0,1]
	v_pk_fma_f32 v[114:115], v[116:117], v[114:115], v[118:119] neg_lo:[0,0,1] neg_hi:[0,0,1]
	v_mov_b32_e32 v115, v121
	s_delay_alu instid0(VALU_DEP_1)
	v_pk_add_f32 v[112:113], v[112:113], v[114:115]
.LBB53_24:
	s_or_b32 exec_lo, exec_lo, s31
	v_mov_b32_e32 v114, 0
	ds_load_b64 v[114:115], v114 offset:408
	s_wait_dscnt 0x0
	v_pk_mul_f32 v[116:117], v[112:113], v[114:115] op_sel:[1,1] op_sel_hi:[0,1]
	s_delay_alu instid0(VALU_DEP_1) | instskip(SKIP_1) | instid1(VALU_DEP_2)
	v_pk_fma_f32 v[118:119], v[112:113], v[114:115], v[116:117] op_sel_hi:[1,0,1]
	v_pk_fma_f32 v[112:113], v[112:113], v[114:115], v[116:117] neg_lo:[0,0,1] neg_hi:[0,0,1]
	v_mov_b32_e32 v113, v119
	scratch_store_b64 off, v[112:113], off offset:408
.LBB53_25:
	s_wait_xcnt 0x0
	s_or_b32 exec_lo, exec_lo, s30
	scratch_load_b64 v[112:113], off, off offset:400
	v_cmp_lt_u32_e64 s0, 50, v0
	s_wait_loadcnt 0x0
	ds_store_b64 v1, v[112:113]
	s_wait_storecnt_dscnt 0x0
	s_barrier_signal -1
	s_barrier_wait -1
	s_wait_xcnt 0x0
	s_and_saveexec_b32 s30, s0
	s_cbranch_execz .LBB53_35
; %bb.26:
	s_and_not1_b32 vcc_lo, exec_lo, s3
	s_cbranch_vccnz .LBB53_28
; %bb.27:
	scratch_load_b64 v[112:113], v39, off
	ds_load_b64 v[114:115], v1
	s_wait_loadcnt_dscnt 0x0
	v_pk_mul_f32 v[116:117], v[114:115], v[112:113] op_sel:[1,1] op_sel_hi:[0,1]
	s_delay_alu instid0(VALU_DEP_1) | instskip(SKIP_1) | instid1(VALU_DEP_2)
	v_pk_fma_f32 v[118:119], v[114:115], v[112:113], v[116:117] op_sel_hi:[1,0,1]
	v_pk_fma_f32 v[112:113], v[114:115], v[112:113], v[116:117] neg_lo:[0,0,1] neg_hi:[0,0,1]
	v_mov_b32_e32 v113, v119
	s_cbranch_execz .LBB53_29
	s_branch .LBB53_30
.LBB53_28:
                                        ; implicit-def: $vgpr112_vgpr113
.LBB53_29:
	ds_load_b64 v[112:113], v1
.LBB53_30:
	s_and_saveexec_b32 s31, s1
	s_cbranch_execz .LBB53_34
; %bb.31:
	v_subrev_nc_u32_e32 v114, 51, v0
	s_movk_i32 s1, 0x198
	s_movk_i32 s34, 0x348
	s_mov_b32 s33, 0
.LBB53_32:                              ; =>This Inner Loop Header: Depth=1
	scratch_load_b64 v[116:117], off, s1
	v_dual_mov_b32 v115, s34 :: v_dual_add_nc_u32 v114, -1, v114
	s_add_co_i32 s34, s34, 8
	s_wait_xcnt 0x0
	s_add_co_i32 s1, s1, 8
	ds_load_b64 v[118:119], v115
	v_cmp_eq_u32_e32 vcc_lo, 0, v114
	s_or_b32 s33, vcc_lo, s33
	s_wait_loadcnt_dscnt 0x0
	v_pk_mul_f32 v[120:121], v[118:119], v[116:117] op_sel:[1,1] op_sel_hi:[0,1]
	s_delay_alu instid0(VALU_DEP_1) | instskip(SKIP_1) | instid1(VALU_DEP_2)
	v_pk_fma_f32 v[122:123], v[118:119], v[116:117], v[120:121] op_sel_hi:[1,0,1]
	v_pk_fma_f32 v[116:117], v[118:119], v[116:117], v[120:121] neg_lo:[0,0,1] neg_hi:[0,0,1]
	v_mov_b32_e32 v117, v123
	s_delay_alu instid0(VALU_DEP_1)
	v_pk_add_f32 v[112:113], v[112:113], v[116:117]
	s_and_not1_b32 exec_lo, exec_lo, s33
	s_cbranch_execnz .LBB53_32
; %bb.33:
	s_or_b32 exec_lo, exec_lo, s33
.LBB53_34:
	s_delay_alu instid0(SALU_CYCLE_1) | instskip(SKIP_4) | instid1(VALU_DEP_1)
	s_or_b32 exec_lo, exec_lo, s31
	v_mov_b32_e32 v114, 0
	ds_load_b64 v[114:115], v114 offset:400
	s_wait_dscnt 0x0
	v_pk_mul_f32 v[116:117], v[112:113], v[114:115] op_sel:[1,1] op_sel_hi:[0,1]
	v_pk_fma_f32 v[118:119], v[112:113], v[114:115], v[116:117] op_sel_hi:[1,0,1]
	v_pk_fma_f32 v[112:113], v[112:113], v[114:115], v[116:117] neg_lo:[0,0,1] neg_hi:[0,0,1]
	s_delay_alu instid0(VALU_DEP_2)
	v_mov_b32_e32 v113, v119
	scratch_store_b64 off, v[112:113], off offset:400
.LBB53_35:
	s_wait_xcnt 0x0
	s_or_b32 exec_lo, exec_lo, s30
	scratch_load_b64 v[112:113], off, off offset:392
	v_cmp_lt_u32_e64 s1, 49, v0
	s_wait_loadcnt 0x0
	ds_store_b64 v1, v[112:113]
	s_wait_storecnt_dscnt 0x0
	s_barrier_signal -1
	s_barrier_wait -1
	s_wait_xcnt 0x0
	s_and_saveexec_b32 s30, s1
	s_cbranch_execz .LBB53_45
; %bb.36:
	s_and_not1_b32 vcc_lo, exec_lo, s3
	s_cbranch_vccnz .LBB53_38
; %bb.37:
	scratch_load_b64 v[112:113], v39, off
	ds_load_b64 v[114:115], v1
	s_wait_loadcnt_dscnt 0x0
	v_pk_mul_f32 v[116:117], v[114:115], v[112:113] op_sel:[1,1] op_sel_hi:[0,1]
	s_delay_alu instid0(VALU_DEP_1) | instskip(SKIP_1) | instid1(VALU_DEP_2)
	v_pk_fma_f32 v[118:119], v[114:115], v[112:113], v[116:117] op_sel_hi:[1,0,1]
	v_pk_fma_f32 v[112:113], v[114:115], v[112:113], v[116:117] neg_lo:[0,0,1] neg_hi:[0,0,1]
	v_mov_b32_e32 v113, v119
	s_cbranch_execz .LBB53_39
	s_branch .LBB53_40
.LBB53_38:
                                        ; implicit-def: $vgpr112_vgpr113
.LBB53_39:
	ds_load_b64 v[112:113], v1
.LBB53_40:
	s_and_saveexec_b32 s31, s0
	s_cbranch_execz .LBB53_44
; %bb.41:
	v_subrev_nc_u32_e32 v114, 50, v0
	s_movk_i32 s33, 0x340
	s_mov_b32 s0, 0
.LBB53_42:                              ; =>This Inner Loop Header: Depth=1
	scratch_load_b64 v[116:117], off, s29
	v_dual_mov_b32 v115, s33 :: v_dual_add_nc_u32 v114, -1, v114
	s_add_co_i32 s33, s33, 8
	s_wait_xcnt 0x0
	s_add_co_i32 s29, s29, 8
	ds_load_b64 v[118:119], v115
	v_cmp_eq_u32_e32 vcc_lo, 0, v114
	s_or_b32 s0, vcc_lo, s0
	s_wait_loadcnt_dscnt 0x0
	v_pk_mul_f32 v[120:121], v[118:119], v[116:117] op_sel:[1,1] op_sel_hi:[0,1]
	s_delay_alu instid0(VALU_DEP_1) | instskip(SKIP_1) | instid1(VALU_DEP_2)
	v_pk_fma_f32 v[122:123], v[118:119], v[116:117], v[120:121] op_sel_hi:[1,0,1]
	v_pk_fma_f32 v[116:117], v[118:119], v[116:117], v[120:121] neg_lo:[0,0,1] neg_hi:[0,0,1]
	v_mov_b32_e32 v117, v123
	s_delay_alu instid0(VALU_DEP_1)
	v_pk_add_f32 v[112:113], v[112:113], v[116:117]
	s_and_not1_b32 exec_lo, exec_lo, s0
	s_cbranch_execnz .LBB53_42
; %bb.43:
	s_or_b32 exec_lo, exec_lo, s0
.LBB53_44:
	s_delay_alu instid0(SALU_CYCLE_1) | instskip(SKIP_4) | instid1(VALU_DEP_1)
	s_or_b32 exec_lo, exec_lo, s31
	v_mov_b32_e32 v114, 0
	ds_load_b64 v[114:115], v114 offset:392
	s_wait_dscnt 0x0
	v_pk_mul_f32 v[116:117], v[112:113], v[114:115] op_sel:[1,1] op_sel_hi:[0,1]
	v_pk_fma_f32 v[118:119], v[112:113], v[114:115], v[116:117] op_sel_hi:[1,0,1]
	v_pk_fma_f32 v[112:113], v[112:113], v[114:115], v[116:117] neg_lo:[0,0,1] neg_hi:[0,0,1]
	s_delay_alu instid0(VALU_DEP_2)
	v_mov_b32_e32 v113, v119
	scratch_store_b64 off, v[112:113], off offset:392
.LBB53_45:
	s_wait_xcnt 0x0
	s_or_b32 exec_lo, exec_lo, s30
	scratch_load_b64 v[112:113], off, off offset:384
	v_cmp_lt_u32_e64 s0, 48, v0
	s_wait_loadcnt 0x0
	ds_store_b64 v1, v[112:113]
	s_wait_storecnt_dscnt 0x0
	s_barrier_signal -1
	s_barrier_wait -1
	s_wait_xcnt 0x0
	s_and_saveexec_b32 s29, s0
	s_cbranch_execz .LBB53_55
; %bb.46:
	s_and_not1_b32 vcc_lo, exec_lo, s3
	s_cbranch_vccnz .LBB53_48
; %bb.47:
	scratch_load_b64 v[112:113], v39, off
	ds_load_b64 v[114:115], v1
	s_wait_loadcnt_dscnt 0x0
	v_pk_mul_f32 v[116:117], v[114:115], v[112:113] op_sel:[1,1] op_sel_hi:[0,1]
	s_delay_alu instid0(VALU_DEP_1) | instskip(SKIP_1) | instid1(VALU_DEP_2)
	v_pk_fma_f32 v[118:119], v[114:115], v[112:113], v[116:117] op_sel_hi:[1,0,1]
	v_pk_fma_f32 v[112:113], v[114:115], v[112:113], v[116:117] neg_lo:[0,0,1] neg_hi:[0,0,1]
	v_mov_b32_e32 v113, v119
	s_cbranch_execz .LBB53_49
	s_branch .LBB53_50
.LBB53_48:
                                        ; implicit-def: $vgpr112_vgpr113
.LBB53_49:
	ds_load_b64 v[112:113], v1
.LBB53_50:
	s_and_saveexec_b32 s30, s1
	s_cbranch_execz .LBB53_54
; %bb.51:
	v_subrev_nc_u32_e32 v114, 49, v0
	s_movk_i32 s1, 0x188
	s_movk_i32 s33, 0x338
	s_mov_b32 s31, 0
.LBB53_52:                              ; =>This Inner Loop Header: Depth=1
	scratch_load_b64 v[116:117], off, s1
	v_dual_mov_b32 v115, s33 :: v_dual_add_nc_u32 v114, -1, v114
	s_add_co_i32 s33, s33, 8
	s_wait_xcnt 0x0
	s_add_co_i32 s1, s1, 8
	ds_load_b64 v[118:119], v115
	v_cmp_eq_u32_e32 vcc_lo, 0, v114
	s_or_b32 s31, vcc_lo, s31
	s_wait_loadcnt_dscnt 0x0
	v_pk_mul_f32 v[120:121], v[118:119], v[116:117] op_sel:[1,1] op_sel_hi:[0,1]
	s_delay_alu instid0(VALU_DEP_1) | instskip(SKIP_1) | instid1(VALU_DEP_2)
	v_pk_fma_f32 v[122:123], v[118:119], v[116:117], v[120:121] op_sel_hi:[1,0,1]
	v_pk_fma_f32 v[116:117], v[118:119], v[116:117], v[120:121] neg_lo:[0,0,1] neg_hi:[0,0,1]
	v_mov_b32_e32 v117, v123
	s_delay_alu instid0(VALU_DEP_1)
	v_pk_add_f32 v[112:113], v[112:113], v[116:117]
	s_and_not1_b32 exec_lo, exec_lo, s31
	s_cbranch_execnz .LBB53_52
; %bb.53:
	s_or_b32 exec_lo, exec_lo, s31
.LBB53_54:
	s_delay_alu instid0(SALU_CYCLE_1) | instskip(SKIP_4) | instid1(VALU_DEP_1)
	s_or_b32 exec_lo, exec_lo, s30
	v_mov_b32_e32 v114, 0
	ds_load_b64 v[114:115], v114 offset:384
	s_wait_dscnt 0x0
	v_pk_mul_f32 v[116:117], v[112:113], v[114:115] op_sel:[1,1] op_sel_hi:[0,1]
	v_pk_fma_f32 v[118:119], v[112:113], v[114:115], v[116:117] op_sel_hi:[1,0,1]
	v_pk_fma_f32 v[112:113], v[112:113], v[114:115], v[116:117] neg_lo:[0,0,1] neg_hi:[0,0,1]
	s_delay_alu instid0(VALU_DEP_2)
	v_mov_b32_e32 v113, v119
	scratch_store_b64 off, v[112:113], off offset:384
.LBB53_55:
	s_wait_xcnt 0x0
	s_or_b32 exec_lo, exec_lo, s29
	scratch_load_b64 v[112:113], off, off offset:376
	v_cmp_lt_u32_e64 s1, 47, v0
	s_wait_loadcnt 0x0
	ds_store_b64 v1, v[112:113]
	s_wait_storecnt_dscnt 0x0
	s_barrier_signal -1
	s_barrier_wait -1
	s_wait_xcnt 0x0
	s_and_saveexec_b32 s29, s1
	s_cbranch_execz .LBB53_65
; %bb.56:
	s_and_not1_b32 vcc_lo, exec_lo, s3
	s_cbranch_vccnz .LBB53_58
; %bb.57:
	scratch_load_b64 v[112:113], v39, off
	ds_load_b64 v[114:115], v1
	s_wait_loadcnt_dscnt 0x0
	v_pk_mul_f32 v[116:117], v[114:115], v[112:113] op_sel:[1,1] op_sel_hi:[0,1]
	s_delay_alu instid0(VALU_DEP_1) | instskip(SKIP_1) | instid1(VALU_DEP_2)
	v_pk_fma_f32 v[118:119], v[114:115], v[112:113], v[116:117] op_sel_hi:[1,0,1]
	v_pk_fma_f32 v[112:113], v[114:115], v[112:113], v[116:117] neg_lo:[0,0,1] neg_hi:[0,0,1]
	v_mov_b32_e32 v113, v119
	s_cbranch_execz .LBB53_59
	s_branch .LBB53_60
.LBB53_58:
                                        ; implicit-def: $vgpr112_vgpr113
.LBB53_59:
	ds_load_b64 v[112:113], v1
.LBB53_60:
	s_and_saveexec_b32 s30, s0
	s_cbranch_execz .LBB53_64
; %bb.61:
	v_subrev_nc_u32_e32 v114, 48, v0
	s_movk_i32 s31, 0x330
	s_mov_b32 s0, 0
.LBB53_62:                              ; =>This Inner Loop Header: Depth=1
	scratch_load_b64 v[116:117], off, s28
	v_dual_mov_b32 v115, s31 :: v_dual_add_nc_u32 v114, -1, v114
	s_add_co_i32 s31, s31, 8
	s_wait_xcnt 0x0
	s_add_co_i32 s28, s28, 8
	ds_load_b64 v[118:119], v115
	v_cmp_eq_u32_e32 vcc_lo, 0, v114
	s_or_b32 s0, vcc_lo, s0
	s_wait_loadcnt_dscnt 0x0
	v_pk_mul_f32 v[120:121], v[118:119], v[116:117] op_sel:[1,1] op_sel_hi:[0,1]
	s_delay_alu instid0(VALU_DEP_1) | instskip(SKIP_1) | instid1(VALU_DEP_2)
	v_pk_fma_f32 v[122:123], v[118:119], v[116:117], v[120:121] op_sel_hi:[1,0,1]
	v_pk_fma_f32 v[116:117], v[118:119], v[116:117], v[120:121] neg_lo:[0,0,1] neg_hi:[0,0,1]
	v_mov_b32_e32 v117, v123
	s_delay_alu instid0(VALU_DEP_1)
	v_pk_add_f32 v[112:113], v[112:113], v[116:117]
	s_and_not1_b32 exec_lo, exec_lo, s0
	s_cbranch_execnz .LBB53_62
; %bb.63:
	s_or_b32 exec_lo, exec_lo, s0
.LBB53_64:
	s_delay_alu instid0(SALU_CYCLE_1) | instskip(SKIP_4) | instid1(VALU_DEP_1)
	s_or_b32 exec_lo, exec_lo, s30
	v_mov_b32_e32 v114, 0
	ds_load_b64 v[114:115], v114 offset:376
	s_wait_dscnt 0x0
	v_pk_mul_f32 v[116:117], v[112:113], v[114:115] op_sel:[1,1] op_sel_hi:[0,1]
	v_pk_fma_f32 v[118:119], v[112:113], v[114:115], v[116:117] op_sel_hi:[1,0,1]
	v_pk_fma_f32 v[112:113], v[112:113], v[114:115], v[116:117] neg_lo:[0,0,1] neg_hi:[0,0,1]
	s_delay_alu instid0(VALU_DEP_2)
	v_mov_b32_e32 v113, v119
	scratch_store_b64 off, v[112:113], off offset:376
.LBB53_65:
	s_wait_xcnt 0x0
	s_or_b32 exec_lo, exec_lo, s29
	scratch_load_b64 v[112:113], off, off offset:368
	v_cmp_lt_u32_e64 s0, 46, v0
	s_wait_loadcnt 0x0
	ds_store_b64 v1, v[112:113]
	s_wait_storecnt_dscnt 0x0
	s_barrier_signal -1
	s_barrier_wait -1
	s_wait_xcnt 0x0
	s_and_saveexec_b32 s28, s0
	s_cbranch_execz .LBB53_75
; %bb.66:
	s_and_not1_b32 vcc_lo, exec_lo, s3
	s_cbranch_vccnz .LBB53_68
; %bb.67:
	scratch_load_b64 v[112:113], v39, off
	ds_load_b64 v[114:115], v1
	s_wait_loadcnt_dscnt 0x0
	v_pk_mul_f32 v[116:117], v[114:115], v[112:113] op_sel:[1,1] op_sel_hi:[0,1]
	s_delay_alu instid0(VALU_DEP_1) | instskip(SKIP_1) | instid1(VALU_DEP_2)
	v_pk_fma_f32 v[118:119], v[114:115], v[112:113], v[116:117] op_sel_hi:[1,0,1]
	v_pk_fma_f32 v[112:113], v[114:115], v[112:113], v[116:117] neg_lo:[0,0,1] neg_hi:[0,0,1]
	v_mov_b32_e32 v113, v119
	s_cbranch_execz .LBB53_69
	s_branch .LBB53_70
.LBB53_68:
                                        ; implicit-def: $vgpr112_vgpr113
.LBB53_69:
	ds_load_b64 v[112:113], v1
.LBB53_70:
	s_and_saveexec_b32 s29, s1
	s_cbranch_execz .LBB53_74
; %bb.71:
	v_subrev_nc_u32_e32 v114, 47, v0
	s_movk_i32 s1, 0x178
	s_movk_i32 s31, 0x328
	s_mov_b32 s30, 0
.LBB53_72:                              ; =>This Inner Loop Header: Depth=1
	scratch_load_b64 v[116:117], off, s1
	v_dual_mov_b32 v115, s31 :: v_dual_add_nc_u32 v114, -1, v114
	s_add_co_i32 s31, s31, 8
	s_wait_xcnt 0x0
	s_add_co_i32 s1, s1, 8
	ds_load_b64 v[118:119], v115
	v_cmp_eq_u32_e32 vcc_lo, 0, v114
	s_or_b32 s30, vcc_lo, s30
	s_wait_loadcnt_dscnt 0x0
	v_pk_mul_f32 v[120:121], v[118:119], v[116:117] op_sel:[1,1] op_sel_hi:[0,1]
	s_delay_alu instid0(VALU_DEP_1) | instskip(SKIP_1) | instid1(VALU_DEP_2)
	v_pk_fma_f32 v[122:123], v[118:119], v[116:117], v[120:121] op_sel_hi:[1,0,1]
	v_pk_fma_f32 v[116:117], v[118:119], v[116:117], v[120:121] neg_lo:[0,0,1] neg_hi:[0,0,1]
	v_mov_b32_e32 v117, v123
	s_delay_alu instid0(VALU_DEP_1)
	v_pk_add_f32 v[112:113], v[112:113], v[116:117]
	s_and_not1_b32 exec_lo, exec_lo, s30
	s_cbranch_execnz .LBB53_72
; %bb.73:
	s_or_b32 exec_lo, exec_lo, s30
.LBB53_74:
	s_delay_alu instid0(SALU_CYCLE_1) | instskip(SKIP_4) | instid1(VALU_DEP_1)
	s_or_b32 exec_lo, exec_lo, s29
	v_mov_b32_e32 v114, 0
	ds_load_b64 v[114:115], v114 offset:368
	s_wait_dscnt 0x0
	v_pk_mul_f32 v[116:117], v[112:113], v[114:115] op_sel:[1,1] op_sel_hi:[0,1]
	v_pk_fma_f32 v[118:119], v[112:113], v[114:115], v[116:117] op_sel_hi:[1,0,1]
	v_pk_fma_f32 v[112:113], v[112:113], v[114:115], v[116:117] neg_lo:[0,0,1] neg_hi:[0,0,1]
	s_delay_alu instid0(VALU_DEP_2)
	v_mov_b32_e32 v113, v119
	scratch_store_b64 off, v[112:113], off offset:368
.LBB53_75:
	s_wait_xcnt 0x0
	s_or_b32 exec_lo, exec_lo, s28
	scratch_load_b64 v[112:113], off, off offset:360
	v_cmp_lt_u32_e64 s1, 45, v0
	s_wait_loadcnt 0x0
	ds_store_b64 v1, v[112:113]
	s_wait_storecnt_dscnt 0x0
	s_barrier_signal -1
	s_barrier_wait -1
	s_wait_xcnt 0x0
	s_and_saveexec_b32 s28, s1
	s_cbranch_execz .LBB53_85
; %bb.76:
	s_and_not1_b32 vcc_lo, exec_lo, s3
	s_cbranch_vccnz .LBB53_78
; %bb.77:
	scratch_load_b64 v[112:113], v39, off
	ds_load_b64 v[114:115], v1
	s_wait_loadcnt_dscnt 0x0
	v_pk_mul_f32 v[116:117], v[114:115], v[112:113] op_sel:[1,1] op_sel_hi:[0,1]
	s_delay_alu instid0(VALU_DEP_1) | instskip(SKIP_1) | instid1(VALU_DEP_2)
	v_pk_fma_f32 v[118:119], v[114:115], v[112:113], v[116:117] op_sel_hi:[1,0,1]
	v_pk_fma_f32 v[112:113], v[114:115], v[112:113], v[116:117] neg_lo:[0,0,1] neg_hi:[0,0,1]
	v_mov_b32_e32 v113, v119
	s_cbranch_execz .LBB53_79
	s_branch .LBB53_80
.LBB53_78:
                                        ; implicit-def: $vgpr112_vgpr113
.LBB53_79:
	ds_load_b64 v[112:113], v1
.LBB53_80:
	s_and_saveexec_b32 s29, s0
	s_cbranch_execz .LBB53_84
; %bb.81:
	v_subrev_nc_u32_e32 v114, 46, v0
	s_movk_i32 s30, 0x320
	s_mov_b32 s0, 0
.LBB53_82:                              ; =>This Inner Loop Header: Depth=1
	scratch_load_b64 v[116:117], off, s27
	v_dual_mov_b32 v115, s30 :: v_dual_add_nc_u32 v114, -1, v114
	s_add_co_i32 s30, s30, 8
	s_wait_xcnt 0x0
	s_add_co_i32 s27, s27, 8
	ds_load_b64 v[118:119], v115
	v_cmp_eq_u32_e32 vcc_lo, 0, v114
	s_or_b32 s0, vcc_lo, s0
	s_wait_loadcnt_dscnt 0x0
	v_pk_mul_f32 v[120:121], v[118:119], v[116:117] op_sel:[1,1] op_sel_hi:[0,1]
	s_delay_alu instid0(VALU_DEP_1) | instskip(SKIP_1) | instid1(VALU_DEP_2)
	v_pk_fma_f32 v[122:123], v[118:119], v[116:117], v[120:121] op_sel_hi:[1,0,1]
	v_pk_fma_f32 v[116:117], v[118:119], v[116:117], v[120:121] neg_lo:[0,0,1] neg_hi:[0,0,1]
	v_mov_b32_e32 v117, v123
	s_delay_alu instid0(VALU_DEP_1)
	v_pk_add_f32 v[112:113], v[112:113], v[116:117]
	s_and_not1_b32 exec_lo, exec_lo, s0
	s_cbranch_execnz .LBB53_82
; %bb.83:
	s_or_b32 exec_lo, exec_lo, s0
.LBB53_84:
	s_delay_alu instid0(SALU_CYCLE_1) | instskip(SKIP_4) | instid1(VALU_DEP_1)
	s_or_b32 exec_lo, exec_lo, s29
	v_mov_b32_e32 v114, 0
	ds_load_b64 v[114:115], v114 offset:360
	s_wait_dscnt 0x0
	v_pk_mul_f32 v[116:117], v[112:113], v[114:115] op_sel:[1,1] op_sel_hi:[0,1]
	v_pk_fma_f32 v[118:119], v[112:113], v[114:115], v[116:117] op_sel_hi:[1,0,1]
	v_pk_fma_f32 v[112:113], v[112:113], v[114:115], v[116:117] neg_lo:[0,0,1] neg_hi:[0,0,1]
	s_delay_alu instid0(VALU_DEP_2)
	v_mov_b32_e32 v113, v119
	scratch_store_b64 off, v[112:113], off offset:360
.LBB53_85:
	s_wait_xcnt 0x0
	s_or_b32 exec_lo, exec_lo, s28
	scratch_load_b64 v[112:113], off, off offset:352
	v_cmp_lt_u32_e64 s0, 44, v0
	s_wait_loadcnt 0x0
	ds_store_b64 v1, v[112:113]
	s_wait_storecnt_dscnt 0x0
	s_barrier_signal -1
	s_barrier_wait -1
	s_wait_xcnt 0x0
	s_and_saveexec_b32 s27, s0
	s_cbranch_execz .LBB53_95
; %bb.86:
	s_and_not1_b32 vcc_lo, exec_lo, s3
	s_cbranch_vccnz .LBB53_88
; %bb.87:
	scratch_load_b64 v[112:113], v39, off
	ds_load_b64 v[114:115], v1
	s_wait_loadcnt_dscnt 0x0
	v_pk_mul_f32 v[116:117], v[114:115], v[112:113] op_sel:[1,1] op_sel_hi:[0,1]
	s_delay_alu instid0(VALU_DEP_1) | instskip(SKIP_1) | instid1(VALU_DEP_2)
	v_pk_fma_f32 v[118:119], v[114:115], v[112:113], v[116:117] op_sel_hi:[1,0,1]
	v_pk_fma_f32 v[112:113], v[114:115], v[112:113], v[116:117] neg_lo:[0,0,1] neg_hi:[0,0,1]
	v_mov_b32_e32 v113, v119
	s_cbranch_execz .LBB53_89
	s_branch .LBB53_90
.LBB53_88:
                                        ; implicit-def: $vgpr112_vgpr113
.LBB53_89:
	ds_load_b64 v[112:113], v1
.LBB53_90:
	s_and_saveexec_b32 s28, s1
	s_cbranch_execz .LBB53_94
; %bb.91:
	v_subrev_nc_u32_e32 v114, 45, v0
	s_movk_i32 s1, 0x168
	s_movk_i32 s30, 0x318
	s_mov_b32 s29, 0
.LBB53_92:                              ; =>This Inner Loop Header: Depth=1
	scratch_load_b64 v[116:117], off, s1
	v_dual_mov_b32 v115, s30 :: v_dual_add_nc_u32 v114, -1, v114
	s_add_co_i32 s30, s30, 8
	s_wait_xcnt 0x0
	s_add_co_i32 s1, s1, 8
	ds_load_b64 v[118:119], v115
	v_cmp_eq_u32_e32 vcc_lo, 0, v114
	s_or_b32 s29, vcc_lo, s29
	s_wait_loadcnt_dscnt 0x0
	v_pk_mul_f32 v[120:121], v[118:119], v[116:117] op_sel:[1,1] op_sel_hi:[0,1]
	s_delay_alu instid0(VALU_DEP_1) | instskip(SKIP_1) | instid1(VALU_DEP_2)
	v_pk_fma_f32 v[122:123], v[118:119], v[116:117], v[120:121] op_sel_hi:[1,0,1]
	v_pk_fma_f32 v[116:117], v[118:119], v[116:117], v[120:121] neg_lo:[0,0,1] neg_hi:[0,0,1]
	v_mov_b32_e32 v117, v123
	s_delay_alu instid0(VALU_DEP_1)
	v_pk_add_f32 v[112:113], v[112:113], v[116:117]
	s_and_not1_b32 exec_lo, exec_lo, s29
	s_cbranch_execnz .LBB53_92
; %bb.93:
	s_or_b32 exec_lo, exec_lo, s29
.LBB53_94:
	s_delay_alu instid0(SALU_CYCLE_1) | instskip(SKIP_4) | instid1(VALU_DEP_1)
	s_or_b32 exec_lo, exec_lo, s28
	v_mov_b32_e32 v114, 0
	ds_load_b64 v[114:115], v114 offset:352
	s_wait_dscnt 0x0
	v_pk_mul_f32 v[116:117], v[112:113], v[114:115] op_sel:[1,1] op_sel_hi:[0,1]
	v_pk_fma_f32 v[118:119], v[112:113], v[114:115], v[116:117] op_sel_hi:[1,0,1]
	v_pk_fma_f32 v[112:113], v[112:113], v[114:115], v[116:117] neg_lo:[0,0,1] neg_hi:[0,0,1]
	s_delay_alu instid0(VALU_DEP_2)
	v_mov_b32_e32 v113, v119
	scratch_store_b64 off, v[112:113], off offset:352
.LBB53_95:
	s_wait_xcnt 0x0
	s_or_b32 exec_lo, exec_lo, s27
	scratch_load_b64 v[112:113], off, off offset:344
	v_cmp_lt_u32_e64 s1, 43, v0
	s_wait_loadcnt 0x0
	ds_store_b64 v1, v[112:113]
	s_wait_storecnt_dscnt 0x0
	s_barrier_signal -1
	s_barrier_wait -1
	s_wait_xcnt 0x0
	s_and_saveexec_b32 s27, s1
	s_cbranch_execz .LBB53_105
; %bb.96:
	s_and_not1_b32 vcc_lo, exec_lo, s3
	s_cbranch_vccnz .LBB53_98
; %bb.97:
	scratch_load_b64 v[112:113], v39, off
	ds_load_b64 v[114:115], v1
	s_wait_loadcnt_dscnt 0x0
	v_pk_mul_f32 v[116:117], v[114:115], v[112:113] op_sel:[1,1] op_sel_hi:[0,1]
	s_delay_alu instid0(VALU_DEP_1) | instskip(SKIP_1) | instid1(VALU_DEP_2)
	v_pk_fma_f32 v[118:119], v[114:115], v[112:113], v[116:117] op_sel_hi:[1,0,1]
	v_pk_fma_f32 v[112:113], v[114:115], v[112:113], v[116:117] neg_lo:[0,0,1] neg_hi:[0,0,1]
	v_mov_b32_e32 v113, v119
	s_cbranch_execz .LBB53_99
	s_branch .LBB53_100
.LBB53_98:
                                        ; implicit-def: $vgpr112_vgpr113
.LBB53_99:
	ds_load_b64 v[112:113], v1
.LBB53_100:
	s_and_saveexec_b32 s28, s0
	s_cbranch_execz .LBB53_104
; %bb.101:
	v_subrev_nc_u32_e32 v114, 44, v0
	s_movk_i32 s29, 0x310
	s_mov_b32 s0, 0
.LBB53_102:                             ; =>This Inner Loop Header: Depth=1
	scratch_load_b64 v[116:117], off, s26
	v_dual_mov_b32 v115, s29 :: v_dual_add_nc_u32 v114, -1, v114
	s_add_co_i32 s29, s29, 8
	s_wait_xcnt 0x0
	s_add_co_i32 s26, s26, 8
	ds_load_b64 v[118:119], v115
	v_cmp_eq_u32_e32 vcc_lo, 0, v114
	s_or_b32 s0, vcc_lo, s0
	s_wait_loadcnt_dscnt 0x0
	v_pk_mul_f32 v[120:121], v[118:119], v[116:117] op_sel:[1,1] op_sel_hi:[0,1]
	s_delay_alu instid0(VALU_DEP_1) | instskip(SKIP_1) | instid1(VALU_DEP_2)
	v_pk_fma_f32 v[122:123], v[118:119], v[116:117], v[120:121] op_sel_hi:[1,0,1]
	v_pk_fma_f32 v[116:117], v[118:119], v[116:117], v[120:121] neg_lo:[0,0,1] neg_hi:[0,0,1]
	v_mov_b32_e32 v117, v123
	s_delay_alu instid0(VALU_DEP_1)
	v_pk_add_f32 v[112:113], v[112:113], v[116:117]
	s_and_not1_b32 exec_lo, exec_lo, s0
	s_cbranch_execnz .LBB53_102
; %bb.103:
	s_or_b32 exec_lo, exec_lo, s0
.LBB53_104:
	s_delay_alu instid0(SALU_CYCLE_1) | instskip(SKIP_4) | instid1(VALU_DEP_1)
	s_or_b32 exec_lo, exec_lo, s28
	v_mov_b32_e32 v114, 0
	ds_load_b64 v[114:115], v114 offset:344
	s_wait_dscnt 0x0
	v_pk_mul_f32 v[116:117], v[112:113], v[114:115] op_sel:[1,1] op_sel_hi:[0,1]
	v_pk_fma_f32 v[118:119], v[112:113], v[114:115], v[116:117] op_sel_hi:[1,0,1]
	v_pk_fma_f32 v[112:113], v[112:113], v[114:115], v[116:117] neg_lo:[0,0,1] neg_hi:[0,0,1]
	s_delay_alu instid0(VALU_DEP_2)
	v_mov_b32_e32 v113, v119
	scratch_store_b64 off, v[112:113], off offset:344
.LBB53_105:
	s_wait_xcnt 0x0
	s_or_b32 exec_lo, exec_lo, s27
	scratch_load_b64 v[112:113], off, off offset:336
	v_cmp_lt_u32_e64 s0, 42, v0
	s_wait_loadcnt 0x0
	ds_store_b64 v1, v[112:113]
	s_wait_storecnt_dscnt 0x0
	s_barrier_signal -1
	s_barrier_wait -1
	s_wait_xcnt 0x0
	s_and_saveexec_b32 s26, s0
	s_cbranch_execz .LBB53_115
; %bb.106:
	s_and_not1_b32 vcc_lo, exec_lo, s3
	s_cbranch_vccnz .LBB53_108
; %bb.107:
	scratch_load_b64 v[112:113], v39, off
	ds_load_b64 v[114:115], v1
	s_wait_loadcnt_dscnt 0x0
	v_pk_mul_f32 v[116:117], v[114:115], v[112:113] op_sel:[1,1] op_sel_hi:[0,1]
	s_delay_alu instid0(VALU_DEP_1) | instskip(SKIP_1) | instid1(VALU_DEP_2)
	v_pk_fma_f32 v[118:119], v[114:115], v[112:113], v[116:117] op_sel_hi:[1,0,1]
	v_pk_fma_f32 v[112:113], v[114:115], v[112:113], v[116:117] neg_lo:[0,0,1] neg_hi:[0,0,1]
	v_mov_b32_e32 v113, v119
	s_cbranch_execz .LBB53_109
	s_branch .LBB53_110
.LBB53_108:
                                        ; implicit-def: $vgpr112_vgpr113
.LBB53_109:
	ds_load_b64 v[112:113], v1
.LBB53_110:
	s_and_saveexec_b32 s27, s1
	s_cbranch_execz .LBB53_114
; %bb.111:
	v_subrev_nc_u32_e32 v114, 43, v0
	s_movk_i32 s1, 0x158
	s_movk_i32 s29, 0x308
	s_mov_b32 s28, 0
.LBB53_112:                             ; =>This Inner Loop Header: Depth=1
	scratch_load_b64 v[116:117], off, s1
	v_dual_mov_b32 v115, s29 :: v_dual_add_nc_u32 v114, -1, v114
	s_add_co_i32 s29, s29, 8
	s_wait_xcnt 0x0
	s_add_co_i32 s1, s1, 8
	ds_load_b64 v[118:119], v115
	v_cmp_eq_u32_e32 vcc_lo, 0, v114
	s_or_b32 s28, vcc_lo, s28
	s_wait_loadcnt_dscnt 0x0
	v_pk_mul_f32 v[120:121], v[118:119], v[116:117] op_sel:[1,1] op_sel_hi:[0,1]
	s_delay_alu instid0(VALU_DEP_1) | instskip(SKIP_1) | instid1(VALU_DEP_2)
	v_pk_fma_f32 v[122:123], v[118:119], v[116:117], v[120:121] op_sel_hi:[1,0,1]
	v_pk_fma_f32 v[116:117], v[118:119], v[116:117], v[120:121] neg_lo:[0,0,1] neg_hi:[0,0,1]
	v_mov_b32_e32 v117, v123
	s_delay_alu instid0(VALU_DEP_1)
	v_pk_add_f32 v[112:113], v[112:113], v[116:117]
	s_and_not1_b32 exec_lo, exec_lo, s28
	s_cbranch_execnz .LBB53_112
; %bb.113:
	s_or_b32 exec_lo, exec_lo, s28
.LBB53_114:
	s_delay_alu instid0(SALU_CYCLE_1) | instskip(SKIP_4) | instid1(VALU_DEP_1)
	s_or_b32 exec_lo, exec_lo, s27
	v_mov_b32_e32 v114, 0
	ds_load_b64 v[114:115], v114 offset:336
	s_wait_dscnt 0x0
	v_pk_mul_f32 v[116:117], v[112:113], v[114:115] op_sel:[1,1] op_sel_hi:[0,1]
	v_pk_fma_f32 v[118:119], v[112:113], v[114:115], v[116:117] op_sel_hi:[1,0,1]
	v_pk_fma_f32 v[112:113], v[112:113], v[114:115], v[116:117] neg_lo:[0,0,1] neg_hi:[0,0,1]
	s_delay_alu instid0(VALU_DEP_2)
	v_mov_b32_e32 v113, v119
	scratch_store_b64 off, v[112:113], off offset:336
.LBB53_115:
	s_wait_xcnt 0x0
	s_or_b32 exec_lo, exec_lo, s26
	scratch_load_b64 v[112:113], off, off offset:328
	v_cmp_lt_u32_e64 s1, 41, v0
	s_wait_loadcnt 0x0
	ds_store_b64 v1, v[112:113]
	s_wait_storecnt_dscnt 0x0
	s_barrier_signal -1
	s_barrier_wait -1
	s_wait_xcnt 0x0
	s_and_saveexec_b32 s26, s1
	s_cbranch_execz .LBB53_125
; %bb.116:
	s_and_not1_b32 vcc_lo, exec_lo, s3
	s_cbranch_vccnz .LBB53_118
; %bb.117:
	scratch_load_b64 v[112:113], v39, off
	ds_load_b64 v[114:115], v1
	s_wait_loadcnt_dscnt 0x0
	v_pk_mul_f32 v[116:117], v[114:115], v[112:113] op_sel:[1,1] op_sel_hi:[0,1]
	s_delay_alu instid0(VALU_DEP_1) | instskip(SKIP_1) | instid1(VALU_DEP_2)
	v_pk_fma_f32 v[118:119], v[114:115], v[112:113], v[116:117] op_sel_hi:[1,0,1]
	v_pk_fma_f32 v[112:113], v[114:115], v[112:113], v[116:117] neg_lo:[0,0,1] neg_hi:[0,0,1]
	v_mov_b32_e32 v113, v119
	s_cbranch_execz .LBB53_119
	s_branch .LBB53_120
.LBB53_118:
                                        ; implicit-def: $vgpr112_vgpr113
.LBB53_119:
	ds_load_b64 v[112:113], v1
.LBB53_120:
	s_and_saveexec_b32 s27, s0
	s_cbranch_execz .LBB53_124
; %bb.121:
	v_subrev_nc_u32_e32 v114, 42, v0
	s_movk_i32 s28, 0x300
	s_mov_b32 s0, 0
.LBB53_122:                             ; =>This Inner Loop Header: Depth=1
	scratch_load_b64 v[116:117], off, s25
	v_dual_mov_b32 v115, s28 :: v_dual_add_nc_u32 v114, -1, v114
	s_add_co_i32 s28, s28, 8
	s_wait_xcnt 0x0
	s_add_co_i32 s25, s25, 8
	ds_load_b64 v[118:119], v115
	v_cmp_eq_u32_e32 vcc_lo, 0, v114
	s_or_b32 s0, vcc_lo, s0
	s_wait_loadcnt_dscnt 0x0
	v_pk_mul_f32 v[120:121], v[118:119], v[116:117] op_sel:[1,1] op_sel_hi:[0,1]
	s_delay_alu instid0(VALU_DEP_1) | instskip(SKIP_1) | instid1(VALU_DEP_2)
	v_pk_fma_f32 v[122:123], v[118:119], v[116:117], v[120:121] op_sel_hi:[1,0,1]
	v_pk_fma_f32 v[116:117], v[118:119], v[116:117], v[120:121] neg_lo:[0,0,1] neg_hi:[0,0,1]
	v_mov_b32_e32 v117, v123
	s_delay_alu instid0(VALU_DEP_1)
	v_pk_add_f32 v[112:113], v[112:113], v[116:117]
	s_and_not1_b32 exec_lo, exec_lo, s0
	s_cbranch_execnz .LBB53_122
; %bb.123:
	s_or_b32 exec_lo, exec_lo, s0
.LBB53_124:
	s_delay_alu instid0(SALU_CYCLE_1) | instskip(SKIP_4) | instid1(VALU_DEP_1)
	s_or_b32 exec_lo, exec_lo, s27
	v_mov_b32_e32 v114, 0
	ds_load_b64 v[114:115], v114 offset:328
	s_wait_dscnt 0x0
	v_pk_mul_f32 v[116:117], v[112:113], v[114:115] op_sel:[1,1] op_sel_hi:[0,1]
	v_pk_fma_f32 v[118:119], v[112:113], v[114:115], v[116:117] op_sel_hi:[1,0,1]
	v_pk_fma_f32 v[112:113], v[112:113], v[114:115], v[116:117] neg_lo:[0,0,1] neg_hi:[0,0,1]
	s_delay_alu instid0(VALU_DEP_2)
	v_mov_b32_e32 v113, v119
	scratch_store_b64 off, v[112:113], off offset:328
.LBB53_125:
	s_wait_xcnt 0x0
	s_or_b32 exec_lo, exec_lo, s26
	scratch_load_b64 v[112:113], off, off offset:320
	v_cmp_lt_u32_e64 s0, 40, v0
	s_wait_loadcnt 0x0
	ds_store_b64 v1, v[112:113]
	s_wait_storecnt_dscnt 0x0
	s_barrier_signal -1
	s_barrier_wait -1
	s_wait_xcnt 0x0
	s_and_saveexec_b32 s25, s0
	s_cbranch_execz .LBB53_135
; %bb.126:
	s_and_not1_b32 vcc_lo, exec_lo, s3
	s_cbranch_vccnz .LBB53_128
; %bb.127:
	scratch_load_b64 v[112:113], v39, off
	ds_load_b64 v[114:115], v1
	s_wait_loadcnt_dscnt 0x0
	v_pk_mul_f32 v[116:117], v[114:115], v[112:113] op_sel:[1,1] op_sel_hi:[0,1]
	s_delay_alu instid0(VALU_DEP_1) | instskip(SKIP_1) | instid1(VALU_DEP_2)
	v_pk_fma_f32 v[118:119], v[114:115], v[112:113], v[116:117] op_sel_hi:[1,0,1]
	v_pk_fma_f32 v[112:113], v[114:115], v[112:113], v[116:117] neg_lo:[0,0,1] neg_hi:[0,0,1]
	v_mov_b32_e32 v113, v119
	s_cbranch_execz .LBB53_129
	s_branch .LBB53_130
.LBB53_128:
                                        ; implicit-def: $vgpr112_vgpr113
.LBB53_129:
	ds_load_b64 v[112:113], v1
.LBB53_130:
	s_and_saveexec_b32 s26, s1
	s_cbranch_execz .LBB53_134
; %bb.131:
	v_subrev_nc_u32_e32 v114, 41, v0
	s_movk_i32 s1, 0x148
	s_movk_i32 s28, 0x2f8
	s_mov_b32 s27, 0
.LBB53_132:                             ; =>This Inner Loop Header: Depth=1
	scratch_load_b64 v[116:117], off, s1
	v_dual_mov_b32 v115, s28 :: v_dual_add_nc_u32 v114, -1, v114
	s_add_co_i32 s28, s28, 8
	s_wait_xcnt 0x0
	s_add_co_i32 s1, s1, 8
	ds_load_b64 v[118:119], v115
	v_cmp_eq_u32_e32 vcc_lo, 0, v114
	s_or_b32 s27, vcc_lo, s27
	s_wait_loadcnt_dscnt 0x0
	v_pk_mul_f32 v[120:121], v[118:119], v[116:117] op_sel:[1,1] op_sel_hi:[0,1]
	s_delay_alu instid0(VALU_DEP_1) | instskip(SKIP_1) | instid1(VALU_DEP_2)
	v_pk_fma_f32 v[122:123], v[118:119], v[116:117], v[120:121] op_sel_hi:[1,0,1]
	v_pk_fma_f32 v[116:117], v[118:119], v[116:117], v[120:121] neg_lo:[0,0,1] neg_hi:[0,0,1]
	v_mov_b32_e32 v117, v123
	s_delay_alu instid0(VALU_DEP_1)
	v_pk_add_f32 v[112:113], v[112:113], v[116:117]
	s_and_not1_b32 exec_lo, exec_lo, s27
	s_cbranch_execnz .LBB53_132
; %bb.133:
	s_or_b32 exec_lo, exec_lo, s27
.LBB53_134:
	s_delay_alu instid0(SALU_CYCLE_1) | instskip(SKIP_4) | instid1(VALU_DEP_1)
	s_or_b32 exec_lo, exec_lo, s26
	v_mov_b32_e32 v114, 0
	ds_load_b64 v[114:115], v114 offset:320
	s_wait_dscnt 0x0
	v_pk_mul_f32 v[116:117], v[112:113], v[114:115] op_sel:[1,1] op_sel_hi:[0,1]
	v_pk_fma_f32 v[118:119], v[112:113], v[114:115], v[116:117] op_sel_hi:[1,0,1]
	v_pk_fma_f32 v[112:113], v[112:113], v[114:115], v[116:117] neg_lo:[0,0,1] neg_hi:[0,0,1]
	s_delay_alu instid0(VALU_DEP_2)
	v_mov_b32_e32 v113, v119
	scratch_store_b64 off, v[112:113], off offset:320
.LBB53_135:
	s_wait_xcnt 0x0
	s_or_b32 exec_lo, exec_lo, s25
	scratch_load_b64 v[112:113], off, off offset:312
	v_cmp_lt_u32_e64 s1, 39, v0
	s_wait_loadcnt 0x0
	ds_store_b64 v1, v[112:113]
	s_wait_storecnt_dscnt 0x0
	s_barrier_signal -1
	s_barrier_wait -1
	s_wait_xcnt 0x0
	s_and_saveexec_b32 s25, s1
	s_cbranch_execz .LBB53_145
; %bb.136:
	s_and_not1_b32 vcc_lo, exec_lo, s3
	s_cbranch_vccnz .LBB53_138
; %bb.137:
	scratch_load_b64 v[112:113], v39, off
	ds_load_b64 v[114:115], v1
	s_wait_loadcnt_dscnt 0x0
	v_pk_mul_f32 v[116:117], v[114:115], v[112:113] op_sel:[1,1] op_sel_hi:[0,1]
	s_delay_alu instid0(VALU_DEP_1) | instskip(SKIP_1) | instid1(VALU_DEP_2)
	v_pk_fma_f32 v[118:119], v[114:115], v[112:113], v[116:117] op_sel_hi:[1,0,1]
	v_pk_fma_f32 v[112:113], v[114:115], v[112:113], v[116:117] neg_lo:[0,0,1] neg_hi:[0,0,1]
	v_mov_b32_e32 v113, v119
	s_cbranch_execz .LBB53_139
	s_branch .LBB53_140
.LBB53_138:
                                        ; implicit-def: $vgpr112_vgpr113
.LBB53_139:
	ds_load_b64 v[112:113], v1
.LBB53_140:
	s_and_saveexec_b32 s26, s0
	s_cbranch_execz .LBB53_144
; %bb.141:
	v_subrev_nc_u32_e32 v114, 40, v0
	s_movk_i32 s27, 0x2f0
	s_mov_b32 s0, 0
.LBB53_142:                             ; =>This Inner Loop Header: Depth=1
	scratch_load_b64 v[116:117], off, s24
	v_dual_mov_b32 v115, s27 :: v_dual_add_nc_u32 v114, -1, v114
	s_add_co_i32 s27, s27, 8
	s_wait_xcnt 0x0
	s_add_co_i32 s24, s24, 8
	ds_load_b64 v[118:119], v115
	v_cmp_eq_u32_e32 vcc_lo, 0, v114
	s_or_b32 s0, vcc_lo, s0
	s_wait_loadcnt_dscnt 0x0
	v_pk_mul_f32 v[120:121], v[118:119], v[116:117] op_sel:[1,1] op_sel_hi:[0,1]
	s_delay_alu instid0(VALU_DEP_1) | instskip(SKIP_1) | instid1(VALU_DEP_2)
	v_pk_fma_f32 v[122:123], v[118:119], v[116:117], v[120:121] op_sel_hi:[1,0,1]
	v_pk_fma_f32 v[116:117], v[118:119], v[116:117], v[120:121] neg_lo:[0,0,1] neg_hi:[0,0,1]
	v_mov_b32_e32 v117, v123
	s_delay_alu instid0(VALU_DEP_1)
	v_pk_add_f32 v[112:113], v[112:113], v[116:117]
	s_and_not1_b32 exec_lo, exec_lo, s0
	s_cbranch_execnz .LBB53_142
; %bb.143:
	s_or_b32 exec_lo, exec_lo, s0
.LBB53_144:
	s_delay_alu instid0(SALU_CYCLE_1) | instskip(SKIP_4) | instid1(VALU_DEP_1)
	s_or_b32 exec_lo, exec_lo, s26
	v_mov_b32_e32 v114, 0
	ds_load_b64 v[114:115], v114 offset:312
	s_wait_dscnt 0x0
	v_pk_mul_f32 v[116:117], v[112:113], v[114:115] op_sel:[1,1] op_sel_hi:[0,1]
	v_pk_fma_f32 v[118:119], v[112:113], v[114:115], v[116:117] op_sel_hi:[1,0,1]
	v_pk_fma_f32 v[112:113], v[112:113], v[114:115], v[116:117] neg_lo:[0,0,1] neg_hi:[0,0,1]
	s_delay_alu instid0(VALU_DEP_2)
	v_mov_b32_e32 v113, v119
	scratch_store_b64 off, v[112:113], off offset:312
.LBB53_145:
	s_wait_xcnt 0x0
	s_or_b32 exec_lo, exec_lo, s25
	scratch_load_b64 v[112:113], off, off offset:304
	v_cmp_lt_u32_e64 s0, 38, v0
	s_wait_loadcnt 0x0
	ds_store_b64 v1, v[112:113]
	s_wait_storecnt_dscnt 0x0
	s_barrier_signal -1
	s_barrier_wait -1
	s_wait_xcnt 0x0
	s_and_saveexec_b32 s24, s0
	s_cbranch_execz .LBB53_155
; %bb.146:
	s_and_not1_b32 vcc_lo, exec_lo, s3
	s_cbranch_vccnz .LBB53_148
; %bb.147:
	scratch_load_b64 v[112:113], v39, off
	ds_load_b64 v[114:115], v1
	s_wait_loadcnt_dscnt 0x0
	v_pk_mul_f32 v[116:117], v[114:115], v[112:113] op_sel:[1,1] op_sel_hi:[0,1]
	s_delay_alu instid0(VALU_DEP_1) | instskip(SKIP_1) | instid1(VALU_DEP_2)
	v_pk_fma_f32 v[118:119], v[114:115], v[112:113], v[116:117] op_sel_hi:[1,0,1]
	v_pk_fma_f32 v[112:113], v[114:115], v[112:113], v[116:117] neg_lo:[0,0,1] neg_hi:[0,0,1]
	v_mov_b32_e32 v113, v119
	s_cbranch_execz .LBB53_149
	s_branch .LBB53_150
.LBB53_148:
                                        ; implicit-def: $vgpr112_vgpr113
.LBB53_149:
	ds_load_b64 v[112:113], v1
.LBB53_150:
	s_and_saveexec_b32 s25, s1
	s_cbranch_execz .LBB53_154
; %bb.151:
	v_subrev_nc_u32_e32 v114, 39, v0
	s_movk_i32 s1, 0x138
	s_movk_i32 s27, 0x2e8
	s_mov_b32 s26, 0
.LBB53_152:                             ; =>This Inner Loop Header: Depth=1
	scratch_load_b64 v[116:117], off, s1
	v_dual_mov_b32 v115, s27 :: v_dual_add_nc_u32 v114, -1, v114
	s_add_co_i32 s27, s27, 8
	s_wait_xcnt 0x0
	s_add_co_i32 s1, s1, 8
	ds_load_b64 v[118:119], v115
	v_cmp_eq_u32_e32 vcc_lo, 0, v114
	s_or_b32 s26, vcc_lo, s26
	s_wait_loadcnt_dscnt 0x0
	v_pk_mul_f32 v[120:121], v[118:119], v[116:117] op_sel:[1,1] op_sel_hi:[0,1]
	s_delay_alu instid0(VALU_DEP_1) | instskip(SKIP_1) | instid1(VALU_DEP_2)
	v_pk_fma_f32 v[122:123], v[118:119], v[116:117], v[120:121] op_sel_hi:[1,0,1]
	v_pk_fma_f32 v[116:117], v[118:119], v[116:117], v[120:121] neg_lo:[0,0,1] neg_hi:[0,0,1]
	v_mov_b32_e32 v117, v123
	s_delay_alu instid0(VALU_DEP_1)
	v_pk_add_f32 v[112:113], v[112:113], v[116:117]
	s_and_not1_b32 exec_lo, exec_lo, s26
	s_cbranch_execnz .LBB53_152
; %bb.153:
	s_or_b32 exec_lo, exec_lo, s26
.LBB53_154:
	s_delay_alu instid0(SALU_CYCLE_1) | instskip(SKIP_4) | instid1(VALU_DEP_1)
	s_or_b32 exec_lo, exec_lo, s25
	v_mov_b32_e32 v114, 0
	ds_load_b64 v[114:115], v114 offset:304
	s_wait_dscnt 0x0
	v_pk_mul_f32 v[116:117], v[112:113], v[114:115] op_sel:[1,1] op_sel_hi:[0,1]
	v_pk_fma_f32 v[118:119], v[112:113], v[114:115], v[116:117] op_sel_hi:[1,0,1]
	v_pk_fma_f32 v[112:113], v[112:113], v[114:115], v[116:117] neg_lo:[0,0,1] neg_hi:[0,0,1]
	s_delay_alu instid0(VALU_DEP_2)
	v_mov_b32_e32 v113, v119
	scratch_store_b64 off, v[112:113], off offset:304
.LBB53_155:
	s_wait_xcnt 0x0
	s_or_b32 exec_lo, exec_lo, s24
	scratch_load_b64 v[112:113], off, off offset:296
	v_cmp_lt_u32_e64 s1, 37, v0
	s_wait_loadcnt 0x0
	ds_store_b64 v1, v[112:113]
	s_wait_storecnt_dscnt 0x0
	s_barrier_signal -1
	s_barrier_wait -1
	s_wait_xcnt 0x0
	s_and_saveexec_b32 s24, s1
	s_cbranch_execz .LBB53_165
; %bb.156:
	s_and_not1_b32 vcc_lo, exec_lo, s3
	s_cbranch_vccnz .LBB53_158
; %bb.157:
	scratch_load_b64 v[112:113], v39, off
	ds_load_b64 v[114:115], v1
	s_wait_loadcnt_dscnt 0x0
	v_pk_mul_f32 v[116:117], v[114:115], v[112:113] op_sel:[1,1] op_sel_hi:[0,1]
	s_delay_alu instid0(VALU_DEP_1) | instskip(SKIP_1) | instid1(VALU_DEP_2)
	v_pk_fma_f32 v[118:119], v[114:115], v[112:113], v[116:117] op_sel_hi:[1,0,1]
	v_pk_fma_f32 v[112:113], v[114:115], v[112:113], v[116:117] neg_lo:[0,0,1] neg_hi:[0,0,1]
	v_mov_b32_e32 v113, v119
	s_cbranch_execz .LBB53_159
	s_branch .LBB53_160
.LBB53_158:
                                        ; implicit-def: $vgpr112_vgpr113
.LBB53_159:
	ds_load_b64 v[112:113], v1
.LBB53_160:
	s_and_saveexec_b32 s25, s0
	s_cbranch_execz .LBB53_164
; %bb.161:
	v_subrev_nc_u32_e32 v114, 38, v0
	s_movk_i32 s26, 0x2e0
	s_mov_b32 s0, 0
.LBB53_162:                             ; =>This Inner Loop Header: Depth=1
	scratch_load_b64 v[116:117], off, s23
	v_dual_mov_b32 v115, s26 :: v_dual_add_nc_u32 v114, -1, v114
	s_add_co_i32 s26, s26, 8
	s_wait_xcnt 0x0
	s_add_co_i32 s23, s23, 8
	ds_load_b64 v[118:119], v115
	v_cmp_eq_u32_e32 vcc_lo, 0, v114
	s_or_b32 s0, vcc_lo, s0
	s_wait_loadcnt_dscnt 0x0
	v_pk_mul_f32 v[120:121], v[118:119], v[116:117] op_sel:[1,1] op_sel_hi:[0,1]
	s_delay_alu instid0(VALU_DEP_1) | instskip(SKIP_1) | instid1(VALU_DEP_2)
	v_pk_fma_f32 v[122:123], v[118:119], v[116:117], v[120:121] op_sel_hi:[1,0,1]
	v_pk_fma_f32 v[116:117], v[118:119], v[116:117], v[120:121] neg_lo:[0,0,1] neg_hi:[0,0,1]
	v_mov_b32_e32 v117, v123
	s_delay_alu instid0(VALU_DEP_1)
	v_pk_add_f32 v[112:113], v[112:113], v[116:117]
	s_and_not1_b32 exec_lo, exec_lo, s0
	s_cbranch_execnz .LBB53_162
; %bb.163:
	s_or_b32 exec_lo, exec_lo, s0
.LBB53_164:
	s_delay_alu instid0(SALU_CYCLE_1) | instskip(SKIP_4) | instid1(VALU_DEP_1)
	s_or_b32 exec_lo, exec_lo, s25
	v_mov_b32_e32 v114, 0
	ds_load_b64 v[114:115], v114 offset:296
	s_wait_dscnt 0x0
	v_pk_mul_f32 v[116:117], v[112:113], v[114:115] op_sel:[1,1] op_sel_hi:[0,1]
	v_pk_fma_f32 v[118:119], v[112:113], v[114:115], v[116:117] op_sel_hi:[1,0,1]
	v_pk_fma_f32 v[112:113], v[112:113], v[114:115], v[116:117] neg_lo:[0,0,1] neg_hi:[0,0,1]
	s_delay_alu instid0(VALU_DEP_2)
	v_mov_b32_e32 v113, v119
	scratch_store_b64 off, v[112:113], off offset:296
.LBB53_165:
	s_wait_xcnt 0x0
	s_or_b32 exec_lo, exec_lo, s24
	scratch_load_b64 v[112:113], off, off offset:288
	v_cmp_lt_u32_e64 s0, 36, v0
	s_wait_loadcnt 0x0
	ds_store_b64 v1, v[112:113]
	s_wait_storecnt_dscnt 0x0
	s_barrier_signal -1
	s_barrier_wait -1
	s_wait_xcnt 0x0
	s_and_saveexec_b32 s23, s0
	s_cbranch_execz .LBB53_175
; %bb.166:
	s_and_not1_b32 vcc_lo, exec_lo, s3
	s_cbranch_vccnz .LBB53_168
; %bb.167:
	scratch_load_b64 v[112:113], v39, off
	ds_load_b64 v[114:115], v1
	s_wait_loadcnt_dscnt 0x0
	v_pk_mul_f32 v[116:117], v[114:115], v[112:113] op_sel:[1,1] op_sel_hi:[0,1]
	s_delay_alu instid0(VALU_DEP_1) | instskip(SKIP_1) | instid1(VALU_DEP_2)
	v_pk_fma_f32 v[118:119], v[114:115], v[112:113], v[116:117] op_sel_hi:[1,0,1]
	v_pk_fma_f32 v[112:113], v[114:115], v[112:113], v[116:117] neg_lo:[0,0,1] neg_hi:[0,0,1]
	v_mov_b32_e32 v113, v119
	s_cbranch_execz .LBB53_169
	s_branch .LBB53_170
.LBB53_168:
                                        ; implicit-def: $vgpr112_vgpr113
.LBB53_169:
	ds_load_b64 v[112:113], v1
.LBB53_170:
	s_and_saveexec_b32 s24, s1
	s_cbranch_execz .LBB53_174
; %bb.171:
	v_subrev_nc_u32_e32 v114, 37, v0
	s_movk_i32 s1, 0x128
	s_movk_i32 s26, 0x2d8
	s_mov_b32 s25, 0
.LBB53_172:                             ; =>This Inner Loop Header: Depth=1
	scratch_load_b64 v[116:117], off, s1
	v_dual_mov_b32 v115, s26 :: v_dual_add_nc_u32 v114, -1, v114
	s_add_co_i32 s26, s26, 8
	s_wait_xcnt 0x0
	s_add_co_i32 s1, s1, 8
	ds_load_b64 v[118:119], v115
	v_cmp_eq_u32_e32 vcc_lo, 0, v114
	s_or_b32 s25, vcc_lo, s25
	s_wait_loadcnt_dscnt 0x0
	v_pk_mul_f32 v[120:121], v[118:119], v[116:117] op_sel:[1,1] op_sel_hi:[0,1]
	s_delay_alu instid0(VALU_DEP_1) | instskip(SKIP_1) | instid1(VALU_DEP_2)
	v_pk_fma_f32 v[122:123], v[118:119], v[116:117], v[120:121] op_sel_hi:[1,0,1]
	v_pk_fma_f32 v[116:117], v[118:119], v[116:117], v[120:121] neg_lo:[0,0,1] neg_hi:[0,0,1]
	v_mov_b32_e32 v117, v123
	s_delay_alu instid0(VALU_DEP_1)
	v_pk_add_f32 v[112:113], v[112:113], v[116:117]
	s_and_not1_b32 exec_lo, exec_lo, s25
	s_cbranch_execnz .LBB53_172
; %bb.173:
	s_or_b32 exec_lo, exec_lo, s25
.LBB53_174:
	s_delay_alu instid0(SALU_CYCLE_1) | instskip(SKIP_4) | instid1(VALU_DEP_1)
	s_or_b32 exec_lo, exec_lo, s24
	v_mov_b32_e32 v114, 0
	ds_load_b64 v[114:115], v114 offset:288
	s_wait_dscnt 0x0
	v_pk_mul_f32 v[116:117], v[112:113], v[114:115] op_sel:[1,1] op_sel_hi:[0,1]
	v_pk_fma_f32 v[118:119], v[112:113], v[114:115], v[116:117] op_sel_hi:[1,0,1]
	v_pk_fma_f32 v[112:113], v[112:113], v[114:115], v[116:117] neg_lo:[0,0,1] neg_hi:[0,0,1]
	s_delay_alu instid0(VALU_DEP_2)
	v_mov_b32_e32 v113, v119
	scratch_store_b64 off, v[112:113], off offset:288
.LBB53_175:
	s_wait_xcnt 0x0
	s_or_b32 exec_lo, exec_lo, s23
	scratch_load_b64 v[112:113], off, off offset:280
	v_cmp_lt_u32_e64 s1, 35, v0
	s_wait_loadcnt 0x0
	ds_store_b64 v1, v[112:113]
	s_wait_storecnt_dscnt 0x0
	s_barrier_signal -1
	s_barrier_wait -1
	s_wait_xcnt 0x0
	s_and_saveexec_b32 s23, s1
	s_cbranch_execz .LBB53_185
; %bb.176:
	s_and_not1_b32 vcc_lo, exec_lo, s3
	s_cbranch_vccnz .LBB53_178
; %bb.177:
	scratch_load_b64 v[112:113], v39, off
	ds_load_b64 v[114:115], v1
	s_wait_loadcnt_dscnt 0x0
	v_pk_mul_f32 v[116:117], v[114:115], v[112:113] op_sel:[1,1] op_sel_hi:[0,1]
	s_delay_alu instid0(VALU_DEP_1) | instskip(SKIP_1) | instid1(VALU_DEP_2)
	v_pk_fma_f32 v[118:119], v[114:115], v[112:113], v[116:117] op_sel_hi:[1,0,1]
	v_pk_fma_f32 v[112:113], v[114:115], v[112:113], v[116:117] neg_lo:[0,0,1] neg_hi:[0,0,1]
	v_mov_b32_e32 v113, v119
	s_cbranch_execz .LBB53_179
	s_branch .LBB53_180
.LBB53_178:
                                        ; implicit-def: $vgpr112_vgpr113
.LBB53_179:
	ds_load_b64 v[112:113], v1
.LBB53_180:
	s_and_saveexec_b32 s24, s0
	s_cbranch_execz .LBB53_184
; %bb.181:
	v_subrev_nc_u32_e32 v114, 36, v0
	s_movk_i32 s25, 0x2d0
	s_mov_b32 s0, 0
.LBB53_182:                             ; =>This Inner Loop Header: Depth=1
	scratch_load_b64 v[116:117], off, s22
	v_dual_mov_b32 v115, s25 :: v_dual_add_nc_u32 v114, -1, v114
	s_add_co_i32 s25, s25, 8
	s_wait_xcnt 0x0
	s_add_co_i32 s22, s22, 8
	ds_load_b64 v[118:119], v115
	v_cmp_eq_u32_e32 vcc_lo, 0, v114
	s_or_b32 s0, vcc_lo, s0
	s_wait_loadcnt_dscnt 0x0
	v_pk_mul_f32 v[120:121], v[118:119], v[116:117] op_sel:[1,1] op_sel_hi:[0,1]
	s_delay_alu instid0(VALU_DEP_1) | instskip(SKIP_1) | instid1(VALU_DEP_2)
	v_pk_fma_f32 v[122:123], v[118:119], v[116:117], v[120:121] op_sel_hi:[1,0,1]
	v_pk_fma_f32 v[116:117], v[118:119], v[116:117], v[120:121] neg_lo:[0,0,1] neg_hi:[0,0,1]
	v_mov_b32_e32 v117, v123
	s_delay_alu instid0(VALU_DEP_1)
	v_pk_add_f32 v[112:113], v[112:113], v[116:117]
	s_and_not1_b32 exec_lo, exec_lo, s0
	s_cbranch_execnz .LBB53_182
; %bb.183:
	s_or_b32 exec_lo, exec_lo, s0
.LBB53_184:
	s_delay_alu instid0(SALU_CYCLE_1) | instskip(SKIP_4) | instid1(VALU_DEP_1)
	s_or_b32 exec_lo, exec_lo, s24
	v_mov_b32_e32 v114, 0
	ds_load_b64 v[114:115], v114 offset:280
	s_wait_dscnt 0x0
	v_pk_mul_f32 v[116:117], v[112:113], v[114:115] op_sel:[1,1] op_sel_hi:[0,1]
	v_pk_fma_f32 v[118:119], v[112:113], v[114:115], v[116:117] op_sel_hi:[1,0,1]
	v_pk_fma_f32 v[112:113], v[112:113], v[114:115], v[116:117] neg_lo:[0,0,1] neg_hi:[0,0,1]
	s_delay_alu instid0(VALU_DEP_2)
	v_mov_b32_e32 v113, v119
	scratch_store_b64 off, v[112:113], off offset:280
.LBB53_185:
	s_wait_xcnt 0x0
	s_or_b32 exec_lo, exec_lo, s23
	scratch_load_b64 v[112:113], off, off offset:272
	v_cmp_lt_u32_e64 s0, 34, v0
	s_wait_loadcnt 0x0
	ds_store_b64 v1, v[112:113]
	s_wait_storecnt_dscnt 0x0
	s_barrier_signal -1
	s_barrier_wait -1
	s_wait_xcnt 0x0
	s_and_saveexec_b32 s22, s0
	s_cbranch_execz .LBB53_195
; %bb.186:
	s_and_not1_b32 vcc_lo, exec_lo, s3
	s_cbranch_vccnz .LBB53_188
; %bb.187:
	scratch_load_b64 v[112:113], v39, off
	ds_load_b64 v[114:115], v1
	s_wait_loadcnt_dscnt 0x0
	v_pk_mul_f32 v[116:117], v[114:115], v[112:113] op_sel:[1,1] op_sel_hi:[0,1]
	s_delay_alu instid0(VALU_DEP_1) | instskip(SKIP_1) | instid1(VALU_DEP_2)
	v_pk_fma_f32 v[118:119], v[114:115], v[112:113], v[116:117] op_sel_hi:[1,0,1]
	v_pk_fma_f32 v[112:113], v[114:115], v[112:113], v[116:117] neg_lo:[0,0,1] neg_hi:[0,0,1]
	v_mov_b32_e32 v113, v119
	s_cbranch_execz .LBB53_189
	s_branch .LBB53_190
.LBB53_188:
                                        ; implicit-def: $vgpr112_vgpr113
.LBB53_189:
	ds_load_b64 v[112:113], v1
.LBB53_190:
	s_and_saveexec_b32 s23, s1
	s_cbranch_execz .LBB53_194
; %bb.191:
	v_subrev_nc_u32_e32 v114, 35, v0
	s_movk_i32 s1, 0x118
	s_movk_i32 s25, 0x2c8
	s_mov_b32 s24, 0
.LBB53_192:                             ; =>This Inner Loop Header: Depth=1
	scratch_load_b64 v[116:117], off, s1
	v_dual_mov_b32 v115, s25 :: v_dual_add_nc_u32 v114, -1, v114
	s_add_co_i32 s25, s25, 8
	s_wait_xcnt 0x0
	s_add_co_i32 s1, s1, 8
	ds_load_b64 v[118:119], v115
	v_cmp_eq_u32_e32 vcc_lo, 0, v114
	s_or_b32 s24, vcc_lo, s24
	s_wait_loadcnt_dscnt 0x0
	v_pk_mul_f32 v[120:121], v[118:119], v[116:117] op_sel:[1,1] op_sel_hi:[0,1]
	s_delay_alu instid0(VALU_DEP_1) | instskip(SKIP_1) | instid1(VALU_DEP_2)
	v_pk_fma_f32 v[122:123], v[118:119], v[116:117], v[120:121] op_sel_hi:[1,0,1]
	v_pk_fma_f32 v[116:117], v[118:119], v[116:117], v[120:121] neg_lo:[0,0,1] neg_hi:[0,0,1]
	v_mov_b32_e32 v117, v123
	s_delay_alu instid0(VALU_DEP_1)
	v_pk_add_f32 v[112:113], v[112:113], v[116:117]
	s_and_not1_b32 exec_lo, exec_lo, s24
	s_cbranch_execnz .LBB53_192
; %bb.193:
	s_or_b32 exec_lo, exec_lo, s24
.LBB53_194:
	s_delay_alu instid0(SALU_CYCLE_1) | instskip(SKIP_4) | instid1(VALU_DEP_1)
	s_or_b32 exec_lo, exec_lo, s23
	v_mov_b32_e32 v114, 0
	ds_load_b64 v[114:115], v114 offset:272
	s_wait_dscnt 0x0
	v_pk_mul_f32 v[116:117], v[112:113], v[114:115] op_sel:[1,1] op_sel_hi:[0,1]
	v_pk_fma_f32 v[118:119], v[112:113], v[114:115], v[116:117] op_sel_hi:[1,0,1]
	v_pk_fma_f32 v[112:113], v[112:113], v[114:115], v[116:117] neg_lo:[0,0,1] neg_hi:[0,0,1]
	s_delay_alu instid0(VALU_DEP_2)
	v_mov_b32_e32 v113, v119
	scratch_store_b64 off, v[112:113], off offset:272
.LBB53_195:
	s_wait_xcnt 0x0
	s_or_b32 exec_lo, exec_lo, s22
	scratch_load_b64 v[112:113], off, off offset:264
	v_cmp_lt_u32_e64 s1, 33, v0
	s_wait_loadcnt 0x0
	ds_store_b64 v1, v[112:113]
	s_wait_storecnt_dscnt 0x0
	s_barrier_signal -1
	s_barrier_wait -1
	s_wait_xcnt 0x0
	s_and_saveexec_b32 s22, s1
	s_cbranch_execz .LBB53_205
; %bb.196:
	s_and_not1_b32 vcc_lo, exec_lo, s3
	s_cbranch_vccnz .LBB53_198
; %bb.197:
	scratch_load_b64 v[112:113], v39, off
	ds_load_b64 v[114:115], v1
	s_wait_loadcnt_dscnt 0x0
	v_pk_mul_f32 v[116:117], v[114:115], v[112:113] op_sel:[1,1] op_sel_hi:[0,1]
	s_delay_alu instid0(VALU_DEP_1) | instskip(SKIP_1) | instid1(VALU_DEP_2)
	v_pk_fma_f32 v[118:119], v[114:115], v[112:113], v[116:117] op_sel_hi:[1,0,1]
	v_pk_fma_f32 v[112:113], v[114:115], v[112:113], v[116:117] neg_lo:[0,0,1] neg_hi:[0,0,1]
	v_mov_b32_e32 v113, v119
	s_cbranch_execz .LBB53_199
	s_branch .LBB53_200
.LBB53_198:
                                        ; implicit-def: $vgpr112_vgpr113
.LBB53_199:
	ds_load_b64 v[112:113], v1
.LBB53_200:
	s_and_saveexec_b32 s23, s0
	s_cbranch_execz .LBB53_204
; %bb.201:
	v_subrev_nc_u32_e32 v114, 34, v0
	s_movk_i32 s24, 0x2c0
	s_mov_b32 s0, 0
.LBB53_202:                             ; =>This Inner Loop Header: Depth=1
	scratch_load_b64 v[116:117], off, s21
	v_dual_mov_b32 v115, s24 :: v_dual_add_nc_u32 v114, -1, v114
	s_add_co_i32 s24, s24, 8
	s_wait_xcnt 0x0
	s_add_co_i32 s21, s21, 8
	ds_load_b64 v[118:119], v115
	v_cmp_eq_u32_e32 vcc_lo, 0, v114
	s_or_b32 s0, vcc_lo, s0
	s_wait_loadcnt_dscnt 0x0
	v_pk_mul_f32 v[120:121], v[118:119], v[116:117] op_sel:[1,1] op_sel_hi:[0,1]
	s_delay_alu instid0(VALU_DEP_1) | instskip(SKIP_1) | instid1(VALU_DEP_2)
	v_pk_fma_f32 v[122:123], v[118:119], v[116:117], v[120:121] op_sel_hi:[1,0,1]
	v_pk_fma_f32 v[116:117], v[118:119], v[116:117], v[120:121] neg_lo:[0,0,1] neg_hi:[0,0,1]
	v_mov_b32_e32 v117, v123
	s_delay_alu instid0(VALU_DEP_1)
	v_pk_add_f32 v[112:113], v[112:113], v[116:117]
	s_and_not1_b32 exec_lo, exec_lo, s0
	s_cbranch_execnz .LBB53_202
; %bb.203:
	s_or_b32 exec_lo, exec_lo, s0
.LBB53_204:
	s_delay_alu instid0(SALU_CYCLE_1) | instskip(SKIP_4) | instid1(VALU_DEP_1)
	s_or_b32 exec_lo, exec_lo, s23
	v_mov_b32_e32 v114, 0
	ds_load_b64 v[114:115], v114 offset:264
	s_wait_dscnt 0x0
	v_pk_mul_f32 v[116:117], v[112:113], v[114:115] op_sel:[1,1] op_sel_hi:[0,1]
	v_pk_fma_f32 v[118:119], v[112:113], v[114:115], v[116:117] op_sel_hi:[1,0,1]
	v_pk_fma_f32 v[112:113], v[112:113], v[114:115], v[116:117] neg_lo:[0,0,1] neg_hi:[0,0,1]
	s_delay_alu instid0(VALU_DEP_2)
	v_mov_b32_e32 v113, v119
	scratch_store_b64 off, v[112:113], off offset:264
.LBB53_205:
	s_wait_xcnt 0x0
	s_or_b32 exec_lo, exec_lo, s22
	scratch_load_b64 v[112:113], off, off offset:256
	v_cmp_lt_u32_e64 s0, 32, v0
	s_wait_loadcnt 0x0
	ds_store_b64 v1, v[112:113]
	s_wait_storecnt_dscnt 0x0
	s_barrier_signal -1
	s_barrier_wait -1
	s_wait_xcnt 0x0
	s_and_saveexec_b32 s21, s0
	s_cbranch_execz .LBB53_215
; %bb.206:
	s_and_not1_b32 vcc_lo, exec_lo, s3
	s_cbranch_vccnz .LBB53_208
; %bb.207:
	scratch_load_b64 v[112:113], v39, off
	ds_load_b64 v[114:115], v1
	s_wait_loadcnt_dscnt 0x0
	v_pk_mul_f32 v[116:117], v[114:115], v[112:113] op_sel:[1,1] op_sel_hi:[0,1]
	s_delay_alu instid0(VALU_DEP_1) | instskip(SKIP_1) | instid1(VALU_DEP_2)
	v_pk_fma_f32 v[118:119], v[114:115], v[112:113], v[116:117] op_sel_hi:[1,0,1]
	v_pk_fma_f32 v[112:113], v[114:115], v[112:113], v[116:117] neg_lo:[0,0,1] neg_hi:[0,0,1]
	v_mov_b32_e32 v113, v119
	s_cbranch_execz .LBB53_209
	s_branch .LBB53_210
.LBB53_208:
                                        ; implicit-def: $vgpr112_vgpr113
.LBB53_209:
	ds_load_b64 v[112:113], v1
.LBB53_210:
	s_and_saveexec_b32 s22, s1
	s_cbranch_execz .LBB53_214
; %bb.211:
	v_subrev_nc_u32_e32 v114, 33, v0
	s_movk_i32 s1, 0x108
	s_movk_i32 s24, 0x2b8
	s_mov_b32 s23, 0
.LBB53_212:                             ; =>This Inner Loop Header: Depth=1
	scratch_load_b64 v[116:117], off, s1
	v_dual_mov_b32 v115, s24 :: v_dual_add_nc_u32 v114, -1, v114
	s_add_co_i32 s24, s24, 8
	s_wait_xcnt 0x0
	s_add_co_i32 s1, s1, 8
	ds_load_b64 v[118:119], v115
	v_cmp_eq_u32_e32 vcc_lo, 0, v114
	s_or_b32 s23, vcc_lo, s23
	s_wait_loadcnt_dscnt 0x0
	v_pk_mul_f32 v[120:121], v[118:119], v[116:117] op_sel:[1,1] op_sel_hi:[0,1]
	s_delay_alu instid0(VALU_DEP_1) | instskip(SKIP_1) | instid1(VALU_DEP_2)
	v_pk_fma_f32 v[122:123], v[118:119], v[116:117], v[120:121] op_sel_hi:[1,0,1]
	v_pk_fma_f32 v[116:117], v[118:119], v[116:117], v[120:121] neg_lo:[0,0,1] neg_hi:[0,0,1]
	v_mov_b32_e32 v117, v123
	s_delay_alu instid0(VALU_DEP_1)
	v_pk_add_f32 v[112:113], v[112:113], v[116:117]
	s_and_not1_b32 exec_lo, exec_lo, s23
	s_cbranch_execnz .LBB53_212
; %bb.213:
	s_or_b32 exec_lo, exec_lo, s23
.LBB53_214:
	s_delay_alu instid0(SALU_CYCLE_1) | instskip(SKIP_4) | instid1(VALU_DEP_1)
	s_or_b32 exec_lo, exec_lo, s22
	v_mov_b32_e32 v114, 0
	ds_load_b64 v[114:115], v114 offset:256
	s_wait_dscnt 0x0
	v_pk_mul_f32 v[116:117], v[112:113], v[114:115] op_sel:[1,1] op_sel_hi:[0,1]
	v_pk_fma_f32 v[118:119], v[112:113], v[114:115], v[116:117] op_sel_hi:[1,0,1]
	v_pk_fma_f32 v[112:113], v[112:113], v[114:115], v[116:117] neg_lo:[0,0,1] neg_hi:[0,0,1]
	s_delay_alu instid0(VALU_DEP_2)
	v_mov_b32_e32 v113, v119
	scratch_store_b64 off, v[112:113], off offset:256
.LBB53_215:
	s_wait_xcnt 0x0
	s_or_b32 exec_lo, exec_lo, s21
	scratch_load_b64 v[112:113], off, off offset:248
	v_cmp_lt_u32_e64 s1, 31, v0
	s_wait_loadcnt 0x0
	ds_store_b64 v1, v[112:113]
	s_wait_storecnt_dscnt 0x0
	s_barrier_signal -1
	s_barrier_wait -1
	s_wait_xcnt 0x0
	s_and_saveexec_b32 s21, s1
	s_cbranch_execz .LBB53_225
; %bb.216:
	s_and_not1_b32 vcc_lo, exec_lo, s3
	s_cbranch_vccnz .LBB53_218
; %bb.217:
	scratch_load_b64 v[112:113], v39, off
	ds_load_b64 v[114:115], v1
	s_wait_loadcnt_dscnt 0x0
	v_pk_mul_f32 v[116:117], v[114:115], v[112:113] op_sel:[1,1] op_sel_hi:[0,1]
	s_delay_alu instid0(VALU_DEP_1) | instskip(SKIP_1) | instid1(VALU_DEP_2)
	v_pk_fma_f32 v[118:119], v[114:115], v[112:113], v[116:117] op_sel_hi:[1,0,1]
	v_pk_fma_f32 v[112:113], v[114:115], v[112:113], v[116:117] neg_lo:[0,0,1] neg_hi:[0,0,1]
	v_mov_b32_e32 v113, v119
	s_cbranch_execz .LBB53_219
	s_branch .LBB53_220
.LBB53_218:
                                        ; implicit-def: $vgpr112_vgpr113
.LBB53_219:
	ds_load_b64 v[112:113], v1
.LBB53_220:
	s_and_saveexec_b32 s22, s0
	s_cbranch_execz .LBB53_224
; %bb.221:
	v_subrev_nc_u32_e32 v114, 32, v0
	s_movk_i32 s23, 0x2b0
	s_mov_b32 s0, 0
.LBB53_222:                             ; =>This Inner Loop Header: Depth=1
	scratch_load_b64 v[116:117], off, s20
	v_dual_mov_b32 v115, s23 :: v_dual_add_nc_u32 v114, -1, v114
	s_add_co_i32 s23, s23, 8
	s_wait_xcnt 0x0
	s_add_co_i32 s20, s20, 8
	ds_load_b64 v[118:119], v115
	v_cmp_eq_u32_e32 vcc_lo, 0, v114
	s_or_b32 s0, vcc_lo, s0
	s_wait_loadcnt_dscnt 0x0
	v_pk_mul_f32 v[120:121], v[118:119], v[116:117] op_sel:[1,1] op_sel_hi:[0,1]
	s_delay_alu instid0(VALU_DEP_1) | instskip(SKIP_1) | instid1(VALU_DEP_2)
	v_pk_fma_f32 v[122:123], v[118:119], v[116:117], v[120:121] op_sel_hi:[1,0,1]
	v_pk_fma_f32 v[116:117], v[118:119], v[116:117], v[120:121] neg_lo:[0,0,1] neg_hi:[0,0,1]
	v_mov_b32_e32 v117, v123
	s_delay_alu instid0(VALU_DEP_1)
	v_pk_add_f32 v[112:113], v[112:113], v[116:117]
	s_and_not1_b32 exec_lo, exec_lo, s0
	s_cbranch_execnz .LBB53_222
; %bb.223:
	s_or_b32 exec_lo, exec_lo, s0
.LBB53_224:
	s_delay_alu instid0(SALU_CYCLE_1) | instskip(SKIP_4) | instid1(VALU_DEP_1)
	s_or_b32 exec_lo, exec_lo, s22
	v_mov_b32_e32 v114, 0
	ds_load_b64 v[114:115], v114 offset:248
	s_wait_dscnt 0x0
	v_pk_mul_f32 v[116:117], v[112:113], v[114:115] op_sel:[1,1] op_sel_hi:[0,1]
	v_pk_fma_f32 v[118:119], v[112:113], v[114:115], v[116:117] op_sel_hi:[1,0,1]
	v_pk_fma_f32 v[112:113], v[112:113], v[114:115], v[116:117] neg_lo:[0,0,1] neg_hi:[0,0,1]
	s_delay_alu instid0(VALU_DEP_2)
	v_mov_b32_e32 v113, v119
	scratch_store_b64 off, v[112:113], off offset:248
.LBB53_225:
	s_wait_xcnt 0x0
	s_or_b32 exec_lo, exec_lo, s21
	scratch_load_b64 v[112:113], off, off offset:240
	v_cmp_lt_u32_e64 s0, 30, v0
	s_wait_loadcnt 0x0
	ds_store_b64 v1, v[112:113]
	s_wait_storecnt_dscnt 0x0
	s_barrier_signal -1
	s_barrier_wait -1
	s_wait_xcnt 0x0
	s_and_saveexec_b32 s20, s0
	s_cbranch_execz .LBB53_235
; %bb.226:
	s_and_not1_b32 vcc_lo, exec_lo, s3
	s_cbranch_vccnz .LBB53_228
; %bb.227:
	scratch_load_b64 v[112:113], v39, off
	ds_load_b64 v[114:115], v1
	s_wait_loadcnt_dscnt 0x0
	v_pk_mul_f32 v[116:117], v[114:115], v[112:113] op_sel:[1,1] op_sel_hi:[0,1]
	s_delay_alu instid0(VALU_DEP_1) | instskip(SKIP_1) | instid1(VALU_DEP_2)
	v_pk_fma_f32 v[118:119], v[114:115], v[112:113], v[116:117] op_sel_hi:[1,0,1]
	v_pk_fma_f32 v[112:113], v[114:115], v[112:113], v[116:117] neg_lo:[0,0,1] neg_hi:[0,0,1]
	v_mov_b32_e32 v113, v119
	s_cbranch_execz .LBB53_229
	s_branch .LBB53_230
.LBB53_228:
                                        ; implicit-def: $vgpr112_vgpr113
.LBB53_229:
	ds_load_b64 v[112:113], v1
.LBB53_230:
	s_and_saveexec_b32 s21, s1
	s_cbranch_execz .LBB53_234
; %bb.231:
	v_subrev_nc_u32_e32 v114, 31, v0
	s_movk_i32 s1, 0xf8
	s_movk_i32 s23, 0x2a8
	s_mov_b32 s22, 0
.LBB53_232:                             ; =>This Inner Loop Header: Depth=1
	scratch_load_b64 v[116:117], off, s1
	v_dual_mov_b32 v115, s23 :: v_dual_add_nc_u32 v114, -1, v114
	s_add_co_i32 s23, s23, 8
	s_wait_xcnt 0x0
	s_add_co_i32 s1, s1, 8
	ds_load_b64 v[118:119], v115
	v_cmp_eq_u32_e32 vcc_lo, 0, v114
	s_or_b32 s22, vcc_lo, s22
	s_wait_loadcnt_dscnt 0x0
	v_pk_mul_f32 v[120:121], v[118:119], v[116:117] op_sel:[1,1] op_sel_hi:[0,1]
	s_delay_alu instid0(VALU_DEP_1) | instskip(SKIP_1) | instid1(VALU_DEP_2)
	v_pk_fma_f32 v[122:123], v[118:119], v[116:117], v[120:121] op_sel_hi:[1,0,1]
	v_pk_fma_f32 v[116:117], v[118:119], v[116:117], v[120:121] neg_lo:[0,0,1] neg_hi:[0,0,1]
	v_mov_b32_e32 v117, v123
	s_delay_alu instid0(VALU_DEP_1)
	v_pk_add_f32 v[112:113], v[112:113], v[116:117]
	s_and_not1_b32 exec_lo, exec_lo, s22
	s_cbranch_execnz .LBB53_232
; %bb.233:
	s_or_b32 exec_lo, exec_lo, s22
.LBB53_234:
	s_delay_alu instid0(SALU_CYCLE_1) | instskip(SKIP_4) | instid1(VALU_DEP_1)
	s_or_b32 exec_lo, exec_lo, s21
	v_mov_b32_e32 v114, 0
	ds_load_b64 v[114:115], v114 offset:240
	s_wait_dscnt 0x0
	v_pk_mul_f32 v[116:117], v[112:113], v[114:115] op_sel:[1,1] op_sel_hi:[0,1]
	v_pk_fma_f32 v[118:119], v[112:113], v[114:115], v[116:117] op_sel_hi:[1,0,1]
	v_pk_fma_f32 v[112:113], v[112:113], v[114:115], v[116:117] neg_lo:[0,0,1] neg_hi:[0,0,1]
	s_delay_alu instid0(VALU_DEP_2)
	v_mov_b32_e32 v113, v119
	scratch_store_b64 off, v[112:113], off offset:240
.LBB53_235:
	s_wait_xcnt 0x0
	s_or_b32 exec_lo, exec_lo, s20
	scratch_load_b64 v[112:113], off, off offset:232
	v_cmp_lt_u32_e64 s1, 29, v0
	s_wait_loadcnt 0x0
	ds_store_b64 v1, v[112:113]
	s_wait_storecnt_dscnt 0x0
	s_barrier_signal -1
	s_barrier_wait -1
	s_wait_xcnt 0x0
	s_and_saveexec_b32 s20, s1
	s_cbranch_execz .LBB53_245
; %bb.236:
	s_and_not1_b32 vcc_lo, exec_lo, s3
	s_cbranch_vccnz .LBB53_238
; %bb.237:
	scratch_load_b64 v[112:113], v39, off
	ds_load_b64 v[114:115], v1
	s_wait_loadcnt_dscnt 0x0
	v_pk_mul_f32 v[116:117], v[114:115], v[112:113] op_sel:[1,1] op_sel_hi:[0,1]
	s_delay_alu instid0(VALU_DEP_1) | instskip(SKIP_1) | instid1(VALU_DEP_2)
	v_pk_fma_f32 v[118:119], v[114:115], v[112:113], v[116:117] op_sel_hi:[1,0,1]
	v_pk_fma_f32 v[112:113], v[114:115], v[112:113], v[116:117] neg_lo:[0,0,1] neg_hi:[0,0,1]
	v_mov_b32_e32 v113, v119
	s_cbranch_execz .LBB53_239
	s_branch .LBB53_240
.LBB53_238:
                                        ; implicit-def: $vgpr112_vgpr113
.LBB53_239:
	ds_load_b64 v[112:113], v1
.LBB53_240:
	s_and_saveexec_b32 s21, s0
	s_cbranch_execz .LBB53_244
; %bb.241:
	v_subrev_nc_u32_e32 v114, 30, v0
	s_movk_i32 s22, 0x2a0
	s_mov_b32 s0, 0
.LBB53_242:                             ; =>This Inner Loop Header: Depth=1
	scratch_load_b64 v[116:117], off, s19
	v_dual_mov_b32 v115, s22 :: v_dual_add_nc_u32 v114, -1, v114
	s_add_co_i32 s22, s22, 8
	s_wait_xcnt 0x0
	s_add_co_i32 s19, s19, 8
	ds_load_b64 v[118:119], v115
	v_cmp_eq_u32_e32 vcc_lo, 0, v114
	s_or_b32 s0, vcc_lo, s0
	s_wait_loadcnt_dscnt 0x0
	v_pk_mul_f32 v[120:121], v[118:119], v[116:117] op_sel:[1,1] op_sel_hi:[0,1]
	s_delay_alu instid0(VALU_DEP_1) | instskip(SKIP_1) | instid1(VALU_DEP_2)
	v_pk_fma_f32 v[122:123], v[118:119], v[116:117], v[120:121] op_sel_hi:[1,0,1]
	v_pk_fma_f32 v[116:117], v[118:119], v[116:117], v[120:121] neg_lo:[0,0,1] neg_hi:[0,0,1]
	v_mov_b32_e32 v117, v123
	s_delay_alu instid0(VALU_DEP_1)
	v_pk_add_f32 v[112:113], v[112:113], v[116:117]
	s_and_not1_b32 exec_lo, exec_lo, s0
	s_cbranch_execnz .LBB53_242
; %bb.243:
	s_or_b32 exec_lo, exec_lo, s0
.LBB53_244:
	s_delay_alu instid0(SALU_CYCLE_1) | instskip(SKIP_4) | instid1(VALU_DEP_1)
	s_or_b32 exec_lo, exec_lo, s21
	v_mov_b32_e32 v114, 0
	ds_load_b64 v[114:115], v114 offset:232
	s_wait_dscnt 0x0
	v_pk_mul_f32 v[116:117], v[112:113], v[114:115] op_sel:[1,1] op_sel_hi:[0,1]
	v_pk_fma_f32 v[118:119], v[112:113], v[114:115], v[116:117] op_sel_hi:[1,0,1]
	v_pk_fma_f32 v[112:113], v[112:113], v[114:115], v[116:117] neg_lo:[0,0,1] neg_hi:[0,0,1]
	s_delay_alu instid0(VALU_DEP_2)
	v_mov_b32_e32 v113, v119
	scratch_store_b64 off, v[112:113], off offset:232
.LBB53_245:
	s_wait_xcnt 0x0
	s_or_b32 exec_lo, exec_lo, s20
	scratch_load_b64 v[112:113], off, off offset:224
	v_cmp_lt_u32_e64 s0, 28, v0
	s_wait_loadcnt 0x0
	ds_store_b64 v1, v[112:113]
	s_wait_storecnt_dscnt 0x0
	s_barrier_signal -1
	s_barrier_wait -1
	s_wait_xcnt 0x0
	s_and_saveexec_b32 s19, s0
	s_cbranch_execz .LBB53_255
; %bb.246:
	s_and_not1_b32 vcc_lo, exec_lo, s3
	s_cbranch_vccnz .LBB53_248
; %bb.247:
	scratch_load_b64 v[112:113], v39, off
	ds_load_b64 v[114:115], v1
	s_wait_loadcnt_dscnt 0x0
	v_pk_mul_f32 v[116:117], v[114:115], v[112:113] op_sel:[1,1] op_sel_hi:[0,1]
	s_delay_alu instid0(VALU_DEP_1) | instskip(SKIP_1) | instid1(VALU_DEP_2)
	v_pk_fma_f32 v[118:119], v[114:115], v[112:113], v[116:117] op_sel_hi:[1,0,1]
	v_pk_fma_f32 v[112:113], v[114:115], v[112:113], v[116:117] neg_lo:[0,0,1] neg_hi:[0,0,1]
	v_mov_b32_e32 v113, v119
	s_cbranch_execz .LBB53_249
	s_branch .LBB53_250
.LBB53_248:
                                        ; implicit-def: $vgpr112_vgpr113
.LBB53_249:
	ds_load_b64 v[112:113], v1
.LBB53_250:
	s_and_saveexec_b32 s20, s1
	s_cbranch_execz .LBB53_254
; %bb.251:
	v_subrev_nc_u32_e32 v114, 29, v0
	s_movk_i32 s1, 0xe8
	s_movk_i32 s22, 0x298
	s_mov_b32 s21, 0
.LBB53_252:                             ; =>This Inner Loop Header: Depth=1
	scratch_load_b64 v[116:117], off, s1
	v_dual_mov_b32 v115, s22 :: v_dual_add_nc_u32 v114, -1, v114
	s_add_co_i32 s22, s22, 8
	s_wait_xcnt 0x0
	s_add_co_i32 s1, s1, 8
	ds_load_b64 v[118:119], v115
	v_cmp_eq_u32_e32 vcc_lo, 0, v114
	s_or_b32 s21, vcc_lo, s21
	s_wait_loadcnt_dscnt 0x0
	v_pk_mul_f32 v[120:121], v[118:119], v[116:117] op_sel:[1,1] op_sel_hi:[0,1]
	s_delay_alu instid0(VALU_DEP_1) | instskip(SKIP_1) | instid1(VALU_DEP_2)
	v_pk_fma_f32 v[122:123], v[118:119], v[116:117], v[120:121] op_sel_hi:[1,0,1]
	v_pk_fma_f32 v[116:117], v[118:119], v[116:117], v[120:121] neg_lo:[0,0,1] neg_hi:[0,0,1]
	v_mov_b32_e32 v117, v123
	s_delay_alu instid0(VALU_DEP_1)
	v_pk_add_f32 v[112:113], v[112:113], v[116:117]
	s_and_not1_b32 exec_lo, exec_lo, s21
	s_cbranch_execnz .LBB53_252
; %bb.253:
	s_or_b32 exec_lo, exec_lo, s21
.LBB53_254:
	s_delay_alu instid0(SALU_CYCLE_1) | instskip(SKIP_4) | instid1(VALU_DEP_1)
	s_or_b32 exec_lo, exec_lo, s20
	v_mov_b32_e32 v114, 0
	ds_load_b64 v[114:115], v114 offset:224
	s_wait_dscnt 0x0
	v_pk_mul_f32 v[116:117], v[112:113], v[114:115] op_sel:[1,1] op_sel_hi:[0,1]
	v_pk_fma_f32 v[118:119], v[112:113], v[114:115], v[116:117] op_sel_hi:[1,0,1]
	v_pk_fma_f32 v[112:113], v[112:113], v[114:115], v[116:117] neg_lo:[0,0,1] neg_hi:[0,0,1]
	s_delay_alu instid0(VALU_DEP_2)
	v_mov_b32_e32 v113, v119
	scratch_store_b64 off, v[112:113], off offset:224
.LBB53_255:
	s_wait_xcnt 0x0
	s_or_b32 exec_lo, exec_lo, s19
	scratch_load_b64 v[112:113], off, off offset:216
	v_cmp_lt_u32_e64 s1, 27, v0
	s_wait_loadcnt 0x0
	ds_store_b64 v1, v[112:113]
	s_wait_storecnt_dscnt 0x0
	s_barrier_signal -1
	s_barrier_wait -1
	s_wait_xcnt 0x0
	s_and_saveexec_b32 s19, s1
	s_cbranch_execz .LBB53_265
; %bb.256:
	s_and_not1_b32 vcc_lo, exec_lo, s3
	s_cbranch_vccnz .LBB53_258
; %bb.257:
	scratch_load_b64 v[112:113], v39, off
	ds_load_b64 v[114:115], v1
	s_wait_loadcnt_dscnt 0x0
	v_pk_mul_f32 v[116:117], v[114:115], v[112:113] op_sel:[1,1] op_sel_hi:[0,1]
	s_delay_alu instid0(VALU_DEP_1) | instskip(SKIP_1) | instid1(VALU_DEP_2)
	v_pk_fma_f32 v[118:119], v[114:115], v[112:113], v[116:117] op_sel_hi:[1,0,1]
	v_pk_fma_f32 v[112:113], v[114:115], v[112:113], v[116:117] neg_lo:[0,0,1] neg_hi:[0,0,1]
	v_mov_b32_e32 v113, v119
	s_cbranch_execz .LBB53_259
	s_branch .LBB53_260
.LBB53_258:
                                        ; implicit-def: $vgpr112_vgpr113
.LBB53_259:
	ds_load_b64 v[112:113], v1
.LBB53_260:
	s_and_saveexec_b32 s20, s0
	s_cbranch_execz .LBB53_264
; %bb.261:
	v_subrev_nc_u32_e32 v114, 28, v0
	s_movk_i32 s21, 0x290
	s_mov_b32 s0, 0
.LBB53_262:                             ; =>This Inner Loop Header: Depth=1
	scratch_load_b64 v[116:117], off, s18
	v_dual_mov_b32 v115, s21 :: v_dual_add_nc_u32 v114, -1, v114
	s_add_co_i32 s21, s21, 8
	s_wait_xcnt 0x0
	s_add_co_i32 s18, s18, 8
	ds_load_b64 v[118:119], v115
	v_cmp_eq_u32_e32 vcc_lo, 0, v114
	s_or_b32 s0, vcc_lo, s0
	s_wait_loadcnt_dscnt 0x0
	v_pk_mul_f32 v[120:121], v[118:119], v[116:117] op_sel:[1,1] op_sel_hi:[0,1]
	s_delay_alu instid0(VALU_DEP_1) | instskip(SKIP_1) | instid1(VALU_DEP_2)
	v_pk_fma_f32 v[122:123], v[118:119], v[116:117], v[120:121] op_sel_hi:[1,0,1]
	v_pk_fma_f32 v[116:117], v[118:119], v[116:117], v[120:121] neg_lo:[0,0,1] neg_hi:[0,0,1]
	v_mov_b32_e32 v117, v123
	s_delay_alu instid0(VALU_DEP_1)
	v_pk_add_f32 v[112:113], v[112:113], v[116:117]
	s_and_not1_b32 exec_lo, exec_lo, s0
	s_cbranch_execnz .LBB53_262
; %bb.263:
	s_or_b32 exec_lo, exec_lo, s0
.LBB53_264:
	s_delay_alu instid0(SALU_CYCLE_1) | instskip(SKIP_4) | instid1(VALU_DEP_1)
	s_or_b32 exec_lo, exec_lo, s20
	v_mov_b32_e32 v114, 0
	ds_load_b64 v[114:115], v114 offset:216
	s_wait_dscnt 0x0
	v_pk_mul_f32 v[116:117], v[112:113], v[114:115] op_sel:[1,1] op_sel_hi:[0,1]
	v_pk_fma_f32 v[118:119], v[112:113], v[114:115], v[116:117] op_sel_hi:[1,0,1]
	v_pk_fma_f32 v[112:113], v[112:113], v[114:115], v[116:117] neg_lo:[0,0,1] neg_hi:[0,0,1]
	s_delay_alu instid0(VALU_DEP_2)
	v_mov_b32_e32 v113, v119
	scratch_store_b64 off, v[112:113], off offset:216
.LBB53_265:
	s_wait_xcnt 0x0
	s_or_b32 exec_lo, exec_lo, s19
	scratch_load_b64 v[112:113], off, off offset:208
	v_cmp_lt_u32_e64 s0, 26, v0
	s_wait_loadcnt 0x0
	ds_store_b64 v1, v[112:113]
	s_wait_storecnt_dscnt 0x0
	s_barrier_signal -1
	s_barrier_wait -1
	s_wait_xcnt 0x0
	s_and_saveexec_b32 s18, s0
	s_cbranch_execz .LBB53_275
; %bb.266:
	s_and_not1_b32 vcc_lo, exec_lo, s3
	s_cbranch_vccnz .LBB53_268
; %bb.267:
	scratch_load_b64 v[112:113], v39, off
	ds_load_b64 v[114:115], v1
	s_wait_loadcnt_dscnt 0x0
	v_pk_mul_f32 v[116:117], v[114:115], v[112:113] op_sel:[1,1] op_sel_hi:[0,1]
	s_delay_alu instid0(VALU_DEP_1) | instskip(SKIP_1) | instid1(VALU_DEP_2)
	v_pk_fma_f32 v[118:119], v[114:115], v[112:113], v[116:117] op_sel_hi:[1,0,1]
	v_pk_fma_f32 v[112:113], v[114:115], v[112:113], v[116:117] neg_lo:[0,0,1] neg_hi:[0,0,1]
	v_mov_b32_e32 v113, v119
	s_cbranch_execz .LBB53_269
	s_branch .LBB53_270
.LBB53_268:
                                        ; implicit-def: $vgpr112_vgpr113
.LBB53_269:
	ds_load_b64 v[112:113], v1
.LBB53_270:
	s_and_saveexec_b32 s19, s1
	s_cbranch_execz .LBB53_274
; %bb.271:
	v_subrev_nc_u32_e32 v114, 27, v0
	s_movk_i32 s1, 0xd8
	s_movk_i32 s21, 0x288
	s_mov_b32 s20, 0
.LBB53_272:                             ; =>This Inner Loop Header: Depth=1
	scratch_load_b64 v[116:117], off, s1
	v_dual_mov_b32 v115, s21 :: v_dual_add_nc_u32 v114, -1, v114
	s_add_co_i32 s21, s21, 8
	s_wait_xcnt 0x0
	s_add_co_i32 s1, s1, 8
	ds_load_b64 v[118:119], v115
	v_cmp_eq_u32_e32 vcc_lo, 0, v114
	s_or_b32 s20, vcc_lo, s20
	s_wait_loadcnt_dscnt 0x0
	v_pk_mul_f32 v[120:121], v[118:119], v[116:117] op_sel:[1,1] op_sel_hi:[0,1]
	s_delay_alu instid0(VALU_DEP_1) | instskip(SKIP_1) | instid1(VALU_DEP_2)
	v_pk_fma_f32 v[122:123], v[118:119], v[116:117], v[120:121] op_sel_hi:[1,0,1]
	v_pk_fma_f32 v[116:117], v[118:119], v[116:117], v[120:121] neg_lo:[0,0,1] neg_hi:[0,0,1]
	v_mov_b32_e32 v117, v123
	s_delay_alu instid0(VALU_DEP_1)
	v_pk_add_f32 v[112:113], v[112:113], v[116:117]
	s_and_not1_b32 exec_lo, exec_lo, s20
	s_cbranch_execnz .LBB53_272
; %bb.273:
	s_or_b32 exec_lo, exec_lo, s20
.LBB53_274:
	s_delay_alu instid0(SALU_CYCLE_1) | instskip(SKIP_4) | instid1(VALU_DEP_1)
	s_or_b32 exec_lo, exec_lo, s19
	v_mov_b32_e32 v114, 0
	ds_load_b64 v[114:115], v114 offset:208
	s_wait_dscnt 0x0
	v_pk_mul_f32 v[116:117], v[112:113], v[114:115] op_sel:[1,1] op_sel_hi:[0,1]
	v_pk_fma_f32 v[118:119], v[112:113], v[114:115], v[116:117] op_sel_hi:[1,0,1]
	v_pk_fma_f32 v[112:113], v[112:113], v[114:115], v[116:117] neg_lo:[0,0,1] neg_hi:[0,0,1]
	s_delay_alu instid0(VALU_DEP_2)
	v_mov_b32_e32 v113, v119
	scratch_store_b64 off, v[112:113], off offset:208
.LBB53_275:
	s_wait_xcnt 0x0
	s_or_b32 exec_lo, exec_lo, s18
	scratch_load_b64 v[112:113], off, off offset:200
	v_cmp_lt_u32_e64 s1, 25, v0
	s_wait_loadcnt 0x0
	ds_store_b64 v1, v[112:113]
	s_wait_storecnt_dscnt 0x0
	s_barrier_signal -1
	s_barrier_wait -1
	s_wait_xcnt 0x0
	s_and_saveexec_b32 s18, s1
	s_cbranch_execz .LBB53_285
; %bb.276:
	s_and_not1_b32 vcc_lo, exec_lo, s3
	s_cbranch_vccnz .LBB53_278
; %bb.277:
	scratch_load_b64 v[112:113], v39, off
	ds_load_b64 v[114:115], v1
	s_wait_loadcnt_dscnt 0x0
	v_pk_mul_f32 v[116:117], v[114:115], v[112:113] op_sel:[1,1] op_sel_hi:[0,1]
	s_delay_alu instid0(VALU_DEP_1) | instskip(SKIP_1) | instid1(VALU_DEP_2)
	v_pk_fma_f32 v[118:119], v[114:115], v[112:113], v[116:117] op_sel_hi:[1,0,1]
	v_pk_fma_f32 v[112:113], v[114:115], v[112:113], v[116:117] neg_lo:[0,0,1] neg_hi:[0,0,1]
	v_mov_b32_e32 v113, v119
	s_cbranch_execz .LBB53_279
	s_branch .LBB53_280
.LBB53_278:
                                        ; implicit-def: $vgpr112_vgpr113
.LBB53_279:
	ds_load_b64 v[112:113], v1
.LBB53_280:
	s_and_saveexec_b32 s19, s0
	s_cbranch_execz .LBB53_284
; %bb.281:
	v_subrev_nc_u32_e32 v114, 26, v0
	s_movk_i32 s20, 0x280
	s_mov_b32 s0, 0
.LBB53_282:                             ; =>This Inner Loop Header: Depth=1
	scratch_load_b64 v[116:117], off, s17
	v_dual_mov_b32 v115, s20 :: v_dual_add_nc_u32 v114, -1, v114
	s_add_co_i32 s20, s20, 8
	s_wait_xcnt 0x0
	s_add_co_i32 s17, s17, 8
	ds_load_b64 v[118:119], v115
	v_cmp_eq_u32_e32 vcc_lo, 0, v114
	s_or_b32 s0, vcc_lo, s0
	s_wait_loadcnt_dscnt 0x0
	v_pk_mul_f32 v[120:121], v[118:119], v[116:117] op_sel:[1,1] op_sel_hi:[0,1]
	s_delay_alu instid0(VALU_DEP_1) | instskip(SKIP_1) | instid1(VALU_DEP_2)
	v_pk_fma_f32 v[122:123], v[118:119], v[116:117], v[120:121] op_sel_hi:[1,0,1]
	v_pk_fma_f32 v[116:117], v[118:119], v[116:117], v[120:121] neg_lo:[0,0,1] neg_hi:[0,0,1]
	v_mov_b32_e32 v117, v123
	s_delay_alu instid0(VALU_DEP_1)
	v_pk_add_f32 v[112:113], v[112:113], v[116:117]
	s_and_not1_b32 exec_lo, exec_lo, s0
	s_cbranch_execnz .LBB53_282
; %bb.283:
	s_or_b32 exec_lo, exec_lo, s0
.LBB53_284:
	s_delay_alu instid0(SALU_CYCLE_1) | instskip(SKIP_4) | instid1(VALU_DEP_1)
	s_or_b32 exec_lo, exec_lo, s19
	v_mov_b32_e32 v114, 0
	ds_load_b64 v[114:115], v114 offset:200
	s_wait_dscnt 0x0
	v_pk_mul_f32 v[116:117], v[112:113], v[114:115] op_sel:[1,1] op_sel_hi:[0,1]
	v_pk_fma_f32 v[118:119], v[112:113], v[114:115], v[116:117] op_sel_hi:[1,0,1]
	v_pk_fma_f32 v[112:113], v[112:113], v[114:115], v[116:117] neg_lo:[0,0,1] neg_hi:[0,0,1]
	s_delay_alu instid0(VALU_DEP_2)
	v_mov_b32_e32 v113, v119
	scratch_store_b64 off, v[112:113], off offset:200
.LBB53_285:
	s_wait_xcnt 0x0
	s_or_b32 exec_lo, exec_lo, s18
	scratch_load_b64 v[112:113], off, off offset:192
	v_cmp_lt_u32_e64 s0, 24, v0
	s_wait_loadcnt 0x0
	ds_store_b64 v1, v[112:113]
	s_wait_storecnt_dscnt 0x0
	s_barrier_signal -1
	s_barrier_wait -1
	s_wait_xcnt 0x0
	s_and_saveexec_b32 s17, s0
	s_cbranch_execz .LBB53_295
; %bb.286:
	s_and_not1_b32 vcc_lo, exec_lo, s3
	s_cbranch_vccnz .LBB53_288
; %bb.287:
	scratch_load_b64 v[112:113], v39, off
	ds_load_b64 v[114:115], v1
	s_wait_loadcnt_dscnt 0x0
	v_pk_mul_f32 v[116:117], v[114:115], v[112:113] op_sel:[1,1] op_sel_hi:[0,1]
	s_delay_alu instid0(VALU_DEP_1) | instskip(SKIP_1) | instid1(VALU_DEP_2)
	v_pk_fma_f32 v[118:119], v[114:115], v[112:113], v[116:117] op_sel_hi:[1,0,1]
	v_pk_fma_f32 v[112:113], v[114:115], v[112:113], v[116:117] neg_lo:[0,0,1] neg_hi:[0,0,1]
	v_mov_b32_e32 v113, v119
	s_cbranch_execz .LBB53_289
	s_branch .LBB53_290
.LBB53_288:
                                        ; implicit-def: $vgpr112_vgpr113
.LBB53_289:
	ds_load_b64 v[112:113], v1
.LBB53_290:
	s_and_saveexec_b32 s18, s1
	s_cbranch_execz .LBB53_294
; %bb.291:
	v_subrev_nc_u32_e32 v114, 25, v0
	s_movk_i32 s1, 0xc8
	s_movk_i32 s20, 0x278
	s_mov_b32 s19, 0
.LBB53_292:                             ; =>This Inner Loop Header: Depth=1
	scratch_load_b64 v[116:117], off, s1
	v_dual_mov_b32 v115, s20 :: v_dual_add_nc_u32 v114, -1, v114
	s_add_co_i32 s20, s20, 8
	s_wait_xcnt 0x0
	s_add_co_i32 s1, s1, 8
	ds_load_b64 v[118:119], v115
	v_cmp_eq_u32_e32 vcc_lo, 0, v114
	s_or_b32 s19, vcc_lo, s19
	s_wait_loadcnt_dscnt 0x0
	v_pk_mul_f32 v[120:121], v[118:119], v[116:117] op_sel:[1,1] op_sel_hi:[0,1]
	s_delay_alu instid0(VALU_DEP_1) | instskip(SKIP_1) | instid1(VALU_DEP_2)
	v_pk_fma_f32 v[122:123], v[118:119], v[116:117], v[120:121] op_sel_hi:[1,0,1]
	v_pk_fma_f32 v[116:117], v[118:119], v[116:117], v[120:121] neg_lo:[0,0,1] neg_hi:[0,0,1]
	v_mov_b32_e32 v117, v123
	s_delay_alu instid0(VALU_DEP_1)
	v_pk_add_f32 v[112:113], v[112:113], v[116:117]
	s_and_not1_b32 exec_lo, exec_lo, s19
	s_cbranch_execnz .LBB53_292
; %bb.293:
	s_or_b32 exec_lo, exec_lo, s19
.LBB53_294:
	s_delay_alu instid0(SALU_CYCLE_1) | instskip(SKIP_4) | instid1(VALU_DEP_1)
	s_or_b32 exec_lo, exec_lo, s18
	v_mov_b32_e32 v114, 0
	ds_load_b64 v[114:115], v114 offset:192
	s_wait_dscnt 0x0
	v_pk_mul_f32 v[116:117], v[112:113], v[114:115] op_sel:[1,1] op_sel_hi:[0,1]
	v_pk_fma_f32 v[118:119], v[112:113], v[114:115], v[116:117] op_sel_hi:[1,0,1]
	v_pk_fma_f32 v[112:113], v[112:113], v[114:115], v[116:117] neg_lo:[0,0,1] neg_hi:[0,0,1]
	s_delay_alu instid0(VALU_DEP_2)
	v_mov_b32_e32 v113, v119
	scratch_store_b64 off, v[112:113], off offset:192
.LBB53_295:
	s_wait_xcnt 0x0
	s_or_b32 exec_lo, exec_lo, s17
	scratch_load_b64 v[112:113], off, off offset:184
	v_cmp_lt_u32_e64 s1, 23, v0
	s_wait_loadcnt 0x0
	ds_store_b64 v1, v[112:113]
	s_wait_storecnt_dscnt 0x0
	s_barrier_signal -1
	s_barrier_wait -1
	s_wait_xcnt 0x0
	s_and_saveexec_b32 s17, s1
	s_cbranch_execz .LBB53_305
; %bb.296:
	s_and_not1_b32 vcc_lo, exec_lo, s3
	s_cbranch_vccnz .LBB53_298
; %bb.297:
	scratch_load_b64 v[112:113], v39, off
	ds_load_b64 v[114:115], v1
	s_wait_loadcnt_dscnt 0x0
	v_pk_mul_f32 v[116:117], v[114:115], v[112:113] op_sel:[1,1] op_sel_hi:[0,1]
	s_delay_alu instid0(VALU_DEP_1) | instskip(SKIP_1) | instid1(VALU_DEP_2)
	v_pk_fma_f32 v[118:119], v[114:115], v[112:113], v[116:117] op_sel_hi:[1,0,1]
	v_pk_fma_f32 v[112:113], v[114:115], v[112:113], v[116:117] neg_lo:[0,0,1] neg_hi:[0,0,1]
	v_mov_b32_e32 v113, v119
	s_cbranch_execz .LBB53_299
	s_branch .LBB53_300
.LBB53_298:
                                        ; implicit-def: $vgpr112_vgpr113
.LBB53_299:
	ds_load_b64 v[112:113], v1
.LBB53_300:
	s_and_saveexec_b32 s18, s0
	s_cbranch_execz .LBB53_304
; %bb.301:
	v_subrev_nc_u32_e32 v114, 24, v0
	s_movk_i32 s19, 0x270
	s_mov_b32 s0, 0
.LBB53_302:                             ; =>This Inner Loop Header: Depth=1
	scratch_load_b64 v[116:117], off, s16
	v_dual_mov_b32 v115, s19 :: v_dual_add_nc_u32 v114, -1, v114
	s_add_co_i32 s19, s19, 8
	s_wait_xcnt 0x0
	s_add_co_i32 s16, s16, 8
	ds_load_b64 v[118:119], v115
	v_cmp_eq_u32_e32 vcc_lo, 0, v114
	s_or_b32 s0, vcc_lo, s0
	s_wait_loadcnt_dscnt 0x0
	v_pk_mul_f32 v[120:121], v[118:119], v[116:117] op_sel:[1,1] op_sel_hi:[0,1]
	s_delay_alu instid0(VALU_DEP_1) | instskip(SKIP_1) | instid1(VALU_DEP_2)
	v_pk_fma_f32 v[122:123], v[118:119], v[116:117], v[120:121] op_sel_hi:[1,0,1]
	v_pk_fma_f32 v[116:117], v[118:119], v[116:117], v[120:121] neg_lo:[0,0,1] neg_hi:[0,0,1]
	v_mov_b32_e32 v117, v123
	s_delay_alu instid0(VALU_DEP_1)
	v_pk_add_f32 v[112:113], v[112:113], v[116:117]
	s_and_not1_b32 exec_lo, exec_lo, s0
	s_cbranch_execnz .LBB53_302
; %bb.303:
	s_or_b32 exec_lo, exec_lo, s0
.LBB53_304:
	s_delay_alu instid0(SALU_CYCLE_1) | instskip(SKIP_4) | instid1(VALU_DEP_1)
	s_or_b32 exec_lo, exec_lo, s18
	v_mov_b32_e32 v114, 0
	ds_load_b64 v[114:115], v114 offset:184
	s_wait_dscnt 0x0
	v_pk_mul_f32 v[116:117], v[112:113], v[114:115] op_sel:[1,1] op_sel_hi:[0,1]
	v_pk_fma_f32 v[118:119], v[112:113], v[114:115], v[116:117] op_sel_hi:[1,0,1]
	v_pk_fma_f32 v[112:113], v[112:113], v[114:115], v[116:117] neg_lo:[0,0,1] neg_hi:[0,0,1]
	s_delay_alu instid0(VALU_DEP_2)
	v_mov_b32_e32 v113, v119
	scratch_store_b64 off, v[112:113], off offset:184
.LBB53_305:
	s_wait_xcnt 0x0
	s_or_b32 exec_lo, exec_lo, s17
	scratch_load_b64 v[112:113], off, off offset:176
	v_cmp_lt_u32_e64 s0, 22, v0
	s_wait_loadcnt 0x0
	ds_store_b64 v1, v[112:113]
	s_wait_storecnt_dscnt 0x0
	s_barrier_signal -1
	s_barrier_wait -1
	s_wait_xcnt 0x0
	s_and_saveexec_b32 s16, s0
	s_cbranch_execz .LBB53_315
; %bb.306:
	s_and_not1_b32 vcc_lo, exec_lo, s3
	s_cbranch_vccnz .LBB53_308
; %bb.307:
	scratch_load_b64 v[112:113], v39, off
	ds_load_b64 v[114:115], v1
	s_wait_loadcnt_dscnt 0x0
	v_pk_mul_f32 v[116:117], v[114:115], v[112:113] op_sel:[1,1] op_sel_hi:[0,1]
	s_delay_alu instid0(VALU_DEP_1) | instskip(SKIP_1) | instid1(VALU_DEP_2)
	v_pk_fma_f32 v[118:119], v[114:115], v[112:113], v[116:117] op_sel_hi:[1,0,1]
	v_pk_fma_f32 v[112:113], v[114:115], v[112:113], v[116:117] neg_lo:[0,0,1] neg_hi:[0,0,1]
	v_mov_b32_e32 v113, v119
	s_cbranch_execz .LBB53_309
	s_branch .LBB53_310
.LBB53_308:
                                        ; implicit-def: $vgpr112_vgpr113
.LBB53_309:
	ds_load_b64 v[112:113], v1
.LBB53_310:
	s_and_saveexec_b32 s17, s1
	s_cbranch_execz .LBB53_314
; %bb.311:
	v_subrev_nc_u32_e32 v114, 23, v0
	s_movk_i32 s1, 0xb8
	s_movk_i32 s19, 0x268
	s_mov_b32 s18, 0
.LBB53_312:                             ; =>This Inner Loop Header: Depth=1
	scratch_load_b64 v[116:117], off, s1
	v_dual_mov_b32 v115, s19 :: v_dual_add_nc_u32 v114, -1, v114
	s_add_co_i32 s19, s19, 8
	s_wait_xcnt 0x0
	s_add_co_i32 s1, s1, 8
	ds_load_b64 v[118:119], v115
	v_cmp_eq_u32_e32 vcc_lo, 0, v114
	s_or_b32 s18, vcc_lo, s18
	s_wait_loadcnt_dscnt 0x0
	v_pk_mul_f32 v[120:121], v[118:119], v[116:117] op_sel:[1,1] op_sel_hi:[0,1]
	s_delay_alu instid0(VALU_DEP_1) | instskip(SKIP_1) | instid1(VALU_DEP_2)
	v_pk_fma_f32 v[122:123], v[118:119], v[116:117], v[120:121] op_sel_hi:[1,0,1]
	v_pk_fma_f32 v[116:117], v[118:119], v[116:117], v[120:121] neg_lo:[0,0,1] neg_hi:[0,0,1]
	v_mov_b32_e32 v117, v123
	s_delay_alu instid0(VALU_DEP_1)
	v_pk_add_f32 v[112:113], v[112:113], v[116:117]
	s_and_not1_b32 exec_lo, exec_lo, s18
	s_cbranch_execnz .LBB53_312
; %bb.313:
	s_or_b32 exec_lo, exec_lo, s18
.LBB53_314:
	s_delay_alu instid0(SALU_CYCLE_1) | instskip(SKIP_4) | instid1(VALU_DEP_1)
	s_or_b32 exec_lo, exec_lo, s17
	v_mov_b32_e32 v114, 0
	ds_load_b64 v[114:115], v114 offset:176
	s_wait_dscnt 0x0
	v_pk_mul_f32 v[116:117], v[112:113], v[114:115] op_sel:[1,1] op_sel_hi:[0,1]
	v_pk_fma_f32 v[118:119], v[112:113], v[114:115], v[116:117] op_sel_hi:[1,0,1]
	v_pk_fma_f32 v[112:113], v[112:113], v[114:115], v[116:117] neg_lo:[0,0,1] neg_hi:[0,0,1]
	s_delay_alu instid0(VALU_DEP_2)
	v_mov_b32_e32 v113, v119
	scratch_store_b64 off, v[112:113], off offset:176
.LBB53_315:
	s_wait_xcnt 0x0
	s_or_b32 exec_lo, exec_lo, s16
	scratch_load_b64 v[112:113], off, off offset:168
	v_cmp_lt_u32_e64 s1, 21, v0
	s_wait_loadcnt 0x0
	ds_store_b64 v1, v[112:113]
	s_wait_storecnt_dscnt 0x0
	s_barrier_signal -1
	s_barrier_wait -1
	s_wait_xcnt 0x0
	s_and_saveexec_b32 s16, s1
	s_cbranch_execz .LBB53_325
; %bb.316:
	s_and_not1_b32 vcc_lo, exec_lo, s3
	s_cbranch_vccnz .LBB53_318
; %bb.317:
	scratch_load_b64 v[112:113], v39, off
	ds_load_b64 v[114:115], v1
	s_wait_loadcnt_dscnt 0x0
	v_pk_mul_f32 v[116:117], v[114:115], v[112:113] op_sel:[1,1] op_sel_hi:[0,1]
	s_delay_alu instid0(VALU_DEP_1) | instskip(SKIP_1) | instid1(VALU_DEP_2)
	v_pk_fma_f32 v[118:119], v[114:115], v[112:113], v[116:117] op_sel_hi:[1,0,1]
	v_pk_fma_f32 v[112:113], v[114:115], v[112:113], v[116:117] neg_lo:[0,0,1] neg_hi:[0,0,1]
	v_mov_b32_e32 v113, v119
	s_cbranch_execz .LBB53_319
	s_branch .LBB53_320
.LBB53_318:
                                        ; implicit-def: $vgpr112_vgpr113
.LBB53_319:
	ds_load_b64 v[112:113], v1
.LBB53_320:
	s_and_saveexec_b32 s17, s0
	s_cbranch_execz .LBB53_324
; %bb.321:
	v_subrev_nc_u32_e32 v114, 22, v0
	s_movk_i32 s18, 0x260
	s_mov_b32 s0, 0
.LBB53_322:                             ; =>This Inner Loop Header: Depth=1
	scratch_load_b64 v[116:117], off, s15
	v_dual_mov_b32 v115, s18 :: v_dual_add_nc_u32 v114, -1, v114
	s_add_co_i32 s18, s18, 8
	s_wait_xcnt 0x0
	s_add_co_i32 s15, s15, 8
	ds_load_b64 v[118:119], v115
	v_cmp_eq_u32_e32 vcc_lo, 0, v114
	s_or_b32 s0, vcc_lo, s0
	s_wait_loadcnt_dscnt 0x0
	v_pk_mul_f32 v[120:121], v[118:119], v[116:117] op_sel:[1,1] op_sel_hi:[0,1]
	s_delay_alu instid0(VALU_DEP_1) | instskip(SKIP_1) | instid1(VALU_DEP_2)
	v_pk_fma_f32 v[122:123], v[118:119], v[116:117], v[120:121] op_sel_hi:[1,0,1]
	v_pk_fma_f32 v[116:117], v[118:119], v[116:117], v[120:121] neg_lo:[0,0,1] neg_hi:[0,0,1]
	v_mov_b32_e32 v117, v123
	s_delay_alu instid0(VALU_DEP_1)
	v_pk_add_f32 v[112:113], v[112:113], v[116:117]
	s_and_not1_b32 exec_lo, exec_lo, s0
	s_cbranch_execnz .LBB53_322
; %bb.323:
	s_or_b32 exec_lo, exec_lo, s0
.LBB53_324:
	s_delay_alu instid0(SALU_CYCLE_1) | instskip(SKIP_4) | instid1(VALU_DEP_1)
	s_or_b32 exec_lo, exec_lo, s17
	v_mov_b32_e32 v114, 0
	ds_load_b64 v[114:115], v114 offset:168
	s_wait_dscnt 0x0
	v_pk_mul_f32 v[116:117], v[112:113], v[114:115] op_sel:[1,1] op_sel_hi:[0,1]
	v_pk_fma_f32 v[118:119], v[112:113], v[114:115], v[116:117] op_sel_hi:[1,0,1]
	v_pk_fma_f32 v[112:113], v[112:113], v[114:115], v[116:117] neg_lo:[0,0,1] neg_hi:[0,0,1]
	s_delay_alu instid0(VALU_DEP_2)
	v_mov_b32_e32 v113, v119
	scratch_store_b64 off, v[112:113], off offset:168
.LBB53_325:
	s_wait_xcnt 0x0
	s_or_b32 exec_lo, exec_lo, s16
	scratch_load_b64 v[112:113], off, off offset:160
	v_cmp_lt_u32_e64 s0, 20, v0
	s_wait_loadcnt 0x0
	ds_store_b64 v1, v[112:113]
	s_wait_storecnt_dscnt 0x0
	s_barrier_signal -1
	s_barrier_wait -1
	s_wait_xcnt 0x0
	s_and_saveexec_b32 s15, s0
	s_cbranch_execz .LBB53_335
; %bb.326:
	s_and_not1_b32 vcc_lo, exec_lo, s3
	s_cbranch_vccnz .LBB53_328
; %bb.327:
	scratch_load_b64 v[112:113], v39, off
	ds_load_b64 v[114:115], v1
	s_wait_loadcnt_dscnt 0x0
	v_pk_mul_f32 v[116:117], v[114:115], v[112:113] op_sel:[1,1] op_sel_hi:[0,1]
	s_delay_alu instid0(VALU_DEP_1) | instskip(SKIP_1) | instid1(VALU_DEP_2)
	v_pk_fma_f32 v[118:119], v[114:115], v[112:113], v[116:117] op_sel_hi:[1,0,1]
	v_pk_fma_f32 v[112:113], v[114:115], v[112:113], v[116:117] neg_lo:[0,0,1] neg_hi:[0,0,1]
	v_mov_b32_e32 v113, v119
	s_cbranch_execz .LBB53_329
	s_branch .LBB53_330
.LBB53_328:
                                        ; implicit-def: $vgpr112_vgpr113
.LBB53_329:
	ds_load_b64 v[112:113], v1
.LBB53_330:
	s_and_saveexec_b32 s16, s1
	s_cbranch_execz .LBB53_334
; %bb.331:
	v_subrev_nc_u32_e32 v114, 21, v0
	s_movk_i32 s1, 0xa8
	s_movk_i32 s18, 0x258
	s_mov_b32 s17, 0
.LBB53_332:                             ; =>This Inner Loop Header: Depth=1
	scratch_load_b64 v[116:117], off, s1
	v_dual_mov_b32 v115, s18 :: v_dual_add_nc_u32 v114, -1, v114
	s_add_co_i32 s18, s18, 8
	s_wait_xcnt 0x0
	s_add_co_i32 s1, s1, 8
	ds_load_b64 v[118:119], v115
	v_cmp_eq_u32_e32 vcc_lo, 0, v114
	s_or_b32 s17, vcc_lo, s17
	s_wait_loadcnt_dscnt 0x0
	v_pk_mul_f32 v[120:121], v[118:119], v[116:117] op_sel:[1,1] op_sel_hi:[0,1]
	s_delay_alu instid0(VALU_DEP_1) | instskip(SKIP_1) | instid1(VALU_DEP_2)
	v_pk_fma_f32 v[122:123], v[118:119], v[116:117], v[120:121] op_sel_hi:[1,0,1]
	v_pk_fma_f32 v[116:117], v[118:119], v[116:117], v[120:121] neg_lo:[0,0,1] neg_hi:[0,0,1]
	v_mov_b32_e32 v117, v123
	s_delay_alu instid0(VALU_DEP_1)
	v_pk_add_f32 v[112:113], v[112:113], v[116:117]
	s_and_not1_b32 exec_lo, exec_lo, s17
	s_cbranch_execnz .LBB53_332
; %bb.333:
	s_or_b32 exec_lo, exec_lo, s17
.LBB53_334:
	s_delay_alu instid0(SALU_CYCLE_1) | instskip(SKIP_4) | instid1(VALU_DEP_1)
	s_or_b32 exec_lo, exec_lo, s16
	v_mov_b32_e32 v114, 0
	ds_load_b64 v[114:115], v114 offset:160
	s_wait_dscnt 0x0
	v_pk_mul_f32 v[116:117], v[112:113], v[114:115] op_sel:[1,1] op_sel_hi:[0,1]
	v_pk_fma_f32 v[118:119], v[112:113], v[114:115], v[116:117] op_sel_hi:[1,0,1]
	v_pk_fma_f32 v[112:113], v[112:113], v[114:115], v[116:117] neg_lo:[0,0,1] neg_hi:[0,0,1]
	s_delay_alu instid0(VALU_DEP_2)
	v_mov_b32_e32 v113, v119
	scratch_store_b64 off, v[112:113], off offset:160
.LBB53_335:
	s_wait_xcnt 0x0
	s_or_b32 exec_lo, exec_lo, s15
	scratch_load_b64 v[112:113], off, off offset:152
	v_cmp_lt_u32_e64 s1, 19, v0
	s_wait_loadcnt 0x0
	ds_store_b64 v1, v[112:113]
	s_wait_storecnt_dscnt 0x0
	s_barrier_signal -1
	s_barrier_wait -1
	s_wait_xcnt 0x0
	s_and_saveexec_b32 s15, s1
	s_cbranch_execz .LBB53_345
; %bb.336:
	s_and_not1_b32 vcc_lo, exec_lo, s3
	s_cbranch_vccnz .LBB53_338
; %bb.337:
	scratch_load_b64 v[112:113], v39, off
	ds_load_b64 v[114:115], v1
	s_wait_loadcnt_dscnt 0x0
	v_pk_mul_f32 v[116:117], v[114:115], v[112:113] op_sel:[1,1] op_sel_hi:[0,1]
	s_delay_alu instid0(VALU_DEP_1) | instskip(SKIP_1) | instid1(VALU_DEP_2)
	v_pk_fma_f32 v[118:119], v[114:115], v[112:113], v[116:117] op_sel_hi:[1,0,1]
	v_pk_fma_f32 v[112:113], v[114:115], v[112:113], v[116:117] neg_lo:[0,0,1] neg_hi:[0,0,1]
	v_mov_b32_e32 v113, v119
	s_cbranch_execz .LBB53_339
	s_branch .LBB53_340
.LBB53_338:
                                        ; implicit-def: $vgpr112_vgpr113
.LBB53_339:
	ds_load_b64 v[112:113], v1
.LBB53_340:
	s_and_saveexec_b32 s16, s0
	s_cbranch_execz .LBB53_344
; %bb.341:
	v_subrev_nc_u32_e32 v114, 20, v0
	s_movk_i32 s17, 0x250
	s_mov_b32 s0, 0
.LBB53_342:                             ; =>This Inner Loop Header: Depth=1
	scratch_load_b64 v[116:117], off, s14
	v_dual_mov_b32 v115, s17 :: v_dual_add_nc_u32 v114, -1, v114
	s_add_co_i32 s17, s17, 8
	s_wait_xcnt 0x0
	s_add_co_i32 s14, s14, 8
	ds_load_b64 v[118:119], v115
	v_cmp_eq_u32_e32 vcc_lo, 0, v114
	s_or_b32 s0, vcc_lo, s0
	s_wait_loadcnt_dscnt 0x0
	v_pk_mul_f32 v[120:121], v[118:119], v[116:117] op_sel:[1,1] op_sel_hi:[0,1]
	s_delay_alu instid0(VALU_DEP_1) | instskip(SKIP_1) | instid1(VALU_DEP_2)
	v_pk_fma_f32 v[122:123], v[118:119], v[116:117], v[120:121] op_sel_hi:[1,0,1]
	v_pk_fma_f32 v[116:117], v[118:119], v[116:117], v[120:121] neg_lo:[0,0,1] neg_hi:[0,0,1]
	v_mov_b32_e32 v117, v123
	s_delay_alu instid0(VALU_DEP_1)
	v_pk_add_f32 v[112:113], v[112:113], v[116:117]
	s_and_not1_b32 exec_lo, exec_lo, s0
	s_cbranch_execnz .LBB53_342
; %bb.343:
	s_or_b32 exec_lo, exec_lo, s0
.LBB53_344:
	s_delay_alu instid0(SALU_CYCLE_1) | instskip(SKIP_4) | instid1(VALU_DEP_1)
	s_or_b32 exec_lo, exec_lo, s16
	v_mov_b32_e32 v114, 0
	ds_load_b64 v[114:115], v114 offset:152
	s_wait_dscnt 0x0
	v_pk_mul_f32 v[116:117], v[112:113], v[114:115] op_sel:[1,1] op_sel_hi:[0,1]
	v_pk_fma_f32 v[118:119], v[112:113], v[114:115], v[116:117] op_sel_hi:[1,0,1]
	v_pk_fma_f32 v[112:113], v[112:113], v[114:115], v[116:117] neg_lo:[0,0,1] neg_hi:[0,0,1]
	s_delay_alu instid0(VALU_DEP_2)
	v_mov_b32_e32 v113, v119
	scratch_store_b64 off, v[112:113], off offset:152
.LBB53_345:
	s_wait_xcnt 0x0
	s_or_b32 exec_lo, exec_lo, s15
	scratch_load_b64 v[112:113], off, off offset:144
	v_cmp_lt_u32_e64 s0, 18, v0
	s_wait_loadcnt 0x0
	ds_store_b64 v1, v[112:113]
	s_wait_storecnt_dscnt 0x0
	s_barrier_signal -1
	s_barrier_wait -1
	s_wait_xcnt 0x0
	s_and_saveexec_b32 s14, s0
	s_cbranch_execz .LBB53_355
; %bb.346:
	s_and_not1_b32 vcc_lo, exec_lo, s3
	s_cbranch_vccnz .LBB53_348
; %bb.347:
	scratch_load_b64 v[112:113], v39, off
	ds_load_b64 v[114:115], v1
	s_wait_loadcnt_dscnt 0x0
	v_pk_mul_f32 v[116:117], v[114:115], v[112:113] op_sel:[1,1] op_sel_hi:[0,1]
	s_delay_alu instid0(VALU_DEP_1) | instskip(SKIP_1) | instid1(VALU_DEP_2)
	v_pk_fma_f32 v[118:119], v[114:115], v[112:113], v[116:117] op_sel_hi:[1,0,1]
	v_pk_fma_f32 v[112:113], v[114:115], v[112:113], v[116:117] neg_lo:[0,0,1] neg_hi:[0,0,1]
	v_mov_b32_e32 v113, v119
	s_cbranch_execz .LBB53_349
	s_branch .LBB53_350
.LBB53_348:
                                        ; implicit-def: $vgpr112_vgpr113
.LBB53_349:
	ds_load_b64 v[112:113], v1
.LBB53_350:
	s_and_saveexec_b32 s15, s1
	s_cbranch_execz .LBB53_354
; %bb.351:
	v_subrev_nc_u32_e32 v114, 19, v0
	s_movk_i32 s1, 0x98
	s_movk_i32 s17, 0x248
	s_mov_b32 s16, 0
.LBB53_352:                             ; =>This Inner Loop Header: Depth=1
	scratch_load_b64 v[116:117], off, s1
	v_dual_mov_b32 v115, s17 :: v_dual_add_nc_u32 v114, -1, v114
	s_add_co_i32 s17, s17, 8
	s_wait_xcnt 0x0
	s_add_co_i32 s1, s1, 8
	ds_load_b64 v[118:119], v115
	v_cmp_eq_u32_e32 vcc_lo, 0, v114
	s_or_b32 s16, vcc_lo, s16
	s_wait_loadcnt_dscnt 0x0
	v_pk_mul_f32 v[120:121], v[118:119], v[116:117] op_sel:[1,1] op_sel_hi:[0,1]
	s_delay_alu instid0(VALU_DEP_1) | instskip(SKIP_1) | instid1(VALU_DEP_2)
	v_pk_fma_f32 v[122:123], v[118:119], v[116:117], v[120:121] op_sel_hi:[1,0,1]
	v_pk_fma_f32 v[116:117], v[118:119], v[116:117], v[120:121] neg_lo:[0,0,1] neg_hi:[0,0,1]
	v_mov_b32_e32 v117, v123
	s_delay_alu instid0(VALU_DEP_1)
	v_pk_add_f32 v[112:113], v[112:113], v[116:117]
	s_and_not1_b32 exec_lo, exec_lo, s16
	s_cbranch_execnz .LBB53_352
; %bb.353:
	s_or_b32 exec_lo, exec_lo, s16
.LBB53_354:
	s_delay_alu instid0(SALU_CYCLE_1) | instskip(SKIP_4) | instid1(VALU_DEP_1)
	s_or_b32 exec_lo, exec_lo, s15
	v_mov_b32_e32 v114, 0
	ds_load_b64 v[114:115], v114 offset:144
	s_wait_dscnt 0x0
	v_pk_mul_f32 v[116:117], v[112:113], v[114:115] op_sel:[1,1] op_sel_hi:[0,1]
	v_pk_fma_f32 v[118:119], v[112:113], v[114:115], v[116:117] op_sel_hi:[1,0,1]
	v_pk_fma_f32 v[112:113], v[112:113], v[114:115], v[116:117] neg_lo:[0,0,1] neg_hi:[0,0,1]
	s_delay_alu instid0(VALU_DEP_2)
	v_mov_b32_e32 v113, v119
	scratch_store_b64 off, v[112:113], off offset:144
.LBB53_355:
	s_wait_xcnt 0x0
	s_or_b32 exec_lo, exec_lo, s14
	scratch_load_b64 v[112:113], off, off offset:136
	v_cmp_lt_u32_e64 s1, 17, v0
	s_wait_loadcnt 0x0
	ds_store_b64 v1, v[112:113]
	s_wait_storecnt_dscnt 0x0
	s_barrier_signal -1
	s_barrier_wait -1
	s_wait_xcnt 0x0
	s_and_saveexec_b32 s14, s1
	s_cbranch_execz .LBB53_365
; %bb.356:
	s_and_not1_b32 vcc_lo, exec_lo, s3
	s_cbranch_vccnz .LBB53_358
; %bb.357:
	scratch_load_b64 v[112:113], v39, off
	ds_load_b64 v[114:115], v1
	s_wait_loadcnt_dscnt 0x0
	v_pk_mul_f32 v[116:117], v[114:115], v[112:113] op_sel:[1,1] op_sel_hi:[0,1]
	s_delay_alu instid0(VALU_DEP_1) | instskip(SKIP_1) | instid1(VALU_DEP_2)
	v_pk_fma_f32 v[118:119], v[114:115], v[112:113], v[116:117] op_sel_hi:[1,0,1]
	v_pk_fma_f32 v[112:113], v[114:115], v[112:113], v[116:117] neg_lo:[0,0,1] neg_hi:[0,0,1]
	v_mov_b32_e32 v113, v119
	s_cbranch_execz .LBB53_359
	s_branch .LBB53_360
.LBB53_358:
                                        ; implicit-def: $vgpr112_vgpr113
.LBB53_359:
	ds_load_b64 v[112:113], v1
.LBB53_360:
	s_and_saveexec_b32 s15, s0
	s_cbranch_execz .LBB53_364
; %bb.361:
	v_subrev_nc_u32_e32 v114, 18, v0
	s_movk_i32 s16, 0x240
	s_mov_b32 s0, 0
.LBB53_362:                             ; =>This Inner Loop Header: Depth=1
	scratch_load_b64 v[116:117], off, s13
	v_dual_mov_b32 v115, s16 :: v_dual_add_nc_u32 v114, -1, v114
	s_add_co_i32 s16, s16, 8
	s_wait_xcnt 0x0
	s_add_co_i32 s13, s13, 8
	ds_load_b64 v[118:119], v115
	v_cmp_eq_u32_e32 vcc_lo, 0, v114
	s_or_b32 s0, vcc_lo, s0
	s_wait_loadcnt_dscnt 0x0
	v_pk_mul_f32 v[120:121], v[118:119], v[116:117] op_sel:[1,1] op_sel_hi:[0,1]
	s_delay_alu instid0(VALU_DEP_1) | instskip(SKIP_1) | instid1(VALU_DEP_2)
	v_pk_fma_f32 v[122:123], v[118:119], v[116:117], v[120:121] op_sel_hi:[1,0,1]
	v_pk_fma_f32 v[116:117], v[118:119], v[116:117], v[120:121] neg_lo:[0,0,1] neg_hi:[0,0,1]
	v_mov_b32_e32 v117, v123
	s_delay_alu instid0(VALU_DEP_1)
	v_pk_add_f32 v[112:113], v[112:113], v[116:117]
	s_and_not1_b32 exec_lo, exec_lo, s0
	s_cbranch_execnz .LBB53_362
; %bb.363:
	s_or_b32 exec_lo, exec_lo, s0
.LBB53_364:
	s_delay_alu instid0(SALU_CYCLE_1) | instskip(SKIP_4) | instid1(VALU_DEP_1)
	s_or_b32 exec_lo, exec_lo, s15
	v_mov_b32_e32 v114, 0
	ds_load_b64 v[114:115], v114 offset:136
	s_wait_dscnt 0x0
	v_pk_mul_f32 v[116:117], v[112:113], v[114:115] op_sel:[1,1] op_sel_hi:[0,1]
	v_pk_fma_f32 v[118:119], v[112:113], v[114:115], v[116:117] op_sel_hi:[1,0,1]
	v_pk_fma_f32 v[112:113], v[112:113], v[114:115], v[116:117] neg_lo:[0,0,1] neg_hi:[0,0,1]
	s_delay_alu instid0(VALU_DEP_2)
	v_mov_b32_e32 v113, v119
	scratch_store_b64 off, v[112:113], off offset:136
.LBB53_365:
	s_wait_xcnt 0x0
	s_or_b32 exec_lo, exec_lo, s14
	scratch_load_b64 v[112:113], off, off offset:128
	v_cmp_lt_u32_e64 s0, 16, v0
	s_wait_loadcnt 0x0
	ds_store_b64 v1, v[112:113]
	s_wait_storecnt_dscnt 0x0
	s_barrier_signal -1
	s_barrier_wait -1
	s_wait_xcnt 0x0
	s_and_saveexec_b32 s13, s0
	s_cbranch_execz .LBB53_375
; %bb.366:
	s_and_not1_b32 vcc_lo, exec_lo, s3
	s_cbranch_vccnz .LBB53_368
; %bb.367:
	scratch_load_b64 v[112:113], v39, off
	ds_load_b64 v[114:115], v1
	s_wait_loadcnt_dscnt 0x0
	v_pk_mul_f32 v[116:117], v[114:115], v[112:113] op_sel:[1,1] op_sel_hi:[0,1]
	s_delay_alu instid0(VALU_DEP_1) | instskip(SKIP_1) | instid1(VALU_DEP_2)
	v_pk_fma_f32 v[118:119], v[114:115], v[112:113], v[116:117] op_sel_hi:[1,0,1]
	v_pk_fma_f32 v[112:113], v[114:115], v[112:113], v[116:117] neg_lo:[0,0,1] neg_hi:[0,0,1]
	v_mov_b32_e32 v113, v119
	s_cbranch_execz .LBB53_369
	s_branch .LBB53_370
.LBB53_368:
                                        ; implicit-def: $vgpr112_vgpr113
.LBB53_369:
	ds_load_b64 v[112:113], v1
.LBB53_370:
	s_and_saveexec_b32 s14, s1
	s_cbranch_execz .LBB53_374
; %bb.371:
	v_subrev_nc_u32_e32 v114, 17, v0
	s_movk_i32 s1, 0x88
	s_movk_i32 s16, 0x238
	s_mov_b32 s15, 0
.LBB53_372:                             ; =>This Inner Loop Header: Depth=1
	scratch_load_b64 v[116:117], off, s1
	v_dual_mov_b32 v115, s16 :: v_dual_add_nc_u32 v114, -1, v114
	s_add_co_i32 s16, s16, 8
	s_wait_xcnt 0x0
	s_add_co_i32 s1, s1, 8
	ds_load_b64 v[118:119], v115
	v_cmp_eq_u32_e32 vcc_lo, 0, v114
	s_or_b32 s15, vcc_lo, s15
	s_wait_loadcnt_dscnt 0x0
	v_pk_mul_f32 v[120:121], v[118:119], v[116:117] op_sel:[1,1] op_sel_hi:[0,1]
	s_delay_alu instid0(VALU_DEP_1) | instskip(SKIP_1) | instid1(VALU_DEP_2)
	v_pk_fma_f32 v[122:123], v[118:119], v[116:117], v[120:121] op_sel_hi:[1,0,1]
	v_pk_fma_f32 v[116:117], v[118:119], v[116:117], v[120:121] neg_lo:[0,0,1] neg_hi:[0,0,1]
	v_mov_b32_e32 v117, v123
	s_delay_alu instid0(VALU_DEP_1)
	v_pk_add_f32 v[112:113], v[112:113], v[116:117]
	s_and_not1_b32 exec_lo, exec_lo, s15
	s_cbranch_execnz .LBB53_372
; %bb.373:
	s_or_b32 exec_lo, exec_lo, s15
.LBB53_374:
	s_delay_alu instid0(SALU_CYCLE_1) | instskip(SKIP_4) | instid1(VALU_DEP_1)
	s_or_b32 exec_lo, exec_lo, s14
	v_mov_b32_e32 v114, 0
	ds_load_b64 v[114:115], v114 offset:128
	s_wait_dscnt 0x0
	v_pk_mul_f32 v[116:117], v[112:113], v[114:115] op_sel:[1,1] op_sel_hi:[0,1]
	v_pk_fma_f32 v[118:119], v[112:113], v[114:115], v[116:117] op_sel_hi:[1,0,1]
	v_pk_fma_f32 v[112:113], v[112:113], v[114:115], v[116:117] neg_lo:[0,0,1] neg_hi:[0,0,1]
	s_delay_alu instid0(VALU_DEP_2)
	v_mov_b32_e32 v113, v119
	scratch_store_b64 off, v[112:113], off offset:128
.LBB53_375:
	s_wait_xcnt 0x0
	s_or_b32 exec_lo, exec_lo, s13
	scratch_load_b64 v[112:113], off, off offset:120
	v_cmp_lt_u32_e64 s1, 15, v0
	s_wait_loadcnt 0x0
	ds_store_b64 v1, v[112:113]
	s_wait_storecnt_dscnt 0x0
	s_barrier_signal -1
	s_barrier_wait -1
	s_wait_xcnt 0x0
	s_and_saveexec_b32 s13, s1
	s_cbranch_execz .LBB53_385
; %bb.376:
	s_and_not1_b32 vcc_lo, exec_lo, s3
	s_cbranch_vccnz .LBB53_378
; %bb.377:
	scratch_load_b64 v[112:113], v39, off
	ds_load_b64 v[114:115], v1
	s_wait_loadcnt_dscnt 0x0
	v_pk_mul_f32 v[116:117], v[114:115], v[112:113] op_sel:[1,1] op_sel_hi:[0,1]
	s_delay_alu instid0(VALU_DEP_1) | instskip(SKIP_1) | instid1(VALU_DEP_2)
	v_pk_fma_f32 v[118:119], v[114:115], v[112:113], v[116:117] op_sel_hi:[1,0,1]
	v_pk_fma_f32 v[112:113], v[114:115], v[112:113], v[116:117] neg_lo:[0,0,1] neg_hi:[0,0,1]
	v_mov_b32_e32 v113, v119
	s_cbranch_execz .LBB53_379
	s_branch .LBB53_380
.LBB53_378:
                                        ; implicit-def: $vgpr112_vgpr113
.LBB53_379:
	ds_load_b64 v[112:113], v1
.LBB53_380:
	s_and_saveexec_b32 s14, s0
	s_cbranch_execz .LBB53_384
; %bb.381:
	v_add_nc_u32_e32 v114, -16, v0
	s_movk_i32 s15, 0x230
	s_mov_b32 s0, 0
.LBB53_382:                             ; =>This Inner Loop Header: Depth=1
	scratch_load_b64 v[116:117], off, s12
	v_dual_mov_b32 v115, s15 :: v_dual_add_nc_u32 v114, -1, v114
	s_add_co_i32 s15, s15, 8
	s_wait_xcnt 0x0
	s_add_co_i32 s12, s12, 8
	ds_load_b64 v[118:119], v115
	v_cmp_eq_u32_e32 vcc_lo, 0, v114
	s_or_b32 s0, vcc_lo, s0
	s_wait_loadcnt_dscnt 0x0
	v_pk_mul_f32 v[120:121], v[118:119], v[116:117] op_sel:[1,1] op_sel_hi:[0,1]
	s_delay_alu instid0(VALU_DEP_1) | instskip(SKIP_1) | instid1(VALU_DEP_2)
	v_pk_fma_f32 v[122:123], v[118:119], v[116:117], v[120:121] op_sel_hi:[1,0,1]
	v_pk_fma_f32 v[116:117], v[118:119], v[116:117], v[120:121] neg_lo:[0,0,1] neg_hi:[0,0,1]
	v_mov_b32_e32 v117, v123
	s_delay_alu instid0(VALU_DEP_1)
	v_pk_add_f32 v[112:113], v[112:113], v[116:117]
	s_and_not1_b32 exec_lo, exec_lo, s0
	s_cbranch_execnz .LBB53_382
; %bb.383:
	s_or_b32 exec_lo, exec_lo, s0
.LBB53_384:
	s_delay_alu instid0(SALU_CYCLE_1) | instskip(SKIP_4) | instid1(VALU_DEP_1)
	s_or_b32 exec_lo, exec_lo, s14
	v_mov_b32_e32 v114, 0
	ds_load_b64 v[114:115], v114 offset:120
	s_wait_dscnt 0x0
	v_pk_mul_f32 v[116:117], v[112:113], v[114:115] op_sel:[1,1] op_sel_hi:[0,1]
	v_pk_fma_f32 v[118:119], v[112:113], v[114:115], v[116:117] op_sel_hi:[1,0,1]
	v_pk_fma_f32 v[112:113], v[112:113], v[114:115], v[116:117] neg_lo:[0,0,1] neg_hi:[0,0,1]
	s_delay_alu instid0(VALU_DEP_2)
	v_mov_b32_e32 v113, v119
	scratch_store_b64 off, v[112:113], off offset:120
.LBB53_385:
	s_wait_xcnt 0x0
	s_or_b32 exec_lo, exec_lo, s13
	scratch_load_b64 v[112:113], off, off offset:112
	v_cmp_lt_u32_e64 s0, 14, v0
	s_wait_loadcnt 0x0
	ds_store_b64 v1, v[112:113]
	s_wait_storecnt_dscnt 0x0
	s_barrier_signal -1
	s_barrier_wait -1
	s_wait_xcnt 0x0
	s_and_saveexec_b32 s12, s0
	s_cbranch_execz .LBB53_395
; %bb.386:
	s_and_not1_b32 vcc_lo, exec_lo, s3
	s_cbranch_vccnz .LBB53_388
; %bb.387:
	scratch_load_b64 v[112:113], v39, off
	ds_load_b64 v[114:115], v1
	s_wait_loadcnt_dscnt 0x0
	v_pk_mul_f32 v[116:117], v[114:115], v[112:113] op_sel:[1,1] op_sel_hi:[0,1]
	s_delay_alu instid0(VALU_DEP_1) | instskip(SKIP_1) | instid1(VALU_DEP_2)
	v_pk_fma_f32 v[118:119], v[114:115], v[112:113], v[116:117] op_sel_hi:[1,0,1]
	v_pk_fma_f32 v[112:113], v[114:115], v[112:113], v[116:117] neg_lo:[0,0,1] neg_hi:[0,0,1]
	v_mov_b32_e32 v113, v119
	s_cbranch_execz .LBB53_389
	s_branch .LBB53_390
.LBB53_388:
                                        ; implicit-def: $vgpr112_vgpr113
.LBB53_389:
	ds_load_b64 v[112:113], v1
.LBB53_390:
	s_and_saveexec_b32 s13, s1
	s_cbranch_execz .LBB53_394
; %bb.391:
	v_add_nc_u32_e32 v114, -15, v0
	s_movk_i32 s1, 0x78
	s_movk_i32 s15, 0x228
	s_mov_b32 s14, 0
.LBB53_392:                             ; =>This Inner Loop Header: Depth=1
	scratch_load_b64 v[116:117], off, s1
	v_dual_mov_b32 v115, s15 :: v_dual_add_nc_u32 v114, -1, v114
	s_add_co_i32 s15, s15, 8
	s_wait_xcnt 0x0
	s_add_co_i32 s1, s1, 8
	ds_load_b64 v[118:119], v115
	v_cmp_eq_u32_e32 vcc_lo, 0, v114
	s_or_b32 s14, vcc_lo, s14
	s_wait_loadcnt_dscnt 0x0
	v_pk_mul_f32 v[120:121], v[118:119], v[116:117] op_sel:[1,1] op_sel_hi:[0,1]
	s_delay_alu instid0(VALU_DEP_1) | instskip(SKIP_1) | instid1(VALU_DEP_2)
	v_pk_fma_f32 v[122:123], v[118:119], v[116:117], v[120:121] op_sel_hi:[1,0,1]
	v_pk_fma_f32 v[116:117], v[118:119], v[116:117], v[120:121] neg_lo:[0,0,1] neg_hi:[0,0,1]
	v_mov_b32_e32 v117, v123
	s_delay_alu instid0(VALU_DEP_1)
	v_pk_add_f32 v[112:113], v[112:113], v[116:117]
	s_and_not1_b32 exec_lo, exec_lo, s14
	s_cbranch_execnz .LBB53_392
; %bb.393:
	s_or_b32 exec_lo, exec_lo, s14
.LBB53_394:
	s_delay_alu instid0(SALU_CYCLE_1) | instskip(SKIP_4) | instid1(VALU_DEP_1)
	s_or_b32 exec_lo, exec_lo, s13
	v_mov_b32_e32 v114, 0
	ds_load_b64 v[114:115], v114 offset:112
	s_wait_dscnt 0x0
	v_pk_mul_f32 v[116:117], v[112:113], v[114:115] op_sel:[1,1] op_sel_hi:[0,1]
	v_pk_fma_f32 v[118:119], v[112:113], v[114:115], v[116:117] op_sel_hi:[1,0,1]
	v_pk_fma_f32 v[112:113], v[112:113], v[114:115], v[116:117] neg_lo:[0,0,1] neg_hi:[0,0,1]
	s_delay_alu instid0(VALU_DEP_2)
	v_mov_b32_e32 v113, v119
	scratch_store_b64 off, v[112:113], off offset:112
.LBB53_395:
	s_wait_xcnt 0x0
	s_or_b32 exec_lo, exec_lo, s12
	scratch_load_b64 v[112:113], off, off offset:104
	v_cmp_lt_u32_e64 s1, 13, v0
	s_wait_loadcnt 0x0
	ds_store_b64 v1, v[112:113]
	s_wait_storecnt_dscnt 0x0
	s_barrier_signal -1
	s_barrier_wait -1
	s_wait_xcnt 0x0
	s_and_saveexec_b32 s12, s1
	s_cbranch_execz .LBB53_405
; %bb.396:
	s_and_not1_b32 vcc_lo, exec_lo, s3
	s_cbranch_vccnz .LBB53_398
; %bb.397:
	scratch_load_b64 v[112:113], v39, off
	ds_load_b64 v[114:115], v1
	s_wait_loadcnt_dscnt 0x0
	v_pk_mul_f32 v[116:117], v[114:115], v[112:113] op_sel:[1,1] op_sel_hi:[0,1]
	s_delay_alu instid0(VALU_DEP_1) | instskip(SKIP_1) | instid1(VALU_DEP_2)
	v_pk_fma_f32 v[118:119], v[114:115], v[112:113], v[116:117] op_sel_hi:[1,0,1]
	v_pk_fma_f32 v[112:113], v[114:115], v[112:113], v[116:117] neg_lo:[0,0,1] neg_hi:[0,0,1]
	v_mov_b32_e32 v113, v119
	s_cbranch_execz .LBB53_399
	s_branch .LBB53_400
.LBB53_398:
                                        ; implicit-def: $vgpr112_vgpr113
.LBB53_399:
	ds_load_b64 v[112:113], v1
.LBB53_400:
	s_and_saveexec_b32 s13, s0
	s_cbranch_execz .LBB53_404
; %bb.401:
	v_add_nc_u32_e32 v114, -14, v0
	s_movk_i32 s14, 0x220
	s_mov_b32 s0, 0
.LBB53_402:                             ; =>This Inner Loop Header: Depth=1
	scratch_load_b64 v[116:117], off, s11
	v_dual_mov_b32 v115, s14 :: v_dual_add_nc_u32 v114, -1, v114
	s_add_co_i32 s14, s14, 8
	s_wait_xcnt 0x0
	s_add_co_i32 s11, s11, 8
	ds_load_b64 v[118:119], v115
	v_cmp_eq_u32_e32 vcc_lo, 0, v114
	s_or_b32 s0, vcc_lo, s0
	s_wait_loadcnt_dscnt 0x0
	v_pk_mul_f32 v[120:121], v[118:119], v[116:117] op_sel:[1,1] op_sel_hi:[0,1]
	s_delay_alu instid0(VALU_DEP_1) | instskip(SKIP_1) | instid1(VALU_DEP_2)
	v_pk_fma_f32 v[122:123], v[118:119], v[116:117], v[120:121] op_sel_hi:[1,0,1]
	v_pk_fma_f32 v[116:117], v[118:119], v[116:117], v[120:121] neg_lo:[0,0,1] neg_hi:[0,0,1]
	v_mov_b32_e32 v117, v123
	s_delay_alu instid0(VALU_DEP_1)
	v_pk_add_f32 v[112:113], v[112:113], v[116:117]
	s_and_not1_b32 exec_lo, exec_lo, s0
	s_cbranch_execnz .LBB53_402
; %bb.403:
	s_or_b32 exec_lo, exec_lo, s0
.LBB53_404:
	s_delay_alu instid0(SALU_CYCLE_1) | instskip(SKIP_4) | instid1(VALU_DEP_1)
	s_or_b32 exec_lo, exec_lo, s13
	v_mov_b32_e32 v114, 0
	ds_load_b64 v[114:115], v114 offset:104
	s_wait_dscnt 0x0
	v_pk_mul_f32 v[116:117], v[112:113], v[114:115] op_sel:[1,1] op_sel_hi:[0,1]
	v_pk_fma_f32 v[118:119], v[112:113], v[114:115], v[116:117] op_sel_hi:[1,0,1]
	v_pk_fma_f32 v[112:113], v[112:113], v[114:115], v[116:117] neg_lo:[0,0,1] neg_hi:[0,0,1]
	s_delay_alu instid0(VALU_DEP_2)
	v_mov_b32_e32 v113, v119
	scratch_store_b64 off, v[112:113], off offset:104
.LBB53_405:
	s_wait_xcnt 0x0
	s_or_b32 exec_lo, exec_lo, s12
	scratch_load_b64 v[112:113], off, off offset:96
	v_cmp_lt_u32_e64 s0, 12, v0
	s_wait_loadcnt 0x0
	ds_store_b64 v1, v[112:113]
	s_wait_storecnt_dscnt 0x0
	s_barrier_signal -1
	s_barrier_wait -1
	s_wait_xcnt 0x0
	s_and_saveexec_b32 s11, s0
	s_cbranch_execz .LBB53_415
; %bb.406:
	s_and_not1_b32 vcc_lo, exec_lo, s3
	s_cbranch_vccnz .LBB53_408
; %bb.407:
	scratch_load_b64 v[112:113], v39, off
	ds_load_b64 v[114:115], v1
	s_wait_loadcnt_dscnt 0x0
	v_pk_mul_f32 v[116:117], v[114:115], v[112:113] op_sel:[1,1] op_sel_hi:[0,1]
	s_delay_alu instid0(VALU_DEP_1) | instskip(SKIP_1) | instid1(VALU_DEP_2)
	v_pk_fma_f32 v[118:119], v[114:115], v[112:113], v[116:117] op_sel_hi:[1,0,1]
	v_pk_fma_f32 v[112:113], v[114:115], v[112:113], v[116:117] neg_lo:[0,0,1] neg_hi:[0,0,1]
	v_mov_b32_e32 v113, v119
	s_cbranch_execz .LBB53_409
	s_branch .LBB53_410
.LBB53_408:
                                        ; implicit-def: $vgpr112_vgpr113
.LBB53_409:
	ds_load_b64 v[112:113], v1
.LBB53_410:
	s_and_saveexec_b32 s12, s1
	s_cbranch_execz .LBB53_414
; %bb.411:
	v_add_nc_u32_e32 v114, -13, v0
	s_movk_i32 s1, 0x68
	s_movk_i32 s14, 0x218
	s_mov_b32 s13, 0
.LBB53_412:                             ; =>This Inner Loop Header: Depth=1
	scratch_load_b64 v[116:117], off, s1
	v_dual_mov_b32 v115, s14 :: v_dual_add_nc_u32 v114, -1, v114
	s_add_co_i32 s14, s14, 8
	s_wait_xcnt 0x0
	s_add_co_i32 s1, s1, 8
	ds_load_b64 v[118:119], v115
	v_cmp_eq_u32_e32 vcc_lo, 0, v114
	s_or_b32 s13, vcc_lo, s13
	s_wait_loadcnt_dscnt 0x0
	v_pk_mul_f32 v[120:121], v[118:119], v[116:117] op_sel:[1,1] op_sel_hi:[0,1]
	s_delay_alu instid0(VALU_DEP_1) | instskip(SKIP_1) | instid1(VALU_DEP_2)
	v_pk_fma_f32 v[122:123], v[118:119], v[116:117], v[120:121] op_sel_hi:[1,0,1]
	v_pk_fma_f32 v[116:117], v[118:119], v[116:117], v[120:121] neg_lo:[0,0,1] neg_hi:[0,0,1]
	v_mov_b32_e32 v117, v123
	s_delay_alu instid0(VALU_DEP_1)
	v_pk_add_f32 v[112:113], v[112:113], v[116:117]
	s_and_not1_b32 exec_lo, exec_lo, s13
	s_cbranch_execnz .LBB53_412
; %bb.413:
	s_or_b32 exec_lo, exec_lo, s13
.LBB53_414:
	s_delay_alu instid0(SALU_CYCLE_1) | instskip(SKIP_4) | instid1(VALU_DEP_1)
	s_or_b32 exec_lo, exec_lo, s12
	v_mov_b32_e32 v114, 0
	ds_load_b64 v[114:115], v114 offset:96
	s_wait_dscnt 0x0
	v_pk_mul_f32 v[116:117], v[112:113], v[114:115] op_sel:[1,1] op_sel_hi:[0,1]
	v_pk_fma_f32 v[118:119], v[112:113], v[114:115], v[116:117] op_sel_hi:[1,0,1]
	v_pk_fma_f32 v[112:113], v[112:113], v[114:115], v[116:117] neg_lo:[0,0,1] neg_hi:[0,0,1]
	s_delay_alu instid0(VALU_DEP_2)
	v_mov_b32_e32 v113, v119
	scratch_store_b64 off, v[112:113], off offset:96
.LBB53_415:
	s_wait_xcnt 0x0
	s_or_b32 exec_lo, exec_lo, s11
	scratch_load_b64 v[112:113], off, off offset:88
	v_cmp_lt_u32_e64 s1, 11, v0
	s_wait_loadcnt 0x0
	ds_store_b64 v1, v[112:113]
	s_wait_storecnt_dscnt 0x0
	s_barrier_signal -1
	s_barrier_wait -1
	s_wait_xcnt 0x0
	s_and_saveexec_b32 s11, s1
	s_cbranch_execz .LBB53_425
; %bb.416:
	s_and_not1_b32 vcc_lo, exec_lo, s3
	s_cbranch_vccnz .LBB53_418
; %bb.417:
	scratch_load_b64 v[112:113], v39, off
	ds_load_b64 v[114:115], v1
	s_wait_loadcnt_dscnt 0x0
	v_pk_mul_f32 v[116:117], v[114:115], v[112:113] op_sel:[1,1] op_sel_hi:[0,1]
	s_delay_alu instid0(VALU_DEP_1) | instskip(SKIP_1) | instid1(VALU_DEP_2)
	v_pk_fma_f32 v[118:119], v[114:115], v[112:113], v[116:117] op_sel_hi:[1,0,1]
	v_pk_fma_f32 v[112:113], v[114:115], v[112:113], v[116:117] neg_lo:[0,0,1] neg_hi:[0,0,1]
	v_mov_b32_e32 v113, v119
	s_cbranch_execz .LBB53_419
	s_branch .LBB53_420
.LBB53_418:
                                        ; implicit-def: $vgpr112_vgpr113
.LBB53_419:
	ds_load_b64 v[112:113], v1
.LBB53_420:
	s_and_saveexec_b32 s12, s0
	s_cbranch_execz .LBB53_424
; %bb.421:
	v_add_nc_u32_e32 v114, -12, v0
	s_movk_i32 s13, 0x210
	s_mov_b32 s0, 0
.LBB53_422:                             ; =>This Inner Loop Header: Depth=1
	scratch_load_b64 v[116:117], off, s10
	v_dual_mov_b32 v115, s13 :: v_dual_add_nc_u32 v114, -1, v114
	s_add_co_i32 s13, s13, 8
	s_wait_xcnt 0x0
	s_add_co_i32 s10, s10, 8
	ds_load_b64 v[118:119], v115
	v_cmp_eq_u32_e32 vcc_lo, 0, v114
	s_or_b32 s0, vcc_lo, s0
	s_wait_loadcnt_dscnt 0x0
	v_pk_mul_f32 v[120:121], v[118:119], v[116:117] op_sel:[1,1] op_sel_hi:[0,1]
	s_delay_alu instid0(VALU_DEP_1) | instskip(SKIP_1) | instid1(VALU_DEP_2)
	v_pk_fma_f32 v[122:123], v[118:119], v[116:117], v[120:121] op_sel_hi:[1,0,1]
	v_pk_fma_f32 v[116:117], v[118:119], v[116:117], v[120:121] neg_lo:[0,0,1] neg_hi:[0,0,1]
	v_mov_b32_e32 v117, v123
	s_delay_alu instid0(VALU_DEP_1)
	v_pk_add_f32 v[112:113], v[112:113], v[116:117]
	s_and_not1_b32 exec_lo, exec_lo, s0
	s_cbranch_execnz .LBB53_422
; %bb.423:
	s_or_b32 exec_lo, exec_lo, s0
.LBB53_424:
	s_delay_alu instid0(SALU_CYCLE_1) | instskip(SKIP_4) | instid1(VALU_DEP_1)
	s_or_b32 exec_lo, exec_lo, s12
	v_mov_b32_e32 v114, 0
	ds_load_b64 v[114:115], v114 offset:88
	s_wait_dscnt 0x0
	v_pk_mul_f32 v[116:117], v[112:113], v[114:115] op_sel:[1,1] op_sel_hi:[0,1]
	v_pk_fma_f32 v[118:119], v[112:113], v[114:115], v[116:117] op_sel_hi:[1,0,1]
	v_pk_fma_f32 v[112:113], v[112:113], v[114:115], v[116:117] neg_lo:[0,0,1] neg_hi:[0,0,1]
	s_delay_alu instid0(VALU_DEP_2)
	v_mov_b32_e32 v113, v119
	scratch_store_b64 off, v[112:113], off offset:88
.LBB53_425:
	s_wait_xcnt 0x0
	s_or_b32 exec_lo, exec_lo, s11
	scratch_load_b64 v[112:113], off, off offset:80
	v_cmp_lt_u32_e64 s0, 10, v0
	s_wait_loadcnt 0x0
	ds_store_b64 v1, v[112:113]
	s_wait_storecnt_dscnt 0x0
	s_barrier_signal -1
	s_barrier_wait -1
	s_wait_xcnt 0x0
	s_and_saveexec_b32 s10, s0
	s_cbranch_execz .LBB53_435
; %bb.426:
	s_and_not1_b32 vcc_lo, exec_lo, s3
	s_cbranch_vccnz .LBB53_428
; %bb.427:
	scratch_load_b64 v[112:113], v39, off
	ds_load_b64 v[114:115], v1
	s_wait_loadcnt_dscnt 0x0
	v_pk_mul_f32 v[116:117], v[114:115], v[112:113] op_sel:[1,1] op_sel_hi:[0,1]
	s_delay_alu instid0(VALU_DEP_1) | instskip(SKIP_1) | instid1(VALU_DEP_2)
	v_pk_fma_f32 v[118:119], v[114:115], v[112:113], v[116:117] op_sel_hi:[1,0,1]
	v_pk_fma_f32 v[112:113], v[114:115], v[112:113], v[116:117] neg_lo:[0,0,1] neg_hi:[0,0,1]
	v_mov_b32_e32 v113, v119
	s_cbranch_execz .LBB53_429
	s_branch .LBB53_430
.LBB53_428:
                                        ; implicit-def: $vgpr112_vgpr113
.LBB53_429:
	ds_load_b64 v[112:113], v1
.LBB53_430:
	s_and_saveexec_b32 s11, s1
	s_cbranch_execz .LBB53_434
; %bb.431:
	v_add_nc_u32_e32 v114, -11, v0
	s_movk_i32 s1, 0x58
	s_movk_i32 s13, 0x208
	s_mov_b32 s12, 0
.LBB53_432:                             ; =>This Inner Loop Header: Depth=1
	scratch_load_b64 v[116:117], off, s1
	v_dual_mov_b32 v115, s13 :: v_dual_add_nc_u32 v114, -1, v114
	s_add_co_i32 s13, s13, 8
	s_wait_xcnt 0x0
	s_add_co_i32 s1, s1, 8
	ds_load_b64 v[118:119], v115
	v_cmp_eq_u32_e32 vcc_lo, 0, v114
	s_or_b32 s12, vcc_lo, s12
	s_wait_loadcnt_dscnt 0x0
	v_pk_mul_f32 v[120:121], v[118:119], v[116:117] op_sel:[1,1] op_sel_hi:[0,1]
	s_delay_alu instid0(VALU_DEP_1) | instskip(SKIP_1) | instid1(VALU_DEP_2)
	v_pk_fma_f32 v[122:123], v[118:119], v[116:117], v[120:121] op_sel_hi:[1,0,1]
	v_pk_fma_f32 v[116:117], v[118:119], v[116:117], v[120:121] neg_lo:[0,0,1] neg_hi:[0,0,1]
	v_mov_b32_e32 v117, v123
	s_delay_alu instid0(VALU_DEP_1)
	v_pk_add_f32 v[112:113], v[112:113], v[116:117]
	s_and_not1_b32 exec_lo, exec_lo, s12
	s_cbranch_execnz .LBB53_432
; %bb.433:
	s_or_b32 exec_lo, exec_lo, s12
.LBB53_434:
	s_delay_alu instid0(SALU_CYCLE_1) | instskip(SKIP_4) | instid1(VALU_DEP_1)
	s_or_b32 exec_lo, exec_lo, s11
	v_mov_b32_e32 v114, 0
	ds_load_b64 v[114:115], v114 offset:80
	s_wait_dscnt 0x0
	v_pk_mul_f32 v[116:117], v[112:113], v[114:115] op_sel:[1,1] op_sel_hi:[0,1]
	v_pk_fma_f32 v[118:119], v[112:113], v[114:115], v[116:117] op_sel_hi:[1,0,1]
	v_pk_fma_f32 v[112:113], v[112:113], v[114:115], v[116:117] neg_lo:[0,0,1] neg_hi:[0,0,1]
	s_delay_alu instid0(VALU_DEP_2)
	v_mov_b32_e32 v113, v119
	scratch_store_b64 off, v[112:113], off offset:80
.LBB53_435:
	s_wait_xcnt 0x0
	s_or_b32 exec_lo, exec_lo, s10
	scratch_load_b64 v[112:113], off, off offset:72
	v_cmp_lt_u32_e64 s1, 9, v0
	s_wait_loadcnt 0x0
	ds_store_b64 v1, v[112:113]
	s_wait_storecnt_dscnt 0x0
	s_barrier_signal -1
	s_barrier_wait -1
	s_wait_xcnt 0x0
	s_and_saveexec_b32 s10, s1
	s_cbranch_execz .LBB53_445
; %bb.436:
	s_and_not1_b32 vcc_lo, exec_lo, s3
	s_cbranch_vccnz .LBB53_438
; %bb.437:
	scratch_load_b64 v[112:113], v39, off
	ds_load_b64 v[114:115], v1
	s_wait_loadcnt_dscnt 0x0
	v_pk_mul_f32 v[116:117], v[114:115], v[112:113] op_sel:[1,1] op_sel_hi:[0,1]
	s_delay_alu instid0(VALU_DEP_1) | instskip(SKIP_1) | instid1(VALU_DEP_2)
	v_pk_fma_f32 v[118:119], v[114:115], v[112:113], v[116:117] op_sel_hi:[1,0,1]
	v_pk_fma_f32 v[112:113], v[114:115], v[112:113], v[116:117] neg_lo:[0,0,1] neg_hi:[0,0,1]
	v_mov_b32_e32 v113, v119
	s_cbranch_execz .LBB53_439
	s_branch .LBB53_440
.LBB53_438:
                                        ; implicit-def: $vgpr112_vgpr113
.LBB53_439:
	ds_load_b64 v[112:113], v1
.LBB53_440:
	s_and_saveexec_b32 s11, s0
	s_cbranch_execz .LBB53_444
; %bb.441:
	v_add_nc_u32_e32 v114, -10, v0
	s_movk_i32 s12, 0x200
	s_mov_b32 s0, 0
.LBB53_442:                             ; =>This Inner Loop Header: Depth=1
	scratch_load_b64 v[116:117], off, s9
	v_dual_mov_b32 v115, s12 :: v_dual_add_nc_u32 v114, -1, v114
	s_add_co_i32 s12, s12, 8
	s_wait_xcnt 0x0
	s_add_co_i32 s9, s9, 8
	ds_load_b64 v[118:119], v115
	v_cmp_eq_u32_e32 vcc_lo, 0, v114
	s_or_b32 s0, vcc_lo, s0
	s_wait_loadcnt_dscnt 0x0
	v_pk_mul_f32 v[120:121], v[118:119], v[116:117] op_sel:[1,1] op_sel_hi:[0,1]
	s_delay_alu instid0(VALU_DEP_1) | instskip(SKIP_1) | instid1(VALU_DEP_2)
	v_pk_fma_f32 v[122:123], v[118:119], v[116:117], v[120:121] op_sel_hi:[1,0,1]
	v_pk_fma_f32 v[116:117], v[118:119], v[116:117], v[120:121] neg_lo:[0,0,1] neg_hi:[0,0,1]
	v_mov_b32_e32 v117, v123
	s_delay_alu instid0(VALU_DEP_1)
	v_pk_add_f32 v[112:113], v[112:113], v[116:117]
	s_and_not1_b32 exec_lo, exec_lo, s0
	s_cbranch_execnz .LBB53_442
; %bb.443:
	s_or_b32 exec_lo, exec_lo, s0
.LBB53_444:
	s_delay_alu instid0(SALU_CYCLE_1) | instskip(SKIP_4) | instid1(VALU_DEP_1)
	s_or_b32 exec_lo, exec_lo, s11
	v_mov_b32_e32 v114, 0
	ds_load_b64 v[114:115], v114 offset:72
	s_wait_dscnt 0x0
	v_pk_mul_f32 v[116:117], v[112:113], v[114:115] op_sel:[1,1] op_sel_hi:[0,1]
	v_pk_fma_f32 v[118:119], v[112:113], v[114:115], v[116:117] op_sel_hi:[1,0,1]
	v_pk_fma_f32 v[112:113], v[112:113], v[114:115], v[116:117] neg_lo:[0,0,1] neg_hi:[0,0,1]
	s_delay_alu instid0(VALU_DEP_2)
	v_mov_b32_e32 v113, v119
	scratch_store_b64 off, v[112:113], off offset:72
.LBB53_445:
	s_wait_xcnt 0x0
	s_or_b32 exec_lo, exec_lo, s10
	scratch_load_b64 v[112:113], off, off offset:64
	v_cmp_lt_u32_e64 s0, 8, v0
	s_wait_loadcnt 0x0
	ds_store_b64 v1, v[112:113]
	s_wait_storecnt_dscnt 0x0
	s_barrier_signal -1
	s_barrier_wait -1
	s_wait_xcnt 0x0
	s_and_saveexec_b32 s9, s0
	s_cbranch_execz .LBB53_455
; %bb.446:
	s_and_not1_b32 vcc_lo, exec_lo, s3
	s_cbranch_vccnz .LBB53_448
; %bb.447:
	scratch_load_b64 v[112:113], v39, off
	ds_load_b64 v[114:115], v1
	s_wait_loadcnt_dscnt 0x0
	v_pk_mul_f32 v[116:117], v[114:115], v[112:113] op_sel:[1,1] op_sel_hi:[0,1]
	s_delay_alu instid0(VALU_DEP_1) | instskip(SKIP_1) | instid1(VALU_DEP_2)
	v_pk_fma_f32 v[118:119], v[114:115], v[112:113], v[116:117] op_sel_hi:[1,0,1]
	v_pk_fma_f32 v[112:113], v[114:115], v[112:113], v[116:117] neg_lo:[0,0,1] neg_hi:[0,0,1]
	v_mov_b32_e32 v113, v119
	s_cbranch_execz .LBB53_449
	s_branch .LBB53_450
.LBB53_448:
                                        ; implicit-def: $vgpr112_vgpr113
.LBB53_449:
	ds_load_b64 v[112:113], v1
.LBB53_450:
	s_and_saveexec_b32 s10, s1
	s_cbranch_execz .LBB53_454
; %bb.451:
	v_add_nc_u32_e32 v114, -9, v0
	s_movk_i32 s1, 0x48
	s_movk_i32 s12, 0x1f8
	s_mov_b32 s11, 0
.LBB53_452:                             ; =>This Inner Loop Header: Depth=1
	scratch_load_b64 v[116:117], off, s1
	v_dual_mov_b32 v115, s12 :: v_dual_add_nc_u32 v114, -1, v114
	s_add_co_i32 s12, s12, 8
	s_wait_xcnt 0x0
	s_add_co_i32 s1, s1, 8
	ds_load_b64 v[118:119], v115
	v_cmp_eq_u32_e32 vcc_lo, 0, v114
	s_or_b32 s11, vcc_lo, s11
	s_wait_loadcnt_dscnt 0x0
	v_pk_mul_f32 v[120:121], v[118:119], v[116:117] op_sel:[1,1] op_sel_hi:[0,1]
	s_delay_alu instid0(VALU_DEP_1) | instskip(SKIP_1) | instid1(VALU_DEP_2)
	v_pk_fma_f32 v[122:123], v[118:119], v[116:117], v[120:121] op_sel_hi:[1,0,1]
	v_pk_fma_f32 v[116:117], v[118:119], v[116:117], v[120:121] neg_lo:[0,0,1] neg_hi:[0,0,1]
	v_mov_b32_e32 v117, v123
	s_delay_alu instid0(VALU_DEP_1)
	v_pk_add_f32 v[112:113], v[112:113], v[116:117]
	s_and_not1_b32 exec_lo, exec_lo, s11
	s_cbranch_execnz .LBB53_452
; %bb.453:
	s_or_b32 exec_lo, exec_lo, s11
.LBB53_454:
	s_delay_alu instid0(SALU_CYCLE_1) | instskip(SKIP_4) | instid1(VALU_DEP_1)
	s_or_b32 exec_lo, exec_lo, s10
	v_mov_b32_e32 v114, 0
	ds_load_b64 v[114:115], v114 offset:64
	s_wait_dscnt 0x0
	v_pk_mul_f32 v[116:117], v[112:113], v[114:115] op_sel:[1,1] op_sel_hi:[0,1]
	v_pk_fma_f32 v[118:119], v[112:113], v[114:115], v[116:117] op_sel_hi:[1,0,1]
	v_pk_fma_f32 v[112:113], v[112:113], v[114:115], v[116:117] neg_lo:[0,0,1] neg_hi:[0,0,1]
	s_delay_alu instid0(VALU_DEP_2)
	v_mov_b32_e32 v113, v119
	scratch_store_b64 off, v[112:113], off offset:64
.LBB53_455:
	s_wait_xcnt 0x0
	s_or_b32 exec_lo, exec_lo, s9
	scratch_load_b64 v[112:113], off, off offset:56
	v_cmp_lt_u32_e64 s1, 7, v0
	s_wait_loadcnt 0x0
	ds_store_b64 v1, v[112:113]
	s_wait_storecnt_dscnt 0x0
	s_barrier_signal -1
	s_barrier_wait -1
	s_wait_xcnt 0x0
	s_and_saveexec_b32 s9, s1
	s_cbranch_execz .LBB53_465
; %bb.456:
	s_and_not1_b32 vcc_lo, exec_lo, s3
	s_cbranch_vccnz .LBB53_458
; %bb.457:
	scratch_load_b64 v[112:113], v39, off
	ds_load_b64 v[114:115], v1
	s_wait_loadcnt_dscnt 0x0
	v_pk_mul_f32 v[116:117], v[114:115], v[112:113] op_sel:[1,1] op_sel_hi:[0,1]
	s_delay_alu instid0(VALU_DEP_1) | instskip(SKIP_1) | instid1(VALU_DEP_2)
	v_pk_fma_f32 v[118:119], v[114:115], v[112:113], v[116:117] op_sel_hi:[1,0,1]
	v_pk_fma_f32 v[112:113], v[114:115], v[112:113], v[116:117] neg_lo:[0,0,1] neg_hi:[0,0,1]
	v_mov_b32_e32 v113, v119
	s_cbranch_execz .LBB53_459
	s_branch .LBB53_460
.LBB53_458:
                                        ; implicit-def: $vgpr112_vgpr113
.LBB53_459:
	ds_load_b64 v[112:113], v1
.LBB53_460:
	s_and_saveexec_b32 s10, s0
	s_cbranch_execz .LBB53_464
; %bb.461:
	v_add_nc_u32_e32 v114, -8, v0
	s_movk_i32 s11, 0x1f0
	s_mov_b32 s0, 0
.LBB53_462:                             ; =>This Inner Loop Header: Depth=1
	scratch_load_b64 v[116:117], off, s8
	v_dual_mov_b32 v115, s11 :: v_dual_add_nc_u32 v114, -1, v114
	s_add_co_i32 s11, s11, 8
	s_wait_xcnt 0x0
	s_add_co_i32 s8, s8, 8
	ds_load_b64 v[118:119], v115
	v_cmp_eq_u32_e32 vcc_lo, 0, v114
	s_or_b32 s0, vcc_lo, s0
	s_wait_loadcnt_dscnt 0x0
	v_pk_mul_f32 v[120:121], v[118:119], v[116:117] op_sel:[1,1] op_sel_hi:[0,1]
	s_delay_alu instid0(VALU_DEP_1) | instskip(SKIP_1) | instid1(VALU_DEP_2)
	v_pk_fma_f32 v[122:123], v[118:119], v[116:117], v[120:121] op_sel_hi:[1,0,1]
	v_pk_fma_f32 v[116:117], v[118:119], v[116:117], v[120:121] neg_lo:[0,0,1] neg_hi:[0,0,1]
	v_mov_b32_e32 v117, v123
	s_delay_alu instid0(VALU_DEP_1)
	v_pk_add_f32 v[112:113], v[112:113], v[116:117]
	s_and_not1_b32 exec_lo, exec_lo, s0
	s_cbranch_execnz .LBB53_462
; %bb.463:
	s_or_b32 exec_lo, exec_lo, s0
.LBB53_464:
	s_delay_alu instid0(SALU_CYCLE_1) | instskip(SKIP_4) | instid1(VALU_DEP_1)
	s_or_b32 exec_lo, exec_lo, s10
	v_mov_b32_e32 v114, 0
	ds_load_b64 v[114:115], v114 offset:56
	s_wait_dscnt 0x0
	v_pk_mul_f32 v[116:117], v[112:113], v[114:115] op_sel:[1,1] op_sel_hi:[0,1]
	v_pk_fma_f32 v[118:119], v[112:113], v[114:115], v[116:117] op_sel_hi:[1,0,1]
	v_pk_fma_f32 v[112:113], v[112:113], v[114:115], v[116:117] neg_lo:[0,0,1] neg_hi:[0,0,1]
	s_delay_alu instid0(VALU_DEP_2)
	v_mov_b32_e32 v113, v119
	scratch_store_b64 off, v[112:113], off offset:56
.LBB53_465:
	s_wait_xcnt 0x0
	s_or_b32 exec_lo, exec_lo, s9
	scratch_load_b64 v[112:113], off, off offset:48
	v_cmp_lt_u32_e64 s0, 6, v0
	s_wait_loadcnt 0x0
	ds_store_b64 v1, v[112:113]
	s_wait_storecnt_dscnt 0x0
	s_barrier_signal -1
	s_barrier_wait -1
	s_wait_xcnt 0x0
	s_and_saveexec_b32 s8, s0
	s_cbranch_execz .LBB53_475
; %bb.466:
	s_and_not1_b32 vcc_lo, exec_lo, s3
	s_cbranch_vccnz .LBB53_468
; %bb.467:
	scratch_load_b64 v[112:113], v39, off
	ds_load_b64 v[114:115], v1
	s_wait_loadcnt_dscnt 0x0
	v_pk_mul_f32 v[116:117], v[114:115], v[112:113] op_sel:[1,1] op_sel_hi:[0,1]
	s_delay_alu instid0(VALU_DEP_1) | instskip(SKIP_1) | instid1(VALU_DEP_2)
	v_pk_fma_f32 v[118:119], v[114:115], v[112:113], v[116:117] op_sel_hi:[1,0,1]
	v_pk_fma_f32 v[112:113], v[114:115], v[112:113], v[116:117] neg_lo:[0,0,1] neg_hi:[0,0,1]
	v_mov_b32_e32 v113, v119
	s_cbranch_execz .LBB53_469
	s_branch .LBB53_470
.LBB53_468:
                                        ; implicit-def: $vgpr112_vgpr113
.LBB53_469:
	ds_load_b64 v[112:113], v1
.LBB53_470:
	s_and_saveexec_b32 s9, s1
	s_cbranch_execz .LBB53_474
; %bb.471:
	v_add_nc_u32_e32 v114, -7, v0
	s_mov_b32 s1, 56
	s_movk_i32 s11, 0x1e8
	s_mov_b32 s10, 0
.LBB53_472:                             ; =>This Inner Loop Header: Depth=1
	scratch_load_b64 v[116:117], off, s1
	v_dual_mov_b32 v115, s11 :: v_dual_add_nc_u32 v114, -1, v114
	s_add_co_i32 s11, s11, 8
	s_wait_xcnt 0x0
	s_add_co_i32 s1, s1, 8
	ds_load_b64 v[118:119], v115
	v_cmp_eq_u32_e32 vcc_lo, 0, v114
	s_or_b32 s10, vcc_lo, s10
	s_wait_loadcnt_dscnt 0x0
	v_pk_mul_f32 v[120:121], v[118:119], v[116:117] op_sel:[1,1] op_sel_hi:[0,1]
	s_delay_alu instid0(VALU_DEP_1) | instskip(SKIP_1) | instid1(VALU_DEP_2)
	v_pk_fma_f32 v[122:123], v[118:119], v[116:117], v[120:121] op_sel_hi:[1,0,1]
	v_pk_fma_f32 v[116:117], v[118:119], v[116:117], v[120:121] neg_lo:[0,0,1] neg_hi:[0,0,1]
	v_mov_b32_e32 v117, v123
	s_delay_alu instid0(VALU_DEP_1)
	v_pk_add_f32 v[112:113], v[112:113], v[116:117]
	s_and_not1_b32 exec_lo, exec_lo, s10
	s_cbranch_execnz .LBB53_472
; %bb.473:
	s_or_b32 exec_lo, exec_lo, s10
.LBB53_474:
	s_delay_alu instid0(SALU_CYCLE_1) | instskip(SKIP_4) | instid1(VALU_DEP_1)
	s_or_b32 exec_lo, exec_lo, s9
	v_mov_b32_e32 v114, 0
	ds_load_b64 v[114:115], v114 offset:48
	s_wait_dscnt 0x0
	v_pk_mul_f32 v[116:117], v[112:113], v[114:115] op_sel:[1,1] op_sel_hi:[0,1]
	v_pk_fma_f32 v[118:119], v[112:113], v[114:115], v[116:117] op_sel_hi:[1,0,1]
	v_pk_fma_f32 v[112:113], v[112:113], v[114:115], v[116:117] neg_lo:[0,0,1] neg_hi:[0,0,1]
	s_delay_alu instid0(VALU_DEP_2)
	v_mov_b32_e32 v113, v119
	scratch_store_b64 off, v[112:113], off offset:48
.LBB53_475:
	s_wait_xcnt 0x0
	s_or_b32 exec_lo, exec_lo, s8
	scratch_load_b64 v[112:113], off, off offset:40
	v_cmp_lt_u32_e64 s1, 5, v0
	s_wait_loadcnt 0x0
	ds_store_b64 v1, v[112:113]
	s_wait_storecnt_dscnt 0x0
	s_barrier_signal -1
	s_barrier_wait -1
	s_wait_xcnt 0x0
	s_and_saveexec_b32 s8, s1
	s_cbranch_execz .LBB53_485
; %bb.476:
	s_and_not1_b32 vcc_lo, exec_lo, s3
	s_cbranch_vccnz .LBB53_478
; %bb.477:
	scratch_load_b64 v[112:113], v39, off
	ds_load_b64 v[114:115], v1
	s_wait_loadcnt_dscnt 0x0
	v_pk_mul_f32 v[116:117], v[114:115], v[112:113] op_sel:[1,1] op_sel_hi:[0,1]
	s_delay_alu instid0(VALU_DEP_1) | instskip(SKIP_1) | instid1(VALU_DEP_2)
	v_pk_fma_f32 v[118:119], v[114:115], v[112:113], v[116:117] op_sel_hi:[1,0,1]
	v_pk_fma_f32 v[112:113], v[114:115], v[112:113], v[116:117] neg_lo:[0,0,1] neg_hi:[0,0,1]
	v_mov_b32_e32 v113, v119
	s_cbranch_execz .LBB53_479
	s_branch .LBB53_480
.LBB53_478:
                                        ; implicit-def: $vgpr112_vgpr113
.LBB53_479:
	ds_load_b64 v[112:113], v1
.LBB53_480:
	s_and_saveexec_b32 s9, s0
	s_cbranch_execz .LBB53_484
; %bb.481:
	v_add_nc_u32_e32 v114, -6, v0
	s_movk_i32 s10, 0x1e0
	s_mov_b32 s0, 0
.LBB53_482:                             ; =>This Inner Loop Header: Depth=1
	scratch_load_b64 v[116:117], off, s2
	v_dual_mov_b32 v115, s10 :: v_dual_add_nc_u32 v114, -1, v114
	s_add_co_i32 s10, s10, 8
	s_wait_xcnt 0x0
	s_add_co_i32 s2, s2, 8
	ds_load_b64 v[118:119], v115
	v_cmp_eq_u32_e32 vcc_lo, 0, v114
	s_or_b32 s0, vcc_lo, s0
	s_wait_loadcnt_dscnt 0x0
	v_pk_mul_f32 v[120:121], v[118:119], v[116:117] op_sel:[1,1] op_sel_hi:[0,1]
	s_delay_alu instid0(VALU_DEP_1) | instskip(SKIP_1) | instid1(VALU_DEP_2)
	v_pk_fma_f32 v[122:123], v[118:119], v[116:117], v[120:121] op_sel_hi:[1,0,1]
	v_pk_fma_f32 v[116:117], v[118:119], v[116:117], v[120:121] neg_lo:[0,0,1] neg_hi:[0,0,1]
	v_mov_b32_e32 v117, v123
	s_delay_alu instid0(VALU_DEP_1)
	v_pk_add_f32 v[112:113], v[112:113], v[116:117]
	s_and_not1_b32 exec_lo, exec_lo, s0
	s_cbranch_execnz .LBB53_482
; %bb.483:
	s_or_b32 exec_lo, exec_lo, s0
.LBB53_484:
	s_delay_alu instid0(SALU_CYCLE_1) | instskip(SKIP_4) | instid1(VALU_DEP_1)
	s_or_b32 exec_lo, exec_lo, s9
	v_mov_b32_e32 v114, 0
	ds_load_b64 v[114:115], v114 offset:40
	s_wait_dscnt 0x0
	v_pk_mul_f32 v[116:117], v[112:113], v[114:115] op_sel:[1,1] op_sel_hi:[0,1]
	v_pk_fma_f32 v[118:119], v[112:113], v[114:115], v[116:117] op_sel_hi:[1,0,1]
	v_pk_fma_f32 v[112:113], v[112:113], v[114:115], v[116:117] neg_lo:[0,0,1] neg_hi:[0,0,1]
	s_delay_alu instid0(VALU_DEP_2)
	v_mov_b32_e32 v113, v119
	scratch_store_b64 off, v[112:113], off offset:40
.LBB53_485:
	s_wait_xcnt 0x0
	s_or_b32 exec_lo, exec_lo, s8
	scratch_load_b64 v[112:113], off, off offset:32
	v_cmp_lt_u32_e64 s0, 4, v0
	s_wait_loadcnt 0x0
	ds_store_b64 v1, v[112:113]
	s_wait_storecnt_dscnt 0x0
	s_barrier_signal -1
	s_barrier_wait -1
	s_wait_xcnt 0x0
	s_and_saveexec_b32 s2, s0
	s_cbranch_execz .LBB53_495
; %bb.486:
	s_and_not1_b32 vcc_lo, exec_lo, s3
	s_cbranch_vccnz .LBB53_488
; %bb.487:
	scratch_load_b64 v[112:113], v39, off
	ds_load_b64 v[114:115], v1
	s_wait_loadcnt_dscnt 0x0
	v_pk_mul_f32 v[116:117], v[114:115], v[112:113] op_sel:[1,1] op_sel_hi:[0,1]
	s_delay_alu instid0(VALU_DEP_1) | instskip(SKIP_1) | instid1(VALU_DEP_2)
	v_pk_fma_f32 v[118:119], v[114:115], v[112:113], v[116:117] op_sel_hi:[1,0,1]
	v_pk_fma_f32 v[112:113], v[114:115], v[112:113], v[116:117] neg_lo:[0,0,1] neg_hi:[0,0,1]
	v_mov_b32_e32 v113, v119
	s_cbranch_execz .LBB53_489
	s_branch .LBB53_490
.LBB53_488:
                                        ; implicit-def: $vgpr112_vgpr113
.LBB53_489:
	ds_load_b64 v[112:113], v1
.LBB53_490:
	s_and_saveexec_b32 s8, s1
	s_cbranch_execz .LBB53_494
; %bb.491:
	v_add_nc_u32_e32 v114, -5, v0
	s_mov_b32 s1, 40
	s_movk_i32 s10, 0x1d8
	s_mov_b32 s9, 0
.LBB53_492:                             ; =>This Inner Loop Header: Depth=1
	scratch_load_b64 v[116:117], off, s1
	v_dual_mov_b32 v115, s10 :: v_dual_add_nc_u32 v114, -1, v114
	s_add_co_i32 s10, s10, 8
	s_wait_xcnt 0x0
	s_add_co_i32 s1, s1, 8
	ds_load_b64 v[118:119], v115
	v_cmp_eq_u32_e32 vcc_lo, 0, v114
	s_or_b32 s9, vcc_lo, s9
	s_wait_loadcnt_dscnt 0x0
	v_pk_mul_f32 v[120:121], v[118:119], v[116:117] op_sel:[1,1] op_sel_hi:[0,1]
	s_delay_alu instid0(VALU_DEP_1) | instskip(SKIP_1) | instid1(VALU_DEP_2)
	v_pk_fma_f32 v[122:123], v[118:119], v[116:117], v[120:121] op_sel_hi:[1,0,1]
	v_pk_fma_f32 v[116:117], v[118:119], v[116:117], v[120:121] neg_lo:[0,0,1] neg_hi:[0,0,1]
	v_mov_b32_e32 v117, v123
	s_delay_alu instid0(VALU_DEP_1)
	v_pk_add_f32 v[112:113], v[112:113], v[116:117]
	s_and_not1_b32 exec_lo, exec_lo, s9
	s_cbranch_execnz .LBB53_492
; %bb.493:
	s_or_b32 exec_lo, exec_lo, s9
.LBB53_494:
	s_delay_alu instid0(SALU_CYCLE_1) | instskip(SKIP_4) | instid1(VALU_DEP_1)
	s_or_b32 exec_lo, exec_lo, s8
	v_mov_b32_e32 v114, 0
	ds_load_b64 v[114:115], v114 offset:32
	s_wait_dscnt 0x0
	v_pk_mul_f32 v[116:117], v[112:113], v[114:115] op_sel:[1,1] op_sel_hi:[0,1]
	v_pk_fma_f32 v[118:119], v[112:113], v[114:115], v[116:117] op_sel_hi:[1,0,1]
	v_pk_fma_f32 v[112:113], v[112:113], v[114:115], v[116:117] neg_lo:[0,0,1] neg_hi:[0,0,1]
	s_delay_alu instid0(VALU_DEP_2)
	v_mov_b32_e32 v113, v119
	scratch_store_b64 off, v[112:113], off offset:32
.LBB53_495:
	s_wait_xcnt 0x0
	s_or_b32 exec_lo, exec_lo, s2
	scratch_load_b64 v[112:113], off, off offset:24
	v_cmp_lt_u32_e64 s2, 3, v0
	s_wait_loadcnt 0x0
	ds_store_b64 v1, v[112:113]
	s_wait_storecnt_dscnt 0x0
	s_barrier_signal -1
	s_barrier_wait -1
	s_wait_xcnt 0x0
	s_and_saveexec_b32 s1, s2
	s_cbranch_execz .LBB53_505
; %bb.496:
	s_and_not1_b32 vcc_lo, exec_lo, s3
	s_cbranch_vccnz .LBB53_498
; %bb.497:
	scratch_load_b64 v[112:113], v39, off
	ds_load_b64 v[114:115], v1
	s_wait_loadcnt_dscnt 0x0
	v_pk_mul_f32 v[116:117], v[114:115], v[112:113] op_sel:[1,1] op_sel_hi:[0,1]
	s_delay_alu instid0(VALU_DEP_1) | instskip(SKIP_1) | instid1(VALU_DEP_2)
	v_pk_fma_f32 v[118:119], v[114:115], v[112:113], v[116:117] op_sel_hi:[1,0,1]
	v_pk_fma_f32 v[112:113], v[114:115], v[112:113], v[116:117] neg_lo:[0,0,1] neg_hi:[0,0,1]
	v_mov_b32_e32 v113, v119
	s_cbranch_execz .LBB53_499
	s_branch .LBB53_500
.LBB53_498:
                                        ; implicit-def: $vgpr112_vgpr113
.LBB53_499:
	ds_load_b64 v[112:113], v1
.LBB53_500:
	s_and_saveexec_b32 s8, s0
	s_cbranch_execz .LBB53_504
; %bb.501:
	v_add_nc_u32_e32 v114, -4, v0
	s_movk_i32 s9, 0x1d0
	s_mov_b32 s0, 0
.LBB53_502:                             ; =>This Inner Loop Header: Depth=1
	scratch_load_b64 v[116:117], off, s5
	v_dual_mov_b32 v115, s9 :: v_dual_add_nc_u32 v114, -1, v114
	s_add_co_i32 s9, s9, 8
	s_wait_xcnt 0x0
	s_add_co_i32 s5, s5, 8
	ds_load_b64 v[118:119], v115
	v_cmp_eq_u32_e32 vcc_lo, 0, v114
	s_or_b32 s0, vcc_lo, s0
	s_wait_loadcnt_dscnt 0x0
	v_pk_mul_f32 v[120:121], v[118:119], v[116:117] op_sel:[1,1] op_sel_hi:[0,1]
	s_delay_alu instid0(VALU_DEP_1) | instskip(SKIP_1) | instid1(VALU_DEP_2)
	v_pk_fma_f32 v[122:123], v[118:119], v[116:117], v[120:121] op_sel_hi:[1,0,1]
	v_pk_fma_f32 v[116:117], v[118:119], v[116:117], v[120:121] neg_lo:[0,0,1] neg_hi:[0,0,1]
	v_mov_b32_e32 v117, v123
	s_delay_alu instid0(VALU_DEP_1)
	v_pk_add_f32 v[112:113], v[112:113], v[116:117]
	s_and_not1_b32 exec_lo, exec_lo, s0
	s_cbranch_execnz .LBB53_502
; %bb.503:
	s_or_b32 exec_lo, exec_lo, s0
.LBB53_504:
	s_delay_alu instid0(SALU_CYCLE_1) | instskip(SKIP_4) | instid1(VALU_DEP_1)
	s_or_b32 exec_lo, exec_lo, s8
	v_mov_b32_e32 v114, 0
	ds_load_b64 v[114:115], v114 offset:24
	s_wait_dscnt 0x0
	v_pk_mul_f32 v[116:117], v[112:113], v[114:115] op_sel:[1,1] op_sel_hi:[0,1]
	v_pk_fma_f32 v[118:119], v[112:113], v[114:115], v[116:117] op_sel_hi:[1,0,1]
	v_pk_fma_f32 v[112:113], v[112:113], v[114:115], v[116:117] neg_lo:[0,0,1] neg_hi:[0,0,1]
	s_delay_alu instid0(VALU_DEP_2)
	v_mov_b32_e32 v113, v119
	scratch_store_b64 off, v[112:113], off offset:24
.LBB53_505:
	s_wait_xcnt 0x0
	s_or_b32 exec_lo, exec_lo, s1
	scratch_load_b64 v[112:113], off, off offset:16
	v_cmp_lt_u32_e64 s1, 2, v0
	s_wait_loadcnt 0x0
	ds_store_b64 v1, v[112:113]
	s_wait_storecnt_dscnt 0x0
	s_barrier_signal -1
	s_barrier_wait -1
	s_wait_xcnt 0x0
	s_and_saveexec_b32 s0, s1
	s_cbranch_execz .LBB53_515
; %bb.506:
	s_and_not1_b32 vcc_lo, exec_lo, s3
	s_cbranch_vccnz .LBB53_508
; %bb.507:
	scratch_load_b64 v[112:113], v39, off
	ds_load_b64 v[114:115], v1
	s_wait_loadcnt_dscnt 0x0
	v_pk_mul_f32 v[116:117], v[114:115], v[112:113] op_sel:[1,1] op_sel_hi:[0,1]
	s_delay_alu instid0(VALU_DEP_1) | instskip(SKIP_1) | instid1(VALU_DEP_2)
	v_pk_fma_f32 v[118:119], v[114:115], v[112:113], v[116:117] op_sel_hi:[1,0,1]
	v_pk_fma_f32 v[112:113], v[114:115], v[112:113], v[116:117] neg_lo:[0,0,1] neg_hi:[0,0,1]
	v_mov_b32_e32 v113, v119
	s_cbranch_execz .LBB53_509
	s_branch .LBB53_510
.LBB53_508:
                                        ; implicit-def: $vgpr112_vgpr113
.LBB53_509:
	ds_load_b64 v[112:113], v1
.LBB53_510:
	s_and_saveexec_b32 s5, s2
	s_cbranch_execz .LBB53_514
; %bb.511:
	v_add_nc_u32_e32 v114, -3, v0
	s_mov_b32 s2, 24
	s_movk_i32 s9, 0x1c8
	s_mov_b32 s8, 0
.LBB53_512:                             ; =>This Inner Loop Header: Depth=1
	scratch_load_b64 v[116:117], off, s2
	v_dual_mov_b32 v115, s9 :: v_dual_add_nc_u32 v114, -1, v114
	s_add_co_i32 s9, s9, 8
	s_wait_xcnt 0x0
	s_add_co_i32 s2, s2, 8
	ds_load_b64 v[118:119], v115
	v_cmp_eq_u32_e32 vcc_lo, 0, v114
	s_or_b32 s8, vcc_lo, s8
	s_wait_loadcnt_dscnt 0x0
	v_pk_mul_f32 v[120:121], v[118:119], v[116:117] op_sel:[1,1] op_sel_hi:[0,1]
	s_delay_alu instid0(VALU_DEP_1) | instskip(SKIP_1) | instid1(VALU_DEP_2)
	v_pk_fma_f32 v[122:123], v[118:119], v[116:117], v[120:121] op_sel_hi:[1,0,1]
	v_pk_fma_f32 v[116:117], v[118:119], v[116:117], v[120:121] neg_lo:[0,0,1] neg_hi:[0,0,1]
	v_mov_b32_e32 v117, v123
	s_delay_alu instid0(VALU_DEP_1)
	v_pk_add_f32 v[112:113], v[112:113], v[116:117]
	s_and_not1_b32 exec_lo, exec_lo, s8
	s_cbranch_execnz .LBB53_512
; %bb.513:
	s_or_b32 exec_lo, exec_lo, s8
.LBB53_514:
	s_delay_alu instid0(SALU_CYCLE_1) | instskip(SKIP_4) | instid1(VALU_DEP_1)
	s_or_b32 exec_lo, exec_lo, s5
	v_mov_b32_e32 v114, 0
	ds_load_b64 v[114:115], v114 offset:16
	s_wait_dscnt 0x0
	v_pk_mul_f32 v[116:117], v[112:113], v[114:115] op_sel:[1,1] op_sel_hi:[0,1]
	v_pk_fma_f32 v[118:119], v[112:113], v[114:115], v[116:117] op_sel_hi:[1,0,1]
	v_pk_fma_f32 v[112:113], v[112:113], v[114:115], v[116:117] neg_lo:[0,0,1] neg_hi:[0,0,1]
	s_delay_alu instid0(VALU_DEP_2)
	v_mov_b32_e32 v113, v119
	scratch_store_b64 off, v[112:113], off offset:16
.LBB53_515:
	s_wait_xcnt 0x0
	s_or_b32 exec_lo, exec_lo, s0
	scratch_load_b64 v[112:113], off, off offset:8
	v_cmp_lt_u32_e64 s0, 1, v0
	s_wait_loadcnt 0x0
	ds_store_b64 v1, v[112:113]
	s_wait_storecnt_dscnt 0x0
	s_barrier_signal -1
	s_barrier_wait -1
	s_wait_xcnt 0x0
	s_and_saveexec_b32 s2, s0
	s_cbranch_execz .LBB53_525
; %bb.516:
	s_and_not1_b32 vcc_lo, exec_lo, s3
	s_cbranch_vccnz .LBB53_518
; %bb.517:
	scratch_load_b64 v[112:113], v39, off
	ds_load_b64 v[114:115], v1
	s_wait_loadcnt_dscnt 0x0
	v_pk_mul_f32 v[116:117], v[114:115], v[112:113] op_sel:[1,1] op_sel_hi:[0,1]
	s_delay_alu instid0(VALU_DEP_1) | instskip(SKIP_1) | instid1(VALU_DEP_2)
	v_pk_fma_f32 v[118:119], v[114:115], v[112:113], v[116:117] op_sel_hi:[1,0,1]
	v_pk_fma_f32 v[112:113], v[114:115], v[112:113], v[116:117] neg_lo:[0,0,1] neg_hi:[0,0,1]
	v_mov_b32_e32 v113, v119
	s_cbranch_execz .LBB53_519
	s_branch .LBB53_520
.LBB53_518:
                                        ; implicit-def: $vgpr112_vgpr113
.LBB53_519:
	ds_load_b64 v[112:113], v1
.LBB53_520:
	s_and_saveexec_b32 s5, s1
	s_cbranch_execz .LBB53_524
; %bb.521:
	v_add_nc_u32_e32 v114, -2, v0
	s_movk_i32 s8, 0x1c0
	s_mov_b32 s1, 0
.LBB53_522:                             ; =>This Inner Loop Header: Depth=1
	scratch_load_b64 v[116:117], off, s4
	v_dual_mov_b32 v115, s8 :: v_dual_add_nc_u32 v114, -1, v114
	s_add_co_i32 s8, s8, 8
	s_wait_xcnt 0x0
	s_add_co_i32 s4, s4, 8
	ds_load_b64 v[118:119], v115
	v_cmp_eq_u32_e32 vcc_lo, 0, v114
	s_or_b32 s1, vcc_lo, s1
	s_wait_loadcnt_dscnt 0x0
	v_pk_mul_f32 v[120:121], v[118:119], v[116:117] op_sel:[1,1] op_sel_hi:[0,1]
	s_delay_alu instid0(VALU_DEP_1) | instskip(SKIP_1) | instid1(VALU_DEP_2)
	v_pk_fma_f32 v[122:123], v[118:119], v[116:117], v[120:121] op_sel_hi:[1,0,1]
	v_pk_fma_f32 v[116:117], v[118:119], v[116:117], v[120:121] neg_lo:[0,0,1] neg_hi:[0,0,1]
	v_mov_b32_e32 v117, v123
	s_delay_alu instid0(VALU_DEP_1)
	v_pk_add_f32 v[112:113], v[112:113], v[116:117]
	s_and_not1_b32 exec_lo, exec_lo, s1
	s_cbranch_execnz .LBB53_522
; %bb.523:
	s_or_b32 exec_lo, exec_lo, s1
.LBB53_524:
	s_delay_alu instid0(SALU_CYCLE_1) | instskip(SKIP_4) | instid1(VALU_DEP_1)
	s_or_b32 exec_lo, exec_lo, s5
	v_mov_b32_e32 v114, 0
	ds_load_b64 v[114:115], v114 offset:8
	s_wait_dscnt 0x0
	v_pk_mul_f32 v[116:117], v[112:113], v[114:115] op_sel:[1,1] op_sel_hi:[0,1]
	v_pk_fma_f32 v[118:119], v[112:113], v[114:115], v[116:117] op_sel_hi:[1,0,1]
	v_pk_fma_f32 v[112:113], v[112:113], v[114:115], v[116:117] neg_lo:[0,0,1] neg_hi:[0,0,1]
	s_delay_alu instid0(VALU_DEP_2)
	v_mov_b32_e32 v113, v119
	scratch_store_b64 off, v[112:113], off offset:8
.LBB53_525:
	s_wait_xcnt 0x0
	s_or_b32 exec_lo, exec_lo, s2
	scratch_load_b64 v[112:113], off, off
	s_mov_b32 s2, 0
	s_mov_b32 s1, 0
	s_mov_b32 s5, exec_lo
                                        ; implicit-def: $vgpr156
                                        ; implicit-def: $sgpr4
	s_wait_loadcnt 0x0
	ds_store_b64 v1, v[112:113]
	s_wait_storecnt_dscnt 0x0
	s_barrier_signal -1
	s_barrier_wait -1
	s_wait_xcnt 0x0
	v_cmpx_ne_u32_e32 0, v0
	s_cbranch_execz .LBB53_535
; %bb.526:
	s_and_not1_b32 vcc_lo, exec_lo, s3
	s_cbranch_vccnz .LBB53_528
; %bb.527:
	scratch_load_b64 v[114:115], v39, off
	ds_load_b64 v[116:117], v1
	s_wait_loadcnt_dscnt 0x0
	v_dual_mul_f32 v112, v117, v115 :: v_dual_mul_f32 v113, v116, v115
	s_delay_alu instid0(VALU_DEP_1)
	v_dual_fma_f32 v112, v116, v114, -v112 :: v_dual_fmac_f32 v113, v117, v114
	s_and_not1_b32 vcc_lo, exec_lo, s1
	s_cbranch_vccz .LBB53_529
	s_branch .LBB53_530
.LBB53_528:
                                        ; implicit-def: $vgpr112
.LBB53_529:
	ds_load_b64 v[112:113], v1
.LBB53_530:
	s_and_saveexec_b32 s1, s0
	s_cbranch_execz .LBB53_534
; %bb.531:
	v_add_nc_u32_e32 v114, -1, v0
	s_or_b32 s0, 0, 8
	s_movk_i32 s8, 0x1b8
	s_mov_b32 s4, 0
.LBB53_532:                             ; =>This Inner Loop Header: Depth=1
	scratch_load_b64 v[116:117], off, s0
	v_mov_b32_e32 v115, s8
	s_add_co_i32 s8, s8, 8
	s_wait_xcnt 0x0
	s_add_co_i32 s0, s0, 8
	v_add_nc_u32_e32 v114, -1, v114
	ds_load_b64 v[118:119], v115
	v_cmp_eq_u32_e32 vcc_lo, 0, v114
	s_or_b32 s4, vcc_lo, s4
	s_wait_loadcnt_dscnt 0x0
	v_dual_mul_f32 v115, v119, v117 :: v_dual_mul_f32 v117, v118, v117
	s_delay_alu instid0(VALU_DEP_1) | instskip(NEXT) | instid1(VALU_DEP_1)
	v_dual_fma_f32 v115, v118, v116, -v115 :: v_dual_fmac_f32 v117, v119, v116
	v_dual_add_f32 v112, v112, v115 :: v_dual_add_f32 v113, v113, v117
	s_and_not1_b32 exec_lo, exec_lo, s4
	s_cbranch_execnz .LBB53_532
; %bb.533:
	s_or_b32 exec_lo, exec_lo, s4
.LBB53_534:
	s_delay_alu instid0(SALU_CYCLE_1)
	s_or_b32 exec_lo, exec_lo, s1
	v_mov_b32_e32 v114, 0
	s_mov_b32 s1, exec_lo
	s_or_b32 s4, 0, 4
	ds_load_b64 v[114:115], v114
	s_wait_dscnt 0x0
	v_dual_mul_f32 v116, v113, v115 :: v_dual_mul_f32 v156, v112, v115
	s_delay_alu instid0(VALU_DEP_1) | instskip(NEXT) | instid1(VALU_DEP_2)
	v_fma_f32 v112, v112, v114, -v116
	v_fmac_f32_e32 v156, v113, v114
	scratch_store_b32 off, v112, off
.LBB53_535:
	s_wait_xcnt 0x0
	s_or_b32 exec_lo, exec_lo, s5
	s_delay_alu instid0(SALU_CYCLE_1)
	s_and_b32 vcc_lo, exec_lo, s2
	s_cbranch_vccz .LBB53_1061
.LBB53_536:
	scratch_load_b64 v[112:113], off, off offset:8
	v_cmp_eq_u32_e64 s0, 0, v0
	s_wait_loadcnt 0x0
	ds_store_b64 v1, v[112:113]
	s_wait_storecnt_dscnt 0x0
	s_barrier_signal -1
	s_barrier_wait -1
	s_wait_xcnt 0x0
	s_and_saveexec_b32 s2, s0
	s_cbranch_execz .LBB53_542
; %bb.537:
	s_and_b32 vcc_lo, exec_lo, s3
	s_cbranch_vccz .LBB53_539
; %bb.538:
	scratch_load_b64 v[112:113], v39, off
	ds_load_b64 v[114:115], v1
	s_wait_loadcnt_dscnt 0x0
	v_pk_mul_f32 v[116:117], v[114:115], v[112:113] op_sel:[1,1] op_sel_hi:[0,1]
	v_pk_mul_f32 v[118:119], v[114:115], v[112:113] op_sel_hi:[1,0]
	s_delay_alu instid0(VALU_DEP_2) | instskip(NEXT) | instid1(VALU_DEP_2)
	v_pk_fma_f32 v[112:113], v[114:115], v[112:113], v[116:117] op_sel_hi:[1,0,1]
	v_sub_f32_e32 v112, v118, v116
	s_cbranch_execz .LBB53_540
	s_branch .LBB53_541
.LBB53_539:
                                        ; implicit-def: $vgpr113
.LBB53_540:
	ds_load_b64 v[112:113], v1
.LBB53_541:
	s_wait_dscnt 0x0
	v_dual_mov_b32 v114, 0 :: v_dual_mov_b32 v116, v113
	v_mov_b32_e32 v117, v112
	ds_load_b64 v[114:115], v114 offset:8
	s_wait_dscnt 0x0
	v_pk_mul_f32 v[116:117], v[116:117], v[114:115] op_sel:[0,1]
	s_delay_alu instid0(VALU_DEP_1) | instskip(SKIP_1) | instid1(VALU_DEP_2)
	v_pk_fma_f32 v[118:119], v[112:113], v[114:115], v[116:117] op_sel_hi:[1,0,1]
	v_pk_fma_f32 v[112:113], v[112:113], v[114:115], v[116:117] neg_lo:[0,0,1] neg_hi:[0,0,1]
	v_mov_b32_e32 v113, v119
	scratch_store_b64 off, v[112:113], off offset:8
.LBB53_542:
	s_wait_xcnt 0x0
	s_or_b32 exec_lo, exec_lo, s2
	scratch_load_b64 v[112:113], off, off offset:16
	v_cndmask_b32_e64 v114, 0, 1, s3
	s_mov_b32 s2, exec_lo
	s_wait_loadcnt 0x0
	ds_store_b64 v1, v[112:113]
	s_wait_storecnt_dscnt 0x0
	s_barrier_signal -1
	s_barrier_wait -1
	s_wait_xcnt 0x0
	v_cmpx_gt_u32_e32 2, v0
	s_cbranch_execz .LBB53_550
; %bb.543:
	s_and_not1_b32 vcc_lo, exec_lo, s3
	s_cbranch_vccnz .LBB53_545
; %bb.544:
	scratch_load_b64 v[112:113], v39, off
	ds_load_b64 v[116:117], v1
	s_wait_loadcnt_dscnt 0x0
	v_pk_mul_f32 v[118:119], v[116:117], v[112:113] op_sel:[1,1] op_sel_hi:[0,1]
	s_delay_alu instid0(VALU_DEP_1) | instskip(SKIP_1) | instid1(VALU_DEP_2)
	v_pk_fma_f32 v[120:121], v[116:117], v[112:113], v[118:119] op_sel_hi:[1,0,1]
	v_pk_fma_f32 v[112:113], v[116:117], v[112:113], v[118:119] neg_lo:[0,0,1] neg_hi:[0,0,1]
	v_mov_b32_e32 v113, v121
	s_cbranch_execz .LBB53_546
	s_branch .LBB53_547
.LBB53_545:
                                        ; implicit-def: $vgpr112_vgpr113
.LBB53_546:
	ds_load_b64 v[112:113], v1
.LBB53_547:
	s_and_saveexec_b32 s3, s0
	s_cbranch_execz .LBB53_549
; %bb.548:
	scratch_load_b64 v[116:117], off, off offset:8
	v_mov_b32_e32 v115, 0
	ds_load_b64 v[118:119], v115 offset:440
	s_wait_loadcnt_dscnt 0x0
	v_pk_mul_f32 v[120:121], v[118:119], v[116:117] op_sel:[1,1] op_sel_hi:[0,1]
	s_delay_alu instid0(VALU_DEP_1) | instskip(SKIP_1) | instid1(VALU_DEP_2)
	v_pk_fma_f32 v[122:123], v[118:119], v[116:117], v[120:121] op_sel_hi:[1,0,1]
	v_pk_fma_f32 v[116:117], v[118:119], v[116:117], v[120:121] neg_lo:[0,0,1] neg_hi:[0,0,1]
	v_mov_b32_e32 v117, v123
	s_delay_alu instid0(VALU_DEP_1)
	v_pk_add_f32 v[112:113], v[112:113], v[116:117]
.LBB53_549:
	s_or_b32 exec_lo, exec_lo, s3
	v_mov_b32_e32 v115, 0
	ds_load_b64 v[116:117], v115 offset:16
	s_wait_dscnt 0x0
	v_pk_mul_f32 v[118:119], v[112:113], v[116:117] op_sel:[1,1] op_sel_hi:[0,1]
	s_delay_alu instid0(VALU_DEP_1) | instskip(SKIP_1) | instid1(VALU_DEP_2)
	v_pk_fma_f32 v[120:121], v[112:113], v[116:117], v[118:119] op_sel_hi:[1,0,1]
	v_pk_fma_f32 v[112:113], v[112:113], v[116:117], v[118:119] neg_lo:[0,0,1] neg_hi:[0,0,1]
	v_mov_b32_e32 v113, v121
	scratch_store_b64 off, v[112:113], off offset:16
.LBB53_550:
	s_wait_xcnt 0x0
	s_or_b32 exec_lo, exec_lo, s2
	scratch_load_b64 v[112:113], off, off offset:24
	s_mov_b32 s2, exec_lo
	s_wait_loadcnt 0x0
	ds_store_b64 v1, v[112:113]
	s_wait_storecnt_dscnt 0x0
	s_barrier_signal -1
	s_barrier_wait -1
	s_wait_xcnt 0x0
	v_cmpx_gt_u32_e32 3, v0
	s_cbranch_execz .LBB53_560
; %bb.551:
	v_cmp_ne_u32_e32 vcc_lo, 1, v114
	s_cbranch_vccnz .LBB53_553
; %bb.552:
	scratch_load_b64 v[112:113], v39, off
	ds_load_b64 v[116:117], v1
	s_wait_loadcnt_dscnt 0x0
	v_pk_mul_f32 v[118:119], v[116:117], v[112:113] op_sel:[1,1] op_sel_hi:[0,1]
	s_delay_alu instid0(VALU_DEP_1) | instskip(SKIP_1) | instid1(VALU_DEP_2)
	v_pk_fma_f32 v[120:121], v[116:117], v[112:113], v[118:119] op_sel_hi:[1,0,1]
	v_pk_fma_f32 v[112:113], v[116:117], v[112:113], v[118:119] neg_lo:[0,0,1] neg_hi:[0,0,1]
	v_mov_b32_e32 v113, v121
	s_cbranch_execz .LBB53_554
	s_branch .LBB53_555
.LBB53_553:
                                        ; implicit-def: $vgpr112_vgpr113
.LBB53_554:
	ds_load_b64 v[112:113], v1
.LBB53_555:
	s_mov_b32 s3, exec_lo
	v_cmpx_ne_u32_e32 2, v0
	s_cbranch_execz .LBB53_559
; %bb.556:
	scratch_load_b64 v[116:117], v39, off offset:8
	ds_load_b64 v[118:119], v1 offset:8
	s_wait_loadcnt_dscnt 0x0
	v_pk_mul_f32 v[120:121], v[118:119], v[116:117] op_sel:[1,1] op_sel_hi:[0,1]
	s_delay_alu instid0(VALU_DEP_1) | instskip(SKIP_1) | instid1(VALU_DEP_2)
	v_pk_fma_f32 v[122:123], v[118:119], v[116:117], v[120:121] op_sel_hi:[1,0,1]
	v_pk_fma_f32 v[116:117], v[118:119], v[116:117], v[120:121] neg_lo:[0,0,1] neg_hi:[0,0,1]
	v_mov_b32_e32 v117, v123
	s_delay_alu instid0(VALU_DEP_1)
	v_pk_add_f32 v[112:113], v[112:113], v[116:117]
	s_and_saveexec_b32 s4, s0
	s_cbranch_execz .LBB53_558
; %bb.557:
	scratch_load_b64 v[116:117], off, off offset:16
	v_mov_b32_e32 v115, 0
	ds_load_b64 v[118:119], v115 offset:448
	s_wait_loadcnt_dscnt 0x0
	v_pk_mul_f32 v[120:121], v[118:119], v[116:117] op_sel:[1,1] op_sel_hi:[0,1]
	s_delay_alu instid0(VALU_DEP_1) | instskip(SKIP_1) | instid1(VALU_DEP_2)
	v_pk_fma_f32 v[122:123], v[118:119], v[116:117], v[120:121] op_sel_hi:[1,0,1]
	v_pk_fma_f32 v[116:117], v[118:119], v[116:117], v[120:121] neg_lo:[0,0,1] neg_hi:[0,0,1]
	v_mov_b32_e32 v117, v123
	s_delay_alu instid0(VALU_DEP_1)
	v_pk_add_f32 v[112:113], v[112:113], v[116:117]
.LBB53_558:
	s_or_b32 exec_lo, exec_lo, s4
.LBB53_559:
	s_delay_alu instid0(SALU_CYCLE_1) | instskip(SKIP_4) | instid1(VALU_DEP_1)
	s_or_b32 exec_lo, exec_lo, s3
	v_mov_b32_e32 v115, 0
	ds_load_b64 v[116:117], v115 offset:24
	s_wait_dscnt 0x0
	v_pk_mul_f32 v[118:119], v[112:113], v[116:117] op_sel:[1,1] op_sel_hi:[0,1]
	v_pk_fma_f32 v[120:121], v[112:113], v[116:117], v[118:119] op_sel_hi:[1,0,1]
	v_pk_fma_f32 v[112:113], v[112:113], v[116:117], v[118:119] neg_lo:[0,0,1] neg_hi:[0,0,1]
	s_delay_alu instid0(VALU_DEP_2)
	v_mov_b32_e32 v113, v121
	scratch_store_b64 off, v[112:113], off offset:24
.LBB53_560:
	s_wait_xcnt 0x0
	s_or_b32 exec_lo, exec_lo, s2
	scratch_load_b64 v[112:113], off, off offset:32
	s_mov_b32 s0, exec_lo
	s_wait_loadcnt 0x0
	ds_store_b64 v1, v[112:113]
	s_wait_storecnt_dscnt 0x0
	s_barrier_signal -1
	s_barrier_wait -1
	s_wait_xcnt 0x0
	v_cmpx_gt_u32_e32 4, v0
	s_cbranch_execz .LBB53_570
; %bb.561:
	v_cmp_ne_u32_e32 vcc_lo, 1, v114
	s_cbranch_vccnz .LBB53_563
; %bb.562:
	scratch_load_b64 v[112:113], v39, off
	ds_load_b64 v[116:117], v1
	s_wait_loadcnt_dscnt 0x0
	v_pk_mul_f32 v[118:119], v[116:117], v[112:113] op_sel:[1,1] op_sel_hi:[0,1]
	s_delay_alu instid0(VALU_DEP_1) | instskip(SKIP_1) | instid1(VALU_DEP_2)
	v_pk_fma_f32 v[120:121], v[116:117], v[112:113], v[118:119] op_sel_hi:[1,0,1]
	v_pk_fma_f32 v[112:113], v[116:117], v[112:113], v[118:119] neg_lo:[0,0,1] neg_hi:[0,0,1]
	v_mov_b32_e32 v113, v121
	s_cbranch_execz .LBB53_564
	s_branch .LBB53_565
.LBB53_563:
                                        ; implicit-def: $vgpr112_vgpr113
.LBB53_564:
	ds_load_b64 v[112:113], v1
.LBB53_565:
	s_mov_b32 s2, exec_lo
	v_cmpx_ne_u32_e32 3, v0
	s_cbranch_execz .LBB53_569
; %bb.566:
	v_add_nc_u32_e32 v115, 0x1b8, v38
	v_add3_u32 v116, 0, v38, 8
	v_mov_b32_e32 v117, v0
	s_mov_b32 s3, 0
.LBB53_567:                             ; =>This Inner Loop Header: Depth=1
	scratch_load_b64 v[118:119], v116, off
	ds_load_b64 v[120:121], v115
	s_wait_xcnt 0x0
	v_dual_add_nc_u32 v115, 8, v115 :: v_dual_add_nc_u32 v116, 8, v116
	s_wait_loadcnt_dscnt 0x0
	v_pk_mul_f32 v[122:123], v[120:121], v[118:119] op_sel:[1,1] op_sel_hi:[0,1]
	s_delay_alu instid0(VALU_DEP_1) | instskip(SKIP_2) | instid1(VALU_DEP_3)
	v_pk_fma_f32 v[124:125], v[120:121], v[118:119], v[122:123] op_sel_hi:[1,0,1]
	v_add_nc_u32_e32 v117, 1, v117
	v_pk_fma_f32 v[118:119], v[120:121], v[118:119], v[122:123] neg_lo:[0,0,1] neg_hi:[0,0,1]
	v_mov_b32_e32 v119, v125
	s_delay_alu instid0(VALU_DEP_3) | instskip(NEXT) | instid1(VALU_DEP_2)
	v_cmp_lt_u32_e32 vcc_lo, 2, v117
	v_pk_add_f32 v[112:113], v[112:113], v[118:119]
	s_or_b32 s3, vcc_lo, s3
	s_delay_alu instid0(SALU_CYCLE_1)
	s_and_not1_b32 exec_lo, exec_lo, s3
	s_cbranch_execnz .LBB53_567
; %bb.568:
	s_or_b32 exec_lo, exec_lo, s3
.LBB53_569:
	s_delay_alu instid0(SALU_CYCLE_1) | instskip(SKIP_4) | instid1(VALU_DEP_1)
	s_or_b32 exec_lo, exec_lo, s2
	v_mov_b32_e32 v115, 0
	ds_load_b64 v[116:117], v115 offset:32
	s_wait_dscnt 0x0
	v_pk_mul_f32 v[118:119], v[112:113], v[116:117] op_sel:[1,1] op_sel_hi:[0,1]
	v_pk_fma_f32 v[120:121], v[112:113], v[116:117], v[118:119] op_sel_hi:[1,0,1]
	v_pk_fma_f32 v[112:113], v[112:113], v[116:117], v[118:119] neg_lo:[0,0,1] neg_hi:[0,0,1]
	s_delay_alu instid0(VALU_DEP_2)
	v_mov_b32_e32 v113, v121
	scratch_store_b64 off, v[112:113], off offset:32
.LBB53_570:
	s_wait_xcnt 0x0
	s_or_b32 exec_lo, exec_lo, s0
	scratch_load_b64 v[112:113], off, off offset:40
	s_mov_b32 s0, exec_lo
	s_wait_loadcnt 0x0
	ds_store_b64 v1, v[112:113]
	s_wait_storecnt_dscnt 0x0
	s_barrier_signal -1
	s_barrier_wait -1
	s_wait_xcnt 0x0
	v_cmpx_gt_u32_e32 5, v0
	s_cbranch_execz .LBB53_580
; %bb.571:
	v_cmp_ne_u32_e32 vcc_lo, 1, v114
	s_cbranch_vccnz .LBB53_573
; %bb.572:
	scratch_load_b64 v[112:113], v39, off
	ds_load_b64 v[116:117], v1
	s_wait_loadcnt_dscnt 0x0
	v_pk_mul_f32 v[118:119], v[116:117], v[112:113] op_sel:[1,1] op_sel_hi:[0,1]
	s_delay_alu instid0(VALU_DEP_1) | instskip(SKIP_1) | instid1(VALU_DEP_2)
	v_pk_fma_f32 v[120:121], v[116:117], v[112:113], v[118:119] op_sel_hi:[1,0,1]
	v_pk_fma_f32 v[112:113], v[116:117], v[112:113], v[118:119] neg_lo:[0,0,1] neg_hi:[0,0,1]
	v_mov_b32_e32 v113, v121
	s_cbranch_execz .LBB53_574
	s_branch .LBB53_575
.LBB53_573:
                                        ; implicit-def: $vgpr112_vgpr113
.LBB53_574:
	ds_load_b64 v[112:113], v1
.LBB53_575:
	s_mov_b32 s2, exec_lo
	v_cmpx_ne_u32_e32 4, v0
	s_cbranch_execz .LBB53_579
; %bb.576:
	v_add_nc_u32_e32 v115, 0x1b8, v38
	v_add3_u32 v116, 0, v38, 8
	v_mov_b32_e32 v117, v0
	s_mov_b32 s3, 0
.LBB53_577:                             ; =>This Inner Loop Header: Depth=1
	scratch_load_b64 v[118:119], v116, off
	ds_load_b64 v[120:121], v115
	s_wait_xcnt 0x0
	v_dual_add_nc_u32 v115, 8, v115 :: v_dual_add_nc_u32 v116, 8, v116
	s_wait_loadcnt_dscnt 0x0
	v_pk_mul_f32 v[122:123], v[120:121], v[118:119] op_sel:[1,1] op_sel_hi:[0,1]
	s_delay_alu instid0(VALU_DEP_1) | instskip(SKIP_2) | instid1(VALU_DEP_3)
	v_pk_fma_f32 v[124:125], v[120:121], v[118:119], v[122:123] op_sel_hi:[1,0,1]
	v_add_nc_u32_e32 v117, 1, v117
	v_pk_fma_f32 v[118:119], v[120:121], v[118:119], v[122:123] neg_lo:[0,0,1] neg_hi:[0,0,1]
	v_mov_b32_e32 v119, v125
	s_delay_alu instid0(VALU_DEP_3) | instskip(NEXT) | instid1(VALU_DEP_2)
	v_cmp_lt_u32_e32 vcc_lo, 3, v117
	v_pk_add_f32 v[112:113], v[112:113], v[118:119]
	s_or_b32 s3, vcc_lo, s3
	s_delay_alu instid0(SALU_CYCLE_1)
	s_and_not1_b32 exec_lo, exec_lo, s3
	s_cbranch_execnz .LBB53_577
; %bb.578:
	s_or_b32 exec_lo, exec_lo, s3
.LBB53_579:
	s_delay_alu instid0(SALU_CYCLE_1) | instskip(SKIP_4) | instid1(VALU_DEP_1)
	s_or_b32 exec_lo, exec_lo, s2
	v_mov_b32_e32 v115, 0
	ds_load_b64 v[116:117], v115 offset:40
	s_wait_dscnt 0x0
	v_pk_mul_f32 v[118:119], v[112:113], v[116:117] op_sel:[1,1] op_sel_hi:[0,1]
	v_pk_fma_f32 v[120:121], v[112:113], v[116:117], v[118:119] op_sel_hi:[1,0,1]
	v_pk_fma_f32 v[112:113], v[112:113], v[116:117], v[118:119] neg_lo:[0,0,1] neg_hi:[0,0,1]
	s_delay_alu instid0(VALU_DEP_2)
	v_mov_b32_e32 v113, v121
	scratch_store_b64 off, v[112:113], off offset:40
.LBB53_580:
	s_wait_xcnt 0x0
	s_or_b32 exec_lo, exec_lo, s0
	scratch_load_b64 v[112:113], off, off offset:48
	s_mov_b32 s0, exec_lo
	s_wait_loadcnt 0x0
	ds_store_b64 v1, v[112:113]
	s_wait_storecnt_dscnt 0x0
	s_barrier_signal -1
	s_barrier_wait -1
	s_wait_xcnt 0x0
	v_cmpx_gt_u32_e32 6, v0
	s_cbranch_execz .LBB53_590
; %bb.581:
	v_cmp_ne_u32_e32 vcc_lo, 1, v114
	s_cbranch_vccnz .LBB53_583
; %bb.582:
	scratch_load_b64 v[112:113], v39, off
	ds_load_b64 v[116:117], v1
	s_wait_loadcnt_dscnt 0x0
	v_pk_mul_f32 v[118:119], v[116:117], v[112:113] op_sel:[1,1] op_sel_hi:[0,1]
	s_delay_alu instid0(VALU_DEP_1) | instskip(SKIP_1) | instid1(VALU_DEP_2)
	v_pk_fma_f32 v[120:121], v[116:117], v[112:113], v[118:119] op_sel_hi:[1,0,1]
	v_pk_fma_f32 v[112:113], v[116:117], v[112:113], v[118:119] neg_lo:[0,0,1] neg_hi:[0,0,1]
	v_mov_b32_e32 v113, v121
	s_cbranch_execz .LBB53_584
	s_branch .LBB53_585
.LBB53_583:
                                        ; implicit-def: $vgpr112_vgpr113
.LBB53_584:
	ds_load_b64 v[112:113], v1
.LBB53_585:
	s_mov_b32 s2, exec_lo
	v_cmpx_ne_u32_e32 5, v0
	s_cbranch_execz .LBB53_589
; %bb.586:
	v_add_nc_u32_e32 v115, 0x1b8, v38
	v_add3_u32 v116, 0, v38, 8
	v_mov_b32_e32 v117, v0
	s_mov_b32 s3, 0
.LBB53_587:                             ; =>This Inner Loop Header: Depth=1
	scratch_load_b64 v[118:119], v116, off
	ds_load_b64 v[120:121], v115
	s_wait_xcnt 0x0
	v_dual_add_nc_u32 v115, 8, v115 :: v_dual_add_nc_u32 v116, 8, v116
	s_wait_loadcnt_dscnt 0x0
	v_pk_mul_f32 v[122:123], v[120:121], v[118:119] op_sel:[1,1] op_sel_hi:[0,1]
	s_delay_alu instid0(VALU_DEP_1) | instskip(SKIP_2) | instid1(VALU_DEP_3)
	v_pk_fma_f32 v[124:125], v[120:121], v[118:119], v[122:123] op_sel_hi:[1,0,1]
	v_add_nc_u32_e32 v117, 1, v117
	v_pk_fma_f32 v[118:119], v[120:121], v[118:119], v[122:123] neg_lo:[0,0,1] neg_hi:[0,0,1]
	v_mov_b32_e32 v119, v125
	s_delay_alu instid0(VALU_DEP_3) | instskip(NEXT) | instid1(VALU_DEP_2)
	v_cmp_lt_u32_e32 vcc_lo, 4, v117
	v_pk_add_f32 v[112:113], v[112:113], v[118:119]
	s_or_b32 s3, vcc_lo, s3
	s_delay_alu instid0(SALU_CYCLE_1)
	s_and_not1_b32 exec_lo, exec_lo, s3
	s_cbranch_execnz .LBB53_587
; %bb.588:
	s_or_b32 exec_lo, exec_lo, s3
.LBB53_589:
	s_delay_alu instid0(SALU_CYCLE_1) | instskip(SKIP_4) | instid1(VALU_DEP_1)
	s_or_b32 exec_lo, exec_lo, s2
	v_mov_b32_e32 v115, 0
	ds_load_b64 v[116:117], v115 offset:48
	s_wait_dscnt 0x0
	v_pk_mul_f32 v[118:119], v[112:113], v[116:117] op_sel:[1,1] op_sel_hi:[0,1]
	v_pk_fma_f32 v[120:121], v[112:113], v[116:117], v[118:119] op_sel_hi:[1,0,1]
	v_pk_fma_f32 v[112:113], v[112:113], v[116:117], v[118:119] neg_lo:[0,0,1] neg_hi:[0,0,1]
	s_delay_alu instid0(VALU_DEP_2)
	v_mov_b32_e32 v113, v121
	scratch_store_b64 off, v[112:113], off offset:48
.LBB53_590:
	s_wait_xcnt 0x0
	s_or_b32 exec_lo, exec_lo, s0
	scratch_load_b64 v[112:113], off, off offset:56
	s_mov_b32 s0, exec_lo
	s_wait_loadcnt 0x0
	ds_store_b64 v1, v[112:113]
	s_wait_storecnt_dscnt 0x0
	s_barrier_signal -1
	s_barrier_wait -1
	s_wait_xcnt 0x0
	v_cmpx_gt_u32_e32 7, v0
	s_cbranch_execz .LBB53_600
; %bb.591:
	v_cmp_ne_u32_e32 vcc_lo, 1, v114
	s_cbranch_vccnz .LBB53_593
; %bb.592:
	scratch_load_b64 v[112:113], v39, off
	ds_load_b64 v[116:117], v1
	s_wait_loadcnt_dscnt 0x0
	v_pk_mul_f32 v[118:119], v[116:117], v[112:113] op_sel:[1,1] op_sel_hi:[0,1]
	s_delay_alu instid0(VALU_DEP_1) | instskip(SKIP_1) | instid1(VALU_DEP_2)
	v_pk_fma_f32 v[120:121], v[116:117], v[112:113], v[118:119] op_sel_hi:[1,0,1]
	v_pk_fma_f32 v[112:113], v[116:117], v[112:113], v[118:119] neg_lo:[0,0,1] neg_hi:[0,0,1]
	v_mov_b32_e32 v113, v121
	s_cbranch_execz .LBB53_594
	s_branch .LBB53_595
.LBB53_593:
                                        ; implicit-def: $vgpr112_vgpr113
.LBB53_594:
	ds_load_b64 v[112:113], v1
.LBB53_595:
	s_mov_b32 s2, exec_lo
	v_cmpx_ne_u32_e32 6, v0
	s_cbranch_execz .LBB53_599
; %bb.596:
	v_add_nc_u32_e32 v115, 0x1b8, v38
	v_add3_u32 v116, 0, v38, 8
	v_mov_b32_e32 v117, v0
	s_mov_b32 s3, 0
.LBB53_597:                             ; =>This Inner Loop Header: Depth=1
	scratch_load_b64 v[118:119], v116, off
	ds_load_b64 v[120:121], v115
	s_wait_xcnt 0x0
	v_dual_add_nc_u32 v115, 8, v115 :: v_dual_add_nc_u32 v116, 8, v116
	s_wait_loadcnt_dscnt 0x0
	v_pk_mul_f32 v[122:123], v[120:121], v[118:119] op_sel:[1,1] op_sel_hi:[0,1]
	s_delay_alu instid0(VALU_DEP_1) | instskip(SKIP_2) | instid1(VALU_DEP_3)
	v_pk_fma_f32 v[124:125], v[120:121], v[118:119], v[122:123] op_sel_hi:[1,0,1]
	v_add_nc_u32_e32 v117, 1, v117
	v_pk_fma_f32 v[118:119], v[120:121], v[118:119], v[122:123] neg_lo:[0,0,1] neg_hi:[0,0,1]
	v_mov_b32_e32 v119, v125
	s_delay_alu instid0(VALU_DEP_3) | instskip(NEXT) | instid1(VALU_DEP_2)
	v_cmp_lt_u32_e32 vcc_lo, 5, v117
	v_pk_add_f32 v[112:113], v[112:113], v[118:119]
	s_or_b32 s3, vcc_lo, s3
	s_delay_alu instid0(SALU_CYCLE_1)
	s_and_not1_b32 exec_lo, exec_lo, s3
	s_cbranch_execnz .LBB53_597
; %bb.598:
	s_or_b32 exec_lo, exec_lo, s3
.LBB53_599:
	s_delay_alu instid0(SALU_CYCLE_1) | instskip(SKIP_4) | instid1(VALU_DEP_1)
	s_or_b32 exec_lo, exec_lo, s2
	v_mov_b32_e32 v115, 0
	ds_load_b64 v[116:117], v115 offset:56
	s_wait_dscnt 0x0
	v_pk_mul_f32 v[118:119], v[112:113], v[116:117] op_sel:[1,1] op_sel_hi:[0,1]
	v_pk_fma_f32 v[120:121], v[112:113], v[116:117], v[118:119] op_sel_hi:[1,0,1]
	v_pk_fma_f32 v[112:113], v[112:113], v[116:117], v[118:119] neg_lo:[0,0,1] neg_hi:[0,0,1]
	s_delay_alu instid0(VALU_DEP_2)
	v_mov_b32_e32 v113, v121
	scratch_store_b64 off, v[112:113], off offset:56
.LBB53_600:
	s_wait_xcnt 0x0
	s_or_b32 exec_lo, exec_lo, s0
	scratch_load_b64 v[112:113], off, off offset:64
	s_mov_b32 s0, exec_lo
	s_wait_loadcnt 0x0
	ds_store_b64 v1, v[112:113]
	s_wait_storecnt_dscnt 0x0
	s_barrier_signal -1
	s_barrier_wait -1
	s_wait_xcnt 0x0
	v_cmpx_gt_u32_e32 8, v0
	s_cbranch_execz .LBB53_610
; %bb.601:
	v_cmp_ne_u32_e32 vcc_lo, 1, v114
	s_cbranch_vccnz .LBB53_603
; %bb.602:
	scratch_load_b64 v[112:113], v39, off
	ds_load_b64 v[116:117], v1
	s_wait_loadcnt_dscnt 0x0
	v_pk_mul_f32 v[118:119], v[116:117], v[112:113] op_sel:[1,1] op_sel_hi:[0,1]
	s_delay_alu instid0(VALU_DEP_1) | instskip(SKIP_1) | instid1(VALU_DEP_2)
	v_pk_fma_f32 v[120:121], v[116:117], v[112:113], v[118:119] op_sel_hi:[1,0,1]
	v_pk_fma_f32 v[112:113], v[116:117], v[112:113], v[118:119] neg_lo:[0,0,1] neg_hi:[0,0,1]
	v_mov_b32_e32 v113, v121
	s_cbranch_execz .LBB53_604
	s_branch .LBB53_605
.LBB53_603:
                                        ; implicit-def: $vgpr112_vgpr113
.LBB53_604:
	ds_load_b64 v[112:113], v1
.LBB53_605:
	s_mov_b32 s2, exec_lo
	v_cmpx_ne_u32_e32 7, v0
	s_cbranch_execz .LBB53_609
; %bb.606:
	v_add_nc_u32_e32 v115, 0x1b8, v38
	v_add3_u32 v116, 0, v38, 8
	v_mov_b32_e32 v117, v0
	s_mov_b32 s3, 0
.LBB53_607:                             ; =>This Inner Loop Header: Depth=1
	scratch_load_b64 v[118:119], v116, off
	ds_load_b64 v[120:121], v115
	s_wait_xcnt 0x0
	v_dual_add_nc_u32 v115, 8, v115 :: v_dual_add_nc_u32 v116, 8, v116
	s_wait_loadcnt_dscnt 0x0
	v_pk_mul_f32 v[122:123], v[120:121], v[118:119] op_sel:[1,1] op_sel_hi:[0,1]
	s_delay_alu instid0(VALU_DEP_1) | instskip(SKIP_2) | instid1(VALU_DEP_3)
	v_pk_fma_f32 v[124:125], v[120:121], v[118:119], v[122:123] op_sel_hi:[1,0,1]
	v_add_nc_u32_e32 v117, 1, v117
	v_pk_fma_f32 v[118:119], v[120:121], v[118:119], v[122:123] neg_lo:[0,0,1] neg_hi:[0,0,1]
	v_mov_b32_e32 v119, v125
	s_delay_alu instid0(VALU_DEP_3) | instskip(NEXT) | instid1(VALU_DEP_2)
	v_cmp_lt_u32_e32 vcc_lo, 6, v117
	v_pk_add_f32 v[112:113], v[112:113], v[118:119]
	s_or_b32 s3, vcc_lo, s3
	s_delay_alu instid0(SALU_CYCLE_1)
	s_and_not1_b32 exec_lo, exec_lo, s3
	s_cbranch_execnz .LBB53_607
; %bb.608:
	s_or_b32 exec_lo, exec_lo, s3
.LBB53_609:
	s_delay_alu instid0(SALU_CYCLE_1) | instskip(SKIP_4) | instid1(VALU_DEP_1)
	s_or_b32 exec_lo, exec_lo, s2
	v_mov_b32_e32 v115, 0
	ds_load_b64 v[116:117], v115 offset:64
	s_wait_dscnt 0x0
	v_pk_mul_f32 v[118:119], v[112:113], v[116:117] op_sel:[1,1] op_sel_hi:[0,1]
	v_pk_fma_f32 v[120:121], v[112:113], v[116:117], v[118:119] op_sel_hi:[1,0,1]
	v_pk_fma_f32 v[112:113], v[112:113], v[116:117], v[118:119] neg_lo:[0,0,1] neg_hi:[0,0,1]
	s_delay_alu instid0(VALU_DEP_2)
	v_mov_b32_e32 v113, v121
	scratch_store_b64 off, v[112:113], off offset:64
.LBB53_610:
	s_wait_xcnt 0x0
	s_or_b32 exec_lo, exec_lo, s0
	scratch_load_b64 v[112:113], off, off offset:72
	s_mov_b32 s0, exec_lo
	s_wait_loadcnt 0x0
	ds_store_b64 v1, v[112:113]
	s_wait_storecnt_dscnt 0x0
	s_barrier_signal -1
	s_barrier_wait -1
	s_wait_xcnt 0x0
	v_cmpx_gt_u32_e32 9, v0
	s_cbranch_execz .LBB53_620
; %bb.611:
	v_cmp_ne_u32_e32 vcc_lo, 1, v114
	s_cbranch_vccnz .LBB53_613
; %bb.612:
	scratch_load_b64 v[112:113], v39, off
	ds_load_b64 v[116:117], v1
	s_wait_loadcnt_dscnt 0x0
	v_pk_mul_f32 v[118:119], v[116:117], v[112:113] op_sel:[1,1] op_sel_hi:[0,1]
	s_delay_alu instid0(VALU_DEP_1) | instskip(SKIP_1) | instid1(VALU_DEP_2)
	v_pk_fma_f32 v[120:121], v[116:117], v[112:113], v[118:119] op_sel_hi:[1,0,1]
	v_pk_fma_f32 v[112:113], v[116:117], v[112:113], v[118:119] neg_lo:[0,0,1] neg_hi:[0,0,1]
	v_mov_b32_e32 v113, v121
	s_cbranch_execz .LBB53_614
	s_branch .LBB53_615
.LBB53_613:
                                        ; implicit-def: $vgpr112_vgpr113
.LBB53_614:
	ds_load_b64 v[112:113], v1
.LBB53_615:
	s_mov_b32 s2, exec_lo
	v_cmpx_ne_u32_e32 8, v0
	s_cbranch_execz .LBB53_619
; %bb.616:
	v_add_nc_u32_e32 v115, 0x1b8, v38
	v_add3_u32 v116, 0, v38, 8
	v_mov_b32_e32 v117, v0
	s_mov_b32 s3, 0
.LBB53_617:                             ; =>This Inner Loop Header: Depth=1
	scratch_load_b64 v[118:119], v116, off
	ds_load_b64 v[120:121], v115
	s_wait_xcnt 0x0
	v_dual_add_nc_u32 v115, 8, v115 :: v_dual_add_nc_u32 v116, 8, v116
	s_wait_loadcnt_dscnt 0x0
	v_pk_mul_f32 v[122:123], v[120:121], v[118:119] op_sel:[1,1] op_sel_hi:[0,1]
	s_delay_alu instid0(VALU_DEP_1) | instskip(SKIP_2) | instid1(VALU_DEP_3)
	v_pk_fma_f32 v[124:125], v[120:121], v[118:119], v[122:123] op_sel_hi:[1,0,1]
	v_add_nc_u32_e32 v117, 1, v117
	v_pk_fma_f32 v[118:119], v[120:121], v[118:119], v[122:123] neg_lo:[0,0,1] neg_hi:[0,0,1]
	v_mov_b32_e32 v119, v125
	s_delay_alu instid0(VALU_DEP_3) | instskip(NEXT) | instid1(VALU_DEP_2)
	v_cmp_lt_u32_e32 vcc_lo, 7, v117
	v_pk_add_f32 v[112:113], v[112:113], v[118:119]
	s_or_b32 s3, vcc_lo, s3
	s_delay_alu instid0(SALU_CYCLE_1)
	s_and_not1_b32 exec_lo, exec_lo, s3
	s_cbranch_execnz .LBB53_617
; %bb.618:
	s_or_b32 exec_lo, exec_lo, s3
.LBB53_619:
	s_delay_alu instid0(SALU_CYCLE_1) | instskip(SKIP_4) | instid1(VALU_DEP_1)
	s_or_b32 exec_lo, exec_lo, s2
	v_mov_b32_e32 v115, 0
	ds_load_b64 v[116:117], v115 offset:72
	s_wait_dscnt 0x0
	v_pk_mul_f32 v[118:119], v[112:113], v[116:117] op_sel:[1,1] op_sel_hi:[0,1]
	v_pk_fma_f32 v[120:121], v[112:113], v[116:117], v[118:119] op_sel_hi:[1,0,1]
	v_pk_fma_f32 v[112:113], v[112:113], v[116:117], v[118:119] neg_lo:[0,0,1] neg_hi:[0,0,1]
	s_delay_alu instid0(VALU_DEP_2)
	v_mov_b32_e32 v113, v121
	scratch_store_b64 off, v[112:113], off offset:72
.LBB53_620:
	s_wait_xcnt 0x0
	s_or_b32 exec_lo, exec_lo, s0
	scratch_load_b64 v[112:113], off, off offset:80
	s_mov_b32 s0, exec_lo
	s_wait_loadcnt 0x0
	ds_store_b64 v1, v[112:113]
	s_wait_storecnt_dscnt 0x0
	s_barrier_signal -1
	s_barrier_wait -1
	s_wait_xcnt 0x0
	v_cmpx_gt_u32_e32 10, v0
	s_cbranch_execz .LBB53_630
; %bb.621:
	v_cmp_ne_u32_e32 vcc_lo, 1, v114
	s_cbranch_vccnz .LBB53_623
; %bb.622:
	scratch_load_b64 v[112:113], v39, off
	ds_load_b64 v[116:117], v1
	s_wait_loadcnt_dscnt 0x0
	v_pk_mul_f32 v[118:119], v[116:117], v[112:113] op_sel:[1,1] op_sel_hi:[0,1]
	s_delay_alu instid0(VALU_DEP_1) | instskip(SKIP_1) | instid1(VALU_DEP_2)
	v_pk_fma_f32 v[120:121], v[116:117], v[112:113], v[118:119] op_sel_hi:[1,0,1]
	v_pk_fma_f32 v[112:113], v[116:117], v[112:113], v[118:119] neg_lo:[0,0,1] neg_hi:[0,0,1]
	v_mov_b32_e32 v113, v121
	s_cbranch_execz .LBB53_624
	s_branch .LBB53_625
.LBB53_623:
                                        ; implicit-def: $vgpr112_vgpr113
.LBB53_624:
	ds_load_b64 v[112:113], v1
.LBB53_625:
	s_mov_b32 s2, exec_lo
	v_cmpx_ne_u32_e32 9, v0
	s_cbranch_execz .LBB53_629
; %bb.626:
	v_add_nc_u32_e32 v115, 0x1b8, v38
	v_add3_u32 v116, 0, v38, 8
	v_mov_b32_e32 v117, v0
	s_mov_b32 s3, 0
.LBB53_627:                             ; =>This Inner Loop Header: Depth=1
	scratch_load_b64 v[118:119], v116, off
	ds_load_b64 v[120:121], v115
	s_wait_xcnt 0x0
	v_dual_add_nc_u32 v115, 8, v115 :: v_dual_add_nc_u32 v116, 8, v116
	s_wait_loadcnt_dscnt 0x0
	v_pk_mul_f32 v[122:123], v[120:121], v[118:119] op_sel:[1,1] op_sel_hi:[0,1]
	s_delay_alu instid0(VALU_DEP_1) | instskip(SKIP_2) | instid1(VALU_DEP_3)
	v_pk_fma_f32 v[124:125], v[120:121], v[118:119], v[122:123] op_sel_hi:[1,0,1]
	v_add_nc_u32_e32 v117, 1, v117
	v_pk_fma_f32 v[118:119], v[120:121], v[118:119], v[122:123] neg_lo:[0,0,1] neg_hi:[0,0,1]
	v_mov_b32_e32 v119, v125
	s_delay_alu instid0(VALU_DEP_3) | instskip(NEXT) | instid1(VALU_DEP_2)
	v_cmp_lt_u32_e32 vcc_lo, 8, v117
	v_pk_add_f32 v[112:113], v[112:113], v[118:119]
	s_or_b32 s3, vcc_lo, s3
	s_delay_alu instid0(SALU_CYCLE_1)
	s_and_not1_b32 exec_lo, exec_lo, s3
	s_cbranch_execnz .LBB53_627
; %bb.628:
	s_or_b32 exec_lo, exec_lo, s3
.LBB53_629:
	s_delay_alu instid0(SALU_CYCLE_1) | instskip(SKIP_4) | instid1(VALU_DEP_1)
	s_or_b32 exec_lo, exec_lo, s2
	v_mov_b32_e32 v115, 0
	ds_load_b64 v[116:117], v115 offset:80
	s_wait_dscnt 0x0
	v_pk_mul_f32 v[118:119], v[112:113], v[116:117] op_sel:[1,1] op_sel_hi:[0,1]
	v_pk_fma_f32 v[120:121], v[112:113], v[116:117], v[118:119] op_sel_hi:[1,0,1]
	v_pk_fma_f32 v[112:113], v[112:113], v[116:117], v[118:119] neg_lo:[0,0,1] neg_hi:[0,0,1]
	s_delay_alu instid0(VALU_DEP_2)
	v_mov_b32_e32 v113, v121
	scratch_store_b64 off, v[112:113], off offset:80
.LBB53_630:
	s_wait_xcnt 0x0
	s_or_b32 exec_lo, exec_lo, s0
	scratch_load_b64 v[112:113], off, off offset:88
	s_mov_b32 s0, exec_lo
	s_wait_loadcnt 0x0
	ds_store_b64 v1, v[112:113]
	s_wait_storecnt_dscnt 0x0
	s_barrier_signal -1
	s_barrier_wait -1
	s_wait_xcnt 0x0
	v_cmpx_gt_u32_e32 11, v0
	s_cbranch_execz .LBB53_640
; %bb.631:
	v_cmp_ne_u32_e32 vcc_lo, 1, v114
	s_cbranch_vccnz .LBB53_633
; %bb.632:
	scratch_load_b64 v[112:113], v39, off
	ds_load_b64 v[116:117], v1
	s_wait_loadcnt_dscnt 0x0
	v_pk_mul_f32 v[118:119], v[116:117], v[112:113] op_sel:[1,1] op_sel_hi:[0,1]
	s_delay_alu instid0(VALU_DEP_1) | instskip(SKIP_1) | instid1(VALU_DEP_2)
	v_pk_fma_f32 v[120:121], v[116:117], v[112:113], v[118:119] op_sel_hi:[1,0,1]
	v_pk_fma_f32 v[112:113], v[116:117], v[112:113], v[118:119] neg_lo:[0,0,1] neg_hi:[0,0,1]
	v_mov_b32_e32 v113, v121
	s_cbranch_execz .LBB53_634
	s_branch .LBB53_635
.LBB53_633:
                                        ; implicit-def: $vgpr112_vgpr113
.LBB53_634:
	ds_load_b64 v[112:113], v1
.LBB53_635:
	s_mov_b32 s2, exec_lo
	v_cmpx_ne_u32_e32 10, v0
	s_cbranch_execz .LBB53_639
; %bb.636:
	v_add_nc_u32_e32 v115, 0x1b8, v38
	v_add3_u32 v116, 0, v38, 8
	v_mov_b32_e32 v117, v0
	s_mov_b32 s3, 0
.LBB53_637:                             ; =>This Inner Loop Header: Depth=1
	scratch_load_b64 v[118:119], v116, off
	ds_load_b64 v[120:121], v115
	s_wait_xcnt 0x0
	v_dual_add_nc_u32 v115, 8, v115 :: v_dual_add_nc_u32 v116, 8, v116
	s_wait_loadcnt_dscnt 0x0
	v_pk_mul_f32 v[122:123], v[120:121], v[118:119] op_sel:[1,1] op_sel_hi:[0,1]
	s_delay_alu instid0(VALU_DEP_1) | instskip(SKIP_2) | instid1(VALU_DEP_3)
	v_pk_fma_f32 v[124:125], v[120:121], v[118:119], v[122:123] op_sel_hi:[1,0,1]
	v_add_nc_u32_e32 v117, 1, v117
	v_pk_fma_f32 v[118:119], v[120:121], v[118:119], v[122:123] neg_lo:[0,0,1] neg_hi:[0,0,1]
	v_mov_b32_e32 v119, v125
	s_delay_alu instid0(VALU_DEP_3) | instskip(NEXT) | instid1(VALU_DEP_2)
	v_cmp_lt_u32_e32 vcc_lo, 9, v117
	v_pk_add_f32 v[112:113], v[112:113], v[118:119]
	s_or_b32 s3, vcc_lo, s3
	s_delay_alu instid0(SALU_CYCLE_1)
	s_and_not1_b32 exec_lo, exec_lo, s3
	s_cbranch_execnz .LBB53_637
; %bb.638:
	s_or_b32 exec_lo, exec_lo, s3
.LBB53_639:
	s_delay_alu instid0(SALU_CYCLE_1) | instskip(SKIP_4) | instid1(VALU_DEP_1)
	s_or_b32 exec_lo, exec_lo, s2
	v_mov_b32_e32 v115, 0
	ds_load_b64 v[116:117], v115 offset:88
	s_wait_dscnt 0x0
	v_pk_mul_f32 v[118:119], v[112:113], v[116:117] op_sel:[1,1] op_sel_hi:[0,1]
	v_pk_fma_f32 v[120:121], v[112:113], v[116:117], v[118:119] op_sel_hi:[1,0,1]
	v_pk_fma_f32 v[112:113], v[112:113], v[116:117], v[118:119] neg_lo:[0,0,1] neg_hi:[0,0,1]
	s_delay_alu instid0(VALU_DEP_2)
	v_mov_b32_e32 v113, v121
	scratch_store_b64 off, v[112:113], off offset:88
.LBB53_640:
	s_wait_xcnt 0x0
	s_or_b32 exec_lo, exec_lo, s0
	scratch_load_b64 v[112:113], off, off offset:96
	s_mov_b32 s0, exec_lo
	s_wait_loadcnt 0x0
	ds_store_b64 v1, v[112:113]
	s_wait_storecnt_dscnt 0x0
	s_barrier_signal -1
	s_barrier_wait -1
	s_wait_xcnt 0x0
	v_cmpx_gt_u32_e32 12, v0
	s_cbranch_execz .LBB53_650
; %bb.641:
	v_cmp_ne_u32_e32 vcc_lo, 1, v114
	s_cbranch_vccnz .LBB53_643
; %bb.642:
	scratch_load_b64 v[112:113], v39, off
	ds_load_b64 v[116:117], v1
	s_wait_loadcnt_dscnt 0x0
	v_pk_mul_f32 v[118:119], v[116:117], v[112:113] op_sel:[1,1] op_sel_hi:[0,1]
	s_delay_alu instid0(VALU_DEP_1) | instskip(SKIP_1) | instid1(VALU_DEP_2)
	v_pk_fma_f32 v[120:121], v[116:117], v[112:113], v[118:119] op_sel_hi:[1,0,1]
	v_pk_fma_f32 v[112:113], v[116:117], v[112:113], v[118:119] neg_lo:[0,0,1] neg_hi:[0,0,1]
	v_mov_b32_e32 v113, v121
	s_cbranch_execz .LBB53_644
	s_branch .LBB53_645
.LBB53_643:
                                        ; implicit-def: $vgpr112_vgpr113
.LBB53_644:
	ds_load_b64 v[112:113], v1
.LBB53_645:
	s_mov_b32 s2, exec_lo
	v_cmpx_ne_u32_e32 11, v0
	s_cbranch_execz .LBB53_649
; %bb.646:
	v_add_nc_u32_e32 v115, 0x1b8, v38
	v_add3_u32 v116, 0, v38, 8
	v_mov_b32_e32 v117, v0
	s_mov_b32 s3, 0
.LBB53_647:                             ; =>This Inner Loop Header: Depth=1
	scratch_load_b64 v[118:119], v116, off
	ds_load_b64 v[120:121], v115
	s_wait_xcnt 0x0
	v_dual_add_nc_u32 v115, 8, v115 :: v_dual_add_nc_u32 v116, 8, v116
	s_wait_loadcnt_dscnt 0x0
	v_pk_mul_f32 v[122:123], v[120:121], v[118:119] op_sel:[1,1] op_sel_hi:[0,1]
	s_delay_alu instid0(VALU_DEP_1) | instskip(SKIP_2) | instid1(VALU_DEP_3)
	v_pk_fma_f32 v[124:125], v[120:121], v[118:119], v[122:123] op_sel_hi:[1,0,1]
	v_add_nc_u32_e32 v117, 1, v117
	v_pk_fma_f32 v[118:119], v[120:121], v[118:119], v[122:123] neg_lo:[0,0,1] neg_hi:[0,0,1]
	v_mov_b32_e32 v119, v125
	s_delay_alu instid0(VALU_DEP_3) | instskip(NEXT) | instid1(VALU_DEP_2)
	v_cmp_lt_u32_e32 vcc_lo, 10, v117
	v_pk_add_f32 v[112:113], v[112:113], v[118:119]
	s_or_b32 s3, vcc_lo, s3
	s_delay_alu instid0(SALU_CYCLE_1)
	s_and_not1_b32 exec_lo, exec_lo, s3
	s_cbranch_execnz .LBB53_647
; %bb.648:
	s_or_b32 exec_lo, exec_lo, s3
.LBB53_649:
	s_delay_alu instid0(SALU_CYCLE_1) | instskip(SKIP_4) | instid1(VALU_DEP_1)
	s_or_b32 exec_lo, exec_lo, s2
	v_mov_b32_e32 v115, 0
	ds_load_b64 v[116:117], v115 offset:96
	s_wait_dscnt 0x0
	v_pk_mul_f32 v[118:119], v[112:113], v[116:117] op_sel:[1,1] op_sel_hi:[0,1]
	v_pk_fma_f32 v[120:121], v[112:113], v[116:117], v[118:119] op_sel_hi:[1,0,1]
	v_pk_fma_f32 v[112:113], v[112:113], v[116:117], v[118:119] neg_lo:[0,0,1] neg_hi:[0,0,1]
	s_delay_alu instid0(VALU_DEP_2)
	v_mov_b32_e32 v113, v121
	scratch_store_b64 off, v[112:113], off offset:96
.LBB53_650:
	s_wait_xcnt 0x0
	s_or_b32 exec_lo, exec_lo, s0
	scratch_load_b64 v[112:113], off, off offset:104
	s_mov_b32 s0, exec_lo
	s_wait_loadcnt 0x0
	ds_store_b64 v1, v[112:113]
	s_wait_storecnt_dscnt 0x0
	s_barrier_signal -1
	s_barrier_wait -1
	s_wait_xcnt 0x0
	v_cmpx_gt_u32_e32 13, v0
	s_cbranch_execz .LBB53_660
; %bb.651:
	v_cmp_ne_u32_e32 vcc_lo, 1, v114
	s_cbranch_vccnz .LBB53_653
; %bb.652:
	scratch_load_b64 v[112:113], v39, off
	ds_load_b64 v[116:117], v1
	s_wait_loadcnt_dscnt 0x0
	v_pk_mul_f32 v[118:119], v[116:117], v[112:113] op_sel:[1,1] op_sel_hi:[0,1]
	s_delay_alu instid0(VALU_DEP_1) | instskip(SKIP_1) | instid1(VALU_DEP_2)
	v_pk_fma_f32 v[120:121], v[116:117], v[112:113], v[118:119] op_sel_hi:[1,0,1]
	v_pk_fma_f32 v[112:113], v[116:117], v[112:113], v[118:119] neg_lo:[0,0,1] neg_hi:[0,0,1]
	v_mov_b32_e32 v113, v121
	s_cbranch_execz .LBB53_654
	s_branch .LBB53_655
.LBB53_653:
                                        ; implicit-def: $vgpr112_vgpr113
.LBB53_654:
	ds_load_b64 v[112:113], v1
.LBB53_655:
	s_mov_b32 s2, exec_lo
	v_cmpx_ne_u32_e32 12, v0
	s_cbranch_execz .LBB53_659
; %bb.656:
	v_add_nc_u32_e32 v115, 0x1b8, v38
	v_add3_u32 v116, 0, v38, 8
	v_mov_b32_e32 v117, v0
	s_mov_b32 s3, 0
.LBB53_657:                             ; =>This Inner Loop Header: Depth=1
	scratch_load_b64 v[118:119], v116, off
	ds_load_b64 v[120:121], v115
	s_wait_xcnt 0x0
	v_dual_add_nc_u32 v115, 8, v115 :: v_dual_add_nc_u32 v116, 8, v116
	s_wait_loadcnt_dscnt 0x0
	v_pk_mul_f32 v[122:123], v[120:121], v[118:119] op_sel:[1,1] op_sel_hi:[0,1]
	s_delay_alu instid0(VALU_DEP_1) | instskip(SKIP_2) | instid1(VALU_DEP_3)
	v_pk_fma_f32 v[124:125], v[120:121], v[118:119], v[122:123] op_sel_hi:[1,0,1]
	v_add_nc_u32_e32 v117, 1, v117
	v_pk_fma_f32 v[118:119], v[120:121], v[118:119], v[122:123] neg_lo:[0,0,1] neg_hi:[0,0,1]
	v_mov_b32_e32 v119, v125
	s_delay_alu instid0(VALU_DEP_3) | instskip(NEXT) | instid1(VALU_DEP_2)
	v_cmp_lt_u32_e32 vcc_lo, 11, v117
	v_pk_add_f32 v[112:113], v[112:113], v[118:119]
	s_or_b32 s3, vcc_lo, s3
	s_delay_alu instid0(SALU_CYCLE_1)
	s_and_not1_b32 exec_lo, exec_lo, s3
	s_cbranch_execnz .LBB53_657
; %bb.658:
	s_or_b32 exec_lo, exec_lo, s3
.LBB53_659:
	s_delay_alu instid0(SALU_CYCLE_1) | instskip(SKIP_4) | instid1(VALU_DEP_1)
	s_or_b32 exec_lo, exec_lo, s2
	v_mov_b32_e32 v115, 0
	ds_load_b64 v[116:117], v115 offset:104
	s_wait_dscnt 0x0
	v_pk_mul_f32 v[118:119], v[112:113], v[116:117] op_sel:[1,1] op_sel_hi:[0,1]
	v_pk_fma_f32 v[120:121], v[112:113], v[116:117], v[118:119] op_sel_hi:[1,0,1]
	v_pk_fma_f32 v[112:113], v[112:113], v[116:117], v[118:119] neg_lo:[0,0,1] neg_hi:[0,0,1]
	s_delay_alu instid0(VALU_DEP_2)
	v_mov_b32_e32 v113, v121
	scratch_store_b64 off, v[112:113], off offset:104
.LBB53_660:
	s_wait_xcnt 0x0
	s_or_b32 exec_lo, exec_lo, s0
	scratch_load_b64 v[112:113], off, off offset:112
	s_mov_b32 s0, exec_lo
	s_wait_loadcnt 0x0
	ds_store_b64 v1, v[112:113]
	s_wait_storecnt_dscnt 0x0
	s_barrier_signal -1
	s_barrier_wait -1
	s_wait_xcnt 0x0
	v_cmpx_gt_u32_e32 14, v0
	s_cbranch_execz .LBB53_670
; %bb.661:
	v_cmp_ne_u32_e32 vcc_lo, 1, v114
	s_cbranch_vccnz .LBB53_663
; %bb.662:
	scratch_load_b64 v[112:113], v39, off
	ds_load_b64 v[116:117], v1
	s_wait_loadcnt_dscnt 0x0
	v_pk_mul_f32 v[118:119], v[116:117], v[112:113] op_sel:[1,1] op_sel_hi:[0,1]
	s_delay_alu instid0(VALU_DEP_1) | instskip(SKIP_1) | instid1(VALU_DEP_2)
	v_pk_fma_f32 v[120:121], v[116:117], v[112:113], v[118:119] op_sel_hi:[1,0,1]
	v_pk_fma_f32 v[112:113], v[116:117], v[112:113], v[118:119] neg_lo:[0,0,1] neg_hi:[0,0,1]
	v_mov_b32_e32 v113, v121
	s_cbranch_execz .LBB53_664
	s_branch .LBB53_665
.LBB53_663:
                                        ; implicit-def: $vgpr112_vgpr113
.LBB53_664:
	ds_load_b64 v[112:113], v1
.LBB53_665:
	s_mov_b32 s2, exec_lo
	v_cmpx_ne_u32_e32 13, v0
	s_cbranch_execz .LBB53_669
; %bb.666:
	v_add_nc_u32_e32 v115, 0x1b8, v38
	v_add3_u32 v116, 0, v38, 8
	v_mov_b32_e32 v117, v0
	s_mov_b32 s3, 0
.LBB53_667:                             ; =>This Inner Loop Header: Depth=1
	scratch_load_b64 v[118:119], v116, off
	ds_load_b64 v[120:121], v115
	s_wait_xcnt 0x0
	v_dual_add_nc_u32 v115, 8, v115 :: v_dual_add_nc_u32 v116, 8, v116
	s_wait_loadcnt_dscnt 0x0
	v_pk_mul_f32 v[122:123], v[120:121], v[118:119] op_sel:[1,1] op_sel_hi:[0,1]
	s_delay_alu instid0(VALU_DEP_1) | instskip(SKIP_2) | instid1(VALU_DEP_3)
	v_pk_fma_f32 v[124:125], v[120:121], v[118:119], v[122:123] op_sel_hi:[1,0,1]
	v_add_nc_u32_e32 v117, 1, v117
	v_pk_fma_f32 v[118:119], v[120:121], v[118:119], v[122:123] neg_lo:[0,0,1] neg_hi:[0,0,1]
	v_mov_b32_e32 v119, v125
	s_delay_alu instid0(VALU_DEP_3) | instskip(NEXT) | instid1(VALU_DEP_2)
	v_cmp_lt_u32_e32 vcc_lo, 12, v117
	v_pk_add_f32 v[112:113], v[112:113], v[118:119]
	s_or_b32 s3, vcc_lo, s3
	s_delay_alu instid0(SALU_CYCLE_1)
	s_and_not1_b32 exec_lo, exec_lo, s3
	s_cbranch_execnz .LBB53_667
; %bb.668:
	s_or_b32 exec_lo, exec_lo, s3
.LBB53_669:
	s_delay_alu instid0(SALU_CYCLE_1) | instskip(SKIP_4) | instid1(VALU_DEP_1)
	s_or_b32 exec_lo, exec_lo, s2
	v_mov_b32_e32 v115, 0
	ds_load_b64 v[116:117], v115 offset:112
	s_wait_dscnt 0x0
	v_pk_mul_f32 v[118:119], v[112:113], v[116:117] op_sel:[1,1] op_sel_hi:[0,1]
	v_pk_fma_f32 v[120:121], v[112:113], v[116:117], v[118:119] op_sel_hi:[1,0,1]
	v_pk_fma_f32 v[112:113], v[112:113], v[116:117], v[118:119] neg_lo:[0,0,1] neg_hi:[0,0,1]
	s_delay_alu instid0(VALU_DEP_2)
	v_mov_b32_e32 v113, v121
	scratch_store_b64 off, v[112:113], off offset:112
.LBB53_670:
	s_wait_xcnt 0x0
	s_or_b32 exec_lo, exec_lo, s0
	scratch_load_b64 v[112:113], off, off offset:120
	s_mov_b32 s0, exec_lo
	s_wait_loadcnt 0x0
	ds_store_b64 v1, v[112:113]
	s_wait_storecnt_dscnt 0x0
	s_barrier_signal -1
	s_barrier_wait -1
	s_wait_xcnt 0x0
	v_cmpx_gt_u32_e32 15, v0
	s_cbranch_execz .LBB53_680
; %bb.671:
	v_cmp_ne_u32_e32 vcc_lo, 1, v114
	s_cbranch_vccnz .LBB53_673
; %bb.672:
	scratch_load_b64 v[112:113], v39, off
	ds_load_b64 v[116:117], v1
	s_wait_loadcnt_dscnt 0x0
	v_pk_mul_f32 v[118:119], v[116:117], v[112:113] op_sel:[1,1] op_sel_hi:[0,1]
	s_delay_alu instid0(VALU_DEP_1) | instskip(SKIP_1) | instid1(VALU_DEP_2)
	v_pk_fma_f32 v[120:121], v[116:117], v[112:113], v[118:119] op_sel_hi:[1,0,1]
	v_pk_fma_f32 v[112:113], v[116:117], v[112:113], v[118:119] neg_lo:[0,0,1] neg_hi:[0,0,1]
	v_mov_b32_e32 v113, v121
	s_cbranch_execz .LBB53_674
	s_branch .LBB53_675
.LBB53_673:
                                        ; implicit-def: $vgpr112_vgpr113
.LBB53_674:
	ds_load_b64 v[112:113], v1
.LBB53_675:
	s_mov_b32 s2, exec_lo
	v_cmpx_ne_u32_e32 14, v0
	s_cbranch_execz .LBB53_679
; %bb.676:
	v_add_nc_u32_e32 v115, 0x1b8, v38
	v_add3_u32 v116, 0, v38, 8
	v_mov_b32_e32 v117, v0
	s_mov_b32 s3, 0
.LBB53_677:                             ; =>This Inner Loop Header: Depth=1
	scratch_load_b64 v[118:119], v116, off
	ds_load_b64 v[120:121], v115
	s_wait_xcnt 0x0
	v_dual_add_nc_u32 v115, 8, v115 :: v_dual_add_nc_u32 v116, 8, v116
	s_wait_loadcnt_dscnt 0x0
	v_pk_mul_f32 v[122:123], v[120:121], v[118:119] op_sel:[1,1] op_sel_hi:[0,1]
	s_delay_alu instid0(VALU_DEP_1) | instskip(SKIP_2) | instid1(VALU_DEP_3)
	v_pk_fma_f32 v[124:125], v[120:121], v[118:119], v[122:123] op_sel_hi:[1,0,1]
	v_add_nc_u32_e32 v117, 1, v117
	v_pk_fma_f32 v[118:119], v[120:121], v[118:119], v[122:123] neg_lo:[0,0,1] neg_hi:[0,0,1]
	v_mov_b32_e32 v119, v125
	s_delay_alu instid0(VALU_DEP_3) | instskip(NEXT) | instid1(VALU_DEP_2)
	v_cmp_lt_u32_e32 vcc_lo, 13, v117
	v_pk_add_f32 v[112:113], v[112:113], v[118:119]
	s_or_b32 s3, vcc_lo, s3
	s_delay_alu instid0(SALU_CYCLE_1)
	s_and_not1_b32 exec_lo, exec_lo, s3
	s_cbranch_execnz .LBB53_677
; %bb.678:
	s_or_b32 exec_lo, exec_lo, s3
.LBB53_679:
	s_delay_alu instid0(SALU_CYCLE_1) | instskip(SKIP_4) | instid1(VALU_DEP_1)
	s_or_b32 exec_lo, exec_lo, s2
	v_mov_b32_e32 v115, 0
	ds_load_b64 v[116:117], v115 offset:120
	s_wait_dscnt 0x0
	v_pk_mul_f32 v[118:119], v[112:113], v[116:117] op_sel:[1,1] op_sel_hi:[0,1]
	v_pk_fma_f32 v[120:121], v[112:113], v[116:117], v[118:119] op_sel_hi:[1,0,1]
	v_pk_fma_f32 v[112:113], v[112:113], v[116:117], v[118:119] neg_lo:[0,0,1] neg_hi:[0,0,1]
	s_delay_alu instid0(VALU_DEP_2)
	v_mov_b32_e32 v113, v121
	scratch_store_b64 off, v[112:113], off offset:120
.LBB53_680:
	s_wait_xcnt 0x0
	s_or_b32 exec_lo, exec_lo, s0
	scratch_load_b64 v[112:113], off, off offset:128
	s_mov_b32 s0, exec_lo
	s_wait_loadcnt 0x0
	ds_store_b64 v1, v[112:113]
	s_wait_storecnt_dscnt 0x0
	s_barrier_signal -1
	s_barrier_wait -1
	s_wait_xcnt 0x0
	v_cmpx_gt_u32_e32 16, v0
	s_cbranch_execz .LBB53_690
; %bb.681:
	v_cmp_ne_u32_e32 vcc_lo, 1, v114
	s_cbranch_vccnz .LBB53_683
; %bb.682:
	scratch_load_b64 v[112:113], v39, off
	ds_load_b64 v[116:117], v1
	s_wait_loadcnt_dscnt 0x0
	v_pk_mul_f32 v[118:119], v[116:117], v[112:113] op_sel:[1,1] op_sel_hi:[0,1]
	s_delay_alu instid0(VALU_DEP_1) | instskip(SKIP_1) | instid1(VALU_DEP_2)
	v_pk_fma_f32 v[120:121], v[116:117], v[112:113], v[118:119] op_sel_hi:[1,0,1]
	v_pk_fma_f32 v[112:113], v[116:117], v[112:113], v[118:119] neg_lo:[0,0,1] neg_hi:[0,0,1]
	v_mov_b32_e32 v113, v121
	s_cbranch_execz .LBB53_684
	s_branch .LBB53_685
.LBB53_683:
                                        ; implicit-def: $vgpr112_vgpr113
.LBB53_684:
	ds_load_b64 v[112:113], v1
.LBB53_685:
	s_mov_b32 s2, exec_lo
	v_cmpx_ne_u32_e32 15, v0
	s_cbranch_execz .LBB53_689
; %bb.686:
	v_add_nc_u32_e32 v115, 0x1b8, v38
	v_add3_u32 v116, 0, v38, 8
	v_mov_b32_e32 v117, v0
	s_mov_b32 s3, 0
.LBB53_687:                             ; =>This Inner Loop Header: Depth=1
	scratch_load_b64 v[118:119], v116, off
	ds_load_b64 v[120:121], v115
	s_wait_xcnt 0x0
	v_dual_add_nc_u32 v115, 8, v115 :: v_dual_add_nc_u32 v116, 8, v116
	s_wait_loadcnt_dscnt 0x0
	v_pk_mul_f32 v[122:123], v[120:121], v[118:119] op_sel:[1,1] op_sel_hi:[0,1]
	s_delay_alu instid0(VALU_DEP_1) | instskip(SKIP_2) | instid1(VALU_DEP_3)
	v_pk_fma_f32 v[124:125], v[120:121], v[118:119], v[122:123] op_sel_hi:[1,0,1]
	v_add_nc_u32_e32 v117, 1, v117
	v_pk_fma_f32 v[118:119], v[120:121], v[118:119], v[122:123] neg_lo:[0,0,1] neg_hi:[0,0,1]
	v_mov_b32_e32 v119, v125
	s_delay_alu instid0(VALU_DEP_3) | instskip(NEXT) | instid1(VALU_DEP_2)
	v_cmp_lt_u32_e32 vcc_lo, 14, v117
	v_pk_add_f32 v[112:113], v[112:113], v[118:119]
	s_or_b32 s3, vcc_lo, s3
	s_delay_alu instid0(SALU_CYCLE_1)
	s_and_not1_b32 exec_lo, exec_lo, s3
	s_cbranch_execnz .LBB53_687
; %bb.688:
	s_or_b32 exec_lo, exec_lo, s3
.LBB53_689:
	s_delay_alu instid0(SALU_CYCLE_1) | instskip(SKIP_4) | instid1(VALU_DEP_1)
	s_or_b32 exec_lo, exec_lo, s2
	v_mov_b32_e32 v115, 0
	ds_load_b64 v[116:117], v115 offset:128
	s_wait_dscnt 0x0
	v_pk_mul_f32 v[118:119], v[112:113], v[116:117] op_sel:[1,1] op_sel_hi:[0,1]
	v_pk_fma_f32 v[120:121], v[112:113], v[116:117], v[118:119] op_sel_hi:[1,0,1]
	v_pk_fma_f32 v[112:113], v[112:113], v[116:117], v[118:119] neg_lo:[0,0,1] neg_hi:[0,0,1]
	s_delay_alu instid0(VALU_DEP_2)
	v_mov_b32_e32 v113, v121
	scratch_store_b64 off, v[112:113], off offset:128
.LBB53_690:
	s_wait_xcnt 0x0
	s_or_b32 exec_lo, exec_lo, s0
	scratch_load_b64 v[112:113], off, off offset:136
	s_mov_b32 s0, exec_lo
	s_wait_loadcnt 0x0
	ds_store_b64 v1, v[112:113]
	s_wait_storecnt_dscnt 0x0
	s_barrier_signal -1
	s_barrier_wait -1
	s_wait_xcnt 0x0
	v_cmpx_gt_u32_e32 17, v0
	s_cbranch_execz .LBB53_700
; %bb.691:
	v_cmp_ne_u32_e32 vcc_lo, 1, v114
	s_cbranch_vccnz .LBB53_693
; %bb.692:
	scratch_load_b64 v[112:113], v39, off
	ds_load_b64 v[116:117], v1
	s_wait_loadcnt_dscnt 0x0
	v_pk_mul_f32 v[118:119], v[116:117], v[112:113] op_sel:[1,1] op_sel_hi:[0,1]
	s_delay_alu instid0(VALU_DEP_1) | instskip(SKIP_1) | instid1(VALU_DEP_2)
	v_pk_fma_f32 v[120:121], v[116:117], v[112:113], v[118:119] op_sel_hi:[1,0,1]
	v_pk_fma_f32 v[112:113], v[116:117], v[112:113], v[118:119] neg_lo:[0,0,1] neg_hi:[0,0,1]
	v_mov_b32_e32 v113, v121
	s_cbranch_execz .LBB53_694
	s_branch .LBB53_695
.LBB53_693:
                                        ; implicit-def: $vgpr112_vgpr113
.LBB53_694:
	ds_load_b64 v[112:113], v1
.LBB53_695:
	s_mov_b32 s2, exec_lo
	v_cmpx_ne_u32_e32 16, v0
	s_cbranch_execz .LBB53_699
; %bb.696:
	v_add_nc_u32_e32 v115, 0x1b8, v38
	v_add3_u32 v116, 0, v38, 8
	v_mov_b32_e32 v117, v0
	s_mov_b32 s3, 0
.LBB53_697:                             ; =>This Inner Loop Header: Depth=1
	scratch_load_b64 v[118:119], v116, off
	ds_load_b64 v[120:121], v115
	s_wait_xcnt 0x0
	v_dual_add_nc_u32 v115, 8, v115 :: v_dual_add_nc_u32 v116, 8, v116
	s_wait_loadcnt_dscnt 0x0
	v_pk_mul_f32 v[122:123], v[120:121], v[118:119] op_sel:[1,1] op_sel_hi:[0,1]
	s_delay_alu instid0(VALU_DEP_1) | instskip(SKIP_2) | instid1(VALU_DEP_3)
	v_pk_fma_f32 v[124:125], v[120:121], v[118:119], v[122:123] op_sel_hi:[1,0,1]
	v_add_nc_u32_e32 v117, 1, v117
	v_pk_fma_f32 v[118:119], v[120:121], v[118:119], v[122:123] neg_lo:[0,0,1] neg_hi:[0,0,1]
	v_mov_b32_e32 v119, v125
	s_delay_alu instid0(VALU_DEP_3) | instskip(NEXT) | instid1(VALU_DEP_2)
	v_cmp_lt_u32_e32 vcc_lo, 15, v117
	v_pk_add_f32 v[112:113], v[112:113], v[118:119]
	s_or_b32 s3, vcc_lo, s3
	s_delay_alu instid0(SALU_CYCLE_1)
	s_and_not1_b32 exec_lo, exec_lo, s3
	s_cbranch_execnz .LBB53_697
; %bb.698:
	s_or_b32 exec_lo, exec_lo, s3
.LBB53_699:
	s_delay_alu instid0(SALU_CYCLE_1) | instskip(SKIP_4) | instid1(VALU_DEP_1)
	s_or_b32 exec_lo, exec_lo, s2
	v_mov_b32_e32 v115, 0
	ds_load_b64 v[116:117], v115 offset:136
	s_wait_dscnt 0x0
	v_pk_mul_f32 v[118:119], v[112:113], v[116:117] op_sel:[1,1] op_sel_hi:[0,1]
	v_pk_fma_f32 v[120:121], v[112:113], v[116:117], v[118:119] op_sel_hi:[1,0,1]
	v_pk_fma_f32 v[112:113], v[112:113], v[116:117], v[118:119] neg_lo:[0,0,1] neg_hi:[0,0,1]
	s_delay_alu instid0(VALU_DEP_2)
	v_mov_b32_e32 v113, v121
	scratch_store_b64 off, v[112:113], off offset:136
.LBB53_700:
	s_wait_xcnt 0x0
	s_or_b32 exec_lo, exec_lo, s0
	scratch_load_b64 v[112:113], off, off offset:144
	s_mov_b32 s0, exec_lo
	s_wait_loadcnt 0x0
	ds_store_b64 v1, v[112:113]
	s_wait_storecnt_dscnt 0x0
	s_barrier_signal -1
	s_barrier_wait -1
	s_wait_xcnt 0x0
	v_cmpx_gt_u32_e32 18, v0
	s_cbranch_execz .LBB53_710
; %bb.701:
	v_cmp_ne_u32_e32 vcc_lo, 1, v114
	s_cbranch_vccnz .LBB53_703
; %bb.702:
	scratch_load_b64 v[112:113], v39, off
	ds_load_b64 v[116:117], v1
	s_wait_loadcnt_dscnt 0x0
	v_pk_mul_f32 v[118:119], v[116:117], v[112:113] op_sel:[1,1] op_sel_hi:[0,1]
	s_delay_alu instid0(VALU_DEP_1) | instskip(SKIP_1) | instid1(VALU_DEP_2)
	v_pk_fma_f32 v[120:121], v[116:117], v[112:113], v[118:119] op_sel_hi:[1,0,1]
	v_pk_fma_f32 v[112:113], v[116:117], v[112:113], v[118:119] neg_lo:[0,0,1] neg_hi:[0,0,1]
	v_mov_b32_e32 v113, v121
	s_cbranch_execz .LBB53_704
	s_branch .LBB53_705
.LBB53_703:
                                        ; implicit-def: $vgpr112_vgpr113
.LBB53_704:
	ds_load_b64 v[112:113], v1
.LBB53_705:
	s_mov_b32 s2, exec_lo
	v_cmpx_ne_u32_e32 17, v0
	s_cbranch_execz .LBB53_709
; %bb.706:
	v_add_nc_u32_e32 v115, 0x1b8, v38
	v_add3_u32 v116, 0, v38, 8
	v_mov_b32_e32 v117, v0
	s_mov_b32 s3, 0
.LBB53_707:                             ; =>This Inner Loop Header: Depth=1
	scratch_load_b64 v[118:119], v116, off
	ds_load_b64 v[120:121], v115
	s_wait_xcnt 0x0
	v_dual_add_nc_u32 v115, 8, v115 :: v_dual_add_nc_u32 v116, 8, v116
	s_wait_loadcnt_dscnt 0x0
	v_pk_mul_f32 v[122:123], v[120:121], v[118:119] op_sel:[1,1] op_sel_hi:[0,1]
	s_delay_alu instid0(VALU_DEP_1) | instskip(SKIP_2) | instid1(VALU_DEP_3)
	v_pk_fma_f32 v[124:125], v[120:121], v[118:119], v[122:123] op_sel_hi:[1,0,1]
	v_add_nc_u32_e32 v117, 1, v117
	v_pk_fma_f32 v[118:119], v[120:121], v[118:119], v[122:123] neg_lo:[0,0,1] neg_hi:[0,0,1]
	v_mov_b32_e32 v119, v125
	s_delay_alu instid0(VALU_DEP_3) | instskip(NEXT) | instid1(VALU_DEP_2)
	v_cmp_lt_u32_e32 vcc_lo, 16, v117
	v_pk_add_f32 v[112:113], v[112:113], v[118:119]
	s_or_b32 s3, vcc_lo, s3
	s_delay_alu instid0(SALU_CYCLE_1)
	s_and_not1_b32 exec_lo, exec_lo, s3
	s_cbranch_execnz .LBB53_707
; %bb.708:
	s_or_b32 exec_lo, exec_lo, s3
.LBB53_709:
	s_delay_alu instid0(SALU_CYCLE_1) | instskip(SKIP_4) | instid1(VALU_DEP_1)
	s_or_b32 exec_lo, exec_lo, s2
	v_mov_b32_e32 v115, 0
	ds_load_b64 v[116:117], v115 offset:144
	s_wait_dscnt 0x0
	v_pk_mul_f32 v[118:119], v[112:113], v[116:117] op_sel:[1,1] op_sel_hi:[0,1]
	v_pk_fma_f32 v[120:121], v[112:113], v[116:117], v[118:119] op_sel_hi:[1,0,1]
	v_pk_fma_f32 v[112:113], v[112:113], v[116:117], v[118:119] neg_lo:[0,0,1] neg_hi:[0,0,1]
	s_delay_alu instid0(VALU_DEP_2)
	v_mov_b32_e32 v113, v121
	scratch_store_b64 off, v[112:113], off offset:144
.LBB53_710:
	s_wait_xcnt 0x0
	s_or_b32 exec_lo, exec_lo, s0
	scratch_load_b64 v[112:113], off, off offset:152
	s_mov_b32 s0, exec_lo
	s_wait_loadcnt 0x0
	ds_store_b64 v1, v[112:113]
	s_wait_storecnt_dscnt 0x0
	s_barrier_signal -1
	s_barrier_wait -1
	s_wait_xcnt 0x0
	v_cmpx_gt_u32_e32 19, v0
	s_cbranch_execz .LBB53_720
; %bb.711:
	v_cmp_ne_u32_e32 vcc_lo, 1, v114
	s_cbranch_vccnz .LBB53_713
; %bb.712:
	scratch_load_b64 v[112:113], v39, off
	ds_load_b64 v[116:117], v1
	s_wait_loadcnt_dscnt 0x0
	v_pk_mul_f32 v[118:119], v[116:117], v[112:113] op_sel:[1,1] op_sel_hi:[0,1]
	s_delay_alu instid0(VALU_DEP_1) | instskip(SKIP_1) | instid1(VALU_DEP_2)
	v_pk_fma_f32 v[120:121], v[116:117], v[112:113], v[118:119] op_sel_hi:[1,0,1]
	v_pk_fma_f32 v[112:113], v[116:117], v[112:113], v[118:119] neg_lo:[0,0,1] neg_hi:[0,0,1]
	v_mov_b32_e32 v113, v121
	s_cbranch_execz .LBB53_714
	s_branch .LBB53_715
.LBB53_713:
                                        ; implicit-def: $vgpr112_vgpr113
.LBB53_714:
	ds_load_b64 v[112:113], v1
.LBB53_715:
	s_mov_b32 s2, exec_lo
	v_cmpx_ne_u32_e32 18, v0
	s_cbranch_execz .LBB53_719
; %bb.716:
	v_add_nc_u32_e32 v115, 0x1b8, v38
	v_add3_u32 v116, 0, v38, 8
	v_mov_b32_e32 v117, v0
	s_mov_b32 s3, 0
.LBB53_717:                             ; =>This Inner Loop Header: Depth=1
	scratch_load_b64 v[118:119], v116, off
	ds_load_b64 v[120:121], v115
	s_wait_xcnt 0x0
	v_dual_add_nc_u32 v115, 8, v115 :: v_dual_add_nc_u32 v116, 8, v116
	s_wait_loadcnt_dscnt 0x0
	v_pk_mul_f32 v[122:123], v[120:121], v[118:119] op_sel:[1,1] op_sel_hi:[0,1]
	s_delay_alu instid0(VALU_DEP_1) | instskip(SKIP_2) | instid1(VALU_DEP_3)
	v_pk_fma_f32 v[124:125], v[120:121], v[118:119], v[122:123] op_sel_hi:[1,0,1]
	v_add_nc_u32_e32 v117, 1, v117
	v_pk_fma_f32 v[118:119], v[120:121], v[118:119], v[122:123] neg_lo:[0,0,1] neg_hi:[0,0,1]
	v_mov_b32_e32 v119, v125
	s_delay_alu instid0(VALU_DEP_3) | instskip(NEXT) | instid1(VALU_DEP_2)
	v_cmp_lt_u32_e32 vcc_lo, 17, v117
	v_pk_add_f32 v[112:113], v[112:113], v[118:119]
	s_or_b32 s3, vcc_lo, s3
	s_delay_alu instid0(SALU_CYCLE_1)
	s_and_not1_b32 exec_lo, exec_lo, s3
	s_cbranch_execnz .LBB53_717
; %bb.718:
	s_or_b32 exec_lo, exec_lo, s3
.LBB53_719:
	s_delay_alu instid0(SALU_CYCLE_1) | instskip(SKIP_4) | instid1(VALU_DEP_1)
	s_or_b32 exec_lo, exec_lo, s2
	v_mov_b32_e32 v115, 0
	ds_load_b64 v[116:117], v115 offset:152
	s_wait_dscnt 0x0
	v_pk_mul_f32 v[118:119], v[112:113], v[116:117] op_sel:[1,1] op_sel_hi:[0,1]
	v_pk_fma_f32 v[120:121], v[112:113], v[116:117], v[118:119] op_sel_hi:[1,0,1]
	v_pk_fma_f32 v[112:113], v[112:113], v[116:117], v[118:119] neg_lo:[0,0,1] neg_hi:[0,0,1]
	s_delay_alu instid0(VALU_DEP_2)
	v_mov_b32_e32 v113, v121
	scratch_store_b64 off, v[112:113], off offset:152
.LBB53_720:
	s_wait_xcnt 0x0
	s_or_b32 exec_lo, exec_lo, s0
	scratch_load_b64 v[112:113], off, off offset:160
	s_mov_b32 s0, exec_lo
	s_wait_loadcnt 0x0
	ds_store_b64 v1, v[112:113]
	s_wait_storecnt_dscnt 0x0
	s_barrier_signal -1
	s_barrier_wait -1
	s_wait_xcnt 0x0
	v_cmpx_gt_u32_e32 20, v0
	s_cbranch_execz .LBB53_730
; %bb.721:
	v_cmp_ne_u32_e32 vcc_lo, 1, v114
	s_cbranch_vccnz .LBB53_723
; %bb.722:
	scratch_load_b64 v[112:113], v39, off
	ds_load_b64 v[116:117], v1
	s_wait_loadcnt_dscnt 0x0
	v_pk_mul_f32 v[118:119], v[116:117], v[112:113] op_sel:[1,1] op_sel_hi:[0,1]
	s_delay_alu instid0(VALU_DEP_1) | instskip(SKIP_1) | instid1(VALU_DEP_2)
	v_pk_fma_f32 v[120:121], v[116:117], v[112:113], v[118:119] op_sel_hi:[1,0,1]
	v_pk_fma_f32 v[112:113], v[116:117], v[112:113], v[118:119] neg_lo:[0,0,1] neg_hi:[0,0,1]
	v_mov_b32_e32 v113, v121
	s_cbranch_execz .LBB53_724
	s_branch .LBB53_725
.LBB53_723:
                                        ; implicit-def: $vgpr112_vgpr113
.LBB53_724:
	ds_load_b64 v[112:113], v1
.LBB53_725:
	s_mov_b32 s2, exec_lo
	v_cmpx_ne_u32_e32 19, v0
	s_cbranch_execz .LBB53_729
; %bb.726:
	v_add_nc_u32_e32 v115, 0x1b8, v38
	v_add3_u32 v116, 0, v38, 8
	v_mov_b32_e32 v117, v0
	s_mov_b32 s3, 0
.LBB53_727:                             ; =>This Inner Loop Header: Depth=1
	scratch_load_b64 v[118:119], v116, off
	ds_load_b64 v[120:121], v115
	s_wait_xcnt 0x0
	v_dual_add_nc_u32 v115, 8, v115 :: v_dual_add_nc_u32 v116, 8, v116
	s_wait_loadcnt_dscnt 0x0
	v_pk_mul_f32 v[122:123], v[120:121], v[118:119] op_sel:[1,1] op_sel_hi:[0,1]
	s_delay_alu instid0(VALU_DEP_1) | instskip(SKIP_2) | instid1(VALU_DEP_3)
	v_pk_fma_f32 v[124:125], v[120:121], v[118:119], v[122:123] op_sel_hi:[1,0,1]
	v_add_nc_u32_e32 v117, 1, v117
	v_pk_fma_f32 v[118:119], v[120:121], v[118:119], v[122:123] neg_lo:[0,0,1] neg_hi:[0,0,1]
	v_mov_b32_e32 v119, v125
	s_delay_alu instid0(VALU_DEP_3) | instskip(NEXT) | instid1(VALU_DEP_2)
	v_cmp_lt_u32_e32 vcc_lo, 18, v117
	v_pk_add_f32 v[112:113], v[112:113], v[118:119]
	s_or_b32 s3, vcc_lo, s3
	s_delay_alu instid0(SALU_CYCLE_1)
	s_and_not1_b32 exec_lo, exec_lo, s3
	s_cbranch_execnz .LBB53_727
; %bb.728:
	s_or_b32 exec_lo, exec_lo, s3
.LBB53_729:
	s_delay_alu instid0(SALU_CYCLE_1) | instskip(SKIP_4) | instid1(VALU_DEP_1)
	s_or_b32 exec_lo, exec_lo, s2
	v_mov_b32_e32 v115, 0
	ds_load_b64 v[116:117], v115 offset:160
	s_wait_dscnt 0x0
	v_pk_mul_f32 v[118:119], v[112:113], v[116:117] op_sel:[1,1] op_sel_hi:[0,1]
	v_pk_fma_f32 v[120:121], v[112:113], v[116:117], v[118:119] op_sel_hi:[1,0,1]
	v_pk_fma_f32 v[112:113], v[112:113], v[116:117], v[118:119] neg_lo:[0,0,1] neg_hi:[0,0,1]
	s_delay_alu instid0(VALU_DEP_2)
	v_mov_b32_e32 v113, v121
	scratch_store_b64 off, v[112:113], off offset:160
.LBB53_730:
	s_wait_xcnt 0x0
	s_or_b32 exec_lo, exec_lo, s0
	scratch_load_b64 v[112:113], off, off offset:168
	s_mov_b32 s0, exec_lo
	s_wait_loadcnt 0x0
	ds_store_b64 v1, v[112:113]
	s_wait_storecnt_dscnt 0x0
	s_barrier_signal -1
	s_barrier_wait -1
	s_wait_xcnt 0x0
	v_cmpx_gt_u32_e32 21, v0
	s_cbranch_execz .LBB53_740
; %bb.731:
	v_cmp_ne_u32_e32 vcc_lo, 1, v114
	s_cbranch_vccnz .LBB53_733
; %bb.732:
	scratch_load_b64 v[112:113], v39, off
	ds_load_b64 v[116:117], v1
	s_wait_loadcnt_dscnt 0x0
	v_pk_mul_f32 v[118:119], v[116:117], v[112:113] op_sel:[1,1] op_sel_hi:[0,1]
	s_delay_alu instid0(VALU_DEP_1) | instskip(SKIP_1) | instid1(VALU_DEP_2)
	v_pk_fma_f32 v[120:121], v[116:117], v[112:113], v[118:119] op_sel_hi:[1,0,1]
	v_pk_fma_f32 v[112:113], v[116:117], v[112:113], v[118:119] neg_lo:[0,0,1] neg_hi:[0,0,1]
	v_mov_b32_e32 v113, v121
	s_cbranch_execz .LBB53_734
	s_branch .LBB53_735
.LBB53_733:
                                        ; implicit-def: $vgpr112_vgpr113
.LBB53_734:
	ds_load_b64 v[112:113], v1
.LBB53_735:
	s_mov_b32 s2, exec_lo
	v_cmpx_ne_u32_e32 20, v0
	s_cbranch_execz .LBB53_739
; %bb.736:
	v_add_nc_u32_e32 v115, 0x1b8, v38
	v_add3_u32 v116, 0, v38, 8
	v_mov_b32_e32 v117, v0
	s_mov_b32 s3, 0
.LBB53_737:                             ; =>This Inner Loop Header: Depth=1
	scratch_load_b64 v[118:119], v116, off
	ds_load_b64 v[120:121], v115
	s_wait_xcnt 0x0
	v_dual_add_nc_u32 v115, 8, v115 :: v_dual_add_nc_u32 v116, 8, v116
	s_wait_loadcnt_dscnt 0x0
	v_pk_mul_f32 v[122:123], v[120:121], v[118:119] op_sel:[1,1] op_sel_hi:[0,1]
	s_delay_alu instid0(VALU_DEP_1) | instskip(SKIP_2) | instid1(VALU_DEP_3)
	v_pk_fma_f32 v[124:125], v[120:121], v[118:119], v[122:123] op_sel_hi:[1,0,1]
	v_add_nc_u32_e32 v117, 1, v117
	v_pk_fma_f32 v[118:119], v[120:121], v[118:119], v[122:123] neg_lo:[0,0,1] neg_hi:[0,0,1]
	v_mov_b32_e32 v119, v125
	s_delay_alu instid0(VALU_DEP_3) | instskip(NEXT) | instid1(VALU_DEP_2)
	v_cmp_lt_u32_e32 vcc_lo, 19, v117
	v_pk_add_f32 v[112:113], v[112:113], v[118:119]
	s_or_b32 s3, vcc_lo, s3
	s_delay_alu instid0(SALU_CYCLE_1)
	s_and_not1_b32 exec_lo, exec_lo, s3
	s_cbranch_execnz .LBB53_737
; %bb.738:
	s_or_b32 exec_lo, exec_lo, s3
.LBB53_739:
	s_delay_alu instid0(SALU_CYCLE_1) | instskip(SKIP_4) | instid1(VALU_DEP_1)
	s_or_b32 exec_lo, exec_lo, s2
	v_mov_b32_e32 v115, 0
	ds_load_b64 v[116:117], v115 offset:168
	s_wait_dscnt 0x0
	v_pk_mul_f32 v[118:119], v[112:113], v[116:117] op_sel:[1,1] op_sel_hi:[0,1]
	v_pk_fma_f32 v[120:121], v[112:113], v[116:117], v[118:119] op_sel_hi:[1,0,1]
	v_pk_fma_f32 v[112:113], v[112:113], v[116:117], v[118:119] neg_lo:[0,0,1] neg_hi:[0,0,1]
	s_delay_alu instid0(VALU_DEP_2)
	v_mov_b32_e32 v113, v121
	scratch_store_b64 off, v[112:113], off offset:168
.LBB53_740:
	s_wait_xcnt 0x0
	s_or_b32 exec_lo, exec_lo, s0
	scratch_load_b64 v[112:113], off, off offset:176
	s_mov_b32 s0, exec_lo
	s_wait_loadcnt 0x0
	ds_store_b64 v1, v[112:113]
	s_wait_storecnt_dscnt 0x0
	s_barrier_signal -1
	s_barrier_wait -1
	s_wait_xcnt 0x0
	v_cmpx_gt_u32_e32 22, v0
	s_cbranch_execz .LBB53_750
; %bb.741:
	v_cmp_ne_u32_e32 vcc_lo, 1, v114
	s_cbranch_vccnz .LBB53_743
; %bb.742:
	scratch_load_b64 v[112:113], v39, off
	ds_load_b64 v[116:117], v1
	s_wait_loadcnt_dscnt 0x0
	v_pk_mul_f32 v[118:119], v[116:117], v[112:113] op_sel:[1,1] op_sel_hi:[0,1]
	s_delay_alu instid0(VALU_DEP_1) | instskip(SKIP_1) | instid1(VALU_DEP_2)
	v_pk_fma_f32 v[120:121], v[116:117], v[112:113], v[118:119] op_sel_hi:[1,0,1]
	v_pk_fma_f32 v[112:113], v[116:117], v[112:113], v[118:119] neg_lo:[0,0,1] neg_hi:[0,0,1]
	v_mov_b32_e32 v113, v121
	s_cbranch_execz .LBB53_744
	s_branch .LBB53_745
.LBB53_743:
                                        ; implicit-def: $vgpr112_vgpr113
.LBB53_744:
	ds_load_b64 v[112:113], v1
.LBB53_745:
	s_mov_b32 s2, exec_lo
	v_cmpx_ne_u32_e32 21, v0
	s_cbranch_execz .LBB53_749
; %bb.746:
	v_add_nc_u32_e32 v115, 0x1b8, v38
	v_add3_u32 v116, 0, v38, 8
	v_mov_b32_e32 v117, v0
	s_mov_b32 s3, 0
.LBB53_747:                             ; =>This Inner Loop Header: Depth=1
	scratch_load_b64 v[118:119], v116, off
	ds_load_b64 v[120:121], v115
	s_wait_xcnt 0x0
	v_dual_add_nc_u32 v115, 8, v115 :: v_dual_add_nc_u32 v116, 8, v116
	s_wait_loadcnt_dscnt 0x0
	v_pk_mul_f32 v[122:123], v[120:121], v[118:119] op_sel:[1,1] op_sel_hi:[0,1]
	s_delay_alu instid0(VALU_DEP_1) | instskip(SKIP_2) | instid1(VALU_DEP_3)
	v_pk_fma_f32 v[124:125], v[120:121], v[118:119], v[122:123] op_sel_hi:[1,0,1]
	v_add_nc_u32_e32 v117, 1, v117
	v_pk_fma_f32 v[118:119], v[120:121], v[118:119], v[122:123] neg_lo:[0,0,1] neg_hi:[0,0,1]
	v_mov_b32_e32 v119, v125
	s_delay_alu instid0(VALU_DEP_3) | instskip(NEXT) | instid1(VALU_DEP_2)
	v_cmp_lt_u32_e32 vcc_lo, 20, v117
	v_pk_add_f32 v[112:113], v[112:113], v[118:119]
	s_or_b32 s3, vcc_lo, s3
	s_delay_alu instid0(SALU_CYCLE_1)
	s_and_not1_b32 exec_lo, exec_lo, s3
	s_cbranch_execnz .LBB53_747
; %bb.748:
	s_or_b32 exec_lo, exec_lo, s3
.LBB53_749:
	s_delay_alu instid0(SALU_CYCLE_1) | instskip(SKIP_4) | instid1(VALU_DEP_1)
	s_or_b32 exec_lo, exec_lo, s2
	v_mov_b32_e32 v115, 0
	ds_load_b64 v[116:117], v115 offset:176
	s_wait_dscnt 0x0
	v_pk_mul_f32 v[118:119], v[112:113], v[116:117] op_sel:[1,1] op_sel_hi:[0,1]
	v_pk_fma_f32 v[120:121], v[112:113], v[116:117], v[118:119] op_sel_hi:[1,0,1]
	v_pk_fma_f32 v[112:113], v[112:113], v[116:117], v[118:119] neg_lo:[0,0,1] neg_hi:[0,0,1]
	s_delay_alu instid0(VALU_DEP_2)
	v_mov_b32_e32 v113, v121
	scratch_store_b64 off, v[112:113], off offset:176
.LBB53_750:
	s_wait_xcnt 0x0
	s_or_b32 exec_lo, exec_lo, s0
	scratch_load_b64 v[112:113], off, off offset:184
	s_mov_b32 s0, exec_lo
	s_wait_loadcnt 0x0
	ds_store_b64 v1, v[112:113]
	s_wait_storecnt_dscnt 0x0
	s_barrier_signal -1
	s_barrier_wait -1
	s_wait_xcnt 0x0
	v_cmpx_gt_u32_e32 23, v0
	s_cbranch_execz .LBB53_760
; %bb.751:
	v_cmp_ne_u32_e32 vcc_lo, 1, v114
	s_cbranch_vccnz .LBB53_753
; %bb.752:
	scratch_load_b64 v[112:113], v39, off
	ds_load_b64 v[116:117], v1
	s_wait_loadcnt_dscnt 0x0
	v_pk_mul_f32 v[118:119], v[116:117], v[112:113] op_sel:[1,1] op_sel_hi:[0,1]
	s_delay_alu instid0(VALU_DEP_1) | instskip(SKIP_1) | instid1(VALU_DEP_2)
	v_pk_fma_f32 v[120:121], v[116:117], v[112:113], v[118:119] op_sel_hi:[1,0,1]
	v_pk_fma_f32 v[112:113], v[116:117], v[112:113], v[118:119] neg_lo:[0,0,1] neg_hi:[0,0,1]
	v_mov_b32_e32 v113, v121
	s_cbranch_execz .LBB53_754
	s_branch .LBB53_755
.LBB53_753:
                                        ; implicit-def: $vgpr112_vgpr113
.LBB53_754:
	ds_load_b64 v[112:113], v1
.LBB53_755:
	s_mov_b32 s2, exec_lo
	v_cmpx_ne_u32_e32 22, v0
	s_cbranch_execz .LBB53_759
; %bb.756:
	v_add_nc_u32_e32 v115, 0x1b8, v38
	v_add3_u32 v116, 0, v38, 8
	v_mov_b32_e32 v117, v0
	s_mov_b32 s3, 0
.LBB53_757:                             ; =>This Inner Loop Header: Depth=1
	scratch_load_b64 v[118:119], v116, off
	ds_load_b64 v[120:121], v115
	s_wait_xcnt 0x0
	v_dual_add_nc_u32 v115, 8, v115 :: v_dual_add_nc_u32 v116, 8, v116
	s_wait_loadcnt_dscnt 0x0
	v_pk_mul_f32 v[122:123], v[120:121], v[118:119] op_sel:[1,1] op_sel_hi:[0,1]
	s_delay_alu instid0(VALU_DEP_1) | instskip(SKIP_2) | instid1(VALU_DEP_3)
	v_pk_fma_f32 v[124:125], v[120:121], v[118:119], v[122:123] op_sel_hi:[1,0,1]
	v_add_nc_u32_e32 v117, 1, v117
	v_pk_fma_f32 v[118:119], v[120:121], v[118:119], v[122:123] neg_lo:[0,0,1] neg_hi:[0,0,1]
	v_mov_b32_e32 v119, v125
	s_delay_alu instid0(VALU_DEP_3) | instskip(NEXT) | instid1(VALU_DEP_2)
	v_cmp_lt_u32_e32 vcc_lo, 21, v117
	v_pk_add_f32 v[112:113], v[112:113], v[118:119]
	s_or_b32 s3, vcc_lo, s3
	s_delay_alu instid0(SALU_CYCLE_1)
	s_and_not1_b32 exec_lo, exec_lo, s3
	s_cbranch_execnz .LBB53_757
; %bb.758:
	s_or_b32 exec_lo, exec_lo, s3
.LBB53_759:
	s_delay_alu instid0(SALU_CYCLE_1) | instskip(SKIP_4) | instid1(VALU_DEP_1)
	s_or_b32 exec_lo, exec_lo, s2
	v_mov_b32_e32 v115, 0
	ds_load_b64 v[116:117], v115 offset:184
	s_wait_dscnt 0x0
	v_pk_mul_f32 v[118:119], v[112:113], v[116:117] op_sel:[1,1] op_sel_hi:[0,1]
	v_pk_fma_f32 v[120:121], v[112:113], v[116:117], v[118:119] op_sel_hi:[1,0,1]
	v_pk_fma_f32 v[112:113], v[112:113], v[116:117], v[118:119] neg_lo:[0,0,1] neg_hi:[0,0,1]
	s_delay_alu instid0(VALU_DEP_2)
	v_mov_b32_e32 v113, v121
	scratch_store_b64 off, v[112:113], off offset:184
.LBB53_760:
	s_wait_xcnt 0x0
	s_or_b32 exec_lo, exec_lo, s0
	scratch_load_b64 v[112:113], off, off offset:192
	s_mov_b32 s0, exec_lo
	s_wait_loadcnt 0x0
	ds_store_b64 v1, v[112:113]
	s_wait_storecnt_dscnt 0x0
	s_barrier_signal -1
	s_barrier_wait -1
	s_wait_xcnt 0x0
	v_cmpx_gt_u32_e32 24, v0
	s_cbranch_execz .LBB53_770
; %bb.761:
	v_cmp_ne_u32_e32 vcc_lo, 1, v114
	s_cbranch_vccnz .LBB53_763
; %bb.762:
	scratch_load_b64 v[112:113], v39, off
	ds_load_b64 v[116:117], v1
	s_wait_loadcnt_dscnt 0x0
	v_pk_mul_f32 v[118:119], v[116:117], v[112:113] op_sel:[1,1] op_sel_hi:[0,1]
	s_delay_alu instid0(VALU_DEP_1) | instskip(SKIP_1) | instid1(VALU_DEP_2)
	v_pk_fma_f32 v[120:121], v[116:117], v[112:113], v[118:119] op_sel_hi:[1,0,1]
	v_pk_fma_f32 v[112:113], v[116:117], v[112:113], v[118:119] neg_lo:[0,0,1] neg_hi:[0,0,1]
	v_mov_b32_e32 v113, v121
	s_cbranch_execz .LBB53_764
	s_branch .LBB53_765
.LBB53_763:
                                        ; implicit-def: $vgpr112_vgpr113
.LBB53_764:
	ds_load_b64 v[112:113], v1
.LBB53_765:
	s_mov_b32 s2, exec_lo
	v_cmpx_ne_u32_e32 23, v0
	s_cbranch_execz .LBB53_769
; %bb.766:
	v_add_nc_u32_e32 v115, 0x1b8, v38
	v_add3_u32 v116, 0, v38, 8
	v_mov_b32_e32 v117, v0
	s_mov_b32 s3, 0
.LBB53_767:                             ; =>This Inner Loop Header: Depth=1
	scratch_load_b64 v[118:119], v116, off
	ds_load_b64 v[120:121], v115
	s_wait_xcnt 0x0
	v_dual_add_nc_u32 v115, 8, v115 :: v_dual_add_nc_u32 v116, 8, v116
	s_wait_loadcnt_dscnt 0x0
	v_pk_mul_f32 v[122:123], v[120:121], v[118:119] op_sel:[1,1] op_sel_hi:[0,1]
	s_delay_alu instid0(VALU_DEP_1) | instskip(SKIP_2) | instid1(VALU_DEP_3)
	v_pk_fma_f32 v[124:125], v[120:121], v[118:119], v[122:123] op_sel_hi:[1,0,1]
	v_add_nc_u32_e32 v117, 1, v117
	v_pk_fma_f32 v[118:119], v[120:121], v[118:119], v[122:123] neg_lo:[0,0,1] neg_hi:[0,0,1]
	v_mov_b32_e32 v119, v125
	s_delay_alu instid0(VALU_DEP_3) | instskip(NEXT) | instid1(VALU_DEP_2)
	v_cmp_lt_u32_e32 vcc_lo, 22, v117
	v_pk_add_f32 v[112:113], v[112:113], v[118:119]
	s_or_b32 s3, vcc_lo, s3
	s_delay_alu instid0(SALU_CYCLE_1)
	s_and_not1_b32 exec_lo, exec_lo, s3
	s_cbranch_execnz .LBB53_767
; %bb.768:
	s_or_b32 exec_lo, exec_lo, s3
.LBB53_769:
	s_delay_alu instid0(SALU_CYCLE_1) | instskip(SKIP_4) | instid1(VALU_DEP_1)
	s_or_b32 exec_lo, exec_lo, s2
	v_mov_b32_e32 v115, 0
	ds_load_b64 v[116:117], v115 offset:192
	s_wait_dscnt 0x0
	v_pk_mul_f32 v[118:119], v[112:113], v[116:117] op_sel:[1,1] op_sel_hi:[0,1]
	v_pk_fma_f32 v[120:121], v[112:113], v[116:117], v[118:119] op_sel_hi:[1,0,1]
	v_pk_fma_f32 v[112:113], v[112:113], v[116:117], v[118:119] neg_lo:[0,0,1] neg_hi:[0,0,1]
	s_delay_alu instid0(VALU_DEP_2)
	v_mov_b32_e32 v113, v121
	scratch_store_b64 off, v[112:113], off offset:192
.LBB53_770:
	s_wait_xcnt 0x0
	s_or_b32 exec_lo, exec_lo, s0
	scratch_load_b64 v[112:113], off, off offset:200
	s_mov_b32 s0, exec_lo
	s_wait_loadcnt 0x0
	ds_store_b64 v1, v[112:113]
	s_wait_storecnt_dscnt 0x0
	s_barrier_signal -1
	s_barrier_wait -1
	s_wait_xcnt 0x0
	v_cmpx_gt_u32_e32 25, v0
	s_cbranch_execz .LBB53_780
; %bb.771:
	v_cmp_ne_u32_e32 vcc_lo, 1, v114
	s_cbranch_vccnz .LBB53_773
; %bb.772:
	scratch_load_b64 v[112:113], v39, off
	ds_load_b64 v[116:117], v1
	s_wait_loadcnt_dscnt 0x0
	v_pk_mul_f32 v[118:119], v[116:117], v[112:113] op_sel:[1,1] op_sel_hi:[0,1]
	s_delay_alu instid0(VALU_DEP_1) | instskip(SKIP_1) | instid1(VALU_DEP_2)
	v_pk_fma_f32 v[120:121], v[116:117], v[112:113], v[118:119] op_sel_hi:[1,0,1]
	v_pk_fma_f32 v[112:113], v[116:117], v[112:113], v[118:119] neg_lo:[0,0,1] neg_hi:[0,0,1]
	v_mov_b32_e32 v113, v121
	s_cbranch_execz .LBB53_774
	s_branch .LBB53_775
.LBB53_773:
                                        ; implicit-def: $vgpr112_vgpr113
.LBB53_774:
	ds_load_b64 v[112:113], v1
.LBB53_775:
	s_mov_b32 s2, exec_lo
	v_cmpx_ne_u32_e32 24, v0
	s_cbranch_execz .LBB53_779
; %bb.776:
	v_add_nc_u32_e32 v115, 0x1b8, v38
	v_add3_u32 v116, 0, v38, 8
	v_mov_b32_e32 v117, v0
	s_mov_b32 s3, 0
.LBB53_777:                             ; =>This Inner Loop Header: Depth=1
	scratch_load_b64 v[118:119], v116, off
	ds_load_b64 v[120:121], v115
	s_wait_xcnt 0x0
	v_dual_add_nc_u32 v115, 8, v115 :: v_dual_add_nc_u32 v116, 8, v116
	s_wait_loadcnt_dscnt 0x0
	v_pk_mul_f32 v[122:123], v[120:121], v[118:119] op_sel:[1,1] op_sel_hi:[0,1]
	s_delay_alu instid0(VALU_DEP_1) | instskip(SKIP_2) | instid1(VALU_DEP_3)
	v_pk_fma_f32 v[124:125], v[120:121], v[118:119], v[122:123] op_sel_hi:[1,0,1]
	v_add_nc_u32_e32 v117, 1, v117
	v_pk_fma_f32 v[118:119], v[120:121], v[118:119], v[122:123] neg_lo:[0,0,1] neg_hi:[0,0,1]
	v_mov_b32_e32 v119, v125
	s_delay_alu instid0(VALU_DEP_3) | instskip(NEXT) | instid1(VALU_DEP_2)
	v_cmp_lt_u32_e32 vcc_lo, 23, v117
	v_pk_add_f32 v[112:113], v[112:113], v[118:119]
	s_or_b32 s3, vcc_lo, s3
	s_delay_alu instid0(SALU_CYCLE_1)
	s_and_not1_b32 exec_lo, exec_lo, s3
	s_cbranch_execnz .LBB53_777
; %bb.778:
	s_or_b32 exec_lo, exec_lo, s3
.LBB53_779:
	s_delay_alu instid0(SALU_CYCLE_1) | instskip(SKIP_4) | instid1(VALU_DEP_1)
	s_or_b32 exec_lo, exec_lo, s2
	v_mov_b32_e32 v115, 0
	ds_load_b64 v[116:117], v115 offset:200
	s_wait_dscnt 0x0
	v_pk_mul_f32 v[118:119], v[112:113], v[116:117] op_sel:[1,1] op_sel_hi:[0,1]
	v_pk_fma_f32 v[120:121], v[112:113], v[116:117], v[118:119] op_sel_hi:[1,0,1]
	v_pk_fma_f32 v[112:113], v[112:113], v[116:117], v[118:119] neg_lo:[0,0,1] neg_hi:[0,0,1]
	s_delay_alu instid0(VALU_DEP_2)
	v_mov_b32_e32 v113, v121
	scratch_store_b64 off, v[112:113], off offset:200
.LBB53_780:
	s_wait_xcnt 0x0
	s_or_b32 exec_lo, exec_lo, s0
	scratch_load_b64 v[112:113], off, off offset:208
	s_mov_b32 s0, exec_lo
	s_wait_loadcnt 0x0
	ds_store_b64 v1, v[112:113]
	s_wait_storecnt_dscnt 0x0
	s_barrier_signal -1
	s_barrier_wait -1
	s_wait_xcnt 0x0
	v_cmpx_gt_u32_e32 26, v0
	s_cbranch_execz .LBB53_790
; %bb.781:
	v_cmp_ne_u32_e32 vcc_lo, 1, v114
	s_cbranch_vccnz .LBB53_783
; %bb.782:
	scratch_load_b64 v[112:113], v39, off
	ds_load_b64 v[116:117], v1
	s_wait_loadcnt_dscnt 0x0
	v_pk_mul_f32 v[118:119], v[116:117], v[112:113] op_sel:[1,1] op_sel_hi:[0,1]
	s_delay_alu instid0(VALU_DEP_1) | instskip(SKIP_1) | instid1(VALU_DEP_2)
	v_pk_fma_f32 v[120:121], v[116:117], v[112:113], v[118:119] op_sel_hi:[1,0,1]
	v_pk_fma_f32 v[112:113], v[116:117], v[112:113], v[118:119] neg_lo:[0,0,1] neg_hi:[0,0,1]
	v_mov_b32_e32 v113, v121
	s_cbranch_execz .LBB53_784
	s_branch .LBB53_785
.LBB53_783:
                                        ; implicit-def: $vgpr112_vgpr113
.LBB53_784:
	ds_load_b64 v[112:113], v1
.LBB53_785:
	s_mov_b32 s2, exec_lo
	v_cmpx_ne_u32_e32 25, v0
	s_cbranch_execz .LBB53_789
; %bb.786:
	v_add_nc_u32_e32 v115, 0x1b8, v38
	v_add3_u32 v116, 0, v38, 8
	v_mov_b32_e32 v117, v0
	s_mov_b32 s3, 0
.LBB53_787:                             ; =>This Inner Loop Header: Depth=1
	scratch_load_b64 v[118:119], v116, off
	ds_load_b64 v[120:121], v115
	s_wait_xcnt 0x0
	v_dual_add_nc_u32 v115, 8, v115 :: v_dual_add_nc_u32 v116, 8, v116
	s_wait_loadcnt_dscnt 0x0
	v_pk_mul_f32 v[122:123], v[120:121], v[118:119] op_sel:[1,1] op_sel_hi:[0,1]
	s_delay_alu instid0(VALU_DEP_1) | instskip(SKIP_2) | instid1(VALU_DEP_3)
	v_pk_fma_f32 v[124:125], v[120:121], v[118:119], v[122:123] op_sel_hi:[1,0,1]
	v_add_nc_u32_e32 v117, 1, v117
	v_pk_fma_f32 v[118:119], v[120:121], v[118:119], v[122:123] neg_lo:[0,0,1] neg_hi:[0,0,1]
	v_mov_b32_e32 v119, v125
	s_delay_alu instid0(VALU_DEP_3) | instskip(NEXT) | instid1(VALU_DEP_2)
	v_cmp_lt_u32_e32 vcc_lo, 24, v117
	v_pk_add_f32 v[112:113], v[112:113], v[118:119]
	s_or_b32 s3, vcc_lo, s3
	s_delay_alu instid0(SALU_CYCLE_1)
	s_and_not1_b32 exec_lo, exec_lo, s3
	s_cbranch_execnz .LBB53_787
; %bb.788:
	s_or_b32 exec_lo, exec_lo, s3
.LBB53_789:
	s_delay_alu instid0(SALU_CYCLE_1) | instskip(SKIP_4) | instid1(VALU_DEP_1)
	s_or_b32 exec_lo, exec_lo, s2
	v_mov_b32_e32 v115, 0
	ds_load_b64 v[116:117], v115 offset:208
	s_wait_dscnt 0x0
	v_pk_mul_f32 v[118:119], v[112:113], v[116:117] op_sel:[1,1] op_sel_hi:[0,1]
	v_pk_fma_f32 v[120:121], v[112:113], v[116:117], v[118:119] op_sel_hi:[1,0,1]
	v_pk_fma_f32 v[112:113], v[112:113], v[116:117], v[118:119] neg_lo:[0,0,1] neg_hi:[0,0,1]
	s_delay_alu instid0(VALU_DEP_2)
	v_mov_b32_e32 v113, v121
	scratch_store_b64 off, v[112:113], off offset:208
.LBB53_790:
	s_wait_xcnt 0x0
	s_or_b32 exec_lo, exec_lo, s0
	scratch_load_b64 v[112:113], off, off offset:216
	s_mov_b32 s0, exec_lo
	s_wait_loadcnt 0x0
	ds_store_b64 v1, v[112:113]
	s_wait_storecnt_dscnt 0x0
	s_barrier_signal -1
	s_barrier_wait -1
	s_wait_xcnt 0x0
	v_cmpx_gt_u32_e32 27, v0
	s_cbranch_execz .LBB53_800
; %bb.791:
	v_cmp_ne_u32_e32 vcc_lo, 1, v114
	s_cbranch_vccnz .LBB53_793
; %bb.792:
	scratch_load_b64 v[112:113], v39, off
	ds_load_b64 v[116:117], v1
	s_wait_loadcnt_dscnt 0x0
	v_pk_mul_f32 v[118:119], v[116:117], v[112:113] op_sel:[1,1] op_sel_hi:[0,1]
	s_delay_alu instid0(VALU_DEP_1) | instskip(SKIP_1) | instid1(VALU_DEP_2)
	v_pk_fma_f32 v[120:121], v[116:117], v[112:113], v[118:119] op_sel_hi:[1,0,1]
	v_pk_fma_f32 v[112:113], v[116:117], v[112:113], v[118:119] neg_lo:[0,0,1] neg_hi:[0,0,1]
	v_mov_b32_e32 v113, v121
	s_cbranch_execz .LBB53_794
	s_branch .LBB53_795
.LBB53_793:
                                        ; implicit-def: $vgpr112_vgpr113
.LBB53_794:
	ds_load_b64 v[112:113], v1
.LBB53_795:
	s_mov_b32 s2, exec_lo
	v_cmpx_ne_u32_e32 26, v0
	s_cbranch_execz .LBB53_799
; %bb.796:
	v_add_nc_u32_e32 v115, 0x1b8, v38
	v_add3_u32 v116, 0, v38, 8
	v_mov_b32_e32 v117, v0
	s_mov_b32 s3, 0
.LBB53_797:                             ; =>This Inner Loop Header: Depth=1
	scratch_load_b64 v[118:119], v116, off
	ds_load_b64 v[120:121], v115
	s_wait_xcnt 0x0
	v_dual_add_nc_u32 v115, 8, v115 :: v_dual_add_nc_u32 v116, 8, v116
	s_wait_loadcnt_dscnt 0x0
	v_pk_mul_f32 v[122:123], v[120:121], v[118:119] op_sel:[1,1] op_sel_hi:[0,1]
	s_delay_alu instid0(VALU_DEP_1) | instskip(SKIP_2) | instid1(VALU_DEP_3)
	v_pk_fma_f32 v[124:125], v[120:121], v[118:119], v[122:123] op_sel_hi:[1,0,1]
	v_add_nc_u32_e32 v117, 1, v117
	v_pk_fma_f32 v[118:119], v[120:121], v[118:119], v[122:123] neg_lo:[0,0,1] neg_hi:[0,0,1]
	v_mov_b32_e32 v119, v125
	s_delay_alu instid0(VALU_DEP_3) | instskip(NEXT) | instid1(VALU_DEP_2)
	v_cmp_lt_u32_e32 vcc_lo, 25, v117
	v_pk_add_f32 v[112:113], v[112:113], v[118:119]
	s_or_b32 s3, vcc_lo, s3
	s_delay_alu instid0(SALU_CYCLE_1)
	s_and_not1_b32 exec_lo, exec_lo, s3
	s_cbranch_execnz .LBB53_797
; %bb.798:
	s_or_b32 exec_lo, exec_lo, s3
.LBB53_799:
	s_delay_alu instid0(SALU_CYCLE_1) | instskip(SKIP_4) | instid1(VALU_DEP_1)
	s_or_b32 exec_lo, exec_lo, s2
	v_mov_b32_e32 v115, 0
	ds_load_b64 v[116:117], v115 offset:216
	s_wait_dscnt 0x0
	v_pk_mul_f32 v[118:119], v[112:113], v[116:117] op_sel:[1,1] op_sel_hi:[0,1]
	v_pk_fma_f32 v[120:121], v[112:113], v[116:117], v[118:119] op_sel_hi:[1,0,1]
	v_pk_fma_f32 v[112:113], v[112:113], v[116:117], v[118:119] neg_lo:[0,0,1] neg_hi:[0,0,1]
	s_delay_alu instid0(VALU_DEP_2)
	v_mov_b32_e32 v113, v121
	scratch_store_b64 off, v[112:113], off offset:216
.LBB53_800:
	s_wait_xcnt 0x0
	s_or_b32 exec_lo, exec_lo, s0
	scratch_load_b64 v[112:113], off, off offset:224
	s_mov_b32 s0, exec_lo
	s_wait_loadcnt 0x0
	ds_store_b64 v1, v[112:113]
	s_wait_storecnt_dscnt 0x0
	s_barrier_signal -1
	s_barrier_wait -1
	s_wait_xcnt 0x0
	v_cmpx_gt_u32_e32 28, v0
	s_cbranch_execz .LBB53_810
; %bb.801:
	v_cmp_ne_u32_e32 vcc_lo, 1, v114
	s_cbranch_vccnz .LBB53_803
; %bb.802:
	scratch_load_b64 v[112:113], v39, off
	ds_load_b64 v[116:117], v1
	s_wait_loadcnt_dscnt 0x0
	v_pk_mul_f32 v[118:119], v[116:117], v[112:113] op_sel:[1,1] op_sel_hi:[0,1]
	s_delay_alu instid0(VALU_DEP_1) | instskip(SKIP_1) | instid1(VALU_DEP_2)
	v_pk_fma_f32 v[120:121], v[116:117], v[112:113], v[118:119] op_sel_hi:[1,0,1]
	v_pk_fma_f32 v[112:113], v[116:117], v[112:113], v[118:119] neg_lo:[0,0,1] neg_hi:[0,0,1]
	v_mov_b32_e32 v113, v121
	s_cbranch_execz .LBB53_804
	s_branch .LBB53_805
.LBB53_803:
                                        ; implicit-def: $vgpr112_vgpr113
.LBB53_804:
	ds_load_b64 v[112:113], v1
.LBB53_805:
	s_mov_b32 s2, exec_lo
	v_cmpx_ne_u32_e32 27, v0
	s_cbranch_execz .LBB53_809
; %bb.806:
	v_add_nc_u32_e32 v115, 0x1b8, v38
	v_add3_u32 v116, 0, v38, 8
	v_mov_b32_e32 v117, v0
	s_mov_b32 s3, 0
.LBB53_807:                             ; =>This Inner Loop Header: Depth=1
	scratch_load_b64 v[118:119], v116, off
	ds_load_b64 v[120:121], v115
	s_wait_xcnt 0x0
	v_dual_add_nc_u32 v115, 8, v115 :: v_dual_add_nc_u32 v116, 8, v116
	s_wait_loadcnt_dscnt 0x0
	v_pk_mul_f32 v[122:123], v[120:121], v[118:119] op_sel:[1,1] op_sel_hi:[0,1]
	s_delay_alu instid0(VALU_DEP_1) | instskip(SKIP_2) | instid1(VALU_DEP_3)
	v_pk_fma_f32 v[124:125], v[120:121], v[118:119], v[122:123] op_sel_hi:[1,0,1]
	v_add_nc_u32_e32 v117, 1, v117
	v_pk_fma_f32 v[118:119], v[120:121], v[118:119], v[122:123] neg_lo:[0,0,1] neg_hi:[0,0,1]
	v_mov_b32_e32 v119, v125
	s_delay_alu instid0(VALU_DEP_3) | instskip(NEXT) | instid1(VALU_DEP_2)
	v_cmp_lt_u32_e32 vcc_lo, 26, v117
	v_pk_add_f32 v[112:113], v[112:113], v[118:119]
	s_or_b32 s3, vcc_lo, s3
	s_delay_alu instid0(SALU_CYCLE_1)
	s_and_not1_b32 exec_lo, exec_lo, s3
	s_cbranch_execnz .LBB53_807
; %bb.808:
	s_or_b32 exec_lo, exec_lo, s3
.LBB53_809:
	s_delay_alu instid0(SALU_CYCLE_1) | instskip(SKIP_4) | instid1(VALU_DEP_1)
	s_or_b32 exec_lo, exec_lo, s2
	v_mov_b32_e32 v115, 0
	ds_load_b64 v[116:117], v115 offset:224
	s_wait_dscnt 0x0
	v_pk_mul_f32 v[118:119], v[112:113], v[116:117] op_sel:[1,1] op_sel_hi:[0,1]
	v_pk_fma_f32 v[120:121], v[112:113], v[116:117], v[118:119] op_sel_hi:[1,0,1]
	v_pk_fma_f32 v[112:113], v[112:113], v[116:117], v[118:119] neg_lo:[0,0,1] neg_hi:[0,0,1]
	s_delay_alu instid0(VALU_DEP_2)
	v_mov_b32_e32 v113, v121
	scratch_store_b64 off, v[112:113], off offset:224
.LBB53_810:
	s_wait_xcnt 0x0
	s_or_b32 exec_lo, exec_lo, s0
	scratch_load_b64 v[112:113], off, off offset:232
	s_mov_b32 s0, exec_lo
	s_wait_loadcnt 0x0
	ds_store_b64 v1, v[112:113]
	s_wait_storecnt_dscnt 0x0
	s_barrier_signal -1
	s_barrier_wait -1
	s_wait_xcnt 0x0
	v_cmpx_gt_u32_e32 29, v0
	s_cbranch_execz .LBB53_820
; %bb.811:
	v_cmp_ne_u32_e32 vcc_lo, 1, v114
	s_cbranch_vccnz .LBB53_813
; %bb.812:
	scratch_load_b64 v[112:113], v39, off
	ds_load_b64 v[116:117], v1
	s_wait_loadcnt_dscnt 0x0
	v_pk_mul_f32 v[118:119], v[116:117], v[112:113] op_sel:[1,1] op_sel_hi:[0,1]
	s_delay_alu instid0(VALU_DEP_1) | instskip(SKIP_1) | instid1(VALU_DEP_2)
	v_pk_fma_f32 v[120:121], v[116:117], v[112:113], v[118:119] op_sel_hi:[1,0,1]
	v_pk_fma_f32 v[112:113], v[116:117], v[112:113], v[118:119] neg_lo:[0,0,1] neg_hi:[0,0,1]
	v_mov_b32_e32 v113, v121
	s_cbranch_execz .LBB53_814
	s_branch .LBB53_815
.LBB53_813:
                                        ; implicit-def: $vgpr112_vgpr113
.LBB53_814:
	ds_load_b64 v[112:113], v1
.LBB53_815:
	s_mov_b32 s2, exec_lo
	v_cmpx_ne_u32_e32 28, v0
	s_cbranch_execz .LBB53_819
; %bb.816:
	v_add_nc_u32_e32 v115, 0x1b8, v38
	v_add3_u32 v116, 0, v38, 8
	v_mov_b32_e32 v117, v0
	s_mov_b32 s3, 0
.LBB53_817:                             ; =>This Inner Loop Header: Depth=1
	scratch_load_b64 v[118:119], v116, off
	ds_load_b64 v[120:121], v115
	s_wait_xcnt 0x0
	v_dual_add_nc_u32 v115, 8, v115 :: v_dual_add_nc_u32 v116, 8, v116
	s_wait_loadcnt_dscnt 0x0
	v_pk_mul_f32 v[122:123], v[120:121], v[118:119] op_sel:[1,1] op_sel_hi:[0,1]
	s_delay_alu instid0(VALU_DEP_1) | instskip(SKIP_2) | instid1(VALU_DEP_3)
	v_pk_fma_f32 v[124:125], v[120:121], v[118:119], v[122:123] op_sel_hi:[1,0,1]
	v_add_nc_u32_e32 v117, 1, v117
	v_pk_fma_f32 v[118:119], v[120:121], v[118:119], v[122:123] neg_lo:[0,0,1] neg_hi:[0,0,1]
	v_mov_b32_e32 v119, v125
	s_delay_alu instid0(VALU_DEP_3) | instskip(NEXT) | instid1(VALU_DEP_2)
	v_cmp_lt_u32_e32 vcc_lo, 27, v117
	v_pk_add_f32 v[112:113], v[112:113], v[118:119]
	s_or_b32 s3, vcc_lo, s3
	s_delay_alu instid0(SALU_CYCLE_1)
	s_and_not1_b32 exec_lo, exec_lo, s3
	s_cbranch_execnz .LBB53_817
; %bb.818:
	s_or_b32 exec_lo, exec_lo, s3
.LBB53_819:
	s_delay_alu instid0(SALU_CYCLE_1) | instskip(SKIP_4) | instid1(VALU_DEP_1)
	s_or_b32 exec_lo, exec_lo, s2
	v_mov_b32_e32 v115, 0
	ds_load_b64 v[116:117], v115 offset:232
	s_wait_dscnt 0x0
	v_pk_mul_f32 v[118:119], v[112:113], v[116:117] op_sel:[1,1] op_sel_hi:[0,1]
	v_pk_fma_f32 v[120:121], v[112:113], v[116:117], v[118:119] op_sel_hi:[1,0,1]
	v_pk_fma_f32 v[112:113], v[112:113], v[116:117], v[118:119] neg_lo:[0,0,1] neg_hi:[0,0,1]
	s_delay_alu instid0(VALU_DEP_2)
	v_mov_b32_e32 v113, v121
	scratch_store_b64 off, v[112:113], off offset:232
.LBB53_820:
	s_wait_xcnt 0x0
	s_or_b32 exec_lo, exec_lo, s0
	scratch_load_b64 v[112:113], off, off offset:240
	s_mov_b32 s0, exec_lo
	s_wait_loadcnt 0x0
	ds_store_b64 v1, v[112:113]
	s_wait_storecnt_dscnt 0x0
	s_barrier_signal -1
	s_barrier_wait -1
	s_wait_xcnt 0x0
	v_cmpx_gt_u32_e32 30, v0
	s_cbranch_execz .LBB53_830
; %bb.821:
	v_cmp_ne_u32_e32 vcc_lo, 1, v114
	s_cbranch_vccnz .LBB53_823
; %bb.822:
	scratch_load_b64 v[112:113], v39, off
	ds_load_b64 v[116:117], v1
	s_wait_loadcnt_dscnt 0x0
	v_pk_mul_f32 v[118:119], v[116:117], v[112:113] op_sel:[1,1] op_sel_hi:[0,1]
	s_delay_alu instid0(VALU_DEP_1) | instskip(SKIP_1) | instid1(VALU_DEP_2)
	v_pk_fma_f32 v[120:121], v[116:117], v[112:113], v[118:119] op_sel_hi:[1,0,1]
	v_pk_fma_f32 v[112:113], v[116:117], v[112:113], v[118:119] neg_lo:[0,0,1] neg_hi:[0,0,1]
	v_mov_b32_e32 v113, v121
	s_cbranch_execz .LBB53_824
	s_branch .LBB53_825
.LBB53_823:
                                        ; implicit-def: $vgpr112_vgpr113
.LBB53_824:
	ds_load_b64 v[112:113], v1
.LBB53_825:
	s_mov_b32 s2, exec_lo
	v_cmpx_ne_u32_e32 29, v0
	s_cbranch_execz .LBB53_829
; %bb.826:
	v_add_nc_u32_e32 v115, 0x1b8, v38
	v_add3_u32 v116, 0, v38, 8
	v_mov_b32_e32 v117, v0
	s_mov_b32 s3, 0
.LBB53_827:                             ; =>This Inner Loop Header: Depth=1
	scratch_load_b64 v[118:119], v116, off
	ds_load_b64 v[120:121], v115
	s_wait_xcnt 0x0
	v_dual_add_nc_u32 v115, 8, v115 :: v_dual_add_nc_u32 v116, 8, v116
	s_wait_loadcnt_dscnt 0x0
	v_pk_mul_f32 v[122:123], v[120:121], v[118:119] op_sel:[1,1] op_sel_hi:[0,1]
	s_delay_alu instid0(VALU_DEP_1) | instskip(SKIP_2) | instid1(VALU_DEP_3)
	v_pk_fma_f32 v[124:125], v[120:121], v[118:119], v[122:123] op_sel_hi:[1,0,1]
	v_add_nc_u32_e32 v117, 1, v117
	v_pk_fma_f32 v[118:119], v[120:121], v[118:119], v[122:123] neg_lo:[0,0,1] neg_hi:[0,0,1]
	v_mov_b32_e32 v119, v125
	s_delay_alu instid0(VALU_DEP_3) | instskip(NEXT) | instid1(VALU_DEP_2)
	v_cmp_lt_u32_e32 vcc_lo, 28, v117
	v_pk_add_f32 v[112:113], v[112:113], v[118:119]
	s_or_b32 s3, vcc_lo, s3
	s_delay_alu instid0(SALU_CYCLE_1)
	s_and_not1_b32 exec_lo, exec_lo, s3
	s_cbranch_execnz .LBB53_827
; %bb.828:
	s_or_b32 exec_lo, exec_lo, s3
.LBB53_829:
	s_delay_alu instid0(SALU_CYCLE_1) | instskip(SKIP_4) | instid1(VALU_DEP_1)
	s_or_b32 exec_lo, exec_lo, s2
	v_mov_b32_e32 v115, 0
	ds_load_b64 v[116:117], v115 offset:240
	s_wait_dscnt 0x0
	v_pk_mul_f32 v[118:119], v[112:113], v[116:117] op_sel:[1,1] op_sel_hi:[0,1]
	v_pk_fma_f32 v[120:121], v[112:113], v[116:117], v[118:119] op_sel_hi:[1,0,1]
	v_pk_fma_f32 v[112:113], v[112:113], v[116:117], v[118:119] neg_lo:[0,0,1] neg_hi:[0,0,1]
	s_delay_alu instid0(VALU_DEP_2)
	v_mov_b32_e32 v113, v121
	scratch_store_b64 off, v[112:113], off offset:240
.LBB53_830:
	s_wait_xcnt 0x0
	s_or_b32 exec_lo, exec_lo, s0
	scratch_load_b64 v[112:113], off, off offset:248
	s_mov_b32 s0, exec_lo
	s_wait_loadcnt 0x0
	ds_store_b64 v1, v[112:113]
	s_wait_storecnt_dscnt 0x0
	s_barrier_signal -1
	s_barrier_wait -1
	s_wait_xcnt 0x0
	v_cmpx_gt_u32_e32 31, v0
	s_cbranch_execz .LBB53_840
; %bb.831:
	v_cmp_ne_u32_e32 vcc_lo, 1, v114
	s_cbranch_vccnz .LBB53_833
; %bb.832:
	scratch_load_b64 v[112:113], v39, off
	ds_load_b64 v[116:117], v1
	s_wait_loadcnt_dscnt 0x0
	v_pk_mul_f32 v[118:119], v[116:117], v[112:113] op_sel:[1,1] op_sel_hi:[0,1]
	s_delay_alu instid0(VALU_DEP_1) | instskip(SKIP_1) | instid1(VALU_DEP_2)
	v_pk_fma_f32 v[120:121], v[116:117], v[112:113], v[118:119] op_sel_hi:[1,0,1]
	v_pk_fma_f32 v[112:113], v[116:117], v[112:113], v[118:119] neg_lo:[0,0,1] neg_hi:[0,0,1]
	v_mov_b32_e32 v113, v121
	s_cbranch_execz .LBB53_834
	s_branch .LBB53_835
.LBB53_833:
                                        ; implicit-def: $vgpr112_vgpr113
.LBB53_834:
	ds_load_b64 v[112:113], v1
.LBB53_835:
	s_mov_b32 s2, exec_lo
	v_cmpx_ne_u32_e32 30, v0
	s_cbranch_execz .LBB53_839
; %bb.836:
	v_add_nc_u32_e32 v115, 0x1b8, v38
	v_add3_u32 v116, 0, v38, 8
	v_mov_b32_e32 v117, v0
	s_mov_b32 s3, 0
.LBB53_837:                             ; =>This Inner Loop Header: Depth=1
	scratch_load_b64 v[118:119], v116, off
	ds_load_b64 v[120:121], v115
	s_wait_xcnt 0x0
	v_dual_add_nc_u32 v115, 8, v115 :: v_dual_add_nc_u32 v116, 8, v116
	s_wait_loadcnt_dscnt 0x0
	v_pk_mul_f32 v[122:123], v[120:121], v[118:119] op_sel:[1,1] op_sel_hi:[0,1]
	s_delay_alu instid0(VALU_DEP_1) | instskip(SKIP_2) | instid1(VALU_DEP_3)
	v_pk_fma_f32 v[124:125], v[120:121], v[118:119], v[122:123] op_sel_hi:[1,0,1]
	v_add_nc_u32_e32 v117, 1, v117
	v_pk_fma_f32 v[118:119], v[120:121], v[118:119], v[122:123] neg_lo:[0,0,1] neg_hi:[0,0,1]
	v_mov_b32_e32 v119, v125
	s_delay_alu instid0(VALU_DEP_3) | instskip(NEXT) | instid1(VALU_DEP_2)
	v_cmp_lt_u32_e32 vcc_lo, 29, v117
	v_pk_add_f32 v[112:113], v[112:113], v[118:119]
	s_or_b32 s3, vcc_lo, s3
	s_delay_alu instid0(SALU_CYCLE_1)
	s_and_not1_b32 exec_lo, exec_lo, s3
	s_cbranch_execnz .LBB53_837
; %bb.838:
	s_or_b32 exec_lo, exec_lo, s3
.LBB53_839:
	s_delay_alu instid0(SALU_CYCLE_1) | instskip(SKIP_4) | instid1(VALU_DEP_1)
	s_or_b32 exec_lo, exec_lo, s2
	v_mov_b32_e32 v115, 0
	ds_load_b64 v[116:117], v115 offset:248
	s_wait_dscnt 0x0
	v_pk_mul_f32 v[118:119], v[112:113], v[116:117] op_sel:[1,1] op_sel_hi:[0,1]
	v_pk_fma_f32 v[120:121], v[112:113], v[116:117], v[118:119] op_sel_hi:[1,0,1]
	v_pk_fma_f32 v[112:113], v[112:113], v[116:117], v[118:119] neg_lo:[0,0,1] neg_hi:[0,0,1]
	s_delay_alu instid0(VALU_DEP_2)
	v_mov_b32_e32 v113, v121
	scratch_store_b64 off, v[112:113], off offset:248
.LBB53_840:
	s_wait_xcnt 0x0
	s_or_b32 exec_lo, exec_lo, s0
	scratch_load_b64 v[112:113], off, off offset:256
	s_mov_b32 s0, exec_lo
	s_wait_loadcnt 0x0
	ds_store_b64 v1, v[112:113]
	s_wait_storecnt_dscnt 0x0
	s_barrier_signal -1
	s_barrier_wait -1
	s_wait_xcnt 0x0
	v_cmpx_gt_u32_e32 32, v0
	s_cbranch_execz .LBB53_850
; %bb.841:
	v_cmp_ne_u32_e32 vcc_lo, 1, v114
	s_cbranch_vccnz .LBB53_843
; %bb.842:
	scratch_load_b64 v[112:113], v39, off
	ds_load_b64 v[116:117], v1
	s_wait_loadcnt_dscnt 0x0
	v_pk_mul_f32 v[118:119], v[116:117], v[112:113] op_sel:[1,1] op_sel_hi:[0,1]
	s_delay_alu instid0(VALU_DEP_1) | instskip(SKIP_1) | instid1(VALU_DEP_2)
	v_pk_fma_f32 v[120:121], v[116:117], v[112:113], v[118:119] op_sel_hi:[1,0,1]
	v_pk_fma_f32 v[112:113], v[116:117], v[112:113], v[118:119] neg_lo:[0,0,1] neg_hi:[0,0,1]
	v_mov_b32_e32 v113, v121
	s_cbranch_execz .LBB53_844
	s_branch .LBB53_845
.LBB53_843:
                                        ; implicit-def: $vgpr112_vgpr113
.LBB53_844:
	ds_load_b64 v[112:113], v1
.LBB53_845:
	s_mov_b32 s2, exec_lo
	v_cmpx_ne_u32_e32 31, v0
	s_cbranch_execz .LBB53_849
; %bb.846:
	v_add_nc_u32_e32 v115, 0x1b8, v38
	v_add3_u32 v116, 0, v38, 8
	v_mov_b32_e32 v117, v0
	s_mov_b32 s3, 0
.LBB53_847:                             ; =>This Inner Loop Header: Depth=1
	scratch_load_b64 v[118:119], v116, off
	ds_load_b64 v[120:121], v115
	s_wait_xcnt 0x0
	v_dual_add_nc_u32 v115, 8, v115 :: v_dual_add_nc_u32 v116, 8, v116
	s_wait_loadcnt_dscnt 0x0
	v_pk_mul_f32 v[122:123], v[120:121], v[118:119] op_sel:[1,1] op_sel_hi:[0,1]
	s_delay_alu instid0(VALU_DEP_1) | instskip(SKIP_2) | instid1(VALU_DEP_3)
	v_pk_fma_f32 v[124:125], v[120:121], v[118:119], v[122:123] op_sel_hi:[1,0,1]
	v_add_nc_u32_e32 v117, 1, v117
	v_pk_fma_f32 v[118:119], v[120:121], v[118:119], v[122:123] neg_lo:[0,0,1] neg_hi:[0,0,1]
	v_mov_b32_e32 v119, v125
	s_delay_alu instid0(VALU_DEP_3) | instskip(NEXT) | instid1(VALU_DEP_2)
	v_cmp_lt_u32_e32 vcc_lo, 30, v117
	v_pk_add_f32 v[112:113], v[112:113], v[118:119]
	s_or_b32 s3, vcc_lo, s3
	s_delay_alu instid0(SALU_CYCLE_1)
	s_and_not1_b32 exec_lo, exec_lo, s3
	s_cbranch_execnz .LBB53_847
; %bb.848:
	s_or_b32 exec_lo, exec_lo, s3
.LBB53_849:
	s_delay_alu instid0(SALU_CYCLE_1) | instskip(SKIP_4) | instid1(VALU_DEP_1)
	s_or_b32 exec_lo, exec_lo, s2
	v_mov_b32_e32 v115, 0
	ds_load_b64 v[116:117], v115 offset:256
	s_wait_dscnt 0x0
	v_pk_mul_f32 v[118:119], v[112:113], v[116:117] op_sel:[1,1] op_sel_hi:[0,1]
	v_pk_fma_f32 v[120:121], v[112:113], v[116:117], v[118:119] op_sel_hi:[1,0,1]
	v_pk_fma_f32 v[112:113], v[112:113], v[116:117], v[118:119] neg_lo:[0,0,1] neg_hi:[0,0,1]
	s_delay_alu instid0(VALU_DEP_2)
	v_mov_b32_e32 v113, v121
	scratch_store_b64 off, v[112:113], off offset:256
.LBB53_850:
	s_wait_xcnt 0x0
	s_or_b32 exec_lo, exec_lo, s0
	scratch_load_b64 v[112:113], off, off offset:264
	s_mov_b32 s0, exec_lo
	s_wait_loadcnt 0x0
	ds_store_b64 v1, v[112:113]
	s_wait_storecnt_dscnt 0x0
	s_barrier_signal -1
	s_barrier_wait -1
	s_wait_xcnt 0x0
	v_cmpx_gt_u32_e32 33, v0
	s_cbranch_execz .LBB53_860
; %bb.851:
	v_cmp_ne_u32_e32 vcc_lo, 1, v114
	s_cbranch_vccnz .LBB53_853
; %bb.852:
	scratch_load_b64 v[112:113], v39, off
	ds_load_b64 v[116:117], v1
	s_wait_loadcnt_dscnt 0x0
	v_pk_mul_f32 v[118:119], v[116:117], v[112:113] op_sel:[1,1] op_sel_hi:[0,1]
	s_delay_alu instid0(VALU_DEP_1) | instskip(SKIP_1) | instid1(VALU_DEP_2)
	v_pk_fma_f32 v[120:121], v[116:117], v[112:113], v[118:119] op_sel_hi:[1,0,1]
	v_pk_fma_f32 v[112:113], v[116:117], v[112:113], v[118:119] neg_lo:[0,0,1] neg_hi:[0,0,1]
	v_mov_b32_e32 v113, v121
	s_cbranch_execz .LBB53_854
	s_branch .LBB53_855
.LBB53_853:
                                        ; implicit-def: $vgpr112_vgpr113
.LBB53_854:
	ds_load_b64 v[112:113], v1
.LBB53_855:
	s_mov_b32 s2, exec_lo
	v_cmpx_ne_u32_e32 32, v0
	s_cbranch_execz .LBB53_859
; %bb.856:
	v_add_nc_u32_e32 v115, 0x1b8, v38
	v_add3_u32 v116, 0, v38, 8
	v_mov_b32_e32 v117, v0
	s_mov_b32 s3, 0
.LBB53_857:                             ; =>This Inner Loop Header: Depth=1
	scratch_load_b64 v[118:119], v116, off
	ds_load_b64 v[120:121], v115
	s_wait_xcnt 0x0
	v_dual_add_nc_u32 v115, 8, v115 :: v_dual_add_nc_u32 v116, 8, v116
	s_wait_loadcnt_dscnt 0x0
	v_pk_mul_f32 v[122:123], v[120:121], v[118:119] op_sel:[1,1] op_sel_hi:[0,1]
	s_delay_alu instid0(VALU_DEP_1) | instskip(SKIP_2) | instid1(VALU_DEP_3)
	v_pk_fma_f32 v[124:125], v[120:121], v[118:119], v[122:123] op_sel_hi:[1,0,1]
	v_add_nc_u32_e32 v117, 1, v117
	v_pk_fma_f32 v[118:119], v[120:121], v[118:119], v[122:123] neg_lo:[0,0,1] neg_hi:[0,0,1]
	v_mov_b32_e32 v119, v125
	s_delay_alu instid0(VALU_DEP_3) | instskip(NEXT) | instid1(VALU_DEP_2)
	v_cmp_lt_u32_e32 vcc_lo, 31, v117
	v_pk_add_f32 v[112:113], v[112:113], v[118:119]
	s_or_b32 s3, vcc_lo, s3
	s_delay_alu instid0(SALU_CYCLE_1)
	s_and_not1_b32 exec_lo, exec_lo, s3
	s_cbranch_execnz .LBB53_857
; %bb.858:
	s_or_b32 exec_lo, exec_lo, s3
.LBB53_859:
	s_delay_alu instid0(SALU_CYCLE_1) | instskip(SKIP_4) | instid1(VALU_DEP_1)
	s_or_b32 exec_lo, exec_lo, s2
	v_mov_b32_e32 v115, 0
	ds_load_b64 v[116:117], v115 offset:264
	s_wait_dscnt 0x0
	v_pk_mul_f32 v[118:119], v[112:113], v[116:117] op_sel:[1,1] op_sel_hi:[0,1]
	v_pk_fma_f32 v[120:121], v[112:113], v[116:117], v[118:119] op_sel_hi:[1,0,1]
	v_pk_fma_f32 v[112:113], v[112:113], v[116:117], v[118:119] neg_lo:[0,0,1] neg_hi:[0,0,1]
	s_delay_alu instid0(VALU_DEP_2)
	v_mov_b32_e32 v113, v121
	scratch_store_b64 off, v[112:113], off offset:264
.LBB53_860:
	s_wait_xcnt 0x0
	s_or_b32 exec_lo, exec_lo, s0
	scratch_load_b64 v[112:113], off, off offset:272
	s_mov_b32 s0, exec_lo
	s_wait_loadcnt 0x0
	ds_store_b64 v1, v[112:113]
	s_wait_storecnt_dscnt 0x0
	s_barrier_signal -1
	s_barrier_wait -1
	s_wait_xcnt 0x0
	v_cmpx_gt_u32_e32 34, v0
	s_cbranch_execz .LBB53_870
; %bb.861:
	v_cmp_ne_u32_e32 vcc_lo, 1, v114
	s_cbranch_vccnz .LBB53_863
; %bb.862:
	scratch_load_b64 v[112:113], v39, off
	ds_load_b64 v[116:117], v1
	s_wait_loadcnt_dscnt 0x0
	v_pk_mul_f32 v[118:119], v[116:117], v[112:113] op_sel:[1,1] op_sel_hi:[0,1]
	s_delay_alu instid0(VALU_DEP_1) | instskip(SKIP_1) | instid1(VALU_DEP_2)
	v_pk_fma_f32 v[120:121], v[116:117], v[112:113], v[118:119] op_sel_hi:[1,0,1]
	v_pk_fma_f32 v[112:113], v[116:117], v[112:113], v[118:119] neg_lo:[0,0,1] neg_hi:[0,0,1]
	v_mov_b32_e32 v113, v121
	s_cbranch_execz .LBB53_864
	s_branch .LBB53_865
.LBB53_863:
                                        ; implicit-def: $vgpr112_vgpr113
.LBB53_864:
	ds_load_b64 v[112:113], v1
.LBB53_865:
	s_mov_b32 s2, exec_lo
	v_cmpx_ne_u32_e32 33, v0
	s_cbranch_execz .LBB53_869
; %bb.866:
	v_add_nc_u32_e32 v115, 0x1b8, v38
	v_add3_u32 v116, 0, v38, 8
	v_mov_b32_e32 v117, v0
	s_mov_b32 s3, 0
.LBB53_867:                             ; =>This Inner Loop Header: Depth=1
	scratch_load_b64 v[118:119], v116, off
	ds_load_b64 v[120:121], v115
	s_wait_xcnt 0x0
	v_dual_add_nc_u32 v115, 8, v115 :: v_dual_add_nc_u32 v116, 8, v116
	s_wait_loadcnt_dscnt 0x0
	v_pk_mul_f32 v[122:123], v[120:121], v[118:119] op_sel:[1,1] op_sel_hi:[0,1]
	s_delay_alu instid0(VALU_DEP_1) | instskip(SKIP_2) | instid1(VALU_DEP_3)
	v_pk_fma_f32 v[124:125], v[120:121], v[118:119], v[122:123] op_sel_hi:[1,0,1]
	v_add_nc_u32_e32 v117, 1, v117
	v_pk_fma_f32 v[118:119], v[120:121], v[118:119], v[122:123] neg_lo:[0,0,1] neg_hi:[0,0,1]
	v_mov_b32_e32 v119, v125
	s_delay_alu instid0(VALU_DEP_3) | instskip(NEXT) | instid1(VALU_DEP_2)
	v_cmp_lt_u32_e32 vcc_lo, 32, v117
	v_pk_add_f32 v[112:113], v[112:113], v[118:119]
	s_or_b32 s3, vcc_lo, s3
	s_delay_alu instid0(SALU_CYCLE_1)
	s_and_not1_b32 exec_lo, exec_lo, s3
	s_cbranch_execnz .LBB53_867
; %bb.868:
	s_or_b32 exec_lo, exec_lo, s3
.LBB53_869:
	s_delay_alu instid0(SALU_CYCLE_1) | instskip(SKIP_4) | instid1(VALU_DEP_1)
	s_or_b32 exec_lo, exec_lo, s2
	v_mov_b32_e32 v115, 0
	ds_load_b64 v[116:117], v115 offset:272
	s_wait_dscnt 0x0
	v_pk_mul_f32 v[118:119], v[112:113], v[116:117] op_sel:[1,1] op_sel_hi:[0,1]
	v_pk_fma_f32 v[120:121], v[112:113], v[116:117], v[118:119] op_sel_hi:[1,0,1]
	v_pk_fma_f32 v[112:113], v[112:113], v[116:117], v[118:119] neg_lo:[0,0,1] neg_hi:[0,0,1]
	s_delay_alu instid0(VALU_DEP_2)
	v_mov_b32_e32 v113, v121
	scratch_store_b64 off, v[112:113], off offset:272
.LBB53_870:
	s_wait_xcnt 0x0
	s_or_b32 exec_lo, exec_lo, s0
	scratch_load_b64 v[112:113], off, off offset:280
	s_mov_b32 s0, exec_lo
	s_wait_loadcnt 0x0
	ds_store_b64 v1, v[112:113]
	s_wait_storecnt_dscnt 0x0
	s_barrier_signal -1
	s_barrier_wait -1
	s_wait_xcnt 0x0
	v_cmpx_gt_u32_e32 35, v0
	s_cbranch_execz .LBB53_880
; %bb.871:
	v_cmp_ne_u32_e32 vcc_lo, 1, v114
	s_cbranch_vccnz .LBB53_873
; %bb.872:
	scratch_load_b64 v[112:113], v39, off
	ds_load_b64 v[116:117], v1
	s_wait_loadcnt_dscnt 0x0
	v_pk_mul_f32 v[118:119], v[116:117], v[112:113] op_sel:[1,1] op_sel_hi:[0,1]
	s_delay_alu instid0(VALU_DEP_1) | instskip(SKIP_1) | instid1(VALU_DEP_2)
	v_pk_fma_f32 v[120:121], v[116:117], v[112:113], v[118:119] op_sel_hi:[1,0,1]
	v_pk_fma_f32 v[112:113], v[116:117], v[112:113], v[118:119] neg_lo:[0,0,1] neg_hi:[0,0,1]
	v_mov_b32_e32 v113, v121
	s_cbranch_execz .LBB53_874
	s_branch .LBB53_875
.LBB53_873:
                                        ; implicit-def: $vgpr112_vgpr113
.LBB53_874:
	ds_load_b64 v[112:113], v1
.LBB53_875:
	s_mov_b32 s2, exec_lo
	v_cmpx_ne_u32_e32 34, v0
	s_cbranch_execz .LBB53_879
; %bb.876:
	v_add_nc_u32_e32 v115, 0x1b8, v38
	v_add3_u32 v116, 0, v38, 8
	v_mov_b32_e32 v117, v0
	s_mov_b32 s3, 0
.LBB53_877:                             ; =>This Inner Loop Header: Depth=1
	scratch_load_b64 v[118:119], v116, off
	ds_load_b64 v[120:121], v115
	s_wait_xcnt 0x0
	v_dual_add_nc_u32 v115, 8, v115 :: v_dual_add_nc_u32 v116, 8, v116
	s_wait_loadcnt_dscnt 0x0
	v_pk_mul_f32 v[122:123], v[120:121], v[118:119] op_sel:[1,1] op_sel_hi:[0,1]
	s_delay_alu instid0(VALU_DEP_1) | instskip(SKIP_2) | instid1(VALU_DEP_3)
	v_pk_fma_f32 v[124:125], v[120:121], v[118:119], v[122:123] op_sel_hi:[1,0,1]
	v_add_nc_u32_e32 v117, 1, v117
	v_pk_fma_f32 v[118:119], v[120:121], v[118:119], v[122:123] neg_lo:[0,0,1] neg_hi:[0,0,1]
	v_mov_b32_e32 v119, v125
	s_delay_alu instid0(VALU_DEP_3) | instskip(NEXT) | instid1(VALU_DEP_2)
	v_cmp_lt_u32_e32 vcc_lo, 33, v117
	v_pk_add_f32 v[112:113], v[112:113], v[118:119]
	s_or_b32 s3, vcc_lo, s3
	s_delay_alu instid0(SALU_CYCLE_1)
	s_and_not1_b32 exec_lo, exec_lo, s3
	s_cbranch_execnz .LBB53_877
; %bb.878:
	s_or_b32 exec_lo, exec_lo, s3
.LBB53_879:
	s_delay_alu instid0(SALU_CYCLE_1) | instskip(SKIP_4) | instid1(VALU_DEP_1)
	s_or_b32 exec_lo, exec_lo, s2
	v_mov_b32_e32 v115, 0
	ds_load_b64 v[116:117], v115 offset:280
	s_wait_dscnt 0x0
	v_pk_mul_f32 v[118:119], v[112:113], v[116:117] op_sel:[1,1] op_sel_hi:[0,1]
	v_pk_fma_f32 v[120:121], v[112:113], v[116:117], v[118:119] op_sel_hi:[1,0,1]
	v_pk_fma_f32 v[112:113], v[112:113], v[116:117], v[118:119] neg_lo:[0,0,1] neg_hi:[0,0,1]
	s_delay_alu instid0(VALU_DEP_2)
	v_mov_b32_e32 v113, v121
	scratch_store_b64 off, v[112:113], off offset:280
.LBB53_880:
	s_wait_xcnt 0x0
	s_or_b32 exec_lo, exec_lo, s0
	scratch_load_b64 v[112:113], off, off offset:288
	s_mov_b32 s0, exec_lo
	s_wait_loadcnt 0x0
	ds_store_b64 v1, v[112:113]
	s_wait_storecnt_dscnt 0x0
	s_barrier_signal -1
	s_barrier_wait -1
	s_wait_xcnt 0x0
	v_cmpx_gt_u32_e32 36, v0
	s_cbranch_execz .LBB53_890
; %bb.881:
	v_cmp_ne_u32_e32 vcc_lo, 1, v114
	s_cbranch_vccnz .LBB53_883
; %bb.882:
	scratch_load_b64 v[112:113], v39, off
	ds_load_b64 v[116:117], v1
	s_wait_loadcnt_dscnt 0x0
	v_pk_mul_f32 v[118:119], v[116:117], v[112:113] op_sel:[1,1] op_sel_hi:[0,1]
	s_delay_alu instid0(VALU_DEP_1) | instskip(SKIP_1) | instid1(VALU_DEP_2)
	v_pk_fma_f32 v[120:121], v[116:117], v[112:113], v[118:119] op_sel_hi:[1,0,1]
	v_pk_fma_f32 v[112:113], v[116:117], v[112:113], v[118:119] neg_lo:[0,0,1] neg_hi:[0,0,1]
	v_mov_b32_e32 v113, v121
	s_cbranch_execz .LBB53_884
	s_branch .LBB53_885
.LBB53_883:
                                        ; implicit-def: $vgpr112_vgpr113
.LBB53_884:
	ds_load_b64 v[112:113], v1
.LBB53_885:
	s_mov_b32 s2, exec_lo
	v_cmpx_ne_u32_e32 35, v0
	s_cbranch_execz .LBB53_889
; %bb.886:
	v_add_nc_u32_e32 v115, 0x1b8, v38
	v_add3_u32 v116, 0, v38, 8
	v_mov_b32_e32 v117, v0
	s_mov_b32 s3, 0
.LBB53_887:                             ; =>This Inner Loop Header: Depth=1
	scratch_load_b64 v[118:119], v116, off
	ds_load_b64 v[120:121], v115
	s_wait_xcnt 0x0
	v_dual_add_nc_u32 v115, 8, v115 :: v_dual_add_nc_u32 v116, 8, v116
	s_wait_loadcnt_dscnt 0x0
	v_pk_mul_f32 v[122:123], v[120:121], v[118:119] op_sel:[1,1] op_sel_hi:[0,1]
	s_delay_alu instid0(VALU_DEP_1) | instskip(SKIP_2) | instid1(VALU_DEP_3)
	v_pk_fma_f32 v[124:125], v[120:121], v[118:119], v[122:123] op_sel_hi:[1,0,1]
	v_add_nc_u32_e32 v117, 1, v117
	v_pk_fma_f32 v[118:119], v[120:121], v[118:119], v[122:123] neg_lo:[0,0,1] neg_hi:[0,0,1]
	v_mov_b32_e32 v119, v125
	s_delay_alu instid0(VALU_DEP_3) | instskip(NEXT) | instid1(VALU_DEP_2)
	v_cmp_lt_u32_e32 vcc_lo, 34, v117
	v_pk_add_f32 v[112:113], v[112:113], v[118:119]
	s_or_b32 s3, vcc_lo, s3
	s_delay_alu instid0(SALU_CYCLE_1)
	s_and_not1_b32 exec_lo, exec_lo, s3
	s_cbranch_execnz .LBB53_887
; %bb.888:
	s_or_b32 exec_lo, exec_lo, s3
.LBB53_889:
	s_delay_alu instid0(SALU_CYCLE_1) | instskip(SKIP_4) | instid1(VALU_DEP_1)
	s_or_b32 exec_lo, exec_lo, s2
	v_mov_b32_e32 v115, 0
	ds_load_b64 v[116:117], v115 offset:288
	s_wait_dscnt 0x0
	v_pk_mul_f32 v[118:119], v[112:113], v[116:117] op_sel:[1,1] op_sel_hi:[0,1]
	v_pk_fma_f32 v[120:121], v[112:113], v[116:117], v[118:119] op_sel_hi:[1,0,1]
	v_pk_fma_f32 v[112:113], v[112:113], v[116:117], v[118:119] neg_lo:[0,0,1] neg_hi:[0,0,1]
	s_delay_alu instid0(VALU_DEP_2)
	v_mov_b32_e32 v113, v121
	scratch_store_b64 off, v[112:113], off offset:288
.LBB53_890:
	s_wait_xcnt 0x0
	s_or_b32 exec_lo, exec_lo, s0
	scratch_load_b64 v[112:113], off, off offset:296
	s_mov_b32 s0, exec_lo
	s_wait_loadcnt 0x0
	ds_store_b64 v1, v[112:113]
	s_wait_storecnt_dscnt 0x0
	s_barrier_signal -1
	s_barrier_wait -1
	s_wait_xcnt 0x0
	v_cmpx_gt_u32_e32 37, v0
	s_cbranch_execz .LBB53_900
; %bb.891:
	v_cmp_ne_u32_e32 vcc_lo, 1, v114
	s_cbranch_vccnz .LBB53_893
; %bb.892:
	scratch_load_b64 v[112:113], v39, off
	ds_load_b64 v[116:117], v1
	s_wait_loadcnt_dscnt 0x0
	v_pk_mul_f32 v[118:119], v[116:117], v[112:113] op_sel:[1,1] op_sel_hi:[0,1]
	s_delay_alu instid0(VALU_DEP_1) | instskip(SKIP_1) | instid1(VALU_DEP_2)
	v_pk_fma_f32 v[120:121], v[116:117], v[112:113], v[118:119] op_sel_hi:[1,0,1]
	v_pk_fma_f32 v[112:113], v[116:117], v[112:113], v[118:119] neg_lo:[0,0,1] neg_hi:[0,0,1]
	v_mov_b32_e32 v113, v121
	s_cbranch_execz .LBB53_894
	s_branch .LBB53_895
.LBB53_893:
                                        ; implicit-def: $vgpr112_vgpr113
.LBB53_894:
	ds_load_b64 v[112:113], v1
.LBB53_895:
	s_mov_b32 s2, exec_lo
	v_cmpx_ne_u32_e32 36, v0
	s_cbranch_execz .LBB53_899
; %bb.896:
	v_add_nc_u32_e32 v115, 0x1b8, v38
	v_add3_u32 v116, 0, v38, 8
	v_mov_b32_e32 v117, v0
	s_mov_b32 s3, 0
.LBB53_897:                             ; =>This Inner Loop Header: Depth=1
	scratch_load_b64 v[118:119], v116, off
	ds_load_b64 v[120:121], v115
	s_wait_xcnt 0x0
	v_dual_add_nc_u32 v115, 8, v115 :: v_dual_add_nc_u32 v116, 8, v116
	s_wait_loadcnt_dscnt 0x0
	v_pk_mul_f32 v[122:123], v[120:121], v[118:119] op_sel:[1,1] op_sel_hi:[0,1]
	s_delay_alu instid0(VALU_DEP_1) | instskip(SKIP_2) | instid1(VALU_DEP_3)
	v_pk_fma_f32 v[124:125], v[120:121], v[118:119], v[122:123] op_sel_hi:[1,0,1]
	v_add_nc_u32_e32 v117, 1, v117
	v_pk_fma_f32 v[118:119], v[120:121], v[118:119], v[122:123] neg_lo:[0,0,1] neg_hi:[0,0,1]
	v_mov_b32_e32 v119, v125
	s_delay_alu instid0(VALU_DEP_3) | instskip(NEXT) | instid1(VALU_DEP_2)
	v_cmp_lt_u32_e32 vcc_lo, 35, v117
	v_pk_add_f32 v[112:113], v[112:113], v[118:119]
	s_or_b32 s3, vcc_lo, s3
	s_delay_alu instid0(SALU_CYCLE_1)
	s_and_not1_b32 exec_lo, exec_lo, s3
	s_cbranch_execnz .LBB53_897
; %bb.898:
	s_or_b32 exec_lo, exec_lo, s3
.LBB53_899:
	s_delay_alu instid0(SALU_CYCLE_1) | instskip(SKIP_4) | instid1(VALU_DEP_1)
	s_or_b32 exec_lo, exec_lo, s2
	v_mov_b32_e32 v115, 0
	ds_load_b64 v[116:117], v115 offset:296
	s_wait_dscnt 0x0
	v_pk_mul_f32 v[118:119], v[112:113], v[116:117] op_sel:[1,1] op_sel_hi:[0,1]
	v_pk_fma_f32 v[120:121], v[112:113], v[116:117], v[118:119] op_sel_hi:[1,0,1]
	v_pk_fma_f32 v[112:113], v[112:113], v[116:117], v[118:119] neg_lo:[0,0,1] neg_hi:[0,0,1]
	s_delay_alu instid0(VALU_DEP_2)
	v_mov_b32_e32 v113, v121
	scratch_store_b64 off, v[112:113], off offset:296
.LBB53_900:
	s_wait_xcnt 0x0
	s_or_b32 exec_lo, exec_lo, s0
	scratch_load_b64 v[112:113], off, off offset:304
	s_mov_b32 s0, exec_lo
	s_wait_loadcnt 0x0
	ds_store_b64 v1, v[112:113]
	s_wait_storecnt_dscnt 0x0
	s_barrier_signal -1
	s_barrier_wait -1
	s_wait_xcnt 0x0
	v_cmpx_gt_u32_e32 38, v0
	s_cbranch_execz .LBB53_910
; %bb.901:
	v_cmp_ne_u32_e32 vcc_lo, 1, v114
	s_cbranch_vccnz .LBB53_903
; %bb.902:
	scratch_load_b64 v[112:113], v39, off
	ds_load_b64 v[116:117], v1
	s_wait_loadcnt_dscnt 0x0
	v_pk_mul_f32 v[118:119], v[116:117], v[112:113] op_sel:[1,1] op_sel_hi:[0,1]
	s_delay_alu instid0(VALU_DEP_1) | instskip(SKIP_1) | instid1(VALU_DEP_2)
	v_pk_fma_f32 v[120:121], v[116:117], v[112:113], v[118:119] op_sel_hi:[1,0,1]
	v_pk_fma_f32 v[112:113], v[116:117], v[112:113], v[118:119] neg_lo:[0,0,1] neg_hi:[0,0,1]
	v_mov_b32_e32 v113, v121
	s_cbranch_execz .LBB53_904
	s_branch .LBB53_905
.LBB53_903:
                                        ; implicit-def: $vgpr112_vgpr113
.LBB53_904:
	ds_load_b64 v[112:113], v1
.LBB53_905:
	s_mov_b32 s2, exec_lo
	v_cmpx_ne_u32_e32 37, v0
	s_cbranch_execz .LBB53_909
; %bb.906:
	v_add_nc_u32_e32 v115, 0x1b8, v38
	v_add3_u32 v116, 0, v38, 8
	v_mov_b32_e32 v117, v0
	s_mov_b32 s3, 0
.LBB53_907:                             ; =>This Inner Loop Header: Depth=1
	scratch_load_b64 v[118:119], v116, off
	ds_load_b64 v[120:121], v115
	s_wait_xcnt 0x0
	v_dual_add_nc_u32 v115, 8, v115 :: v_dual_add_nc_u32 v116, 8, v116
	s_wait_loadcnt_dscnt 0x0
	v_pk_mul_f32 v[122:123], v[120:121], v[118:119] op_sel:[1,1] op_sel_hi:[0,1]
	s_delay_alu instid0(VALU_DEP_1) | instskip(SKIP_2) | instid1(VALU_DEP_3)
	v_pk_fma_f32 v[124:125], v[120:121], v[118:119], v[122:123] op_sel_hi:[1,0,1]
	v_add_nc_u32_e32 v117, 1, v117
	v_pk_fma_f32 v[118:119], v[120:121], v[118:119], v[122:123] neg_lo:[0,0,1] neg_hi:[0,0,1]
	v_mov_b32_e32 v119, v125
	s_delay_alu instid0(VALU_DEP_3) | instskip(NEXT) | instid1(VALU_DEP_2)
	v_cmp_lt_u32_e32 vcc_lo, 36, v117
	v_pk_add_f32 v[112:113], v[112:113], v[118:119]
	s_or_b32 s3, vcc_lo, s3
	s_delay_alu instid0(SALU_CYCLE_1)
	s_and_not1_b32 exec_lo, exec_lo, s3
	s_cbranch_execnz .LBB53_907
; %bb.908:
	s_or_b32 exec_lo, exec_lo, s3
.LBB53_909:
	s_delay_alu instid0(SALU_CYCLE_1) | instskip(SKIP_4) | instid1(VALU_DEP_1)
	s_or_b32 exec_lo, exec_lo, s2
	v_mov_b32_e32 v115, 0
	ds_load_b64 v[116:117], v115 offset:304
	s_wait_dscnt 0x0
	v_pk_mul_f32 v[118:119], v[112:113], v[116:117] op_sel:[1,1] op_sel_hi:[0,1]
	v_pk_fma_f32 v[120:121], v[112:113], v[116:117], v[118:119] op_sel_hi:[1,0,1]
	v_pk_fma_f32 v[112:113], v[112:113], v[116:117], v[118:119] neg_lo:[0,0,1] neg_hi:[0,0,1]
	s_delay_alu instid0(VALU_DEP_2)
	v_mov_b32_e32 v113, v121
	scratch_store_b64 off, v[112:113], off offset:304
.LBB53_910:
	s_wait_xcnt 0x0
	s_or_b32 exec_lo, exec_lo, s0
	scratch_load_b64 v[112:113], off, off offset:312
	s_mov_b32 s0, exec_lo
	s_wait_loadcnt 0x0
	ds_store_b64 v1, v[112:113]
	s_wait_storecnt_dscnt 0x0
	s_barrier_signal -1
	s_barrier_wait -1
	s_wait_xcnt 0x0
	v_cmpx_gt_u32_e32 39, v0
	s_cbranch_execz .LBB53_920
; %bb.911:
	v_cmp_ne_u32_e32 vcc_lo, 1, v114
	s_cbranch_vccnz .LBB53_913
; %bb.912:
	scratch_load_b64 v[112:113], v39, off
	ds_load_b64 v[116:117], v1
	s_wait_loadcnt_dscnt 0x0
	v_pk_mul_f32 v[118:119], v[116:117], v[112:113] op_sel:[1,1] op_sel_hi:[0,1]
	s_delay_alu instid0(VALU_DEP_1) | instskip(SKIP_1) | instid1(VALU_DEP_2)
	v_pk_fma_f32 v[120:121], v[116:117], v[112:113], v[118:119] op_sel_hi:[1,0,1]
	v_pk_fma_f32 v[112:113], v[116:117], v[112:113], v[118:119] neg_lo:[0,0,1] neg_hi:[0,0,1]
	v_mov_b32_e32 v113, v121
	s_cbranch_execz .LBB53_914
	s_branch .LBB53_915
.LBB53_913:
                                        ; implicit-def: $vgpr112_vgpr113
.LBB53_914:
	ds_load_b64 v[112:113], v1
.LBB53_915:
	s_mov_b32 s2, exec_lo
	v_cmpx_ne_u32_e32 38, v0
	s_cbranch_execz .LBB53_919
; %bb.916:
	v_add_nc_u32_e32 v115, 0x1b8, v38
	v_add3_u32 v116, 0, v38, 8
	v_mov_b32_e32 v117, v0
	s_mov_b32 s3, 0
.LBB53_917:                             ; =>This Inner Loop Header: Depth=1
	scratch_load_b64 v[118:119], v116, off
	ds_load_b64 v[120:121], v115
	s_wait_xcnt 0x0
	v_dual_add_nc_u32 v115, 8, v115 :: v_dual_add_nc_u32 v116, 8, v116
	s_wait_loadcnt_dscnt 0x0
	v_pk_mul_f32 v[122:123], v[120:121], v[118:119] op_sel:[1,1] op_sel_hi:[0,1]
	s_delay_alu instid0(VALU_DEP_1) | instskip(SKIP_2) | instid1(VALU_DEP_3)
	v_pk_fma_f32 v[124:125], v[120:121], v[118:119], v[122:123] op_sel_hi:[1,0,1]
	v_add_nc_u32_e32 v117, 1, v117
	v_pk_fma_f32 v[118:119], v[120:121], v[118:119], v[122:123] neg_lo:[0,0,1] neg_hi:[0,0,1]
	v_mov_b32_e32 v119, v125
	s_delay_alu instid0(VALU_DEP_3) | instskip(NEXT) | instid1(VALU_DEP_2)
	v_cmp_lt_u32_e32 vcc_lo, 37, v117
	v_pk_add_f32 v[112:113], v[112:113], v[118:119]
	s_or_b32 s3, vcc_lo, s3
	s_delay_alu instid0(SALU_CYCLE_1)
	s_and_not1_b32 exec_lo, exec_lo, s3
	s_cbranch_execnz .LBB53_917
; %bb.918:
	s_or_b32 exec_lo, exec_lo, s3
.LBB53_919:
	s_delay_alu instid0(SALU_CYCLE_1) | instskip(SKIP_4) | instid1(VALU_DEP_1)
	s_or_b32 exec_lo, exec_lo, s2
	v_mov_b32_e32 v115, 0
	ds_load_b64 v[116:117], v115 offset:312
	s_wait_dscnt 0x0
	v_pk_mul_f32 v[118:119], v[112:113], v[116:117] op_sel:[1,1] op_sel_hi:[0,1]
	v_pk_fma_f32 v[120:121], v[112:113], v[116:117], v[118:119] op_sel_hi:[1,0,1]
	v_pk_fma_f32 v[112:113], v[112:113], v[116:117], v[118:119] neg_lo:[0,0,1] neg_hi:[0,0,1]
	s_delay_alu instid0(VALU_DEP_2)
	v_mov_b32_e32 v113, v121
	scratch_store_b64 off, v[112:113], off offset:312
.LBB53_920:
	s_wait_xcnt 0x0
	s_or_b32 exec_lo, exec_lo, s0
	scratch_load_b64 v[112:113], off, off offset:320
	s_mov_b32 s0, exec_lo
	s_wait_loadcnt 0x0
	ds_store_b64 v1, v[112:113]
	s_wait_storecnt_dscnt 0x0
	s_barrier_signal -1
	s_barrier_wait -1
	s_wait_xcnt 0x0
	v_cmpx_gt_u32_e32 40, v0
	s_cbranch_execz .LBB53_930
; %bb.921:
	v_cmp_ne_u32_e32 vcc_lo, 1, v114
	s_cbranch_vccnz .LBB53_923
; %bb.922:
	scratch_load_b64 v[112:113], v39, off
	ds_load_b64 v[116:117], v1
	s_wait_loadcnt_dscnt 0x0
	v_pk_mul_f32 v[118:119], v[116:117], v[112:113] op_sel:[1,1] op_sel_hi:[0,1]
	s_delay_alu instid0(VALU_DEP_1) | instskip(SKIP_1) | instid1(VALU_DEP_2)
	v_pk_fma_f32 v[120:121], v[116:117], v[112:113], v[118:119] op_sel_hi:[1,0,1]
	v_pk_fma_f32 v[112:113], v[116:117], v[112:113], v[118:119] neg_lo:[0,0,1] neg_hi:[0,0,1]
	v_mov_b32_e32 v113, v121
	s_cbranch_execz .LBB53_924
	s_branch .LBB53_925
.LBB53_923:
                                        ; implicit-def: $vgpr112_vgpr113
.LBB53_924:
	ds_load_b64 v[112:113], v1
.LBB53_925:
	s_mov_b32 s2, exec_lo
	v_cmpx_ne_u32_e32 39, v0
	s_cbranch_execz .LBB53_929
; %bb.926:
	v_add_nc_u32_e32 v115, 0x1b8, v38
	v_add3_u32 v116, 0, v38, 8
	v_mov_b32_e32 v117, v0
	s_mov_b32 s3, 0
.LBB53_927:                             ; =>This Inner Loop Header: Depth=1
	scratch_load_b64 v[118:119], v116, off
	ds_load_b64 v[120:121], v115
	s_wait_xcnt 0x0
	v_dual_add_nc_u32 v115, 8, v115 :: v_dual_add_nc_u32 v116, 8, v116
	s_wait_loadcnt_dscnt 0x0
	v_pk_mul_f32 v[122:123], v[120:121], v[118:119] op_sel:[1,1] op_sel_hi:[0,1]
	s_delay_alu instid0(VALU_DEP_1) | instskip(SKIP_2) | instid1(VALU_DEP_3)
	v_pk_fma_f32 v[124:125], v[120:121], v[118:119], v[122:123] op_sel_hi:[1,0,1]
	v_add_nc_u32_e32 v117, 1, v117
	v_pk_fma_f32 v[118:119], v[120:121], v[118:119], v[122:123] neg_lo:[0,0,1] neg_hi:[0,0,1]
	v_mov_b32_e32 v119, v125
	s_delay_alu instid0(VALU_DEP_3) | instskip(NEXT) | instid1(VALU_DEP_2)
	v_cmp_lt_u32_e32 vcc_lo, 38, v117
	v_pk_add_f32 v[112:113], v[112:113], v[118:119]
	s_or_b32 s3, vcc_lo, s3
	s_delay_alu instid0(SALU_CYCLE_1)
	s_and_not1_b32 exec_lo, exec_lo, s3
	s_cbranch_execnz .LBB53_927
; %bb.928:
	s_or_b32 exec_lo, exec_lo, s3
.LBB53_929:
	s_delay_alu instid0(SALU_CYCLE_1) | instskip(SKIP_4) | instid1(VALU_DEP_1)
	s_or_b32 exec_lo, exec_lo, s2
	v_mov_b32_e32 v115, 0
	ds_load_b64 v[116:117], v115 offset:320
	s_wait_dscnt 0x0
	v_pk_mul_f32 v[118:119], v[112:113], v[116:117] op_sel:[1,1] op_sel_hi:[0,1]
	v_pk_fma_f32 v[120:121], v[112:113], v[116:117], v[118:119] op_sel_hi:[1,0,1]
	v_pk_fma_f32 v[112:113], v[112:113], v[116:117], v[118:119] neg_lo:[0,0,1] neg_hi:[0,0,1]
	s_delay_alu instid0(VALU_DEP_2)
	v_mov_b32_e32 v113, v121
	scratch_store_b64 off, v[112:113], off offset:320
.LBB53_930:
	s_wait_xcnt 0x0
	s_or_b32 exec_lo, exec_lo, s0
	scratch_load_b64 v[112:113], off, off offset:328
	s_mov_b32 s0, exec_lo
	s_wait_loadcnt 0x0
	ds_store_b64 v1, v[112:113]
	s_wait_storecnt_dscnt 0x0
	s_barrier_signal -1
	s_barrier_wait -1
	s_wait_xcnt 0x0
	v_cmpx_gt_u32_e32 41, v0
	s_cbranch_execz .LBB53_940
; %bb.931:
	v_cmp_ne_u32_e32 vcc_lo, 1, v114
	s_cbranch_vccnz .LBB53_933
; %bb.932:
	scratch_load_b64 v[112:113], v39, off
	ds_load_b64 v[116:117], v1
	s_wait_loadcnt_dscnt 0x0
	v_pk_mul_f32 v[118:119], v[116:117], v[112:113] op_sel:[1,1] op_sel_hi:[0,1]
	s_delay_alu instid0(VALU_DEP_1) | instskip(SKIP_1) | instid1(VALU_DEP_2)
	v_pk_fma_f32 v[120:121], v[116:117], v[112:113], v[118:119] op_sel_hi:[1,0,1]
	v_pk_fma_f32 v[112:113], v[116:117], v[112:113], v[118:119] neg_lo:[0,0,1] neg_hi:[0,0,1]
	v_mov_b32_e32 v113, v121
	s_cbranch_execz .LBB53_934
	s_branch .LBB53_935
.LBB53_933:
                                        ; implicit-def: $vgpr112_vgpr113
.LBB53_934:
	ds_load_b64 v[112:113], v1
.LBB53_935:
	s_mov_b32 s2, exec_lo
	v_cmpx_ne_u32_e32 40, v0
	s_cbranch_execz .LBB53_939
; %bb.936:
	v_add_nc_u32_e32 v115, 0x1b8, v38
	v_add3_u32 v116, 0, v38, 8
	v_mov_b32_e32 v117, v0
	s_mov_b32 s3, 0
.LBB53_937:                             ; =>This Inner Loop Header: Depth=1
	scratch_load_b64 v[118:119], v116, off
	ds_load_b64 v[120:121], v115
	s_wait_xcnt 0x0
	v_dual_add_nc_u32 v115, 8, v115 :: v_dual_add_nc_u32 v116, 8, v116
	s_wait_loadcnt_dscnt 0x0
	v_pk_mul_f32 v[122:123], v[120:121], v[118:119] op_sel:[1,1] op_sel_hi:[0,1]
	s_delay_alu instid0(VALU_DEP_1) | instskip(SKIP_2) | instid1(VALU_DEP_3)
	v_pk_fma_f32 v[124:125], v[120:121], v[118:119], v[122:123] op_sel_hi:[1,0,1]
	v_add_nc_u32_e32 v117, 1, v117
	v_pk_fma_f32 v[118:119], v[120:121], v[118:119], v[122:123] neg_lo:[0,0,1] neg_hi:[0,0,1]
	v_mov_b32_e32 v119, v125
	s_delay_alu instid0(VALU_DEP_3) | instskip(NEXT) | instid1(VALU_DEP_2)
	v_cmp_lt_u32_e32 vcc_lo, 39, v117
	v_pk_add_f32 v[112:113], v[112:113], v[118:119]
	s_or_b32 s3, vcc_lo, s3
	s_delay_alu instid0(SALU_CYCLE_1)
	s_and_not1_b32 exec_lo, exec_lo, s3
	s_cbranch_execnz .LBB53_937
; %bb.938:
	s_or_b32 exec_lo, exec_lo, s3
.LBB53_939:
	s_delay_alu instid0(SALU_CYCLE_1) | instskip(SKIP_4) | instid1(VALU_DEP_1)
	s_or_b32 exec_lo, exec_lo, s2
	v_mov_b32_e32 v115, 0
	ds_load_b64 v[116:117], v115 offset:328
	s_wait_dscnt 0x0
	v_pk_mul_f32 v[118:119], v[112:113], v[116:117] op_sel:[1,1] op_sel_hi:[0,1]
	v_pk_fma_f32 v[120:121], v[112:113], v[116:117], v[118:119] op_sel_hi:[1,0,1]
	v_pk_fma_f32 v[112:113], v[112:113], v[116:117], v[118:119] neg_lo:[0,0,1] neg_hi:[0,0,1]
	s_delay_alu instid0(VALU_DEP_2)
	v_mov_b32_e32 v113, v121
	scratch_store_b64 off, v[112:113], off offset:328
.LBB53_940:
	s_wait_xcnt 0x0
	s_or_b32 exec_lo, exec_lo, s0
	scratch_load_b64 v[112:113], off, off offset:336
	s_mov_b32 s0, exec_lo
	s_wait_loadcnt 0x0
	ds_store_b64 v1, v[112:113]
	s_wait_storecnt_dscnt 0x0
	s_barrier_signal -1
	s_barrier_wait -1
	s_wait_xcnt 0x0
	v_cmpx_gt_u32_e32 42, v0
	s_cbranch_execz .LBB53_950
; %bb.941:
	v_cmp_ne_u32_e32 vcc_lo, 1, v114
	s_cbranch_vccnz .LBB53_943
; %bb.942:
	scratch_load_b64 v[112:113], v39, off
	ds_load_b64 v[116:117], v1
	s_wait_loadcnt_dscnt 0x0
	v_pk_mul_f32 v[118:119], v[116:117], v[112:113] op_sel:[1,1] op_sel_hi:[0,1]
	s_delay_alu instid0(VALU_DEP_1) | instskip(SKIP_1) | instid1(VALU_DEP_2)
	v_pk_fma_f32 v[120:121], v[116:117], v[112:113], v[118:119] op_sel_hi:[1,0,1]
	v_pk_fma_f32 v[112:113], v[116:117], v[112:113], v[118:119] neg_lo:[0,0,1] neg_hi:[0,0,1]
	v_mov_b32_e32 v113, v121
	s_cbranch_execz .LBB53_944
	s_branch .LBB53_945
.LBB53_943:
                                        ; implicit-def: $vgpr112_vgpr113
.LBB53_944:
	ds_load_b64 v[112:113], v1
.LBB53_945:
	s_mov_b32 s2, exec_lo
	v_cmpx_ne_u32_e32 41, v0
	s_cbranch_execz .LBB53_949
; %bb.946:
	v_add_nc_u32_e32 v115, 0x1b8, v38
	v_add3_u32 v116, 0, v38, 8
	v_mov_b32_e32 v117, v0
	s_mov_b32 s3, 0
.LBB53_947:                             ; =>This Inner Loop Header: Depth=1
	scratch_load_b64 v[118:119], v116, off
	ds_load_b64 v[120:121], v115
	s_wait_xcnt 0x0
	v_dual_add_nc_u32 v115, 8, v115 :: v_dual_add_nc_u32 v116, 8, v116
	s_wait_loadcnt_dscnt 0x0
	v_pk_mul_f32 v[122:123], v[120:121], v[118:119] op_sel:[1,1] op_sel_hi:[0,1]
	s_delay_alu instid0(VALU_DEP_1) | instskip(SKIP_2) | instid1(VALU_DEP_3)
	v_pk_fma_f32 v[124:125], v[120:121], v[118:119], v[122:123] op_sel_hi:[1,0,1]
	v_add_nc_u32_e32 v117, 1, v117
	v_pk_fma_f32 v[118:119], v[120:121], v[118:119], v[122:123] neg_lo:[0,0,1] neg_hi:[0,0,1]
	v_mov_b32_e32 v119, v125
	s_delay_alu instid0(VALU_DEP_3) | instskip(NEXT) | instid1(VALU_DEP_2)
	v_cmp_lt_u32_e32 vcc_lo, 40, v117
	v_pk_add_f32 v[112:113], v[112:113], v[118:119]
	s_or_b32 s3, vcc_lo, s3
	s_delay_alu instid0(SALU_CYCLE_1)
	s_and_not1_b32 exec_lo, exec_lo, s3
	s_cbranch_execnz .LBB53_947
; %bb.948:
	s_or_b32 exec_lo, exec_lo, s3
.LBB53_949:
	s_delay_alu instid0(SALU_CYCLE_1) | instskip(SKIP_4) | instid1(VALU_DEP_1)
	s_or_b32 exec_lo, exec_lo, s2
	v_mov_b32_e32 v115, 0
	ds_load_b64 v[116:117], v115 offset:336
	s_wait_dscnt 0x0
	v_pk_mul_f32 v[118:119], v[112:113], v[116:117] op_sel:[1,1] op_sel_hi:[0,1]
	v_pk_fma_f32 v[120:121], v[112:113], v[116:117], v[118:119] op_sel_hi:[1,0,1]
	v_pk_fma_f32 v[112:113], v[112:113], v[116:117], v[118:119] neg_lo:[0,0,1] neg_hi:[0,0,1]
	s_delay_alu instid0(VALU_DEP_2)
	v_mov_b32_e32 v113, v121
	scratch_store_b64 off, v[112:113], off offset:336
.LBB53_950:
	s_wait_xcnt 0x0
	s_or_b32 exec_lo, exec_lo, s0
	scratch_load_b64 v[112:113], off, off offset:344
	s_mov_b32 s0, exec_lo
	s_wait_loadcnt 0x0
	ds_store_b64 v1, v[112:113]
	s_wait_storecnt_dscnt 0x0
	s_barrier_signal -1
	s_barrier_wait -1
	s_wait_xcnt 0x0
	v_cmpx_gt_u32_e32 43, v0
	s_cbranch_execz .LBB53_960
; %bb.951:
	v_cmp_ne_u32_e32 vcc_lo, 1, v114
	s_cbranch_vccnz .LBB53_953
; %bb.952:
	scratch_load_b64 v[112:113], v39, off
	ds_load_b64 v[116:117], v1
	s_wait_loadcnt_dscnt 0x0
	v_pk_mul_f32 v[118:119], v[116:117], v[112:113] op_sel:[1,1] op_sel_hi:[0,1]
	s_delay_alu instid0(VALU_DEP_1) | instskip(SKIP_1) | instid1(VALU_DEP_2)
	v_pk_fma_f32 v[120:121], v[116:117], v[112:113], v[118:119] op_sel_hi:[1,0,1]
	v_pk_fma_f32 v[112:113], v[116:117], v[112:113], v[118:119] neg_lo:[0,0,1] neg_hi:[0,0,1]
	v_mov_b32_e32 v113, v121
	s_cbranch_execz .LBB53_954
	s_branch .LBB53_955
.LBB53_953:
                                        ; implicit-def: $vgpr112_vgpr113
.LBB53_954:
	ds_load_b64 v[112:113], v1
.LBB53_955:
	s_mov_b32 s2, exec_lo
	v_cmpx_ne_u32_e32 42, v0
	s_cbranch_execz .LBB53_959
; %bb.956:
	v_add_nc_u32_e32 v115, 0x1b8, v38
	v_add3_u32 v116, 0, v38, 8
	v_mov_b32_e32 v117, v0
	s_mov_b32 s3, 0
.LBB53_957:                             ; =>This Inner Loop Header: Depth=1
	scratch_load_b64 v[118:119], v116, off
	ds_load_b64 v[120:121], v115
	s_wait_xcnt 0x0
	v_dual_add_nc_u32 v115, 8, v115 :: v_dual_add_nc_u32 v116, 8, v116
	s_wait_loadcnt_dscnt 0x0
	v_pk_mul_f32 v[122:123], v[120:121], v[118:119] op_sel:[1,1] op_sel_hi:[0,1]
	s_delay_alu instid0(VALU_DEP_1) | instskip(SKIP_2) | instid1(VALU_DEP_3)
	v_pk_fma_f32 v[124:125], v[120:121], v[118:119], v[122:123] op_sel_hi:[1,0,1]
	v_add_nc_u32_e32 v117, 1, v117
	v_pk_fma_f32 v[118:119], v[120:121], v[118:119], v[122:123] neg_lo:[0,0,1] neg_hi:[0,0,1]
	v_mov_b32_e32 v119, v125
	s_delay_alu instid0(VALU_DEP_3) | instskip(NEXT) | instid1(VALU_DEP_2)
	v_cmp_lt_u32_e32 vcc_lo, 41, v117
	v_pk_add_f32 v[112:113], v[112:113], v[118:119]
	s_or_b32 s3, vcc_lo, s3
	s_delay_alu instid0(SALU_CYCLE_1)
	s_and_not1_b32 exec_lo, exec_lo, s3
	s_cbranch_execnz .LBB53_957
; %bb.958:
	s_or_b32 exec_lo, exec_lo, s3
.LBB53_959:
	s_delay_alu instid0(SALU_CYCLE_1) | instskip(SKIP_4) | instid1(VALU_DEP_1)
	s_or_b32 exec_lo, exec_lo, s2
	v_mov_b32_e32 v115, 0
	ds_load_b64 v[116:117], v115 offset:344
	s_wait_dscnt 0x0
	v_pk_mul_f32 v[118:119], v[112:113], v[116:117] op_sel:[1,1] op_sel_hi:[0,1]
	v_pk_fma_f32 v[120:121], v[112:113], v[116:117], v[118:119] op_sel_hi:[1,0,1]
	v_pk_fma_f32 v[112:113], v[112:113], v[116:117], v[118:119] neg_lo:[0,0,1] neg_hi:[0,0,1]
	s_delay_alu instid0(VALU_DEP_2)
	v_mov_b32_e32 v113, v121
	scratch_store_b64 off, v[112:113], off offset:344
.LBB53_960:
	s_wait_xcnt 0x0
	s_or_b32 exec_lo, exec_lo, s0
	scratch_load_b64 v[112:113], off, off offset:352
	s_mov_b32 s0, exec_lo
	s_wait_loadcnt 0x0
	ds_store_b64 v1, v[112:113]
	s_wait_storecnt_dscnt 0x0
	s_barrier_signal -1
	s_barrier_wait -1
	s_wait_xcnt 0x0
	v_cmpx_gt_u32_e32 44, v0
	s_cbranch_execz .LBB53_970
; %bb.961:
	v_cmp_ne_u32_e32 vcc_lo, 1, v114
	s_cbranch_vccnz .LBB53_963
; %bb.962:
	scratch_load_b64 v[112:113], v39, off
	ds_load_b64 v[116:117], v1
	s_wait_loadcnt_dscnt 0x0
	v_pk_mul_f32 v[118:119], v[116:117], v[112:113] op_sel:[1,1] op_sel_hi:[0,1]
	s_delay_alu instid0(VALU_DEP_1) | instskip(SKIP_1) | instid1(VALU_DEP_2)
	v_pk_fma_f32 v[120:121], v[116:117], v[112:113], v[118:119] op_sel_hi:[1,0,1]
	v_pk_fma_f32 v[112:113], v[116:117], v[112:113], v[118:119] neg_lo:[0,0,1] neg_hi:[0,0,1]
	v_mov_b32_e32 v113, v121
	s_cbranch_execz .LBB53_964
	s_branch .LBB53_965
.LBB53_963:
                                        ; implicit-def: $vgpr112_vgpr113
.LBB53_964:
	ds_load_b64 v[112:113], v1
.LBB53_965:
	s_mov_b32 s2, exec_lo
	v_cmpx_ne_u32_e32 43, v0
	s_cbranch_execz .LBB53_969
; %bb.966:
	v_add_nc_u32_e32 v115, 0x1b8, v38
	v_add3_u32 v116, 0, v38, 8
	v_mov_b32_e32 v117, v0
	s_mov_b32 s3, 0
.LBB53_967:                             ; =>This Inner Loop Header: Depth=1
	scratch_load_b64 v[118:119], v116, off
	ds_load_b64 v[120:121], v115
	s_wait_xcnt 0x0
	v_dual_add_nc_u32 v115, 8, v115 :: v_dual_add_nc_u32 v116, 8, v116
	s_wait_loadcnt_dscnt 0x0
	v_pk_mul_f32 v[122:123], v[120:121], v[118:119] op_sel:[1,1] op_sel_hi:[0,1]
	s_delay_alu instid0(VALU_DEP_1) | instskip(SKIP_2) | instid1(VALU_DEP_3)
	v_pk_fma_f32 v[124:125], v[120:121], v[118:119], v[122:123] op_sel_hi:[1,0,1]
	v_add_nc_u32_e32 v117, 1, v117
	v_pk_fma_f32 v[118:119], v[120:121], v[118:119], v[122:123] neg_lo:[0,0,1] neg_hi:[0,0,1]
	v_mov_b32_e32 v119, v125
	s_delay_alu instid0(VALU_DEP_3) | instskip(NEXT) | instid1(VALU_DEP_2)
	v_cmp_lt_u32_e32 vcc_lo, 42, v117
	v_pk_add_f32 v[112:113], v[112:113], v[118:119]
	s_or_b32 s3, vcc_lo, s3
	s_delay_alu instid0(SALU_CYCLE_1)
	s_and_not1_b32 exec_lo, exec_lo, s3
	s_cbranch_execnz .LBB53_967
; %bb.968:
	s_or_b32 exec_lo, exec_lo, s3
.LBB53_969:
	s_delay_alu instid0(SALU_CYCLE_1) | instskip(SKIP_4) | instid1(VALU_DEP_1)
	s_or_b32 exec_lo, exec_lo, s2
	v_mov_b32_e32 v115, 0
	ds_load_b64 v[116:117], v115 offset:352
	s_wait_dscnt 0x0
	v_pk_mul_f32 v[118:119], v[112:113], v[116:117] op_sel:[1,1] op_sel_hi:[0,1]
	v_pk_fma_f32 v[120:121], v[112:113], v[116:117], v[118:119] op_sel_hi:[1,0,1]
	v_pk_fma_f32 v[112:113], v[112:113], v[116:117], v[118:119] neg_lo:[0,0,1] neg_hi:[0,0,1]
	s_delay_alu instid0(VALU_DEP_2)
	v_mov_b32_e32 v113, v121
	scratch_store_b64 off, v[112:113], off offset:352
.LBB53_970:
	s_wait_xcnt 0x0
	s_or_b32 exec_lo, exec_lo, s0
	scratch_load_b64 v[112:113], off, off offset:360
	s_mov_b32 s0, exec_lo
	s_wait_loadcnt 0x0
	ds_store_b64 v1, v[112:113]
	s_wait_storecnt_dscnt 0x0
	s_barrier_signal -1
	s_barrier_wait -1
	s_wait_xcnt 0x0
	v_cmpx_gt_u32_e32 45, v0
	s_cbranch_execz .LBB53_980
; %bb.971:
	v_cmp_ne_u32_e32 vcc_lo, 1, v114
	s_cbranch_vccnz .LBB53_973
; %bb.972:
	scratch_load_b64 v[112:113], v39, off
	ds_load_b64 v[116:117], v1
	s_wait_loadcnt_dscnt 0x0
	v_pk_mul_f32 v[118:119], v[116:117], v[112:113] op_sel:[1,1] op_sel_hi:[0,1]
	s_delay_alu instid0(VALU_DEP_1) | instskip(SKIP_1) | instid1(VALU_DEP_2)
	v_pk_fma_f32 v[120:121], v[116:117], v[112:113], v[118:119] op_sel_hi:[1,0,1]
	v_pk_fma_f32 v[112:113], v[116:117], v[112:113], v[118:119] neg_lo:[0,0,1] neg_hi:[0,0,1]
	v_mov_b32_e32 v113, v121
	s_cbranch_execz .LBB53_974
	s_branch .LBB53_975
.LBB53_973:
                                        ; implicit-def: $vgpr112_vgpr113
.LBB53_974:
	ds_load_b64 v[112:113], v1
.LBB53_975:
	s_mov_b32 s2, exec_lo
	v_cmpx_ne_u32_e32 44, v0
	s_cbranch_execz .LBB53_979
; %bb.976:
	v_add_nc_u32_e32 v115, 0x1b8, v38
	v_add3_u32 v116, 0, v38, 8
	v_mov_b32_e32 v117, v0
	s_mov_b32 s3, 0
.LBB53_977:                             ; =>This Inner Loop Header: Depth=1
	scratch_load_b64 v[118:119], v116, off
	ds_load_b64 v[120:121], v115
	s_wait_xcnt 0x0
	v_dual_add_nc_u32 v115, 8, v115 :: v_dual_add_nc_u32 v116, 8, v116
	s_wait_loadcnt_dscnt 0x0
	v_pk_mul_f32 v[122:123], v[120:121], v[118:119] op_sel:[1,1] op_sel_hi:[0,1]
	s_delay_alu instid0(VALU_DEP_1) | instskip(SKIP_2) | instid1(VALU_DEP_3)
	v_pk_fma_f32 v[124:125], v[120:121], v[118:119], v[122:123] op_sel_hi:[1,0,1]
	v_add_nc_u32_e32 v117, 1, v117
	v_pk_fma_f32 v[118:119], v[120:121], v[118:119], v[122:123] neg_lo:[0,0,1] neg_hi:[0,0,1]
	v_mov_b32_e32 v119, v125
	s_delay_alu instid0(VALU_DEP_3) | instskip(NEXT) | instid1(VALU_DEP_2)
	v_cmp_lt_u32_e32 vcc_lo, 43, v117
	v_pk_add_f32 v[112:113], v[112:113], v[118:119]
	s_or_b32 s3, vcc_lo, s3
	s_delay_alu instid0(SALU_CYCLE_1)
	s_and_not1_b32 exec_lo, exec_lo, s3
	s_cbranch_execnz .LBB53_977
; %bb.978:
	s_or_b32 exec_lo, exec_lo, s3
.LBB53_979:
	s_delay_alu instid0(SALU_CYCLE_1) | instskip(SKIP_4) | instid1(VALU_DEP_1)
	s_or_b32 exec_lo, exec_lo, s2
	v_mov_b32_e32 v115, 0
	ds_load_b64 v[116:117], v115 offset:360
	s_wait_dscnt 0x0
	v_pk_mul_f32 v[118:119], v[112:113], v[116:117] op_sel:[1,1] op_sel_hi:[0,1]
	v_pk_fma_f32 v[120:121], v[112:113], v[116:117], v[118:119] op_sel_hi:[1,0,1]
	v_pk_fma_f32 v[112:113], v[112:113], v[116:117], v[118:119] neg_lo:[0,0,1] neg_hi:[0,0,1]
	s_delay_alu instid0(VALU_DEP_2)
	v_mov_b32_e32 v113, v121
	scratch_store_b64 off, v[112:113], off offset:360
.LBB53_980:
	s_wait_xcnt 0x0
	s_or_b32 exec_lo, exec_lo, s0
	scratch_load_b64 v[112:113], off, off offset:368
	s_mov_b32 s0, exec_lo
	s_wait_loadcnt 0x0
	ds_store_b64 v1, v[112:113]
	s_wait_storecnt_dscnt 0x0
	s_barrier_signal -1
	s_barrier_wait -1
	s_wait_xcnt 0x0
	v_cmpx_gt_u32_e32 46, v0
	s_cbranch_execz .LBB53_990
; %bb.981:
	v_cmp_ne_u32_e32 vcc_lo, 1, v114
	s_cbranch_vccnz .LBB53_983
; %bb.982:
	scratch_load_b64 v[112:113], v39, off
	ds_load_b64 v[116:117], v1
	s_wait_loadcnt_dscnt 0x0
	v_pk_mul_f32 v[118:119], v[116:117], v[112:113] op_sel:[1,1] op_sel_hi:[0,1]
	s_delay_alu instid0(VALU_DEP_1) | instskip(SKIP_1) | instid1(VALU_DEP_2)
	v_pk_fma_f32 v[120:121], v[116:117], v[112:113], v[118:119] op_sel_hi:[1,0,1]
	v_pk_fma_f32 v[112:113], v[116:117], v[112:113], v[118:119] neg_lo:[0,0,1] neg_hi:[0,0,1]
	v_mov_b32_e32 v113, v121
	s_cbranch_execz .LBB53_984
	s_branch .LBB53_985
.LBB53_983:
                                        ; implicit-def: $vgpr112_vgpr113
.LBB53_984:
	ds_load_b64 v[112:113], v1
.LBB53_985:
	s_mov_b32 s2, exec_lo
	v_cmpx_ne_u32_e32 45, v0
	s_cbranch_execz .LBB53_989
; %bb.986:
	v_add_nc_u32_e32 v115, 0x1b8, v38
	v_add3_u32 v116, 0, v38, 8
	v_mov_b32_e32 v117, v0
	s_mov_b32 s3, 0
.LBB53_987:                             ; =>This Inner Loop Header: Depth=1
	scratch_load_b64 v[118:119], v116, off
	ds_load_b64 v[120:121], v115
	s_wait_xcnt 0x0
	v_dual_add_nc_u32 v115, 8, v115 :: v_dual_add_nc_u32 v116, 8, v116
	s_wait_loadcnt_dscnt 0x0
	v_pk_mul_f32 v[122:123], v[120:121], v[118:119] op_sel:[1,1] op_sel_hi:[0,1]
	s_delay_alu instid0(VALU_DEP_1) | instskip(SKIP_2) | instid1(VALU_DEP_3)
	v_pk_fma_f32 v[124:125], v[120:121], v[118:119], v[122:123] op_sel_hi:[1,0,1]
	v_add_nc_u32_e32 v117, 1, v117
	v_pk_fma_f32 v[118:119], v[120:121], v[118:119], v[122:123] neg_lo:[0,0,1] neg_hi:[0,0,1]
	v_mov_b32_e32 v119, v125
	s_delay_alu instid0(VALU_DEP_3) | instskip(NEXT) | instid1(VALU_DEP_2)
	v_cmp_lt_u32_e32 vcc_lo, 44, v117
	v_pk_add_f32 v[112:113], v[112:113], v[118:119]
	s_or_b32 s3, vcc_lo, s3
	s_delay_alu instid0(SALU_CYCLE_1)
	s_and_not1_b32 exec_lo, exec_lo, s3
	s_cbranch_execnz .LBB53_987
; %bb.988:
	s_or_b32 exec_lo, exec_lo, s3
.LBB53_989:
	s_delay_alu instid0(SALU_CYCLE_1) | instskip(SKIP_4) | instid1(VALU_DEP_1)
	s_or_b32 exec_lo, exec_lo, s2
	v_mov_b32_e32 v115, 0
	ds_load_b64 v[116:117], v115 offset:368
	s_wait_dscnt 0x0
	v_pk_mul_f32 v[118:119], v[112:113], v[116:117] op_sel:[1,1] op_sel_hi:[0,1]
	v_pk_fma_f32 v[120:121], v[112:113], v[116:117], v[118:119] op_sel_hi:[1,0,1]
	v_pk_fma_f32 v[112:113], v[112:113], v[116:117], v[118:119] neg_lo:[0,0,1] neg_hi:[0,0,1]
	s_delay_alu instid0(VALU_DEP_2)
	v_mov_b32_e32 v113, v121
	scratch_store_b64 off, v[112:113], off offset:368
.LBB53_990:
	s_wait_xcnt 0x0
	s_or_b32 exec_lo, exec_lo, s0
	scratch_load_b64 v[112:113], off, off offset:376
	s_mov_b32 s0, exec_lo
	s_wait_loadcnt 0x0
	ds_store_b64 v1, v[112:113]
	s_wait_storecnt_dscnt 0x0
	s_barrier_signal -1
	s_barrier_wait -1
	s_wait_xcnt 0x0
	v_cmpx_gt_u32_e32 47, v0
	s_cbranch_execz .LBB53_1000
; %bb.991:
	v_cmp_ne_u32_e32 vcc_lo, 1, v114
	s_cbranch_vccnz .LBB53_993
; %bb.992:
	scratch_load_b64 v[112:113], v39, off
	ds_load_b64 v[116:117], v1
	s_wait_loadcnt_dscnt 0x0
	v_pk_mul_f32 v[118:119], v[116:117], v[112:113] op_sel:[1,1] op_sel_hi:[0,1]
	s_delay_alu instid0(VALU_DEP_1) | instskip(SKIP_1) | instid1(VALU_DEP_2)
	v_pk_fma_f32 v[120:121], v[116:117], v[112:113], v[118:119] op_sel_hi:[1,0,1]
	v_pk_fma_f32 v[112:113], v[116:117], v[112:113], v[118:119] neg_lo:[0,0,1] neg_hi:[0,0,1]
	v_mov_b32_e32 v113, v121
	s_cbranch_execz .LBB53_994
	s_branch .LBB53_995
.LBB53_993:
                                        ; implicit-def: $vgpr112_vgpr113
.LBB53_994:
	ds_load_b64 v[112:113], v1
.LBB53_995:
	s_mov_b32 s2, exec_lo
	v_cmpx_ne_u32_e32 46, v0
	s_cbranch_execz .LBB53_999
; %bb.996:
	v_add_nc_u32_e32 v115, 0x1b8, v38
	v_add3_u32 v116, 0, v38, 8
	v_mov_b32_e32 v117, v0
	s_mov_b32 s3, 0
.LBB53_997:                             ; =>This Inner Loop Header: Depth=1
	scratch_load_b64 v[118:119], v116, off
	ds_load_b64 v[120:121], v115
	s_wait_xcnt 0x0
	v_dual_add_nc_u32 v115, 8, v115 :: v_dual_add_nc_u32 v116, 8, v116
	s_wait_loadcnt_dscnt 0x0
	v_pk_mul_f32 v[122:123], v[120:121], v[118:119] op_sel:[1,1] op_sel_hi:[0,1]
	s_delay_alu instid0(VALU_DEP_1) | instskip(SKIP_2) | instid1(VALU_DEP_3)
	v_pk_fma_f32 v[124:125], v[120:121], v[118:119], v[122:123] op_sel_hi:[1,0,1]
	v_add_nc_u32_e32 v117, 1, v117
	v_pk_fma_f32 v[118:119], v[120:121], v[118:119], v[122:123] neg_lo:[0,0,1] neg_hi:[0,0,1]
	v_mov_b32_e32 v119, v125
	s_delay_alu instid0(VALU_DEP_3) | instskip(NEXT) | instid1(VALU_DEP_2)
	v_cmp_lt_u32_e32 vcc_lo, 45, v117
	v_pk_add_f32 v[112:113], v[112:113], v[118:119]
	s_or_b32 s3, vcc_lo, s3
	s_delay_alu instid0(SALU_CYCLE_1)
	s_and_not1_b32 exec_lo, exec_lo, s3
	s_cbranch_execnz .LBB53_997
; %bb.998:
	s_or_b32 exec_lo, exec_lo, s3
.LBB53_999:
	s_delay_alu instid0(SALU_CYCLE_1) | instskip(SKIP_4) | instid1(VALU_DEP_1)
	s_or_b32 exec_lo, exec_lo, s2
	v_mov_b32_e32 v115, 0
	ds_load_b64 v[116:117], v115 offset:376
	s_wait_dscnt 0x0
	v_pk_mul_f32 v[118:119], v[112:113], v[116:117] op_sel:[1,1] op_sel_hi:[0,1]
	v_pk_fma_f32 v[120:121], v[112:113], v[116:117], v[118:119] op_sel_hi:[1,0,1]
	v_pk_fma_f32 v[112:113], v[112:113], v[116:117], v[118:119] neg_lo:[0,0,1] neg_hi:[0,0,1]
	s_delay_alu instid0(VALU_DEP_2)
	v_mov_b32_e32 v113, v121
	scratch_store_b64 off, v[112:113], off offset:376
.LBB53_1000:
	s_wait_xcnt 0x0
	s_or_b32 exec_lo, exec_lo, s0
	scratch_load_b64 v[112:113], off, off offset:384
	s_mov_b32 s0, exec_lo
	s_wait_loadcnt 0x0
	ds_store_b64 v1, v[112:113]
	s_wait_storecnt_dscnt 0x0
	s_barrier_signal -1
	s_barrier_wait -1
	s_wait_xcnt 0x0
	v_cmpx_gt_u32_e32 48, v0
	s_cbranch_execz .LBB53_1010
; %bb.1001:
	v_cmp_ne_u32_e32 vcc_lo, 1, v114
	s_cbranch_vccnz .LBB53_1003
; %bb.1002:
	scratch_load_b64 v[112:113], v39, off
	ds_load_b64 v[116:117], v1
	s_wait_loadcnt_dscnt 0x0
	v_pk_mul_f32 v[118:119], v[116:117], v[112:113] op_sel:[1,1] op_sel_hi:[0,1]
	s_delay_alu instid0(VALU_DEP_1) | instskip(SKIP_1) | instid1(VALU_DEP_2)
	v_pk_fma_f32 v[120:121], v[116:117], v[112:113], v[118:119] op_sel_hi:[1,0,1]
	v_pk_fma_f32 v[112:113], v[116:117], v[112:113], v[118:119] neg_lo:[0,0,1] neg_hi:[0,0,1]
	v_mov_b32_e32 v113, v121
	s_cbranch_execz .LBB53_1004
	s_branch .LBB53_1005
.LBB53_1003:
                                        ; implicit-def: $vgpr112_vgpr113
.LBB53_1004:
	ds_load_b64 v[112:113], v1
.LBB53_1005:
	s_mov_b32 s2, exec_lo
	v_cmpx_ne_u32_e32 47, v0
	s_cbranch_execz .LBB53_1009
; %bb.1006:
	v_add_nc_u32_e32 v115, 0x1b8, v38
	v_add3_u32 v116, 0, v38, 8
	v_mov_b32_e32 v117, v0
	s_mov_b32 s3, 0
.LBB53_1007:                            ; =>This Inner Loop Header: Depth=1
	scratch_load_b64 v[118:119], v116, off
	ds_load_b64 v[120:121], v115
	s_wait_xcnt 0x0
	v_dual_add_nc_u32 v115, 8, v115 :: v_dual_add_nc_u32 v116, 8, v116
	s_wait_loadcnt_dscnt 0x0
	v_pk_mul_f32 v[122:123], v[120:121], v[118:119] op_sel:[1,1] op_sel_hi:[0,1]
	s_delay_alu instid0(VALU_DEP_1) | instskip(SKIP_2) | instid1(VALU_DEP_3)
	v_pk_fma_f32 v[124:125], v[120:121], v[118:119], v[122:123] op_sel_hi:[1,0,1]
	v_add_nc_u32_e32 v117, 1, v117
	v_pk_fma_f32 v[118:119], v[120:121], v[118:119], v[122:123] neg_lo:[0,0,1] neg_hi:[0,0,1]
	v_mov_b32_e32 v119, v125
	s_delay_alu instid0(VALU_DEP_3) | instskip(NEXT) | instid1(VALU_DEP_2)
	v_cmp_lt_u32_e32 vcc_lo, 46, v117
	v_pk_add_f32 v[112:113], v[112:113], v[118:119]
	s_or_b32 s3, vcc_lo, s3
	s_delay_alu instid0(SALU_CYCLE_1)
	s_and_not1_b32 exec_lo, exec_lo, s3
	s_cbranch_execnz .LBB53_1007
; %bb.1008:
	s_or_b32 exec_lo, exec_lo, s3
.LBB53_1009:
	s_delay_alu instid0(SALU_CYCLE_1) | instskip(SKIP_4) | instid1(VALU_DEP_1)
	s_or_b32 exec_lo, exec_lo, s2
	v_mov_b32_e32 v115, 0
	ds_load_b64 v[116:117], v115 offset:384
	s_wait_dscnt 0x0
	v_pk_mul_f32 v[118:119], v[112:113], v[116:117] op_sel:[1,1] op_sel_hi:[0,1]
	v_pk_fma_f32 v[120:121], v[112:113], v[116:117], v[118:119] op_sel_hi:[1,0,1]
	v_pk_fma_f32 v[112:113], v[112:113], v[116:117], v[118:119] neg_lo:[0,0,1] neg_hi:[0,0,1]
	s_delay_alu instid0(VALU_DEP_2)
	v_mov_b32_e32 v113, v121
	scratch_store_b64 off, v[112:113], off offset:384
.LBB53_1010:
	s_wait_xcnt 0x0
	s_or_b32 exec_lo, exec_lo, s0
	scratch_load_b64 v[112:113], off, off offset:392
	s_mov_b32 s0, exec_lo
	s_wait_loadcnt 0x0
	ds_store_b64 v1, v[112:113]
	s_wait_storecnt_dscnt 0x0
	s_barrier_signal -1
	s_barrier_wait -1
	s_wait_xcnt 0x0
	v_cmpx_gt_u32_e32 49, v0
	s_cbranch_execz .LBB53_1020
; %bb.1011:
	v_cmp_ne_u32_e32 vcc_lo, 1, v114
	s_cbranch_vccnz .LBB53_1013
; %bb.1012:
	scratch_load_b64 v[112:113], v39, off
	ds_load_b64 v[116:117], v1
	s_wait_loadcnt_dscnt 0x0
	v_pk_mul_f32 v[118:119], v[116:117], v[112:113] op_sel:[1,1] op_sel_hi:[0,1]
	s_delay_alu instid0(VALU_DEP_1) | instskip(SKIP_1) | instid1(VALU_DEP_2)
	v_pk_fma_f32 v[120:121], v[116:117], v[112:113], v[118:119] op_sel_hi:[1,0,1]
	v_pk_fma_f32 v[112:113], v[116:117], v[112:113], v[118:119] neg_lo:[0,0,1] neg_hi:[0,0,1]
	v_mov_b32_e32 v113, v121
	s_cbranch_execz .LBB53_1014
	s_branch .LBB53_1015
.LBB53_1013:
                                        ; implicit-def: $vgpr112_vgpr113
.LBB53_1014:
	ds_load_b64 v[112:113], v1
.LBB53_1015:
	s_mov_b32 s2, exec_lo
	v_cmpx_ne_u32_e32 48, v0
	s_cbranch_execz .LBB53_1019
; %bb.1016:
	v_add_nc_u32_e32 v115, 0x1b8, v38
	v_add3_u32 v116, 0, v38, 8
	v_mov_b32_e32 v117, v0
	s_mov_b32 s3, 0
.LBB53_1017:                            ; =>This Inner Loop Header: Depth=1
	scratch_load_b64 v[118:119], v116, off
	ds_load_b64 v[120:121], v115
	s_wait_xcnt 0x0
	v_dual_add_nc_u32 v115, 8, v115 :: v_dual_add_nc_u32 v116, 8, v116
	s_wait_loadcnt_dscnt 0x0
	v_pk_mul_f32 v[122:123], v[120:121], v[118:119] op_sel:[1,1] op_sel_hi:[0,1]
	s_delay_alu instid0(VALU_DEP_1) | instskip(SKIP_2) | instid1(VALU_DEP_3)
	v_pk_fma_f32 v[124:125], v[120:121], v[118:119], v[122:123] op_sel_hi:[1,0,1]
	v_add_nc_u32_e32 v117, 1, v117
	v_pk_fma_f32 v[118:119], v[120:121], v[118:119], v[122:123] neg_lo:[0,0,1] neg_hi:[0,0,1]
	v_mov_b32_e32 v119, v125
	s_delay_alu instid0(VALU_DEP_3) | instskip(NEXT) | instid1(VALU_DEP_2)
	v_cmp_lt_u32_e32 vcc_lo, 47, v117
	v_pk_add_f32 v[112:113], v[112:113], v[118:119]
	s_or_b32 s3, vcc_lo, s3
	s_delay_alu instid0(SALU_CYCLE_1)
	s_and_not1_b32 exec_lo, exec_lo, s3
	s_cbranch_execnz .LBB53_1017
; %bb.1018:
	s_or_b32 exec_lo, exec_lo, s3
.LBB53_1019:
	s_delay_alu instid0(SALU_CYCLE_1) | instskip(SKIP_4) | instid1(VALU_DEP_1)
	s_or_b32 exec_lo, exec_lo, s2
	v_mov_b32_e32 v115, 0
	ds_load_b64 v[116:117], v115 offset:392
	s_wait_dscnt 0x0
	v_pk_mul_f32 v[118:119], v[112:113], v[116:117] op_sel:[1,1] op_sel_hi:[0,1]
	v_pk_fma_f32 v[120:121], v[112:113], v[116:117], v[118:119] op_sel_hi:[1,0,1]
	v_pk_fma_f32 v[112:113], v[112:113], v[116:117], v[118:119] neg_lo:[0,0,1] neg_hi:[0,0,1]
	s_delay_alu instid0(VALU_DEP_2)
	v_mov_b32_e32 v113, v121
	scratch_store_b64 off, v[112:113], off offset:392
.LBB53_1020:
	s_wait_xcnt 0x0
	s_or_b32 exec_lo, exec_lo, s0
	scratch_load_b64 v[112:113], off, off offset:400
	s_mov_b32 s0, exec_lo
	s_wait_loadcnt 0x0
	ds_store_b64 v1, v[112:113]
	s_wait_storecnt_dscnt 0x0
	s_barrier_signal -1
	s_barrier_wait -1
	s_wait_xcnt 0x0
	v_cmpx_gt_u32_e32 50, v0
	s_cbranch_execz .LBB53_1030
; %bb.1021:
	v_cmp_ne_u32_e32 vcc_lo, 1, v114
	s_cbranch_vccnz .LBB53_1023
; %bb.1022:
	scratch_load_b64 v[112:113], v39, off
	ds_load_b64 v[116:117], v1
	s_wait_loadcnt_dscnt 0x0
	v_pk_mul_f32 v[118:119], v[116:117], v[112:113] op_sel:[1,1] op_sel_hi:[0,1]
	s_delay_alu instid0(VALU_DEP_1) | instskip(SKIP_1) | instid1(VALU_DEP_2)
	v_pk_fma_f32 v[120:121], v[116:117], v[112:113], v[118:119] op_sel_hi:[1,0,1]
	v_pk_fma_f32 v[112:113], v[116:117], v[112:113], v[118:119] neg_lo:[0,0,1] neg_hi:[0,0,1]
	v_mov_b32_e32 v113, v121
	s_cbranch_execz .LBB53_1024
	s_branch .LBB53_1025
.LBB53_1023:
                                        ; implicit-def: $vgpr112_vgpr113
.LBB53_1024:
	ds_load_b64 v[112:113], v1
.LBB53_1025:
	s_mov_b32 s2, exec_lo
	v_cmpx_ne_u32_e32 49, v0
	s_cbranch_execz .LBB53_1029
; %bb.1026:
	v_add_nc_u32_e32 v115, 0x1b8, v38
	v_add3_u32 v116, 0, v38, 8
	v_mov_b32_e32 v117, v0
	s_mov_b32 s3, 0
.LBB53_1027:                            ; =>This Inner Loop Header: Depth=1
	scratch_load_b64 v[118:119], v116, off
	ds_load_b64 v[120:121], v115
	s_wait_xcnt 0x0
	v_dual_add_nc_u32 v115, 8, v115 :: v_dual_add_nc_u32 v116, 8, v116
	s_wait_loadcnt_dscnt 0x0
	v_pk_mul_f32 v[122:123], v[120:121], v[118:119] op_sel:[1,1] op_sel_hi:[0,1]
	s_delay_alu instid0(VALU_DEP_1) | instskip(SKIP_2) | instid1(VALU_DEP_3)
	v_pk_fma_f32 v[124:125], v[120:121], v[118:119], v[122:123] op_sel_hi:[1,0,1]
	v_add_nc_u32_e32 v117, 1, v117
	v_pk_fma_f32 v[118:119], v[120:121], v[118:119], v[122:123] neg_lo:[0,0,1] neg_hi:[0,0,1]
	v_mov_b32_e32 v119, v125
	s_delay_alu instid0(VALU_DEP_3) | instskip(NEXT) | instid1(VALU_DEP_2)
	v_cmp_lt_u32_e32 vcc_lo, 48, v117
	v_pk_add_f32 v[112:113], v[112:113], v[118:119]
	s_or_b32 s3, vcc_lo, s3
	s_delay_alu instid0(SALU_CYCLE_1)
	s_and_not1_b32 exec_lo, exec_lo, s3
	s_cbranch_execnz .LBB53_1027
; %bb.1028:
	s_or_b32 exec_lo, exec_lo, s3
.LBB53_1029:
	s_delay_alu instid0(SALU_CYCLE_1) | instskip(SKIP_4) | instid1(VALU_DEP_1)
	s_or_b32 exec_lo, exec_lo, s2
	v_mov_b32_e32 v115, 0
	ds_load_b64 v[116:117], v115 offset:400
	s_wait_dscnt 0x0
	v_pk_mul_f32 v[118:119], v[112:113], v[116:117] op_sel:[1,1] op_sel_hi:[0,1]
	v_pk_fma_f32 v[120:121], v[112:113], v[116:117], v[118:119] op_sel_hi:[1,0,1]
	v_pk_fma_f32 v[112:113], v[112:113], v[116:117], v[118:119] neg_lo:[0,0,1] neg_hi:[0,0,1]
	s_delay_alu instid0(VALU_DEP_2)
	v_mov_b32_e32 v113, v121
	scratch_store_b64 off, v[112:113], off offset:400
.LBB53_1030:
	s_wait_xcnt 0x0
	s_or_b32 exec_lo, exec_lo, s0
	scratch_load_b64 v[112:113], off, off offset:408
	s_mov_b32 s0, exec_lo
	s_wait_loadcnt 0x0
	ds_store_b64 v1, v[112:113]
	s_wait_storecnt_dscnt 0x0
	s_barrier_signal -1
	s_barrier_wait -1
	s_wait_xcnt 0x0
	v_cmpx_gt_u32_e32 51, v0
	s_cbranch_execz .LBB53_1040
; %bb.1031:
	v_cmp_ne_u32_e32 vcc_lo, 1, v114
	s_cbranch_vccnz .LBB53_1033
; %bb.1032:
	scratch_load_b64 v[112:113], v39, off
	ds_load_b64 v[116:117], v1
	s_wait_loadcnt_dscnt 0x0
	v_pk_mul_f32 v[118:119], v[116:117], v[112:113] op_sel:[1,1] op_sel_hi:[0,1]
	s_delay_alu instid0(VALU_DEP_1) | instskip(SKIP_1) | instid1(VALU_DEP_2)
	v_pk_fma_f32 v[120:121], v[116:117], v[112:113], v[118:119] op_sel_hi:[1,0,1]
	v_pk_fma_f32 v[112:113], v[116:117], v[112:113], v[118:119] neg_lo:[0,0,1] neg_hi:[0,0,1]
	v_mov_b32_e32 v113, v121
	s_cbranch_execz .LBB53_1034
	s_branch .LBB53_1035
.LBB53_1033:
                                        ; implicit-def: $vgpr112_vgpr113
.LBB53_1034:
	ds_load_b64 v[112:113], v1
.LBB53_1035:
	s_mov_b32 s2, exec_lo
	v_cmpx_ne_u32_e32 50, v0
	s_cbranch_execz .LBB53_1039
; %bb.1036:
	v_add_nc_u32_e32 v115, 0x1b8, v38
	v_add3_u32 v116, 0, v38, 8
	v_mov_b32_e32 v117, v0
	s_mov_b32 s3, 0
.LBB53_1037:                            ; =>This Inner Loop Header: Depth=1
	scratch_load_b64 v[118:119], v116, off
	ds_load_b64 v[120:121], v115
	s_wait_xcnt 0x0
	v_dual_add_nc_u32 v115, 8, v115 :: v_dual_add_nc_u32 v116, 8, v116
	s_wait_loadcnt_dscnt 0x0
	v_pk_mul_f32 v[122:123], v[120:121], v[118:119] op_sel:[1,1] op_sel_hi:[0,1]
	s_delay_alu instid0(VALU_DEP_1) | instskip(SKIP_2) | instid1(VALU_DEP_3)
	v_pk_fma_f32 v[124:125], v[120:121], v[118:119], v[122:123] op_sel_hi:[1,0,1]
	v_add_nc_u32_e32 v117, 1, v117
	v_pk_fma_f32 v[118:119], v[120:121], v[118:119], v[122:123] neg_lo:[0,0,1] neg_hi:[0,0,1]
	v_mov_b32_e32 v119, v125
	s_delay_alu instid0(VALU_DEP_3) | instskip(NEXT) | instid1(VALU_DEP_2)
	v_cmp_lt_u32_e32 vcc_lo, 49, v117
	v_pk_add_f32 v[112:113], v[112:113], v[118:119]
	s_or_b32 s3, vcc_lo, s3
	s_delay_alu instid0(SALU_CYCLE_1)
	s_and_not1_b32 exec_lo, exec_lo, s3
	s_cbranch_execnz .LBB53_1037
; %bb.1038:
	s_or_b32 exec_lo, exec_lo, s3
.LBB53_1039:
	s_delay_alu instid0(SALU_CYCLE_1) | instskip(SKIP_4) | instid1(VALU_DEP_1)
	s_or_b32 exec_lo, exec_lo, s2
	v_mov_b32_e32 v115, 0
	ds_load_b64 v[116:117], v115 offset:408
	s_wait_dscnt 0x0
	v_pk_mul_f32 v[118:119], v[112:113], v[116:117] op_sel:[1,1] op_sel_hi:[0,1]
	v_pk_fma_f32 v[120:121], v[112:113], v[116:117], v[118:119] op_sel_hi:[1,0,1]
	v_pk_fma_f32 v[112:113], v[112:113], v[116:117], v[118:119] neg_lo:[0,0,1] neg_hi:[0,0,1]
	s_delay_alu instid0(VALU_DEP_2)
	v_mov_b32_e32 v113, v121
	scratch_store_b64 off, v[112:113], off offset:408
.LBB53_1040:
	s_wait_xcnt 0x0
	s_or_b32 exec_lo, exec_lo, s0
	scratch_load_b64 v[112:113], off, off offset:416
	v_cmp_gt_u32_e64 s0, 52, v0
	s_wait_loadcnt 0x0
	ds_store_b64 v1, v[112:113]
	s_wait_storecnt_dscnt 0x0
	s_barrier_signal -1
	s_barrier_wait -1
	s_wait_xcnt 0x0
	s_and_saveexec_b32 s2, s0
	s_cbranch_execz .LBB53_1050
; %bb.1041:
	v_cmp_ne_u32_e32 vcc_lo, 1, v114
	s_cbranch_vccnz .LBB53_1043
; %bb.1042:
	scratch_load_b64 v[112:113], v39, off
	ds_load_b64 v[116:117], v1
	s_wait_loadcnt_dscnt 0x0
	v_pk_mul_f32 v[118:119], v[116:117], v[112:113] op_sel:[1,1] op_sel_hi:[0,1]
	s_delay_alu instid0(VALU_DEP_1) | instskip(SKIP_1) | instid1(VALU_DEP_2)
	v_pk_fma_f32 v[120:121], v[116:117], v[112:113], v[118:119] op_sel_hi:[1,0,1]
	v_pk_fma_f32 v[112:113], v[116:117], v[112:113], v[118:119] neg_lo:[0,0,1] neg_hi:[0,0,1]
	v_mov_b32_e32 v113, v121
	s_cbranch_execz .LBB53_1044
	s_branch .LBB53_1045
.LBB53_1043:
                                        ; implicit-def: $vgpr112_vgpr113
.LBB53_1044:
	ds_load_b64 v[112:113], v1
.LBB53_1045:
	s_mov_b32 s3, exec_lo
	v_cmpx_ne_u32_e32 51, v0
	s_cbranch_execz .LBB53_1049
; %bb.1046:
	v_add_nc_u32_e32 v115, 0x1b8, v38
	v_add3_u32 v116, 0, v38, 8
	v_mov_b32_e32 v117, v0
	s_mov_b32 s4, 0
.LBB53_1047:                            ; =>This Inner Loop Header: Depth=1
	scratch_load_b64 v[118:119], v116, off
	ds_load_b64 v[120:121], v115
	s_wait_xcnt 0x0
	v_dual_add_nc_u32 v115, 8, v115 :: v_dual_add_nc_u32 v116, 8, v116
	s_wait_loadcnt_dscnt 0x0
	v_pk_mul_f32 v[122:123], v[120:121], v[118:119] op_sel:[1,1] op_sel_hi:[0,1]
	s_delay_alu instid0(VALU_DEP_1) | instskip(SKIP_2) | instid1(VALU_DEP_3)
	v_pk_fma_f32 v[124:125], v[120:121], v[118:119], v[122:123] op_sel_hi:[1,0,1]
	v_add_nc_u32_e32 v117, 1, v117
	v_pk_fma_f32 v[118:119], v[120:121], v[118:119], v[122:123] neg_lo:[0,0,1] neg_hi:[0,0,1]
	v_mov_b32_e32 v119, v125
	s_delay_alu instid0(VALU_DEP_3) | instskip(NEXT) | instid1(VALU_DEP_2)
	v_cmp_lt_u32_e32 vcc_lo, 50, v117
	v_pk_add_f32 v[112:113], v[112:113], v[118:119]
	s_or_b32 s4, vcc_lo, s4
	s_delay_alu instid0(SALU_CYCLE_1)
	s_and_not1_b32 exec_lo, exec_lo, s4
	s_cbranch_execnz .LBB53_1047
; %bb.1048:
	s_or_b32 exec_lo, exec_lo, s4
.LBB53_1049:
	s_delay_alu instid0(SALU_CYCLE_1) | instskip(SKIP_4) | instid1(VALU_DEP_1)
	s_or_b32 exec_lo, exec_lo, s3
	v_mov_b32_e32 v115, 0
	ds_load_b64 v[116:117], v115 offset:416
	s_wait_dscnt 0x0
	v_pk_mul_f32 v[118:119], v[112:113], v[116:117] op_sel:[1,1] op_sel_hi:[0,1]
	v_pk_fma_f32 v[120:121], v[112:113], v[116:117], v[118:119] op_sel_hi:[1,0,1]
	v_pk_fma_f32 v[112:113], v[112:113], v[116:117], v[118:119] neg_lo:[0,0,1] neg_hi:[0,0,1]
	s_delay_alu instid0(VALU_DEP_2)
	v_mov_b32_e32 v113, v121
	scratch_store_b64 off, v[112:113], off offset:416
.LBB53_1050:
	s_wait_xcnt 0x0
	s_or_b32 exec_lo, exec_lo, s2
	scratch_load_b64 v[112:113], off, off offset:424
	s_mov_b32 s2, exec_lo
                                        ; implicit-def: $vgpr156
                                        ; implicit-def: $sgpr4
	s_wait_loadcnt 0x0
	ds_store_b64 v1, v[112:113]
	s_wait_storecnt_dscnt 0x0
	s_barrier_signal -1
	s_barrier_wait -1
	s_wait_xcnt 0x0
	v_cmpx_ne_u32_e32 53, v0
	s_cbranch_execz .LBB53_1060
; %bb.1051:
	v_cmp_ne_u32_e32 vcc_lo, 1, v114
	s_cbranch_vccnz .LBB53_1053
; %bb.1052:
	scratch_load_b64 v[114:115], v39, off
	ds_load_b64 v[116:117], v1
	s_wait_loadcnt_dscnt 0x0
	v_dual_mul_f32 v39, v117, v115 :: v_dual_mul_f32 v113, v116, v115
	s_delay_alu instid0(VALU_DEP_1)
	v_dual_fma_f32 v112, v116, v114, -v39 :: v_dual_fmac_f32 v113, v117, v114
	s_cbranch_execz .LBB53_1054
	s_branch .LBB53_1055
.LBB53_1053:
                                        ; implicit-def: $vgpr113
.LBB53_1054:
	ds_load_b64 v[112:113], v1
.LBB53_1055:
	s_and_saveexec_b32 s3, s0
	s_cbranch_execz .LBB53_1059
; %bb.1056:
	v_add_nc_u32_e32 v1, 0x1b8, v38
	v_add3_u32 v38, 0, v38, 8
	s_mov_b32 s0, 0
.LBB53_1057:                            ; =>This Inner Loop Header: Depth=1
	scratch_load_b64 v[114:115], v38, off
	ds_load_b64 v[116:117], v1
	s_wait_loadcnt_dscnt 0x0
	v_dual_add_nc_u32 v1, 8, v1 :: v_dual_mul_f32 v39, v117, v115
	v_dual_mul_f32 v115, v116, v115 :: v_dual_add_nc_u32 v0, 1, v0
	s_delay_alu instid0(VALU_DEP_2) | instskip(NEXT) | instid1(VALU_DEP_2)
	v_fma_f32 v39, v116, v114, -v39
	v_fmac_f32_e32 v115, v117, v114
	s_delay_alu instid0(VALU_DEP_3) | instskip(NEXT) | instid1(VALU_DEP_3)
	v_cmp_lt_u32_e32 vcc_lo, 51, v0
	v_dual_add_nc_u32 v38, 8, v38 :: v_dual_add_f32 v112, v112, v39
	s_delay_alu instid0(VALU_DEP_3) | instskip(SKIP_1) | instid1(SALU_CYCLE_1)
	v_add_f32_e32 v113, v113, v115
	s_or_b32 s0, vcc_lo, s0
	s_and_not1_b32 exec_lo, exec_lo, s0
	s_cbranch_execnz .LBB53_1057
; %bb.1058:
	s_or_b32 exec_lo, exec_lo, s0
.LBB53_1059:
	s_delay_alu instid0(SALU_CYCLE_1)
	s_or_b32 exec_lo, exec_lo, s3
	v_mov_b32_e32 v0, 0
	s_movk_i32 s4, 0x1ac
	s_or_b32 s1, s1, exec_lo
	ds_load_b64 v[0:1], v0 offset:424
	s_wait_dscnt 0x0
	v_dual_mul_f32 v38, v113, v1 :: v_dual_mul_f32 v156, v112, v1
	s_delay_alu instid0(VALU_DEP_1)
	v_dual_fma_f32 v1, v112, v0, -v38 :: v_dual_fmac_f32 v156, v113, v0
	scratch_store_b32 off, v1, off offset:424
.LBB53_1060:
	s_wait_xcnt 0x0
	s_or_b32 exec_lo, exec_lo, s2
.LBB53_1061:
	v_lshl_add_u64 v[152:153], v[6:7], 3, s[6:7]
	v_lshl_add_u64 v[154:155], v[8:9], 3, s[6:7]
	;; [unrolled: 1-line block ×52, first 2 shown]
	s_and_saveexec_b32 s0, s1
	s_cbranch_execz .LBB53_1063
; %bb.1062:
	scratch_store_b32 off, v156, s4
.LBB53_1063:
	s_wait_xcnt 0x0
	s_or_b32 exec_lo, exec_lo, s0
	s_clause 0x3
	scratch_load_b128 v[64:67], off, off
	scratch_load_b128 v[68:71], off, off offset:16
	scratch_load_b128 v[72:75], off, off offset:32
	;; [unrolled: 1-line block ×3, first 2 shown]
	s_wait_loadcnt 0x3
	s_clause 0x1
	global_store_b64 v[2:3], v[64:65], off
	global_store_b64 v[4:5], v[66:67], off
	s_clause 0x1
	scratch_load_b128 v[2:5], off, off offset:64
	scratch_load_b128 v[64:67], off, off offset:80
	s_wait_loadcnt 0x4
	s_clause 0x1
	global_store_b64 v[152:153], v[68:69], off
	global_store_b64 v[154:155], v[70:71], off
	s_clause 0x1
	scratch_load_b128 v[68:71], off, off offset:96
	scratch_load_b128 v[80:83], off, off offset:112
	;; [unrolled: 7-line block ×11, first 2 shown]
	s_wait_loadcnt 0xe
	s_clause 0x1
	global_store_b64 v[112:113], v[88:89], off
	global_store_b64 v[114:115], v[90:91], off
	scratch_load_b128 v[88:91], off, off offset:416
	s_wait_loadcnt 0xe
	s_clause 0x1
	global_store_b64 v[8:9], v[2:3], off
	global_store_b64 v[10:11], v[4:5], off
	s_wait_loadcnt 0xd
	s_clause 0x1
	global_store_b64 v[12:13], v[92:93], off
	global_store_b64 v[14:15], v[94:95], off
	;; [unrolled: 4-line block ×15, first 2 shown]
.LBB53_1064:
	s_sendmsg sendmsg(MSG_DEALLOC_VGPRS)
	s_endpgm
	.section	.rodata,"a",@progbits
	.p2align	6, 0x0
	.amdhsa_kernel _ZN9rocsolver6v33100L18trti2_kernel_smallILi54E19rocblas_complex_numIfEPS3_EEv13rocblas_fill_17rocblas_diagonal_T1_iil
		.amdhsa_group_segment_fixed_size 864
		.amdhsa_private_segment_fixed_size 448
		.amdhsa_kernarg_size 32
		.amdhsa_user_sgpr_count 2
		.amdhsa_user_sgpr_dispatch_ptr 0
		.amdhsa_user_sgpr_queue_ptr 0
		.amdhsa_user_sgpr_kernarg_segment_ptr 1
		.amdhsa_user_sgpr_dispatch_id 0
		.amdhsa_user_sgpr_kernarg_preload_length 0
		.amdhsa_user_sgpr_kernarg_preload_offset 0
		.amdhsa_user_sgpr_private_segment_size 0
		.amdhsa_wavefront_size32 1
		.amdhsa_uses_dynamic_stack 0
		.amdhsa_enable_private_segment 1
		.amdhsa_system_sgpr_workgroup_id_x 1
		.amdhsa_system_sgpr_workgroup_id_y 0
		.amdhsa_system_sgpr_workgroup_id_z 0
		.amdhsa_system_sgpr_workgroup_info 0
		.amdhsa_system_vgpr_workitem_id 0
		.amdhsa_next_free_vgpr 157
		.amdhsa_next_free_sgpr 35
		.amdhsa_named_barrier_count 0
		.amdhsa_reserve_vcc 1
		.amdhsa_float_round_mode_32 0
		.amdhsa_float_round_mode_16_64 0
		.amdhsa_float_denorm_mode_32 3
		.amdhsa_float_denorm_mode_16_64 3
		.amdhsa_fp16_overflow 0
		.amdhsa_memory_ordered 1
		.amdhsa_forward_progress 1
		.amdhsa_inst_pref_size 255
		.amdhsa_round_robin_scheduling 0
		.amdhsa_exception_fp_ieee_invalid_op 0
		.amdhsa_exception_fp_denorm_src 0
		.amdhsa_exception_fp_ieee_div_zero 0
		.amdhsa_exception_fp_ieee_overflow 0
		.amdhsa_exception_fp_ieee_underflow 0
		.amdhsa_exception_fp_ieee_inexact 0
		.amdhsa_exception_int_div_zero 0
	.end_amdhsa_kernel
	.section	.text._ZN9rocsolver6v33100L18trti2_kernel_smallILi54E19rocblas_complex_numIfEPS3_EEv13rocblas_fill_17rocblas_diagonal_T1_iil,"axG",@progbits,_ZN9rocsolver6v33100L18trti2_kernel_smallILi54E19rocblas_complex_numIfEPS3_EEv13rocblas_fill_17rocblas_diagonal_T1_iil,comdat
.Lfunc_end53:
	.size	_ZN9rocsolver6v33100L18trti2_kernel_smallILi54E19rocblas_complex_numIfEPS3_EEv13rocblas_fill_17rocblas_diagonal_T1_iil, .Lfunc_end53-_ZN9rocsolver6v33100L18trti2_kernel_smallILi54E19rocblas_complex_numIfEPS3_EEv13rocblas_fill_17rocblas_diagonal_T1_iil
                                        ; -- End function
	.set _ZN9rocsolver6v33100L18trti2_kernel_smallILi54E19rocblas_complex_numIfEPS3_EEv13rocblas_fill_17rocblas_diagonal_T1_iil.num_vgpr, 157
	.set _ZN9rocsolver6v33100L18trti2_kernel_smallILi54E19rocblas_complex_numIfEPS3_EEv13rocblas_fill_17rocblas_diagonal_T1_iil.num_agpr, 0
	.set _ZN9rocsolver6v33100L18trti2_kernel_smallILi54E19rocblas_complex_numIfEPS3_EEv13rocblas_fill_17rocblas_diagonal_T1_iil.numbered_sgpr, 35
	.set _ZN9rocsolver6v33100L18trti2_kernel_smallILi54E19rocblas_complex_numIfEPS3_EEv13rocblas_fill_17rocblas_diagonal_T1_iil.num_named_barrier, 0
	.set _ZN9rocsolver6v33100L18trti2_kernel_smallILi54E19rocblas_complex_numIfEPS3_EEv13rocblas_fill_17rocblas_diagonal_T1_iil.private_seg_size, 448
	.set _ZN9rocsolver6v33100L18trti2_kernel_smallILi54E19rocblas_complex_numIfEPS3_EEv13rocblas_fill_17rocblas_diagonal_T1_iil.uses_vcc, 1
	.set _ZN9rocsolver6v33100L18trti2_kernel_smallILi54E19rocblas_complex_numIfEPS3_EEv13rocblas_fill_17rocblas_diagonal_T1_iil.uses_flat_scratch, 1
	.set _ZN9rocsolver6v33100L18trti2_kernel_smallILi54E19rocblas_complex_numIfEPS3_EEv13rocblas_fill_17rocblas_diagonal_T1_iil.has_dyn_sized_stack, 0
	.set _ZN9rocsolver6v33100L18trti2_kernel_smallILi54E19rocblas_complex_numIfEPS3_EEv13rocblas_fill_17rocblas_diagonal_T1_iil.has_recursion, 0
	.set _ZN9rocsolver6v33100L18trti2_kernel_smallILi54E19rocblas_complex_numIfEPS3_EEv13rocblas_fill_17rocblas_diagonal_T1_iil.has_indirect_call, 0
	.section	.AMDGPU.csdata,"",@progbits
; Kernel info:
; codeLenInByte = 40972
; TotalNumSgprs: 37
; NumVgprs: 157
; ScratchSize: 448
; MemoryBound: 0
; FloatMode: 240
; IeeeMode: 1
; LDSByteSize: 864 bytes/workgroup (compile time only)
; SGPRBlocks: 0
; VGPRBlocks: 9
; NumSGPRsForWavesPerEU: 37
; NumVGPRsForWavesPerEU: 157
; NamedBarCnt: 0
; Occupancy: 6
; WaveLimiterHint : 0
; COMPUTE_PGM_RSRC2:SCRATCH_EN: 1
; COMPUTE_PGM_RSRC2:USER_SGPR: 2
; COMPUTE_PGM_RSRC2:TRAP_HANDLER: 0
; COMPUTE_PGM_RSRC2:TGID_X_EN: 1
; COMPUTE_PGM_RSRC2:TGID_Y_EN: 0
; COMPUTE_PGM_RSRC2:TGID_Z_EN: 0
; COMPUTE_PGM_RSRC2:TIDIG_COMP_CNT: 0
	.section	.text._ZN9rocsolver6v33100L18trti2_kernel_smallILi55E19rocblas_complex_numIfEPS3_EEv13rocblas_fill_17rocblas_diagonal_T1_iil,"axG",@progbits,_ZN9rocsolver6v33100L18trti2_kernel_smallILi55E19rocblas_complex_numIfEPS3_EEv13rocblas_fill_17rocblas_diagonal_T1_iil,comdat
	.globl	_ZN9rocsolver6v33100L18trti2_kernel_smallILi55E19rocblas_complex_numIfEPS3_EEv13rocblas_fill_17rocblas_diagonal_T1_iil ; -- Begin function _ZN9rocsolver6v33100L18trti2_kernel_smallILi55E19rocblas_complex_numIfEPS3_EEv13rocblas_fill_17rocblas_diagonal_T1_iil
	.p2align	8
	.type	_ZN9rocsolver6v33100L18trti2_kernel_smallILi55E19rocblas_complex_numIfEPS3_EEv13rocblas_fill_17rocblas_diagonal_T1_iil,@function
_ZN9rocsolver6v33100L18trti2_kernel_smallILi55E19rocblas_complex_numIfEPS3_EEv13rocblas_fill_17rocblas_diagonal_T1_iil: ; @_ZN9rocsolver6v33100L18trti2_kernel_smallILi55E19rocblas_complex_numIfEPS3_EEv13rocblas_fill_17rocblas_diagonal_T1_iil
; %bb.0:
	s_mov_b32 s2, exec_lo
	v_cmpx_gt_u32_e32 55, v0
	s_cbranch_execz .LBB54_1084
; %bb.1:
	s_load_b256 s[4:11], s[0:1], 0x0
	s_wait_xcnt 0x0
	s_bfe_u32 s0, ttmp6, 0x4000c
	s_and_b32 s1, ttmp6, 15
	s_add_co_i32 s0, s0, 1
	s_getreg_b32 s2, hwreg(HW_REG_IB_STS2, 6, 4)
	s_mul_i32 s0, ttmp9, s0
	v_mov_b32_e32 v37, 0
	s_add_co_i32 s0, s1, s0
	v_lshlrev_b32_e32 v36, 3, v0
	s_wait_kmcnt 0x0
	v_add3_u32 v6, s9, s9, v0
	s_ashr_i32 s1, s8, 31
	s_cmp_eq_u32 s2, 0
	s_cselect_b32 s2, ttmp9, s0
	s_delay_alu instid0(VALU_DEP_1)
	v_add_nc_u32_e32 v8, s9, v6
	s_ashr_i32 s3, s2, 31
	s_mov_b32 s0, s8
	s_mul_u64 s[2:3], s[10:11], s[2:3]
	s_lshl_b64 s[0:1], s[0:1], 3
	v_add_nc_u32_e32 v10, s9, v8
	s_lshl_b64 s[2:3], s[2:3], 3
	s_delay_alu instid0(SALU_CYCLE_1) | instskip(NEXT) | instid1(VALU_DEP_1)
	s_add_nc_u64 s[2:3], s[6:7], s[2:3]
	v_add_nc_u32_e32 v12, s9, v10
	s_add_nc_u64 s[6:7], s[2:3], s[0:1]
	s_mov_b32 s0, s9
	s_ashr_i32 s1, s9, 31
	s_cmp_lg_u32 s5, 0x84
	v_add_nc_u32_e32 v14, s9, v12
	v_add_nc_u64_e32 v[2:3], s[6:7], v[36:37]
	s_cselect_b32 s3, -1, 0
	s_delay_alu instid0(SALU_CYCLE_1) | instskip(NEXT) | instid1(VALU_DEP_2)
	s_and_b32 vcc_lo, exec_lo, s3
	v_add_nc_u32_e32 v16, s9, v14
	s_delay_alu instid0(VALU_DEP_2) | instskip(SKIP_1) | instid1(VALU_DEP_2)
	v_lshl_add_u64 v[4:5], s[0:1], 3, v[2:3]
	s_mov_b32 s0, -1
	v_add_nc_u32_e32 v18, s9, v16
	s_clause 0x3
	global_load_b64 v[82:83], v0, s[6:7] scale_offset
	global_load_b64 v[84:85], v[4:5], off
	global_load_b64 v[86:87], v6, s[6:7] scale_offset
	global_load_b64 v[88:89], v8, s[6:7] scale_offset
	v_add_nc_u32_e32 v20, s9, v18
	s_delay_alu instid0(VALU_DEP_1)
	v_add_nc_u32_e32 v22, s9, v20
	s_clause 0x3
	global_load_b64 v[90:91], v10, s[6:7] scale_offset
	global_load_b64 v[92:93], v12, s[6:7] scale_offset
	;; [unrolled: 1-line block ×4, first 2 shown]
	v_add_nc_u32_e32 v24, s9, v22
	s_delay_alu instid0(VALU_DEP_1)
	v_add_nc_u32_e32 v26, s9, v24
	s_clause 0x3
	global_load_b64 v[98:99], v18, s[6:7] scale_offset
	global_load_b64 v[100:101], v20, s[6:7] scale_offset
	;; [unrolled: 1-line block ×4, first 2 shown]
	v_add_nc_u32_e32 v28, s9, v26
	s_delay_alu instid0(VALU_DEP_1) | instskip(NEXT) | instid1(VALU_DEP_1)
	v_add_nc_u32_e32 v30, s9, v28
	v_add_nc_u32_e32 v32, s9, v30
	s_delay_alu instid0(VALU_DEP_1) | instskip(SKIP_4) | instid1(VALU_DEP_1)
	v_add_nc_u32_e32 v34, s9, v32
	s_clause 0x1
	global_load_b64 v[106:107], v26, s[6:7] scale_offset
	global_load_b64 v[108:109], v28, s[6:7] scale_offset
	v_add_nc_u32_e32 v38, s9, v34
	v_add_nc_u32_e32 v40, s9, v38
	s_delay_alu instid0(VALU_DEP_1)
	v_add_nc_u32_e32 v42, s9, v40
	s_clause 0x3
	global_load_b64 v[110:111], v30, s[6:7] scale_offset
	global_load_b64 v[112:113], v32, s[6:7] scale_offset
	;; [unrolled: 1-line block ×4, first 2 shown]
	v_add_nc_u32_e32 v44, s9, v42
	s_delay_alu instid0(VALU_DEP_1) | instskip(SKIP_4) | instid1(VALU_DEP_1)
	v_add_nc_u32_e32 v46, s9, v44
	s_clause 0x1
	global_load_b64 v[118:119], v40, s[6:7] scale_offset
	global_load_b64 v[120:121], v42, s[6:7] scale_offset
	v_add_nc_u32_e32 v48, s9, v46
	v_add_nc_u32_e32 v50, s9, v48
	s_clause 0x1
	global_load_b64 v[122:123], v44, s[6:7] scale_offset
	global_load_b64 v[124:125], v46, s[6:7] scale_offset
	v_add_nc_u32_e32 v52, s9, v50
	s_delay_alu instid0(VALU_DEP_1) | instskip(SKIP_4) | instid1(VALU_DEP_1)
	v_add_nc_u32_e32 v54, s9, v52
	s_clause 0x1
	global_load_b64 v[126:127], v48, s[6:7] scale_offset
	global_load_b64 v[128:129], v50, s[6:7] scale_offset
	v_add_nc_u32_e32 v56, s9, v54
	v_add_nc_u32_e32 v58, s9, v56
	s_delay_alu instid0(VALU_DEP_1) | instskip(NEXT) | instid1(VALU_DEP_1)
	v_add_nc_u32_e32 v60, s9, v58
	v_add_nc_u32_e32 v62, s9, v60
	s_clause 0x3
	global_load_b64 v[130:131], v52, s[6:7] scale_offset
	global_load_b64 v[132:133], v54, s[6:7] scale_offset
	;; [unrolled: 1-line block ×4, first 2 shown]
	s_wait_loadcnt 0x1a
	scratch_store_b128 off, v[82:85], off
	s_wait_loadcnt 0x18
	scratch_store_b128 off, v[86:89], off offset:16
	v_add_nc_u32_e32 v64, s9, v62
	s_delay_alu instid0(VALU_DEP_1) | instskip(NEXT) | instid1(VALU_DEP_1)
	v_add_nc_u32_e32 v66, s9, v64
	v_add_nc_u32_e32 v68, s9, v66
	s_delay_alu instid0(VALU_DEP_1)
	v_add_nc_u32_e32 v70, s9, v68
	s_clause 0x3
	global_load_b64 v[138:139], v60, s[6:7] scale_offset
	global_load_b64 v[140:141], v62, s[6:7] scale_offset
	;; [unrolled: 1-line block ×4, first 2 shown]
	s_wait_loadcnt 0x1a
	scratch_store_b128 off, v[90:93], off offset:32
	s_wait_loadcnt 0x18
	scratch_store_b128 off, v[94:97], off offset:48
	v_add_nc_u32_e32 v72, s9, v70
	s_delay_alu instid0(VALU_DEP_1) | instskip(NEXT) | instid1(VALU_DEP_1)
	v_add_nc_u32_e32 v74, s9, v72
	v_add_nc_u32_e32 v76, s9, v74
	s_delay_alu instid0(VALU_DEP_1)
	v_add_nc_u32_e32 v78, s9, v76
	s_clause 0x3
	global_load_b64 v[146:147], v68, s[6:7] scale_offset
	global_load_b64 v[148:149], v70, s[6:7] scale_offset
	;; [unrolled: 1-line block ×4, first 2 shown]
	s_wait_loadcnt 0x1a
	scratch_store_b128 off, v[98:101], off offset:64
	s_wait_loadcnt 0x18
	scratch_store_b128 off, v[102:105], off offset:80
	;; [unrolled: 2-line block ×3, first 2 shown]
	v_add_nc_u32_e32 v80, s9, v78
	s_wait_xcnt 0xe
	s_delay_alu instid0(VALU_DEP_1) | instskip(NEXT) | instid1(VALU_DEP_1)
	v_add_nc_u32_e32 v82, s9, v80
	v_add_nc_u32_e32 v84, s9, v82
	s_wait_xcnt 0xd
	s_delay_alu instid0(VALU_DEP_1)
	v_add_nc_u32_e32 v86, s9, v84
	s_clause 0x3
	global_load_b64 v[154:155], v76, s[6:7] scale_offset
	global_load_b64 v[156:157], v78, s[6:7] scale_offset
	global_load_b64 v[158:159], v80, s[6:7] scale_offset
	global_load_b64 v[160:161], v82, s[6:7] scale_offset
	s_wait_loadcnt 0x18
	scratch_store_b128 off, v[110:113], off offset:112
	v_add_nc_u32_e32 v88, s9, v86
	s_wait_xcnt 0xd
	s_delay_alu instid0(VALU_DEP_1)
	v_add_nc_u32_e32 v90, s9, v88
	s_clause 0x1
	global_load_b64 v[162:163], v84, s[6:7] scale_offset
	global_load_b64 v[164:165], v86, s[6:7] scale_offset
	s_wait_loadcnt 0x18
	scratch_store_b128 off, v[114:117], off offset:128
	s_wait_loadcnt 0x16
	scratch_store_b128 off, v[118:121], off offset:144
	v_add_nc_u32_e32 v92, s9, v90
	s_wait_loadcnt 0x14
	scratch_store_b128 off, v[122:125], off offset:160
	s_wait_xcnt 0x11
	v_add_nc_u32_e32 v94, s9, v92
	s_delay_alu instid0(VALU_DEP_1) | instskip(SKIP_4) | instid1(VALU_DEP_1)
	v_add_nc_u32_e32 v96, s9, v94
	s_wait_loadcnt 0x12
	scratch_store_b128 off, v[126:129], off offset:176
	s_wait_xcnt 0xd
	v_add_nc_u32_e32 v98, s9, v96
	v_add_nc_u32_e32 v100, s9, v98
	s_wait_xcnt 0xc
	s_delay_alu instid0(VALU_DEP_1) | instskip(NEXT) | instid1(VALU_DEP_1)
	v_add_nc_u32_e32 v102, s9, v100
	v_add_nc_u32_e32 v104, s9, v102
	s_wait_loadcnt 0x10
	scratch_store_b128 off, v[130:133], off offset:192
	s_wait_loadcnt 0xe
	scratch_store_b128 off, v[134:137], off offset:208
	s_wait_xcnt 0xd
	v_add_nc_u32_e32 v106, s9, v104
	s_delay_alu instid0(VALU_DEP_1) | instskip(SKIP_1) | instid1(VALU_DEP_1)
	v_add_nc_u32_e32 v108, s9, v106
	s_wait_xcnt 0x8
	v_add_nc_u32_e32 v110, s9, v108
	s_delay_alu instid0(VALU_DEP_1)
	v_add_nc_u32_e32 v112, s9, v110
	s_wait_loadcnt 0xc
	scratch_store_b128 off, v[138:141], off offset:224
	s_clause 0x1
	global_load_b64 v[114:115], v88, s[6:7] scale_offset
	global_load_b64 v[116:117], v90, s[6:7] scale_offset
	s_wait_loadcnt 0xc
	scratch_store_b128 off, v[142:145], off offset:240
	s_wait_loadcnt 0xa
	scratch_store_b128 off, v[146:149], off offset:256
	s_clause 0x3
	global_load_b64 v[118:119], v92, s[6:7] scale_offset
	global_load_b64 v[120:121], v94, s[6:7] scale_offset
	;; [unrolled: 1-line block ×4, first 2 shown]
	s_wait_loadcnt 0xc
	scratch_store_b128 off, v[150:153], off offset:272
	s_wait_loadcnt 0xa
	scratch_store_b128 off, v[154:157], off offset:288
	;; [unrolled: 2-line block ×3, first 2 shown]
	s_clause 0x3
	global_load_b64 v[126:127], v100, s[6:7] scale_offset
	global_load_b64 v[128:129], v102, s[6:7] scale_offset
	;; [unrolled: 1-line block ×4, first 2 shown]
	s_wait_loadcnt 0xa
	scratch_store_b128 off, v[162:165], off offset:320
	s_clause 0x2
	global_load_b64 v[134:135], v108, s[6:7] scale_offset
	global_load_b64 v[136:137], v110, s[6:7] scale_offset
	;; [unrolled: 1-line block ×3, first 2 shown]
	s_wait_loadcnt 0xb
	scratch_store_b128 off, v[114:117], off offset:336
	s_wait_loadcnt 0x9
	scratch_store_b128 off, v[118:121], off offset:352
	;; [unrolled: 2-line block ×6, first 2 shown]
	s_wait_loadcnt 0x0
	scratch_store_b64 off, v[138:139], off offset:432
	s_cbranch_vccz .LBB54_7
; %bb.2:
	scratch_load_b64 v[114:115], v0, off scale_offset
                                        ; implicit-def: $vgpr119
                                        ; implicit-def: $vgpr116
	s_wait_loadcnt 0x0
	v_cmp_ngt_f32_e64 s0, |v114|, |v115|
	s_wait_xcnt 0x0
	s_and_saveexec_b32 s1, s0
	s_delay_alu instid0(SALU_CYCLE_1)
	s_xor_b32 s0, exec_lo, s1
	s_cbranch_execz .LBB54_4
; %bb.3:
	v_div_scale_f32 v1, null, v115, v115, v114
	v_div_scale_f32 v11, vcc_lo, v114, v115, v114
	s_delay_alu instid0(VALU_DEP_2) | instskip(SKIP_1) | instid1(TRANS32_DEP_1)
	v_rcp_f32_e32 v7, v1
	v_nop
	v_fma_f32 v9, -v1, v7, 1.0
	s_delay_alu instid0(VALU_DEP_1) | instskip(NEXT) | instid1(VALU_DEP_1)
	v_fmac_f32_e32 v7, v9, v7
	v_mul_f32_e32 v9, v11, v7
	s_delay_alu instid0(VALU_DEP_1) | instskip(NEXT) | instid1(VALU_DEP_1)
	v_fma_f32 v13, -v1, v9, v11
	v_fmac_f32_e32 v9, v13, v7
	s_delay_alu instid0(VALU_DEP_1) | instskip(NEXT) | instid1(VALU_DEP_1)
	v_fma_f32 v1, -v1, v9, v11
	v_div_fmas_f32 v1, v1, v7, v9
	s_delay_alu instid0(VALU_DEP_1) | instskip(NEXT) | instid1(VALU_DEP_1)
	v_div_fixup_f32 v1, v1, v115, v114
	v_fmac_f32_e32 v115, v114, v1
	s_delay_alu instid0(VALU_DEP_1) | instskip(NEXT) | instid1(VALU_DEP_1)
	v_div_scale_f32 v7, null, v115, v115, -1.0
	v_rcp_f32_e32 v9, v7
	v_nop
	s_delay_alu instid0(TRANS32_DEP_1) | instskip(NEXT) | instid1(VALU_DEP_1)
	v_fma_f32 v11, -v7, v9, 1.0
	v_fmac_f32_e32 v9, v11, v9
	v_div_scale_f32 v11, vcc_lo, -1.0, v115, -1.0
	s_delay_alu instid0(VALU_DEP_1) | instskip(NEXT) | instid1(VALU_DEP_1)
	v_mul_f32_e32 v13, v11, v9
	v_fma_f32 v15, -v7, v13, v11
	s_delay_alu instid0(VALU_DEP_1) | instskip(NEXT) | instid1(VALU_DEP_1)
	v_fmac_f32_e32 v13, v15, v9
	v_fma_f32 v7, -v7, v13, v11
	s_delay_alu instid0(VALU_DEP_1) | instskip(NEXT) | instid1(VALU_DEP_1)
	v_div_fmas_f32 v7, v7, v9, v13
	v_div_fixup_f32 v119, v7, v115, -1.0
                                        ; implicit-def: $vgpr114_vgpr115
	s_delay_alu instid0(VALU_DEP_1) | instskip(NEXT) | instid1(VALU_DEP_1)
	v_mul_f32_e32 v116, v1, v119
	v_xor_b32_e32 v118, 0x80000000, v116
.LBB54_4:
	s_or_saveexec_b32 s0, s0
	v_lshl_add_u32 v1, v0, 3, 0
	s_xor_b32 exec_lo, exec_lo, s0
	s_cbranch_execz .LBB54_6
; %bb.5:
	v_div_scale_f32 v7, null, v114, v114, v115
	v_div_scale_f32 v13, vcc_lo, v115, v114, v115
	s_delay_alu instid0(VALU_DEP_2) | instskip(SKIP_1) | instid1(TRANS32_DEP_1)
	v_rcp_f32_e32 v9, v7
	v_nop
	v_fma_f32 v11, -v7, v9, 1.0
	s_delay_alu instid0(VALU_DEP_1) | instskip(NEXT) | instid1(VALU_DEP_1)
	v_fmac_f32_e32 v9, v11, v9
	v_mul_f32_e32 v11, v13, v9
	s_delay_alu instid0(VALU_DEP_1) | instskip(NEXT) | instid1(VALU_DEP_1)
	v_fma_f32 v15, -v7, v11, v13
	v_fmac_f32_e32 v11, v15, v9
	s_delay_alu instid0(VALU_DEP_1) | instskip(NEXT) | instid1(VALU_DEP_1)
	v_fma_f32 v7, -v7, v11, v13
	v_div_fmas_f32 v7, v7, v9, v11
	s_delay_alu instid0(VALU_DEP_1) | instskip(NEXT) | instid1(VALU_DEP_1)
	v_div_fixup_f32 v7, v7, v114, v115
	v_fmac_f32_e32 v114, v115, v7
	s_delay_alu instid0(VALU_DEP_1) | instskip(SKIP_1) | instid1(VALU_DEP_2)
	v_div_scale_f32 v9, null, v114, v114, 1.0
	v_div_scale_f32 v15, vcc_lo, 1.0, v114, 1.0
	v_rcp_f32_e32 v11, v9
	v_nop
	s_delay_alu instid0(TRANS32_DEP_1) | instskip(NEXT) | instid1(VALU_DEP_1)
	v_fma_f32 v13, -v9, v11, 1.0
	v_fmac_f32_e32 v11, v13, v11
	s_delay_alu instid0(VALU_DEP_1) | instskip(NEXT) | instid1(VALU_DEP_1)
	v_mul_f32_e32 v13, v15, v11
	v_fma_f32 v17, -v9, v13, v15
	s_delay_alu instid0(VALU_DEP_1) | instskip(NEXT) | instid1(VALU_DEP_1)
	v_fmac_f32_e32 v13, v17, v11
	v_fma_f32 v9, -v9, v13, v15
	s_delay_alu instid0(VALU_DEP_1) | instskip(NEXT) | instid1(VALU_DEP_1)
	v_div_fmas_f32 v9, v9, v11, v13
	v_div_fixup_f32 v118, v9, v114, 1.0
	s_delay_alu instid0(VALU_DEP_1)
	v_xor_b32_e32 v116, 0x80000000, v118
	v_mul_f32_e64 v119, v7, -v118
.LBB54_6:
	s_or_b32 exec_lo, exec_lo, s0
	s_delay_alu instid0(VALU_DEP_1)
	v_xor_b32_e32 v117, 0x80000000, v119
	s_mov_b32 s0, 0
	scratch_store_b64 v1, v[118:119], off
	ds_store_b64 v36, v[116:117]
.LBB54_7:
	s_and_b32 vcc_lo, exec_lo, s0
	s_cbranch_vccz .LBB54_9
; %bb.8:
	s_mov_b64 s[0:1], 0xbf800000
	s_wait_xcnt 0x6
	v_mov_b64_e32 v[114:115], s[0:1]
	ds_store_b64 v36, v[114:115]
.LBB54_9:
	v_dual_ashrrev_i32 v7, 31, v6 :: v_dual_ashrrev_i32 v9, 31, v8
	v_dual_ashrrev_i32 v11, 31, v10 :: v_dual_ashrrev_i32 v13, 31, v12
	;; [unrolled: 1-line block ×26, first 2 shown]
	v_dual_ashrrev_i32 v111, 31, v110 :: v_dual_mov_b32 v37, v36
	s_wait_xcnt 0x0
	v_add_nc_u32_e32 v1, 0x1c0, v36
	s_cmp_eq_u32 s4, 0x79
	s_cbranch_scc1 .LBB54_13
; %bb.10:
	scratch_load_b64 v[114:115], off, off offset:424
	v_cmp_eq_u32_e64 s0, 54, v0
	s_movk_i32 s1, 0x50
	s_movk_i32 s2, 0x60
	;; [unrolled: 1-line block ×22, first 2 shown]
	s_wait_loadcnt 0x0
	ds_store_b64 v1, v[114:115]
	s_wait_storecnt_dscnt 0x0
	s_barrier_signal -1
	s_barrier_wait -1
	s_wait_xcnt 0x0
	s_and_saveexec_b32 s4, s0
	s_cbranch_execz .LBB54_17
; %bb.11:
	s_and_b32 vcc_lo, exec_lo, s3
	s_cbranch_vccz .LBB54_14
; %bb.12:
	scratch_load_b64 v[114:115], v37, off
	ds_load_b64 v[116:117], v1
	s_wait_loadcnt_dscnt 0x0
	v_pk_mul_f32 v[118:119], v[116:117], v[114:115] op_sel:[1,1] op_sel_hi:[0,1]
	v_pk_mul_f32 v[120:121], v[116:117], v[114:115] op_sel_hi:[1,0]
	s_delay_alu instid0(VALU_DEP_2) | instskip(NEXT) | instid1(VALU_DEP_2)
	v_pk_fma_f32 v[114:115], v[116:117], v[114:115], v[118:119] op_sel_hi:[1,0,1]
	v_sub_f32_e32 v114, v120, v118
	s_cbranch_execz .LBB54_15
	s_branch .LBB54_16
.LBB54_13:
	s_mov_b32 s1, 0
                                        ; implicit-def: $vgpr150
                                        ; implicit-def: $sgpr4
	s_cbranch_execnz .LBB54_546
	s_branch .LBB54_1081
.LBB54_14:
                                        ; implicit-def: $vgpr115
.LBB54_15:
	ds_load_b64 v[114:115], v1
.LBB54_16:
	s_wait_dscnt 0x0
	v_dual_mov_b32 v116, 0 :: v_dual_mov_b32 v118, v115
	v_mov_b32_e32 v119, v114
	ds_load_b64 v[116:117], v116 offset:424
	s_wait_dscnt 0x0
	v_pk_mul_f32 v[118:119], v[118:119], v[116:117] op_sel:[0,1]
	s_delay_alu instid0(VALU_DEP_1) | instskip(SKIP_1) | instid1(VALU_DEP_2)
	v_pk_fma_f32 v[120:121], v[114:115], v[116:117], v[118:119] op_sel_hi:[1,0,1]
	v_pk_fma_f32 v[114:115], v[114:115], v[116:117], v[118:119] neg_lo:[0,0,1] neg_hi:[0,0,1]
	v_mov_b32_e32 v115, v121
	scratch_store_b64 off, v[114:115], off offset:424
.LBB54_17:
	s_wait_xcnt 0x0
	s_or_b32 exec_lo, exec_lo, s4
	scratch_load_b64 v[114:115], off, off offset:416
	s_mov_b32 s11, s2
	v_cmp_lt_u32_e64 s2, 52, v0
	s_mov_b32 s4, 16
	s_mov_b32 s5, 32
	;; [unrolled: 1-line block ×5, first 2 shown]
	s_wait_loadcnt 0x0
	ds_store_b64 v1, v[114:115]
	s_wait_storecnt_dscnt 0x0
	s_barrier_signal -1
	s_barrier_wait -1
	s_wait_xcnt 0x0
	s_and_saveexec_b32 s1, s2
	s_cbranch_execz .LBB54_25
; %bb.18:
	s_and_not1_b32 vcc_lo, exec_lo, s3
	s_cbranch_vccnz .LBB54_20
; %bb.19:
	scratch_load_b64 v[114:115], v37, off
	ds_load_b64 v[116:117], v1
	s_wait_loadcnt_dscnt 0x0
	v_pk_mul_f32 v[118:119], v[116:117], v[114:115] op_sel:[1,1] op_sel_hi:[0,1]
	s_delay_alu instid0(VALU_DEP_1) | instskip(SKIP_1) | instid1(VALU_DEP_2)
	v_pk_fma_f32 v[120:121], v[116:117], v[114:115], v[118:119] op_sel_hi:[1,0,1]
	v_pk_fma_f32 v[114:115], v[116:117], v[114:115], v[118:119] neg_lo:[0,0,1] neg_hi:[0,0,1]
	v_mov_b32_e32 v115, v121
	s_cbranch_execz .LBB54_21
	s_branch .LBB54_22
.LBB54_20:
                                        ; implicit-def: $vgpr114_vgpr115
.LBB54_21:
	ds_load_b64 v[114:115], v1
.LBB54_22:
	s_and_saveexec_b32 s33, s0
	s_cbranch_execz .LBB54_24
; %bb.23:
	scratch_load_b64 v[116:117], off, off offset:424
	v_mov_b32_e32 v118, 0
	ds_load_b64 v[118:119], v118 offset:872
	s_wait_loadcnt_dscnt 0x0
	v_pk_mul_f32 v[120:121], v[118:119], v[116:117] op_sel:[1,1] op_sel_hi:[0,1]
	s_delay_alu instid0(VALU_DEP_1) | instskip(SKIP_1) | instid1(VALU_DEP_2)
	v_pk_fma_f32 v[122:123], v[118:119], v[116:117], v[120:121] op_sel_hi:[1,0,1]
	v_pk_fma_f32 v[116:117], v[118:119], v[116:117], v[120:121] neg_lo:[0,0,1] neg_hi:[0,0,1]
	v_mov_b32_e32 v117, v123
	s_delay_alu instid0(VALU_DEP_1)
	v_pk_add_f32 v[114:115], v[114:115], v[116:117]
.LBB54_24:
	s_or_b32 exec_lo, exec_lo, s33
	v_mov_b32_e32 v116, 0
	ds_load_b64 v[116:117], v116 offset:416
	s_wait_dscnt 0x0
	v_pk_mul_f32 v[118:119], v[114:115], v[116:117] op_sel:[1,1] op_sel_hi:[0,1]
	s_delay_alu instid0(VALU_DEP_1) | instskip(SKIP_1) | instid1(VALU_DEP_2)
	v_pk_fma_f32 v[120:121], v[114:115], v[116:117], v[118:119] op_sel_hi:[1,0,1]
	v_pk_fma_f32 v[114:115], v[114:115], v[116:117], v[118:119] neg_lo:[0,0,1] neg_hi:[0,0,1]
	v_mov_b32_e32 v115, v121
	scratch_store_b64 off, v[114:115], off offset:416
.LBB54_25:
	s_wait_xcnt 0x0
	s_or_b32 exec_lo, exec_lo, s1
	scratch_load_b64 v[114:115], off, off offset:408
	v_cmp_lt_u32_e64 s1, 51, v0
	s_wait_loadcnt 0x0
	ds_store_b64 v1, v[114:115]
	s_wait_storecnt_dscnt 0x0
	s_barrier_signal -1
	s_barrier_wait -1
	s_wait_xcnt 0x0
	s_and_saveexec_b32 s0, s1
	s_cbranch_execz .LBB54_35
; %bb.26:
	s_and_not1_b32 vcc_lo, exec_lo, s3
	s_cbranch_vccnz .LBB54_28
; %bb.27:
	scratch_load_b64 v[114:115], v37, off
	ds_load_b64 v[116:117], v1
	s_wait_loadcnt_dscnt 0x0
	v_pk_mul_f32 v[118:119], v[116:117], v[114:115] op_sel:[1,1] op_sel_hi:[0,1]
	s_delay_alu instid0(VALU_DEP_1) | instskip(SKIP_1) | instid1(VALU_DEP_2)
	v_pk_fma_f32 v[120:121], v[116:117], v[114:115], v[118:119] op_sel_hi:[1,0,1]
	v_pk_fma_f32 v[114:115], v[116:117], v[114:115], v[118:119] neg_lo:[0,0,1] neg_hi:[0,0,1]
	v_mov_b32_e32 v115, v121
	s_cbranch_execz .LBB54_29
	s_branch .LBB54_30
.LBB54_28:
                                        ; implicit-def: $vgpr114_vgpr115
.LBB54_29:
	ds_load_b64 v[114:115], v1
.LBB54_30:
	s_and_saveexec_b32 s33, s2
	s_cbranch_execz .LBB54_34
; %bb.31:
	v_subrev_nc_u32_e32 v116, 52, v0
	s_movk_i32 s34, 0x360
	s_mov_b32 s2, 0
.LBB54_32:                              ; =>This Inner Loop Header: Depth=1
	scratch_load_b64 v[118:119], off, s31
	v_dual_mov_b32 v117, s34 :: v_dual_add_nc_u32 v116, -1, v116
	s_add_co_i32 s34, s34, 8
	s_wait_xcnt 0x0
	s_add_co_i32 s31, s31, 8
	ds_load_b64 v[120:121], v117
	v_cmp_eq_u32_e32 vcc_lo, 0, v116
	s_or_b32 s2, vcc_lo, s2
	s_wait_loadcnt_dscnt 0x0
	v_pk_mul_f32 v[122:123], v[120:121], v[118:119] op_sel:[1,1] op_sel_hi:[0,1]
	s_delay_alu instid0(VALU_DEP_1) | instskip(SKIP_1) | instid1(VALU_DEP_2)
	v_pk_fma_f32 v[124:125], v[120:121], v[118:119], v[122:123] op_sel_hi:[1,0,1]
	v_pk_fma_f32 v[118:119], v[120:121], v[118:119], v[122:123] neg_lo:[0,0,1] neg_hi:[0,0,1]
	v_mov_b32_e32 v119, v125
	s_delay_alu instid0(VALU_DEP_1)
	v_pk_add_f32 v[114:115], v[114:115], v[118:119]
	s_and_not1_b32 exec_lo, exec_lo, s2
	s_cbranch_execnz .LBB54_32
; %bb.33:
	s_or_b32 exec_lo, exec_lo, s2
.LBB54_34:
	s_delay_alu instid0(SALU_CYCLE_1) | instskip(SKIP_4) | instid1(VALU_DEP_1)
	s_or_b32 exec_lo, exec_lo, s33
	v_mov_b32_e32 v116, 0
	ds_load_b64 v[116:117], v116 offset:408
	s_wait_dscnt 0x0
	v_pk_mul_f32 v[118:119], v[114:115], v[116:117] op_sel:[1,1] op_sel_hi:[0,1]
	v_pk_fma_f32 v[120:121], v[114:115], v[116:117], v[118:119] op_sel_hi:[1,0,1]
	v_pk_fma_f32 v[114:115], v[114:115], v[116:117], v[118:119] neg_lo:[0,0,1] neg_hi:[0,0,1]
	s_delay_alu instid0(VALU_DEP_2)
	v_mov_b32_e32 v115, v121
	scratch_store_b64 off, v[114:115], off offset:408
.LBB54_35:
	s_wait_xcnt 0x0
	s_or_b32 exec_lo, exec_lo, s0
	scratch_load_b64 v[114:115], off, off offset:400
	v_cmp_lt_u32_e64 s0, 50, v0
	s_wait_loadcnt 0x0
	ds_store_b64 v1, v[114:115]
	s_wait_storecnt_dscnt 0x0
	s_barrier_signal -1
	s_barrier_wait -1
	s_wait_xcnt 0x0
	s_and_saveexec_b32 s2, s0
	s_cbranch_execz .LBB54_45
; %bb.36:
	s_and_not1_b32 vcc_lo, exec_lo, s3
	s_cbranch_vccnz .LBB54_38
; %bb.37:
	scratch_load_b64 v[114:115], v37, off
	ds_load_b64 v[116:117], v1
	s_wait_loadcnt_dscnt 0x0
	v_pk_mul_f32 v[118:119], v[116:117], v[114:115] op_sel:[1,1] op_sel_hi:[0,1]
	s_delay_alu instid0(VALU_DEP_1) | instskip(SKIP_1) | instid1(VALU_DEP_2)
	v_pk_fma_f32 v[120:121], v[116:117], v[114:115], v[118:119] op_sel_hi:[1,0,1]
	v_pk_fma_f32 v[114:115], v[116:117], v[114:115], v[118:119] neg_lo:[0,0,1] neg_hi:[0,0,1]
	v_mov_b32_e32 v115, v121
	s_cbranch_execz .LBB54_39
	s_branch .LBB54_40
.LBB54_38:
                                        ; implicit-def: $vgpr114_vgpr115
.LBB54_39:
	ds_load_b64 v[114:115], v1
.LBB54_40:
	s_and_saveexec_b32 s31, s1
	s_cbranch_execz .LBB54_44
; %bb.41:
	v_subrev_nc_u32_e32 v116, 51, v0
	s_movk_i32 s1, 0x198
	s_movk_i32 s34, 0x358
	s_mov_b32 s33, 0
.LBB54_42:                              ; =>This Inner Loop Header: Depth=1
	scratch_load_b64 v[118:119], off, s1
	v_dual_mov_b32 v117, s34 :: v_dual_add_nc_u32 v116, -1, v116
	s_add_co_i32 s34, s34, 8
	s_wait_xcnt 0x0
	s_add_co_i32 s1, s1, 8
	ds_load_b64 v[120:121], v117
	v_cmp_eq_u32_e32 vcc_lo, 0, v116
	s_or_b32 s33, vcc_lo, s33
	s_wait_loadcnt_dscnt 0x0
	v_pk_mul_f32 v[122:123], v[120:121], v[118:119] op_sel:[1,1] op_sel_hi:[0,1]
	s_delay_alu instid0(VALU_DEP_1) | instskip(SKIP_1) | instid1(VALU_DEP_2)
	v_pk_fma_f32 v[124:125], v[120:121], v[118:119], v[122:123] op_sel_hi:[1,0,1]
	v_pk_fma_f32 v[118:119], v[120:121], v[118:119], v[122:123] neg_lo:[0,0,1] neg_hi:[0,0,1]
	v_mov_b32_e32 v119, v125
	s_delay_alu instid0(VALU_DEP_1)
	v_pk_add_f32 v[114:115], v[114:115], v[118:119]
	s_and_not1_b32 exec_lo, exec_lo, s33
	s_cbranch_execnz .LBB54_42
; %bb.43:
	s_or_b32 exec_lo, exec_lo, s33
.LBB54_44:
	s_delay_alu instid0(SALU_CYCLE_1) | instskip(SKIP_4) | instid1(VALU_DEP_1)
	s_or_b32 exec_lo, exec_lo, s31
	v_mov_b32_e32 v116, 0
	ds_load_b64 v[116:117], v116 offset:400
	s_wait_dscnt 0x0
	v_pk_mul_f32 v[118:119], v[114:115], v[116:117] op_sel:[1,1] op_sel_hi:[0,1]
	v_pk_fma_f32 v[120:121], v[114:115], v[116:117], v[118:119] op_sel_hi:[1,0,1]
	v_pk_fma_f32 v[114:115], v[114:115], v[116:117], v[118:119] neg_lo:[0,0,1] neg_hi:[0,0,1]
	s_delay_alu instid0(VALU_DEP_2)
	v_mov_b32_e32 v115, v121
	scratch_store_b64 off, v[114:115], off offset:400
.LBB54_45:
	s_wait_xcnt 0x0
	s_or_b32 exec_lo, exec_lo, s2
	scratch_load_b64 v[114:115], off, off offset:392
	v_cmp_lt_u32_e64 s1, 49, v0
	s_wait_loadcnt 0x0
	ds_store_b64 v1, v[114:115]
	s_wait_storecnt_dscnt 0x0
	s_barrier_signal -1
	s_barrier_wait -1
	s_wait_xcnt 0x0
	s_and_saveexec_b32 s2, s1
	s_cbranch_execz .LBB54_55
; %bb.46:
	s_and_not1_b32 vcc_lo, exec_lo, s3
	s_cbranch_vccnz .LBB54_48
; %bb.47:
	scratch_load_b64 v[114:115], v37, off
	ds_load_b64 v[116:117], v1
	s_wait_loadcnt_dscnt 0x0
	v_pk_mul_f32 v[118:119], v[116:117], v[114:115] op_sel:[1,1] op_sel_hi:[0,1]
	s_delay_alu instid0(VALU_DEP_1) | instskip(SKIP_1) | instid1(VALU_DEP_2)
	v_pk_fma_f32 v[120:121], v[116:117], v[114:115], v[118:119] op_sel_hi:[1,0,1]
	v_pk_fma_f32 v[114:115], v[116:117], v[114:115], v[118:119] neg_lo:[0,0,1] neg_hi:[0,0,1]
	v_mov_b32_e32 v115, v121
	s_cbranch_execz .LBB54_49
	s_branch .LBB54_50
.LBB54_48:
                                        ; implicit-def: $vgpr114_vgpr115
.LBB54_49:
	ds_load_b64 v[114:115], v1
.LBB54_50:
	s_and_saveexec_b32 s31, s0
	s_cbranch_execz .LBB54_54
; %bb.51:
	v_subrev_nc_u32_e32 v116, 50, v0
	s_movk_i32 s33, 0x350
	s_mov_b32 s0, 0
.LBB54_52:                              ; =>This Inner Loop Header: Depth=1
	scratch_load_b64 v[118:119], off, s30
	v_dual_mov_b32 v117, s33 :: v_dual_add_nc_u32 v116, -1, v116
	s_add_co_i32 s33, s33, 8
	s_wait_xcnt 0x0
	s_add_co_i32 s30, s30, 8
	ds_load_b64 v[120:121], v117
	v_cmp_eq_u32_e32 vcc_lo, 0, v116
	s_or_b32 s0, vcc_lo, s0
	s_wait_loadcnt_dscnt 0x0
	v_pk_mul_f32 v[122:123], v[120:121], v[118:119] op_sel:[1,1] op_sel_hi:[0,1]
	s_delay_alu instid0(VALU_DEP_1) | instskip(SKIP_1) | instid1(VALU_DEP_2)
	v_pk_fma_f32 v[124:125], v[120:121], v[118:119], v[122:123] op_sel_hi:[1,0,1]
	v_pk_fma_f32 v[118:119], v[120:121], v[118:119], v[122:123] neg_lo:[0,0,1] neg_hi:[0,0,1]
	v_mov_b32_e32 v119, v125
	s_delay_alu instid0(VALU_DEP_1)
	v_pk_add_f32 v[114:115], v[114:115], v[118:119]
	s_and_not1_b32 exec_lo, exec_lo, s0
	s_cbranch_execnz .LBB54_52
; %bb.53:
	s_or_b32 exec_lo, exec_lo, s0
.LBB54_54:
	s_delay_alu instid0(SALU_CYCLE_1) | instskip(SKIP_4) | instid1(VALU_DEP_1)
	s_or_b32 exec_lo, exec_lo, s31
	v_mov_b32_e32 v116, 0
	ds_load_b64 v[116:117], v116 offset:392
	s_wait_dscnt 0x0
	v_pk_mul_f32 v[118:119], v[114:115], v[116:117] op_sel:[1,1] op_sel_hi:[0,1]
	v_pk_fma_f32 v[120:121], v[114:115], v[116:117], v[118:119] op_sel_hi:[1,0,1]
	v_pk_fma_f32 v[114:115], v[114:115], v[116:117], v[118:119] neg_lo:[0,0,1] neg_hi:[0,0,1]
	s_delay_alu instid0(VALU_DEP_2)
	v_mov_b32_e32 v115, v121
	scratch_store_b64 off, v[114:115], off offset:392
.LBB54_55:
	s_wait_xcnt 0x0
	s_or_b32 exec_lo, exec_lo, s2
	scratch_load_b64 v[114:115], off, off offset:384
	v_cmp_lt_u32_e64 s0, 48, v0
	s_wait_loadcnt 0x0
	ds_store_b64 v1, v[114:115]
	s_wait_storecnt_dscnt 0x0
	s_barrier_signal -1
	s_barrier_wait -1
	s_wait_xcnt 0x0
	s_and_saveexec_b32 s2, s0
	s_cbranch_execz .LBB54_65
; %bb.56:
	s_and_not1_b32 vcc_lo, exec_lo, s3
	s_cbranch_vccnz .LBB54_58
; %bb.57:
	scratch_load_b64 v[114:115], v37, off
	ds_load_b64 v[116:117], v1
	s_wait_loadcnt_dscnt 0x0
	v_pk_mul_f32 v[118:119], v[116:117], v[114:115] op_sel:[1,1] op_sel_hi:[0,1]
	s_delay_alu instid0(VALU_DEP_1) | instskip(SKIP_1) | instid1(VALU_DEP_2)
	v_pk_fma_f32 v[120:121], v[116:117], v[114:115], v[118:119] op_sel_hi:[1,0,1]
	v_pk_fma_f32 v[114:115], v[116:117], v[114:115], v[118:119] neg_lo:[0,0,1] neg_hi:[0,0,1]
	v_mov_b32_e32 v115, v121
	s_cbranch_execz .LBB54_59
	s_branch .LBB54_60
.LBB54_58:
                                        ; implicit-def: $vgpr114_vgpr115
.LBB54_59:
	ds_load_b64 v[114:115], v1
.LBB54_60:
	s_and_saveexec_b32 s30, s1
	s_cbranch_execz .LBB54_64
; %bb.61:
	v_subrev_nc_u32_e32 v116, 49, v0
	s_movk_i32 s1, 0x188
	s_movk_i32 s33, 0x348
	s_mov_b32 s31, 0
.LBB54_62:                              ; =>This Inner Loop Header: Depth=1
	scratch_load_b64 v[118:119], off, s1
	v_dual_mov_b32 v117, s33 :: v_dual_add_nc_u32 v116, -1, v116
	s_add_co_i32 s33, s33, 8
	s_wait_xcnt 0x0
	s_add_co_i32 s1, s1, 8
	ds_load_b64 v[120:121], v117
	v_cmp_eq_u32_e32 vcc_lo, 0, v116
	s_or_b32 s31, vcc_lo, s31
	s_wait_loadcnt_dscnt 0x0
	v_pk_mul_f32 v[122:123], v[120:121], v[118:119] op_sel:[1,1] op_sel_hi:[0,1]
	s_delay_alu instid0(VALU_DEP_1) | instskip(SKIP_1) | instid1(VALU_DEP_2)
	v_pk_fma_f32 v[124:125], v[120:121], v[118:119], v[122:123] op_sel_hi:[1,0,1]
	v_pk_fma_f32 v[118:119], v[120:121], v[118:119], v[122:123] neg_lo:[0,0,1] neg_hi:[0,0,1]
	v_mov_b32_e32 v119, v125
	s_delay_alu instid0(VALU_DEP_1)
	v_pk_add_f32 v[114:115], v[114:115], v[118:119]
	s_and_not1_b32 exec_lo, exec_lo, s31
	s_cbranch_execnz .LBB54_62
; %bb.63:
	s_or_b32 exec_lo, exec_lo, s31
.LBB54_64:
	s_delay_alu instid0(SALU_CYCLE_1) | instskip(SKIP_4) | instid1(VALU_DEP_1)
	s_or_b32 exec_lo, exec_lo, s30
	v_mov_b32_e32 v116, 0
	ds_load_b64 v[116:117], v116 offset:384
	s_wait_dscnt 0x0
	v_pk_mul_f32 v[118:119], v[114:115], v[116:117] op_sel:[1,1] op_sel_hi:[0,1]
	v_pk_fma_f32 v[120:121], v[114:115], v[116:117], v[118:119] op_sel_hi:[1,0,1]
	v_pk_fma_f32 v[114:115], v[114:115], v[116:117], v[118:119] neg_lo:[0,0,1] neg_hi:[0,0,1]
	s_delay_alu instid0(VALU_DEP_2)
	v_mov_b32_e32 v115, v121
	scratch_store_b64 off, v[114:115], off offset:384
.LBB54_65:
	s_wait_xcnt 0x0
	s_or_b32 exec_lo, exec_lo, s2
	scratch_load_b64 v[114:115], off, off offset:376
	v_cmp_lt_u32_e64 s1, 47, v0
	s_wait_loadcnt 0x0
	ds_store_b64 v1, v[114:115]
	s_wait_storecnt_dscnt 0x0
	s_barrier_signal -1
	s_barrier_wait -1
	s_wait_xcnt 0x0
	s_and_saveexec_b32 s2, s1
	s_cbranch_execz .LBB54_75
; %bb.66:
	s_and_not1_b32 vcc_lo, exec_lo, s3
	s_cbranch_vccnz .LBB54_68
; %bb.67:
	scratch_load_b64 v[114:115], v37, off
	ds_load_b64 v[116:117], v1
	s_wait_loadcnt_dscnt 0x0
	v_pk_mul_f32 v[118:119], v[116:117], v[114:115] op_sel:[1,1] op_sel_hi:[0,1]
	s_delay_alu instid0(VALU_DEP_1) | instskip(SKIP_1) | instid1(VALU_DEP_2)
	v_pk_fma_f32 v[120:121], v[116:117], v[114:115], v[118:119] op_sel_hi:[1,0,1]
	v_pk_fma_f32 v[114:115], v[116:117], v[114:115], v[118:119] neg_lo:[0,0,1] neg_hi:[0,0,1]
	v_mov_b32_e32 v115, v121
	s_cbranch_execz .LBB54_69
	s_branch .LBB54_70
.LBB54_68:
                                        ; implicit-def: $vgpr114_vgpr115
.LBB54_69:
	ds_load_b64 v[114:115], v1
.LBB54_70:
	s_and_saveexec_b32 s30, s0
	s_cbranch_execz .LBB54_74
; %bb.71:
	v_subrev_nc_u32_e32 v116, 48, v0
	s_movk_i32 s31, 0x340
	s_mov_b32 s0, 0
.LBB54_72:                              ; =>This Inner Loop Header: Depth=1
	scratch_load_b64 v[118:119], off, s29
	v_dual_mov_b32 v117, s31 :: v_dual_add_nc_u32 v116, -1, v116
	s_add_co_i32 s31, s31, 8
	s_wait_xcnt 0x0
	s_add_co_i32 s29, s29, 8
	ds_load_b64 v[120:121], v117
	v_cmp_eq_u32_e32 vcc_lo, 0, v116
	s_or_b32 s0, vcc_lo, s0
	s_wait_loadcnt_dscnt 0x0
	v_pk_mul_f32 v[122:123], v[120:121], v[118:119] op_sel:[1,1] op_sel_hi:[0,1]
	s_delay_alu instid0(VALU_DEP_1) | instskip(SKIP_1) | instid1(VALU_DEP_2)
	v_pk_fma_f32 v[124:125], v[120:121], v[118:119], v[122:123] op_sel_hi:[1,0,1]
	v_pk_fma_f32 v[118:119], v[120:121], v[118:119], v[122:123] neg_lo:[0,0,1] neg_hi:[0,0,1]
	v_mov_b32_e32 v119, v125
	s_delay_alu instid0(VALU_DEP_1)
	v_pk_add_f32 v[114:115], v[114:115], v[118:119]
	s_and_not1_b32 exec_lo, exec_lo, s0
	s_cbranch_execnz .LBB54_72
; %bb.73:
	s_or_b32 exec_lo, exec_lo, s0
.LBB54_74:
	s_delay_alu instid0(SALU_CYCLE_1) | instskip(SKIP_4) | instid1(VALU_DEP_1)
	s_or_b32 exec_lo, exec_lo, s30
	v_mov_b32_e32 v116, 0
	ds_load_b64 v[116:117], v116 offset:376
	s_wait_dscnt 0x0
	v_pk_mul_f32 v[118:119], v[114:115], v[116:117] op_sel:[1,1] op_sel_hi:[0,1]
	v_pk_fma_f32 v[120:121], v[114:115], v[116:117], v[118:119] op_sel_hi:[1,0,1]
	v_pk_fma_f32 v[114:115], v[114:115], v[116:117], v[118:119] neg_lo:[0,0,1] neg_hi:[0,0,1]
	s_delay_alu instid0(VALU_DEP_2)
	v_mov_b32_e32 v115, v121
	scratch_store_b64 off, v[114:115], off offset:376
.LBB54_75:
	s_wait_xcnt 0x0
	s_or_b32 exec_lo, exec_lo, s2
	scratch_load_b64 v[114:115], off, off offset:368
	v_cmp_lt_u32_e64 s0, 46, v0
	s_wait_loadcnt 0x0
	ds_store_b64 v1, v[114:115]
	s_wait_storecnt_dscnt 0x0
	s_barrier_signal -1
	s_barrier_wait -1
	s_wait_xcnt 0x0
	s_and_saveexec_b32 s2, s0
	s_cbranch_execz .LBB54_85
; %bb.76:
	s_and_not1_b32 vcc_lo, exec_lo, s3
	s_cbranch_vccnz .LBB54_78
; %bb.77:
	scratch_load_b64 v[114:115], v37, off
	ds_load_b64 v[116:117], v1
	s_wait_loadcnt_dscnt 0x0
	v_pk_mul_f32 v[118:119], v[116:117], v[114:115] op_sel:[1,1] op_sel_hi:[0,1]
	s_delay_alu instid0(VALU_DEP_1) | instskip(SKIP_1) | instid1(VALU_DEP_2)
	v_pk_fma_f32 v[120:121], v[116:117], v[114:115], v[118:119] op_sel_hi:[1,0,1]
	v_pk_fma_f32 v[114:115], v[116:117], v[114:115], v[118:119] neg_lo:[0,0,1] neg_hi:[0,0,1]
	v_mov_b32_e32 v115, v121
	s_cbranch_execz .LBB54_79
	s_branch .LBB54_80
.LBB54_78:
                                        ; implicit-def: $vgpr114_vgpr115
.LBB54_79:
	ds_load_b64 v[114:115], v1
.LBB54_80:
	s_and_saveexec_b32 s29, s1
	s_cbranch_execz .LBB54_84
; %bb.81:
	v_subrev_nc_u32_e32 v116, 47, v0
	s_movk_i32 s1, 0x178
	s_movk_i32 s31, 0x338
	s_mov_b32 s30, 0
.LBB54_82:                              ; =>This Inner Loop Header: Depth=1
	scratch_load_b64 v[118:119], off, s1
	v_dual_mov_b32 v117, s31 :: v_dual_add_nc_u32 v116, -1, v116
	s_add_co_i32 s31, s31, 8
	s_wait_xcnt 0x0
	s_add_co_i32 s1, s1, 8
	ds_load_b64 v[120:121], v117
	v_cmp_eq_u32_e32 vcc_lo, 0, v116
	s_or_b32 s30, vcc_lo, s30
	s_wait_loadcnt_dscnt 0x0
	v_pk_mul_f32 v[122:123], v[120:121], v[118:119] op_sel:[1,1] op_sel_hi:[0,1]
	s_delay_alu instid0(VALU_DEP_1) | instskip(SKIP_1) | instid1(VALU_DEP_2)
	v_pk_fma_f32 v[124:125], v[120:121], v[118:119], v[122:123] op_sel_hi:[1,0,1]
	v_pk_fma_f32 v[118:119], v[120:121], v[118:119], v[122:123] neg_lo:[0,0,1] neg_hi:[0,0,1]
	v_mov_b32_e32 v119, v125
	s_delay_alu instid0(VALU_DEP_1)
	v_pk_add_f32 v[114:115], v[114:115], v[118:119]
	s_and_not1_b32 exec_lo, exec_lo, s30
	s_cbranch_execnz .LBB54_82
; %bb.83:
	s_or_b32 exec_lo, exec_lo, s30
.LBB54_84:
	s_delay_alu instid0(SALU_CYCLE_1) | instskip(SKIP_4) | instid1(VALU_DEP_1)
	s_or_b32 exec_lo, exec_lo, s29
	v_mov_b32_e32 v116, 0
	ds_load_b64 v[116:117], v116 offset:368
	s_wait_dscnt 0x0
	v_pk_mul_f32 v[118:119], v[114:115], v[116:117] op_sel:[1,1] op_sel_hi:[0,1]
	v_pk_fma_f32 v[120:121], v[114:115], v[116:117], v[118:119] op_sel_hi:[1,0,1]
	v_pk_fma_f32 v[114:115], v[114:115], v[116:117], v[118:119] neg_lo:[0,0,1] neg_hi:[0,0,1]
	s_delay_alu instid0(VALU_DEP_2)
	v_mov_b32_e32 v115, v121
	scratch_store_b64 off, v[114:115], off offset:368
.LBB54_85:
	s_wait_xcnt 0x0
	s_or_b32 exec_lo, exec_lo, s2
	scratch_load_b64 v[114:115], off, off offset:360
	v_cmp_lt_u32_e64 s1, 45, v0
	s_wait_loadcnt 0x0
	ds_store_b64 v1, v[114:115]
	s_wait_storecnt_dscnt 0x0
	s_barrier_signal -1
	s_barrier_wait -1
	s_wait_xcnt 0x0
	s_and_saveexec_b32 s2, s1
	s_cbranch_execz .LBB54_95
; %bb.86:
	s_and_not1_b32 vcc_lo, exec_lo, s3
	s_cbranch_vccnz .LBB54_88
; %bb.87:
	scratch_load_b64 v[114:115], v37, off
	ds_load_b64 v[116:117], v1
	s_wait_loadcnt_dscnt 0x0
	v_pk_mul_f32 v[118:119], v[116:117], v[114:115] op_sel:[1,1] op_sel_hi:[0,1]
	s_delay_alu instid0(VALU_DEP_1) | instskip(SKIP_1) | instid1(VALU_DEP_2)
	v_pk_fma_f32 v[120:121], v[116:117], v[114:115], v[118:119] op_sel_hi:[1,0,1]
	v_pk_fma_f32 v[114:115], v[116:117], v[114:115], v[118:119] neg_lo:[0,0,1] neg_hi:[0,0,1]
	v_mov_b32_e32 v115, v121
	s_cbranch_execz .LBB54_89
	s_branch .LBB54_90
.LBB54_88:
                                        ; implicit-def: $vgpr114_vgpr115
.LBB54_89:
	ds_load_b64 v[114:115], v1
.LBB54_90:
	s_and_saveexec_b32 s29, s0
	s_cbranch_execz .LBB54_94
; %bb.91:
	v_subrev_nc_u32_e32 v116, 46, v0
	s_movk_i32 s30, 0x330
	s_mov_b32 s0, 0
.LBB54_92:                              ; =>This Inner Loop Header: Depth=1
	scratch_load_b64 v[118:119], off, s28
	v_dual_mov_b32 v117, s30 :: v_dual_add_nc_u32 v116, -1, v116
	s_add_co_i32 s30, s30, 8
	s_wait_xcnt 0x0
	s_add_co_i32 s28, s28, 8
	ds_load_b64 v[120:121], v117
	v_cmp_eq_u32_e32 vcc_lo, 0, v116
	s_or_b32 s0, vcc_lo, s0
	s_wait_loadcnt_dscnt 0x0
	v_pk_mul_f32 v[122:123], v[120:121], v[118:119] op_sel:[1,1] op_sel_hi:[0,1]
	s_delay_alu instid0(VALU_DEP_1) | instskip(SKIP_1) | instid1(VALU_DEP_2)
	v_pk_fma_f32 v[124:125], v[120:121], v[118:119], v[122:123] op_sel_hi:[1,0,1]
	v_pk_fma_f32 v[118:119], v[120:121], v[118:119], v[122:123] neg_lo:[0,0,1] neg_hi:[0,0,1]
	v_mov_b32_e32 v119, v125
	s_delay_alu instid0(VALU_DEP_1)
	v_pk_add_f32 v[114:115], v[114:115], v[118:119]
	s_and_not1_b32 exec_lo, exec_lo, s0
	s_cbranch_execnz .LBB54_92
; %bb.93:
	s_or_b32 exec_lo, exec_lo, s0
.LBB54_94:
	s_delay_alu instid0(SALU_CYCLE_1) | instskip(SKIP_4) | instid1(VALU_DEP_1)
	s_or_b32 exec_lo, exec_lo, s29
	v_mov_b32_e32 v116, 0
	ds_load_b64 v[116:117], v116 offset:360
	s_wait_dscnt 0x0
	v_pk_mul_f32 v[118:119], v[114:115], v[116:117] op_sel:[1,1] op_sel_hi:[0,1]
	v_pk_fma_f32 v[120:121], v[114:115], v[116:117], v[118:119] op_sel_hi:[1,0,1]
	v_pk_fma_f32 v[114:115], v[114:115], v[116:117], v[118:119] neg_lo:[0,0,1] neg_hi:[0,0,1]
	s_delay_alu instid0(VALU_DEP_2)
	v_mov_b32_e32 v115, v121
	scratch_store_b64 off, v[114:115], off offset:360
.LBB54_95:
	s_wait_xcnt 0x0
	s_or_b32 exec_lo, exec_lo, s2
	scratch_load_b64 v[114:115], off, off offset:352
	v_cmp_lt_u32_e64 s0, 44, v0
	s_wait_loadcnt 0x0
	ds_store_b64 v1, v[114:115]
	s_wait_storecnt_dscnt 0x0
	s_barrier_signal -1
	s_barrier_wait -1
	s_wait_xcnt 0x0
	s_and_saveexec_b32 s2, s0
	s_cbranch_execz .LBB54_105
; %bb.96:
	s_and_not1_b32 vcc_lo, exec_lo, s3
	s_cbranch_vccnz .LBB54_98
; %bb.97:
	scratch_load_b64 v[114:115], v37, off
	ds_load_b64 v[116:117], v1
	s_wait_loadcnt_dscnt 0x0
	v_pk_mul_f32 v[118:119], v[116:117], v[114:115] op_sel:[1,1] op_sel_hi:[0,1]
	s_delay_alu instid0(VALU_DEP_1) | instskip(SKIP_1) | instid1(VALU_DEP_2)
	v_pk_fma_f32 v[120:121], v[116:117], v[114:115], v[118:119] op_sel_hi:[1,0,1]
	v_pk_fma_f32 v[114:115], v[116:117], v[114:115], v[118:119] neg_lo:[0,0,1] neg_hi:[0,0,1]
	v_mov_b32_e32 v115, v121
	s_cbranch_execz .LBB54_99
	s_branch .LBB54_100
.LBB54_98:
                                        ; implicit-def: $vgpr114_vgpr115
.LBB54_99:
	ds_load_b64 v[114:115], v1
.LBB54_100:
	s_and_saveexec_b32 s28, s1
	s_cbranch_execz .LBB54_104
; %bb.101:
	v_subrev_nc_u32_e32 v116, 45, v0
	s_movk_i32 s1, 0x168
	s_movk_i32 s30, 0x328
	s_mov_b32 s29, 0
.LBB54_102:                             ; =>This Inner Loop Header: Depth=1
	scratch_load_b64 v[118:119], off, s1
	v_dual_mov_b32 v117, s30 :: v_dual_add_nc_u32 v116, -1, v116
	s_add_co_i32 s30, s30, 8
	s_wait_xcnt 0x0
	s_add_co_i32 s1, s1, 8
	ds_load_b64 v[120:121], v117
	v_cmp_eq_u32_e32 vcc_lo, 0, v116
	s_or_b32 s29, vcc_lo, s29
	s_wait_loadcnt_dscnt 0x0
	v_pk_mul_f32 v[122:123], v[120:121], v[118:119] op_sel:[1,1] op_sel_hi:[0,1]
	s_delay_alu instid0(VALU_DEP_1) | instskip(SKIP_1) | instid1(VALU_DEP_2)
	v_pk_fma_f32 v[124:125], v[120:121], v[118:119], v[122:123] op_sel_hi:[1,0,1]
	v_pk_fma_f32 v[118:119], v[120:121], v[118:119], v[122:123] neg_lo:[0,0,1] neg_hi:[0,0,1]
	v_mov_b32_e32 v119, v125
	s_delay_alu instid0(VALU_DEP_1)
	v_pk_add_f32 v[114:115], v[114:115], v[118:119]
	s_and_not1_b32 exec_lo, exec_lo, s29
	s_cbranch_execnz .LBB54_102
; %bb.103:
	s_or_b32 exec_lo, exec_lo, s29
.LBB54_104:
	s_delay_alu instid0(SALU_CYCLE_1) | instskip(SKIP_4) | instid1(VALU_DEP_1)
	s_or_b32 exec_lo, exec_lo, s28
	v_mov_b32_e32 v116, 0
	ds_load_b64 v[116:117], v116 offset:352
	s_wait_dscnt 0x0
	v_pk_mul_f32 v[118:119], v[114:115], v[116:117] op_sel:[1,1] op_sel_hi:[0,1]
	v_pk_fma_f32 v[120:121], v[114:115], v[116:117], v[118:119] op_sel_hi:[1,0,1]
	v_pk_fma_f32 v[114:115], v[114:115], v[116:117], v[118:119] neg_lo:[0,0,1] neg_hi:[0,0,1]
	s_delay_alu instid0(VALU_DEP_2)
	v_mov_b32_e32 v115, v121
	scratch_store_b64 off, v[114:115], off offset:352
.LBB54_105:
	s_wait_xcnt 0x0
	s_or_b32 exec_lo, exec_lo, s2
	scratch_load_b64 v[114:115], off, off offset:344
	v_cmp_lt_u32_e64 s1, 43, v0
	s_wait_loadcnt 0x0
	ds_store_b64 v1, v[114:115]
	s_wait_storecnt_dscnt 0x0
	s_barrier_signal -1
	s_barrier_wait -1
	s_wait_xcnt 0x0
	s_and_saveexec_b32 s2, s1
	s_cbranch_execz .LBB54_115
; %bb.106:
	s_and_not1_b32 vcc_lo, exec_lo, s3
	s_cbranch_vccnz .LBB54_108
; %bb.107:
	scratch_load_b64 v[114:115], v37, off
	ds_load_b64 v[116:117], v1
	s_wait_loadcnt_dscnt 0x0
	v_pk_mul_f32 v[118:119], v[116:117], v[114:115] op_sel:[1,1] op_sel_hi:[0,1]
	s_delay_alu instid0(VALU_DEP_1) | instskip(SKIP_1) | instid1(VALU_DEP_2)
	v_pk_fma_f32 v[120:121], v[116:117], v[114:115], v[118:119] op_sel_hi:[1,0,1]
	v_pk_fma_f32 v[114:115], v[116:117], v[114:115], v[118:119] neg_lo:[0,0,1] neg_hi:[0,0,1]
	v_mov_b32_e32 v115, v121
	s_cbranch_execz .LBB54_109
	s_branch .LBB54_110
.LBB54_108:
                                        ; implicit-def: $vgpr114_vgpr115
.LBB54_109:
	ds_load_b64 v[114:115], v1
.LBB54_110:
	s_and_saveexec_b32 s28, s0
	s_cbranch_execz .LBB54_114
; %bb.111:
	v_subrev_nc_u32_e32 v116, 44, v0
	s_movk_i32 s29, 0x320
	s_mov_b32 s0, 0
.LBB54_112:                             ; =>This Inner Loop Header: Depth=1
	scratch_load_b64 v[118:119], off, s27
	v_dual_mov_b32 v117, s29 :: v_dual_add_nc_u32 v116, -1, v116
	s_add_co_i32 s29, s29, 8
	s_wait_xcnt 0x0
	s_add_co_i32 s27, s27, 8
	ds_load_b64 v[120:121], v117
	v_cmp_eq_u32_e32 vcc_lo, 0, v116
	s_or_b32 s0, vcc_lo, s0
	s_wait_loadcnt_dscnt 0x0
	v_pk_mul_f32 v[122:123], v[120:121], v[118:119] op_sel:[1,1] op_sel_hi:[0,1]
	s_delay_alu instid0(VALU_DEP_1) | instskip(SKIP_1) | instid1(VALU_DEP_2)
	v_pk_fma_f32 v[124:125], v[120:121], v[118:119], v[122:123] op_sel_hi:[1,0,1]
	v_pk_fma_f32 v[118:119], v[120:121], v[118:119], v[122:123] neg_lo:[0,0,1] neg_hi:[0,0,1]
	v_mov_b32_e32 v119, v125
	s_delay_alu instid0(VALU_DEP_1)
	v_pk_add_f32 v[114:115], v[114:115], v[118:119]
	s_and_not1_b32 exec_lo, exec_lo, s0
	s_cbranch_execnz .LBB54_112
; %bb.113:
	s_or_b32 exec_lo, exec_lo, s0
.LBB54_114:
	s_delay_alu instid0(SALU_CYCLE_1) | instskip(SKIP_4) | instid1(VALU_DEP_1)
	s_or_b32 exec_lo, exec_lo, s28
	v_mov_b32_e32 v116, 0
	ds_load_b64 v[116:117], v116 offset:344
	s_wait_dscnt 0x0
	v_pk_mul_f32 v[118:119], v[114:115], v[116:117] op_sel:[1,1] op_sel_hi:[0,1]
	v_pk_fma_f32 v[120:121], v[114:115], v[116:117], v[118:119] op_sel_hi:[1,0,1]
	v_pk_fma_f32 v[114:115], v[114:115], v[116:117], v[118:119] neg_lo:[0,0,1] neg_hi:[0,0,1]
	s_delay_alu instid0(VALU_DEP_2)
	v_mov_b32_e32 v115, v121
	scratch_store_b64 off, v[114:115], off offset:344
.LBB54_115:
	s_wait_xcnt 0x0
	s_or_b32 exec_lo, exec_lo, s2
	scratch_load_b64 v[114:115], off, off offset:336
	v_cmp_lt_u32_e64 s0, 42, v0
	s_wait_loadcnt 0x0
	ds_store_b64 v1, v[114:115]
	s_wait_storecnt_dscnt 0x0
	s_barrier_signal -1
	s_barrier_wait -1
	s_wait_xcnt 0x0
	s_and_saveexec_b32 s2, s0
	s_cbranch_execz .LBB54_125
; %bb.116:
	s_and_not1_b32 vcc_lo, exec_lo, s3
	s_cbranch_vccnz .LBB54_118
; %bb.117:
	scratch_load_b64 v[114:115], v37, off
	ds_load_b64 v[116:117], v1
	s_wait_loadcnt_dscnt 0x0
	v_pk_mul_f32 v[118:119], v[116:117], v[114:115] op_sel:[1,1] op_sel_hi:[0,1]
	s_delay_alu instid0(VALU_DEP_1) | instskip(SKIP_1) | instid1(VALU_DEP_2)
	v_pk_fma_f32 v[120:121], v[116:117], v[114:115], v[118:119] op_sel_hi:[1,0,1]
	v_pk_fma_f32 v[114:115], v[116:117], v[114:115], v[118:119] neg_lo:[0,0,1] neg_hi:[0,0,1]
	v_mov_b32_e32 v115, v121
	s_cbranch_execz .LBB54_119
	s_branch .LBB54_120
.LBB54_118:
                                        ; implicit-def: $vgpr114_vgpr115
.LBB54_119:
	ds_load_b64 v[114:115], v1
.LBB54_120:
	s_and_saveexec_b32 s27, s1
	s_cbranch_execz .LBB54_124
; %bb.121:
	v_subrev_nc_u32_e32 v116, 43, v0
	s_movk_i32 s1, 0x158
	s_movk_i32 s29, 0x318
	s_mov_b32 s28, 0
.LBB54_122:                             ; =>This Inner Loop Header: Depth=1
	scratch_load_b64 v[118:119], off, s1
	v_dual_mov_b32 v117, s29 :: v_dual_add_nc_u32 v116, -1, v116
	s_add_co_i32 s29, s29, 8
	s_wait_xcnt 0x0
	s_add_co_i32 s1, s1, 8
	ds_load_b64 v[120:121], v117
	v_cmp_eq_u32_e32 vcc_lo, 0, v116
	s_or_b32 s28, vcc_lo, s28
	s_wait_loadcnt_dscnt 0x0
	v_pk_mul_f32 v[122:123], v[120:121], v[118:119] op_sel:[1,1] op_sel_hi:[0,1]
	s_delay_alu instid0(VALU_DEP_1) | instskip(SKIP_1) | instid1(VALU_DEP_2)
	v_pk_fma_f32 v[124:125], v[120:121], v[118:119], v[122:123] op_sel_hi:[1,0,1]
	v_pk_fma_f32 v[118:119], v[120:121], v[118:119], v[122:123] neg_lo:[0,0,1] neg_hi:[0,0,1]
	v_mov_b32_e32 v119, v125
	s_delay_alu instid0(VALU_DEP_1)
	v_pk_add_f32 v[114:115], v[114:115], v[118:119]
	s_and_not1_b32 exec_lo, exec_lo, s28
	s_cbranch_execnz .LBB54_122
; %bb.123:
	s_or_b32 exec_lo, exec_lo, s28
.LBB54_124:
	s_delay_alu instid0(SALU_CYCLE_1) | instskip(SKIP_4) | instid1(VALU_DEP_1)
	s_or_b32 exec_lo, exec_lo, s27
	v_mov_b32_e32 v116, 0
	ds_load_b64 v[116:117], v116 offset:336
	s_wait_dscnt 0x0
	v_pk_mul_f32 v[118:119], v[114:115], v[116:117] op_sel:[1,1] op_sel_hi:[0,1]
	v_pk_fma_f32 v[120:121], v[114:115], v[116:117], v[118:119] op_sel_hi:[1,0,1]
	v_pk_fma_f32 v[114:115], v[114:115], v[116:117], v[118:119] neg_lo:[0,0,1] neg_hi:[0,0,1]
	s_delay_alu instid0(VALU_DEP_2)
	v_mov_b32_e32 v115, v121
	scratch_store_b64 off, v[114:115], off offset:336
.LBB54_125:
	s_wait_xcnt 0x0
	s_or_b32 exec_lo, exec_lo, s2
	scratch_load_b64 v[114:115], off, off offset:328
	v_cmp_lt_u32_e64 s1, 41, v0
	s_wait_loadcnt 0x0
	ds_store_b64 v1, v[114:115]
	s_wait_storecnt_dscnt 0x0
	s_barrier_signal -1
	s_barrier_wait -1
	s_wait_xcnt 0x0
	s_and_saveexec_b32 s2, s1
	s_cbranch_execz .LBB54_135
; %bb.126:
	s_and_not1_b32 vcc_lo, exec_lo, s3
	s_cbranch_vccnz .LBB54_128
; %bb.127:
	scratch_load_b64 v[114:115], v37, off
	ds_load_b64 v[116:117], v1
	s_wait_loadcnt_dscnt 0x0
	v_pk_mul_f32 v[118:119], v[116:117], v[114:115] op_sel:[1,1] op_sel_hi:[0,1]
	s_delay_alu instid0(VALU_DEP_1) | instskip(SKIP_1) | instid1(VALU_DEP_2)
	v_pk_fma_f32 v[120:121], v[116:117], v[114:115], v[118:119] op_sel_hi:[1,0,1]
	v_pk_fma_f32 v[114:115], v[116:117], v[114:115], v[118:119] neg_lo:[0,0,1] neg_hi:[0,0,1]
	v_mov_b32_e32 v115, v121
	s_cbranch_execz .LBB54_129
	s_branch .LBB54_130
.LBB54_128:
                                        ; implicit-def: $vgpr114_vgpr115
.LBB54_129:
	ds_load_b64 v[114:115], v1
.LBB54_130:
	s_and_saveexec_b32 s27, s0
	s_cbranch_execz .LBB54_134
; %bb.131:
	v_subrev_nc_u32_e32 v116, 42, v0
	s_movk_i32 s28, 0x310
	s_mov_b32 s0, 0
.LBB54_132:                             ; =>This Inner Loop Header: Depth=1
	scratch_load_b64 v[118:119], off, s26
	v_dual_mov_b32 v117, s28 :: v_dual_add_nc_u32 v116, -1, v116
	s_add_co_i32 s28, s28, 8
	s_wait_xcnt 0x0
	s_add_co_i32 s26, s26, 8
	ds_load_b64 v[120:121], v117
	v_cmp_eq_u32_e32 vcc_lo, 0, v116
	s_or_b32 s0, vcc_lo, s0
	s_wait_loadcnt_dscnt 0x0
	v_pk_mul_f32 v[122:123], v[120:121], v[118:119] op_sel:[1,1] op_sel_hi:[0,1]
	s_delay_alu instid0(VALU_DEP_1) | instskip(SKIP_1) | instid1(VALU_DEP_2)
	v_pk_fma_f32 v[124:125], v[120:121], v[118:119], v[122:123] op_sel_hi:[1,0,1]
	v_pk_fma_f32 v[118:119], v[120:121], v[118:119], v[122:123] neg_lo:[0,0,1] neg_hi:[0,0,1]
	v_mov_b32_e32 v119, v125
	s_delay_alu instid0(VALU_DEP_1)
	v_pk_add_f32 v[114:115], v[114:115], v[118:119]
	s_and_not1_b32 exec_lo, exec_lo, s0
	s_cbranch_execnz .LBB54_132
; %bb.133:
	s_or_b32 exec_lo, exec_lo, s0
.LBB54_134:
	s_delay_alu instid0(SALU_CYCLE_1) | instskip(SKIP_4) | instid1(VALU_DEP_1)
	s_or_b32 exec_lo, exec_lo, s27
	v_mov_b32_e32 v116, 0
	ds_load_b64 v[116:117], v116 offset:328
	s_wait_dscnt 0x0
	v_pk_mul_f32 v[118:119], v[114:115], v[116:117] op_sel:[1,1] op_sel_hi:[0,1]
	v_pk_fma_f32 v[120:121], v[114:115], v[116:117], v[118:119] op_sel_hi:[1,0,1]
	v_pk_fma_f32 v[114:115], v[114:115], v[116:117], v[118:119] neg_lo:[0,0,1] neg_hi:[0,0,1]
	s_delay_alu instid0(VALU_DEP_2)
	v_mov_b32_e32 v115, v121
	scratch_store_b64 off, v[114:115], off offset:328
.LBB54_135:
	s_wait_xcnt 0x0
	s_or_b32 exec_lo, exec_lo, s2
	scratch_load_b64 v[114:115], off, off offset:320
	v_cmp_lt_u32_e64 s0, 40, v0
	s_wait_loadcnt 0x0
	ds_store_b64 v1, v[114:115]
	s_wait_storecnt_dscnt 0x0
	s_barrier_signal -1
	s_barrier_wait -1
	s_wait_xcnt 0x0
	s_and_saveexec_b32 s2, s0
	s_cbranch_execz .LBB54_145
; %bb.136:
	s_and_not1_b32 vcc_lo, exec_lo, s3
	s_cbranch_vccnz .LBB54_138
; %bb.137:
	scratch_load_b64 v[114:115], v37, off
	ds_load_b64 v[116:117], v1
	s_wait_loadcnt_dscnt 0x0
	v_pk_mul_f32 v[118:119], v[116:117], v[114:115] op_sel:[1,1] op_sel_hi:[0,1]
	s_delay_alu instid0(VALU_DEP_1) | instskip(SKIP_1) | instid1(VALU_DEP_2)
	v_pk_fma_f32 v[120:121], v[116:117], v[114:115], v[118:119] op_sel_hi:[1,0,1]
	v_pk_fma_f32 v[114:115], v[116:117], v[114:115], v[118:119] neg_lo:[0,0,1] neg_hi:[0,0,1]
	v_mov_b32_e32 v115, v121
	s_cbranch_execz .LBB54_139
	s_branch .LBB54_140
.LBB54_138:
                                        ; implicit-def: $vgpr114_vgpr115
.LBB54_139:
	ds_load_b64 v[114:115], v1
.LBB54_140:
	s_and_saveexec_b32 s26, s1
	s_cbranch_execz .LBB54_144
; %bb.141:
	v_subrev_nc_u32_e32 v116, 41, v0
	s_movk_i32 s1, 0x148
	s_movk_i32 s28, 0x308
	s_mov_b32 s27, 0
.LBB54_142:                             ; =>This Inner Loop Header: Depth=1
	scratch_load_b64 v[118:119], off, s1
	v_dual_mov_b32 v117, s28 :: v_dual_add_nc_u32 v116, -1, v116
	s_add_co_i32 s28, s28, 8
	s_wait_xcnt 0x0
	s_add_co_i32 s1, s1, 8
	ds_load_b64 v[120:121], v117
	v_cmp_eq_u32_e32 vcc_lo, 0, v116
	s_or_b32 s27, vcc_lo, s27
	s_wait_loadcnt_dscnt 0x0
	v_pk_mul_f32 v[122:123], v[120:121], v[118:119] op_sel:[1,1] op_sel_hi:[0,1]
	s_delay_alu instid0(VALU_DEP_1) | instskip(SKIP_1) | instid1(VALU_DEP_2)
	v_pk_fma_f32 v[124:125], v[120:121], v[118:119], v[122:123] op_sel_hi:[1,0,1]
	v_pk_fma_f32 v[118:119], v[120:121], v[118:119], v[122:123] neg_lo:[0,0,1] neg_hi:[0,0,1]
	v_mov_b32_e32 v119, v125
	s_delay_alu instid0(VALU_DEP_1)
	v_pk_add_f32 v[114:115], v[114:115], v[118:119]
	s_and_not1_b32 exec_lo, exec_lo, s27
	s_cbranch_execnz .LBB54_142
; %bb.143:
	s_or_b32 exec_lo, exec_lo, s27
.LBB54_144:
	s_delay_alu instid0(SALU_CYCLE_1) | instskip(SKIP_4) | instid1(VALU_DEP_1)
	s_or_b32 exec_lo, exec_lo, s26
	v_mov_b32_e32 v116, 0
	ds_load_b64 v[116:117], v116 offset:320
	s_wait_dscnt 0x0
	v_pk_mul_f32 v[118:119], v[114:115], v[116:117] op_sel:[1,1] op_sel_hi:[0,1]
	v_pk_fma_f32 v[120:121], v[114:115], v[116:117], v[118:119] op_sel_hi:[1,0,1]
	v_pk_fma_f32 v[114:115], v[114:115], v[116:117], v[118:119] neg_lo:[0,0,1] neg_hi:[0,0,1]
	s_delay_alu instid0(VALU_DEP_2)
	v_mov_b32_e32 v115, v121
	scratch_store_b64 off, v[114:115], off offset:320
.LBB54_145:
	s_wait_xcnt 0x0
	s_or_b32 exec_lo, exec_lo, s2
	scratch_load_b64 v[114:115], off, off offset:312
	v_cmp_lt_u32_e64 s1, 39, v0
	s_wait_loadcnt 0x0
	ds_store_b64 v1, v[114:115]
	s_wait_storecnt_dscnt 0x0
	s_barrier_signal -1
	s_barrier_wait -1
	s_wait_xcnt 0x0
	s_and_saveexec_b32 s2, s1
	s_cbranch_execz .LBB54_155
; %bb.146:
	s_and_not1_b32 vcc_lo, exec_lo, s3
	s_cbranch_vccnz .LBB54_148
; %bb.147:
	scratch_load_b64 v[114:115], v37, off
	ds_load_b64 v[116:117], v1
	s_wait_loadcnt_dscnt 0x0
	v_pk_mul_f32 v[118:119], v[116:117], v[114:115] op_sel:[1,1] op_sel_hi:[0,1]
	s_delay_alu instid0(VALU_DEP_1) | instskip(SKIP_1) | instid1(VALU_DEP_2)
	v_pk_fma_f32 v[120:121], v[116:117], v[114:115], v[118:119] op_sel_hi:[1,0,1]
	v_pk_fma_f32 v[114:115], v[116:117], v[114:115], v[118:119] neg_lo:[0,0,1] neg_hi:[0,0,1]
	v_mov_b32_e32 v115, v121
	s_cbranch_execz .LBB54_149
	s_branch .LBB54_150
.LBB54_148:
                                        ; implicit-def: $vgpr114_vgpr115
.LBB54_149:
	ds_load_b64 v[114:115], v1
.LBB54_150:
	s_and_saveexec_b32 s26, s0
	s_cbranch_execz .LBB54_154
; %bb.151:
	v_subrev_nc_u32_e32 v116, 40, v0
	s_movk_i32 s27, 0x300
	s_mov_b32 s0, 0
.LBB54_152:                             ; =>This Inner Loop Header: Depth=1
	scratch_load_b64 v[118:119], off, s25
	v_dual_mov_b32 v117, s27 :: v_dual_add_nc_u32 v116, -1, v116
	s_add_co_i32 s27, s27, 8
	s_wait_xcnt 0x0
	s_add_co_i32 s25, s25, 8
	ds_load_b64 v[120:121], v117
	v_cmp_eq_u32_e32 vcc_lo, 0, v116
	s_or_b32 s0, vcc_lo, s0
	s_wait_loadcnt_dscnt 0x0
	v_pk_mul_f32 v[122:123], v[120:121], v[118:119] op_sel:[1,1] op_sel_hi:[0,1]
	s_delay_alu instid0(VALU_DEP_1) | instskip(SKIP_1) | instid1(VALU_DEP_2)
	v_pk_fma_f32 v[124:125], v[120:121], v[118:119], v[122:123] op_sel_hi:[1,0,1]
	v_pk_fma_f32 v[118:119], v[120:121], v[118:119], v[122:123] neg_lo:[0,0,1] neg_hi:[0,0,1]
	v_mov_b32_e32 v119, v125
	s_delay_alu instid0(VALU_DEP_1)
	v_pk_add_f32 v[114:115], v[114:115], v[118:119]
	s_and_not1_b32 exec_lo, exec_lo, s0
	s_cbranch_execnz .LBB54_152
; %bb.153:
	s_or_b32 exec_lo, exec_lo, s0
.LBB54_154:
	s_delay_alu instid0(SALU_CYCLE_1) | instskip(SKIP_4) | instid1(VALU_DEP_1)
	s_or_b32 exec_lo, exec_lo, s26
	v_mov_b32_e32 v116, 0
	ds_load_b64 v[116:117], v116 offset:312
	s_wait_dscnt 0x0
	v_pk_mul_f32 v[118:119], v[114:115], v[116:117] op_sel:[1,1] op_sel_hi:[0,1]
	v_pk_fma_f32 v[120:121], v[114:115], v[116:117], v[118:119] op_sel_hi:[1,0,1]
	v_pk_fma_f32 v[114:115], v[114:115], v[116:117], v[118:119] neg_lo:[0,0,1] neg_hi:[0,0,1]
	s_delay_alu instid0(VALU_DEP_2)
	v_mov_b32_e32 v115, v121
	scratch_store_b64 off, v[114:115], off offset:312
.LBB54_155:
	s_wait_xcnt 0x0
	s_or_b32 exec_lo, exec_lo, s2
	scratch_load_b64 v[114:115], off, off offset:304
	v_cmp_lt_u32_e64 s0, 38, v0
	s_wait_loadcnt 0x0
	ds_store_b64 v1, v[114:115]
	s_wait_storecnt_dscnt 0x0
	s_barrier_signal -1
	s_barrier_wait -1
	s_wait_xcnt 0x0
	s_and_saveexec_b32 s2, s0
	s_cbranch_execz .LBB54_165
; %bb.156:
	s_and_not1_b32 vcc_lo, exec_lo, s3
	s_cbranch_vccnz .LBB54_158
; %bb.157:
	scratch_load_b64 v[114:115], v37, off
	ds_load_b64 v[116:117], v1
	s_wait_loadcnt_dscnt 0x0
	v_pk_mul_f32 v[118:119], v[116:117], v[114:115] op_sel:[1,1] op_sel_hi:[0,1]
	s_delay_alu instid0(VALU_DEP_1) | instskip(SKIP_1) | instid1(VALU_DEP_2)
	v_pk_fma_f32 v[120:121], v[116:117], v[114:115], v[118:119] op_sel_hi:[1,0,1]
	v_pk_fma_f32 v[114:115], v[116:117], v[114:115], v[118:119] neg_lo:[0,0,1] neg_hi:[0,0,1]
	v_mov_b32_e32 v115, v121
	s_cbranch_execz .LBB54_159
	s_branch .LBB54_160
.LBB54_158:
                                        ; implicit-def: $vgpr114_vgpr115
.LBB54_159:
	ds_load_b64 v[114:115], v1
.LBB54_160:
	s_and_saveexec_b32 s25, s1
	s_cbranch_execz .LBB54_164
; %bb.161:
	v_subrev_nc_u32_e32 v116, 39, v0
	s_movk_i32 s1, 0x138
	s_movk_i32 s27, 0x2f8
	s_mov_b32 s26, 0
.LBB54_162:                             ; =>This Inner Loop Header: Depth=1
	scratch_load_b64 v[118:119], off, s1
	v_dual_mov_b32 v117, s27 :: v_dual_add_nc_u32 v116, -1, v116
	s_add_co_i32 s27, s27, 8
	s_wait_xcnt 0x0
	s_add_co_i32 s1, s1, 8
	ds_load_b64 v[120:121], v117
	v_cmp_eq_u32_e32 vcc_lo, 0, v116
	s_or_b32 s26, vcc_lo, s26
	s_wait_loadcnt_dscnt 0x0
	v_pk_mul_f32 v[122:123], v[120:121], v[118:119] op_sel:[1,1] op_sel_hi:[0,1]
	s_delay_alu instid0(VALU_DEP_1) | instskip(SKIP_1) | instid1(VALU_DEP_2)
	v_pk_fma_f32 v[124:125], v[120:121], v[118:119], v[122:123] op_sel_hi:[1,0,1]
	v_pk_fma_f32 v[118:119], v[120:121], v[118:119], v[122:123] neg_lo:[0,0,1] neg_hi:[0,0,1]
	v_mov_b32_e32 v119, v125
	s_delay_alu instid0(VALU_DEP_1)
	v_pk_add_f32 v[114:115], v[114:115], v[118:119]
	s_and_not1_b32 exec_lo, exec_lo, s26
	s_cbranch_execnz .LBB54_162
; %bb.163:
	s_or_b32 exec_lo, exec_lo, s26
.LBB54_164:
	s_delay_alu instid0(SALU_CYCLE_1) | instskip(SKIP_4) | instid1(VALU_DEP_1)
	s_or_b32 exec_lo, exec_lo, s25
	v_mov_b32_e32 v116, 0
	ds_load_b64 v[116:117], v116 offset:304
	s_wait_dscnt 0x0
	v_pk_mul_f32 v[118:119], v[114:115], v[116:117] op_sel:[1,1] op_sel_hi:[0,1]
	v_pk_fma_f32 v[120:121], v[114:115], v[116:117], v[118:119] op_sel_hi:[1,0,1]
	v_pk_fma_f32 v[114:115], v[114:115], v[116:117], v[118:119] neg_lo:[0,0,1] neg_hi:[0,0,1]
	s_delay_alu instid0(VALU_DEP_2)
	v_mov_b32_e32 v115, v121
	scratch_store_b64 off, v[114:115], off offset:304
.LBB54_165:
	s_wait_xcnt 0x0
	s_or_b32 exec_lo, exec_lo, s2
	scratch_load_b64 v[114:115], off, off offset:296
	v_cmp_lt_u32_e64 s1, 37, v0
	s_wait_loadcnt 0x0
	ds_store_b64 v1, v[114:115]
	s_wait_storecnt_dscnt 0x0
	s_barrier_signal -1
	s_barrier_wait -1
	s_wait_xcnt 0x0
	s_and_saveexec_b32 s2, s1
	s_cbranch_execz .LBB54_175
; %bb.166:
	s_and_not1_b32 vcc_lo, exec_lo, s3
	s_cbranch_vccnz .LBB54_168
; %bb.167:
	scratch_load_b64 v[114:115], v37, off
	ds_load_b64 v[116:117], v1
	s_wait_loadcnt_dscnt 0x0
	v_pk_mul_f32 v[118:119], v[116:117], v[114:115] op_sel:[1,1] op_sel_hi:[0,1]
	s_delay_alu instid0(VALU_DEP_1) | instskip(SKIP_1) | instid1(VALU_DEP_2)
	v_pk_fma_f32 v[120:121], v[116:117], v[114:115], v[118:119] op_sel_hi:[1,0,1]
	v_pk_fma_f32 v[114:115], v[116:117], v[114:115], v[118:119] neg_lo:[0,0,1] neg_hi:[0,0,1]
	v_mov_b32_e32 v115, v121
	s_cbranch_execz .LBB54_169
	s_branch .LBB54_170
.LBB54_168:
                                        ; implicit-def: $vgpr114_vgpr115
.LBB54_169:
	ds_load_b64 v[114:115], v1
.LBB54_170:
	s_and_saveexec_b32 s25, s0
	s_cbranch_execz .LBB54_174
; %bb.171:
	v_subrev_nc_u32_e32 v116, 38, v0
	s_movk_i32 s26, 0x2f0
	s_mov_b32 s0, 0
.LBB54_172:                             ; =>This Inner Loop Header: Depth=1
	scratch_load_b64 v[118:119], off, s24
	v_dual_mov_b32 v117, s26 :: v_dual_add_nc_u32 v116, -1, v116
	s_add_co_i32 s26, s26, 8
	s_wait_xcnt 0x0
	s_add_co_i32 s24, s24, 8
	ds_load_b64 v[120:121], v117
	v_cmp_eq_u32_e32 vcc_lo, 0, v116
	s_or_b32 s0, vcc_lo, s0
	s_wait_loadcnt_dscnt 0x0
	v_pk_mul_f32 v[122:123], v[120:121], v[118:119] op_sel:[1,1] op_sel_hi:[0,1]
	s_delay_alu instid0(VALU_DEP_1) | instskip(SKIP_1) | instid1(VALU_DEP_2)
	v_pk_fma_f32 v[124:125], v[120:121], v[118:119], v[122:123] op_sel_hi:[1,0,1]
	v_pk_fma_f32 v[118:119], v[120:121], v[118:119], v[122:123] neg_lo:[0,0,1] neg_hi:[0,0,1]
	v_mov_b32_e32 v119, v125
	s_delay_alu instid0(VALU_DEP_1)
	v_pk_add_f32 v[114:115], v[114:115], v[118:119]
	s_and_not1_b32 exec_lo, exec_lo, s0
	s_cbranch_execnz .LBB54_172
; %bb.173:
	s_or_b32 exec_lo, exec_lo, s0
.LBB54_174:
	s_delay_alu instid0(SALU_CYCLE_1) | instskip(SKIP_4) | instid1(VALU_DEP_1)
	s_or_b32 exec_lo, exec_lo, s25
	v_mov_b32_e32 v116, 0
	ds_load_b64 v[116:117], v116 offset:296
	s_wait_dscnt 0x0
	v_pk_mul_f32 v[118:119], v[114:115], v[116:117] op_sel:[1,1] op_sel_hi:[0,1]
	v_pk_fma_f32 v[120:121], v[114:115], v[116:117], v[118:119] op_sel_hi:[1,0,1]
	v_pk_fma_f32 v[114:115], v[114:115], v[116:117], v[118:119] neg_lo:[0,0,1] neg_hi:[0,0,1]
	s_delay_alu instid0(VALU_DEP_2)
	v_mov_b32_e32 v115, v121
	scratch_store_b64 off, v[114:115], off offset:296
.LBB54_175:
	s_wait_xcnt 0x0
	s_or_b32 exec_lo, exec_lo, s2
	scratch_load_b64 v[114:115], off, off offset:288
	v_cmp_lt_u32_e64 s0, 36, v0
	s_wait_loadcnt 0x0
	ds_store_b64 v1, v[114:115]
	s_wait_storecnt_dscnt 0x0
	s_barrier_signal -1
	s_barrier_wait -1
	s_wait_xcnt 0x0
	s_and_saveexec_b32 s2, s0
	s_cbranch_execz .LBB54_185
; %bb.176:
	s_and_not1_b32 vcc_lo, exec_lo, s3
	s_cbranch_vccnz .LBB54_178
; %bb.177:
	scratch_load_b64 v[114:115], v37, off
	ds_load_b64 v[116:117], v1
	s_wait_loadcnt_dscnt 0x0
	v_pk_mul_f32 v[118:119], v[116:117], v[114:115] op_sel:[1,1] op_sel_hi:[0,1]
	s_delay_alu instid0(VALU_DEP_1) | instskip(SKIP_1) | instid1(VALU_DEP_2)
	v_pk_fma_f32 v[120:121], v[116:117], v[114:115], v[118:119] op_sel_hi:[1,0,1]
	v_pk_fma_f32 v[114:115], v[116:117], v[114:115], v[118:119] neg_lo:[0,0,1] neg_hi:[0,0,1]
	v_mov_b32_e32 v115, v121
	s_cbranch_execz .LBB54_179
	s_branch .LBB54_180
.LBB54_178:
                                        ; implicit-def: $vgpr114_vgpr115
.LBB54_179:
	ds_load_b64 v[114:115], v1
.LBB54_180:
	s_and_saveexec_b32 s24, s1
	s_cbranch_execz .LBB54_184
; %bb.181:
	v_subrev_nc_u32_e32 v116, 37, v0
	s_movk_i32 s1, 0x128
	s_movk_i32 s26, 0x2e8
	s_mov_b32 s25, 0
.LBB54_182:                             ; =>This Inner Loop Header: Depth=1
	scratch_load_b64 v[118:119], off, s1
	v_dual_mov_b32 v117, s26 :: v_dual_add_nc_u32 v116, -1, v116
	s_add_co_i32 s26, s26, 8
	s_wait_xcnt 0x0
	s_add_co_i32 s1, s1, 8
	ds_load_b64 v[120:121], v117
	v_cmp_eq_u32_e32 vcc_lo, 0, v116
	s_or_b32 s25, vcc_lo, s25
	s_wait_loadcnt_dscnt 0x0
	v_pk_mul_f32 v[122:123], v[120:121], v[118:119] op_sel:[1,1] op_sel_hi:[0,1]
	s_delay_alu instid0(VALU_DEP_1) | instskip(SKIP_1) | instid1(VALU_DEP_2)
	v_pk_fma_f32 v[124:125], v[120:121], v[118:119], v[122:123] op_sel_hi:[1,0,1]
	v_pk_fma_f32 v[118:119], v[120:121], v[118:119], v[122:123] neg_lo:[0,0,1] neg_hi:[0,0,1]
	v_mov_b32_e32 v119, v125
	s_delay_alu instid0(VALU_DEP_1)
	v_pk_add_f32 v[114:115], v[114:115], v[118:119]
	s_and_not1_b32 exec_lo, exec_lo, s25
	s_cbranch_execnz .LBB54_182
; %bb.183:
	s_or_b32 exec_lo, exec_lo, s25
.LBB54_184:
	s_delay_alu instid0(SALU_CYCLE_1) | instskip(SKIP_4) | instid1(VALU_DEP_1)
	s_or_b32 exec_lo, exec_lo, s24
	v_mov_b32_e32 v116, 0
	ds_load_b64 v[116:117], v116 offset:288
	s_wait_dscnt 0x0
	v_pk_mul_f32 v[118:119], v[114:115], v[116:117] op_sel:[1,1] op_sel_hi:[0,1]
	v_pk_fma_f32 v[120:121], v[114:115], v[116:117], v[118:119] op_sel_hi:[1,0,1]
	v_pk_fma_f32 v[114:115], v[114:115], v[116:117], v[118:119] neg_lo:[0,0,1] neg_hi:[0,0,1]
	s_delay_alu instid0(VALU_DEP_2)
	v_mov_b32_e32 v115, v121
	scratch_store_b64 off, v[114:115], off offset:288
.LBB54_185:
	s_wait_xcnt 0x0
	s_or_b32 exec_lo, exec_lo, s2
	scratch_load_b64 v[114:115], off, off offset:280
	v_cmp_lt_u32_e64 s1, 35, v0
	s_wait_loadcnt 0x0
	ds_store_b64 v1, v[114:115]
	s_wait_storecnt_dscnt 0x0
	s_barrier_signal -1
	s_barrier_wait -1
	s_wait_xcnt 0x0
	s_and_saveexec_b32 s2, s1
	s_cbranch_execz .LBB54_195
; %bb.186:
	s_and_not1_b32 vcc_lo, exec_lo, s3
	s_cbranch_vccnz .LBB54_188
; %bb.187:
	scratch_load_b64 v[114:115], v37, off
	ds_load_b64 v[116:117], v1
	s_wait_loadcnt_dscnt 0x0
	v_pk_mul_f32 v[118:119], v[116:117], v[114:115] op_sel:[1,1] op_sel_hi:[0,1]
	s_delay_alu instid0(VALU_DEP_1) | instskip(SKIP_1) | instid1(VALU_DEP_2)
	v_pk_fma_f32 v[120:121], v[116:117], v[114:115], v[118:119] op_sel_hi:[1,0,1]
	v_pk_fma_f32 v[114:115], v[116:117], v[114:115], v[118:119] neg_lo:[0,0,1] neg_hi:[0,0,1]
	v_mov_b32_e32 v115, v121
	s_cbranch_execz .LBB54_189
	s_branch .LBB54_190
.LBB54_188:
                                        ; implicit-def: $vgpr114_vgpr115
.LBB54_189:
	ds_load_b64 v[114:115], v1
.LBB54_190:
	s_and_saveexec_b32 s24, s0
	s_cbranch_execz .LBB54_194
; %bb.191:
	v_subrev_nc_u32_e32 v116, 36, v0
	s_movk_i32 s25, 0x2e0
	s_mov_b32 s0, 0
.LBB54_192:                             ; =>This Inner Loop Header: Depth=1
	scratch_load_b64 v[118:119], off, s23
	v_dual_mov_b32 v117, s25 :: v_dual_add_nc_u32 v116, -1, v116
	s_add_co_i32 s25, s25, 8
	s_wait_xcnt 0x0
	s_add_co_i32 s23, s23, 8
	ds_load_b64 v[120:121], v117
	v_cmp_eq_u32_e32 vcc_lo, 0, v116
	s_or_b32 s0, vcc_lo, s0
	s_wait_loadcnt_dscnt 0x0
	v_pk_mul_f32 v[122:123], v[120:121], v[118:119] op_sel:[1,1] op_sel_hi:[0,1]
	s_delay_alu instid0(VALU_DEP_1) | instskip(SKIP_1) | instid1(VALU_DEP_2)
	v_pk_fma_f32 v[124:125], v[120:121], v[118:119], v[122:123] op_sel_hi:[1,0,1]
	v_pk_fma_f32 v[118:119], v[120:121], v[118:119], v[122:123] neg_lo:[0,0,1] neg_hi:[0,0,1]
	v_mov_b32_e32 v119, v125
	s_delay_alu instid0(VALU_DEP_1)
	v_pk_add_f32 v[114:115], v[114:115], v[118:119]
	s_and_not1_b32 exec_lo, exec_lo, s0
	s_cbranch_execnz .LBB54_192
; %bb.193:
	s_or_b32 exec_lo, exec_lo, s0
.LBB54_194:
	s_delay_alu instid0(SALU_CYCLE_1) | instskip(SKIP_4) | instid1(VALU_DEP_1)
	s_or_b32 exec_lo, exec_lo, s24
	v_mov_b32_e32 v116, 0
	ds_load_b64 v[116:117], v116 offset:280
	s_wait_dscnt 0x0
	v_pk_mul_f32 v[118:119], v[114:115], v[116:117] op_sel:[1,1] op_sel_hi:[0,1]
	v_pk_fma_f32 v[120:121], v[114:115], v[116:117], v[118:119] op_sel_hi:[1,0,1]
	v_pk_fma_f32 v[114:115], v[114:115], v[116:117], v[118:119] neg_lo:[0,0,1] neg_hi:[0,0,1]
	s_delay_alu instid0(VALU_DEP_2)
	v_mov_b32_e32 v115, v121
	scratch_store_b64 off, v[114:115], off offset:280
.LBB54_195:
	s_wait_xcnt 0x0
	s_or_b32 exec_lo, exec_lo, s2
	scratch_load_b64 v[114:115], off, off offset:272
	v_cmp_lt_u32_e64 s0, 34, v0
	s_wait_loadcnt 0x0
	ds_store_b64 v1, v[114:115]
	s_wait_storecnt_dscnt 0x0
	s_barrier_signal -1
	s_barrier_wait -1
	s_wait_xcnt 0x0
	s_and_saveexec_b32 s2, s0
	s_cbranch_execz .LBB54_205
; %bb.196:
	s_and_not1_b32 vcc_lo, exec_lo, s3
	s_cbranch_vccnz .LBB54_198
; %bb.197:
	scratch_load_b64 v[114:115], v37, off
	ds_load_b64 v[116:117], v1
	s_wait_loadcnt_dscnt 0x0
	v_pk_mul_f32 v[118:119], v[116:117], v[114:115] op_sel:[1,1] op_sel_hi:[0,1]
	s_delay_alu instid0(VALU_DEP_1) | instskip(SKIP_1) | instid1(VALU_DEP_2)
	v_pk_fma_f32 v[120:121], v[116:117], v[114:115], v[118:119] op_sel_hi:[1,0,1]
	v_pk_fma_f32 v[114:115], v[116:117], v[114:115], v[118:119] neg_lo:[0,0,1] neg_hi:[0,0,1]
	v_mov_b32_e32 v115, v121
	s_cbranch_execz .LBB54_199
	s_branch .LBB54_200
.LBB54_198:
                                        ; implicit-def: $vgpr114_vgpr115
.LBB54_199:
	ds_load_b64 v[114:115], v1
.LBB54_200:
	s_and_saveexec_b32 s23, s1
	s_cbranch_execz .LBB54_204
; %bb.201:
	v_subrev_nc_u32_e32 v116, 35, v0
	s_movk_i32 s1, 0x118
	s_movk_i32 s25, 0x2d8
	s_mov_b32 s24, 0
.LBB54_202:                             ; =>This Inner Loop Header: Depth=1
	scratch_load_b64 v[118:119], off, s1
	v_dual_mov_b32 v117, s25 :: v_dual_add_nc_u32 v116, -1, v116
	s_add_co_i32 s25, s25, 8
	s_wait_xcnt 0x0
	s_add_co_i32 s1, s1, 8
	ds_load_b64 v[120:121], v117
	v_cmp_eq_u32_e32 vcc_lo, 0, v116
	s_or_b32 s24, vcc_lo, s24
	s_wait_loadcnt_dscnt 0x0
	v_pk_mul_f32 v[122:123], v[120:121], v[118:119] op_sel:[1,1] op_sel_hi:[0,1]
	s_delay_alu instid0(VALU_DEP_1) | instskip(SKIP_1) | instid1(VALU_DEP_2)
	v_pk_fma_f32 v[124:125], v[120:121], v[118:119], v[122:123] op_sel_hi:[1,0,1]
	v_pk_fma_f32 v[118:119], v[120:121], v[118:119], v[122:123] neg_lo:[0,0,1] neg_hi:[0,0,1]
	v_mov_b32_e32 v119, v125
	s_delay_alu instid0(VALU_DEP_1)
	v_pk_add_f32 v[114:115], v[114:115], v[118:119]
	s_and_not1_b32 exec_lo, exec_lo, s24
	s_cbranch_execnz .LBB54_202
; %bb.203:
	s_or_b32 exec_lo, exec_lo, s24
.LBB54_204:
	s_delay_alu instid0(SALU_CYCLE_1) | instskip(SKIP_4) | instid1(VALU_DEP_1)
	s_or_b32 exec_lo, exec_lo, s23
	v_mov_b32_e32 v116, 0
	ds_load_b64 v[116:117], v116 offset:272
	s_wait_dscnt 0x0
	v_pk_mul_f32 v[118:119], v[114:115], v[116:117] op_sel:[1,1] op_sel_hi:[0,1]
	v_pk_fma_f32 v[120:121], v[114:115], v[116:117], v[118:119] op_sel_hi:[1,0,1]
	v_pk_fma_f32 v[114:115], v[114:115], v[116:117], v[118:119] neg_lo:[0,0,1] neg_hi:[0,0,1]
	s_delay_alu instid0(VALU_DEP_2)
	v_mov_b32_e32 v115, v121
	scratch_store_b64 off, v[114:115], off offset:272
.LBB54_205:
	s_wait_xcnt 0x0
	s_or_b32 exec_lo, exec_lo, s2
	scratch_load_b64 v[114:115], off, off offset:264
	v_cmp_lt_u32_e64 s1, 33, v0
	s_wait_loadcnt 0x0
	ds_store_b64 v1, v[114:115]
	s_wait_storecnt_dscnt 0x0
	s_barrier_signal -1
	s_barrier_wait -1
	s_wait_xcnt 0x0
	s_and_saveexec_b32 s2, s1
	s_cbranch_execz .LBB54_215
; %bb.206:
	s_and_not1_b32 vcc_lo, exec_lo, s3
	s_cbranch_vccnz .LBB54_208
; %bb.207:
	scratch_load_b64 v[114:115], v37, off
	ds_load_b64 v[116:117], v1
	s_wait_loadcnt_dscnt 0x0
	v_pk_mul_f32 v[118:119], v[116:117], v[114:115] op_sel:[1,1] op_sel_hi:[0,1]
	s_delay_alu instid0(VALU_DEP_1) | instskip(SKIP_1) | instid1(VALU_DEP_2)
	v_pk_fma_f32 v[120:121], v[116:117], v[114:115], v[118:119] op_sel_hi:[1,0,1]
	v_pk_fma_f32 v[114:115], v[116:117], v[114:115], v[118:119] neg_lo:[0,0,1] neg_hi:[0,0,1]
	v_mov_b32_e32 v115, v121
	s_cbranch_execz .LBB54_209
	s_branch .LBB54_210
.LBB54_208:
                                        ; implicit-def: $vgpr114_vgpr115
.LBB54_209:
	ds_load_b64 v[114:115], v1
.LBB54_210:
	s_and_saveexec_b32 s23, s0
	s_cbranch_execz .LBB54_214
; %bb.211:
	v_subrev_nc_u32_e32 v116, 34, v0
	s_movk_i32 s24, 0x2d0
	s_mov_b32 s0, 0
.LBB54_212:                             ; =>This Inner Loop Header: Depth=1
	scratch_load_b64 v[118:119], off, s22
	v_dual_mov_b32 v117, s24 :: v_dual_add_nc_u32 v116, -1, v116
	s_add_co_i32 s24, s24, 8
	s_wait_xcnt 0x0
	s_add_co_i32 s22, s22, 8
	ds_load_b64 v[120:121], v117
	v_cmp_eq_u32_e32 vcc_lo, 0, v116
	s_or_b32 s0, vcc_lo, s0
	s_wait_loadcnt_dscnt 0x0
	v_pk_mul_f32 v[122:123], v[120:121], v[118:119] op_sel:[1,1] op_sel_hi:[0,1]
	s_delay_alu instid0(VALU_DEP_1) | instskip(SKIP_1) | instid1(VALU_DEP_2)
	v_pk_fma_f32 v[124:125], v[120:121], v[118:119], v[122:123] op_sel_hi:[1,0,1]
	v_pk_fma_f32 v[118:119], v[120:121], v[118:119], v[122:123] neg_lo:[0,0,1] neg_hi:[0,0,1]
	v_mov_b32_e32 v119, v125
	s_delay_alu instid0(VALU_DEP_1)
	v_pk_add_f32 v[114:115], v[114:115], v[118:119]
	s_and_not1_b32 exec_lo, exec_lo, s0
	s_cbranch_execnz .LBB54_212
; %bb.213:
	s_or_b32 exec_lo, exec_lo, s0
.LBB54_214:
	s_delay_alu instid0(SALU_CYCLE_1) | instskip(SKIP_4) | instid1(VALU_DEP_1)
	s_or_b32 exec_lo, exec_lo, s23
	v_mov_b32_e32 v116, 0
	ds_load_b64 v[116:117], v116 offset:264
	s_wait_dscnt 0x0
	v_pk_mul_f32 v[118:119], v[114:115], v[116:117] op_sel:[1,1] op_sel_hi:[0,1]
	v_pk_fma_f32 v[120:121], v[114:115], v[116:117], v[118:119] op_sel_hi:[1,0,1]
	v_pk_fma_f32 v[114:115], v[114:115], v[116:117], v[118:119] neg_lo:[0,0,1] neg_hi:[0,0,1]
	s_delay_alu instid0(VALU_DEP_2)
	v_mov_b32_e32 v115, v121
	scratch_store_b64 off, v[114:115], off offset:264
.LBB54_215:
	s_wait_xcnt 0x0
	s_or_b32 exec_lo, exec_lo, s2
	scratch_load_b64 v[114:115], off, off offset:256
	v_cmp_lt_u32_e64 s0, 32, v0
	s_wait_loadcnt 0x0
	ds_store_b64 v1, v[114:115]
	s_wait_storecnt_dscnt 0x0
	s_barrier_signal -1
	s_barrier_wait -1
	s_wait_xcnt 0x0
	s_and_saveexec_b32 s2, s0
	s_cbranch_execz .LBB54_225
; %bb.216:
	s_and_not1_b32 vcc_lo, exec_lo, s3
	s_cbranch_vccnz .LBB54_218
; %bb.217:
	scratch_load_b64 v[114:115], v37, off
	ds_load_b64 v[116:117], v1
	s_wait_loadcnt_dscnt 0x0
	v_pk_mul_f32 v[118:119], v[116:117], v[114:115] op_sel:[1,1] op_sel_hi:[0,1]
	s_delay_alu instid0(VALU_DEP_1) | instskip(SKIP_1) | instid1(VALU_DEP_2)
	v_pk_fma_f32 v[120:121], v[116:117], v[114:115], v[118:119] op_sel_hi:[1,0,1]
	v_pk_fma_f32 v[114:115], v[116:117], v[114:115], v[118:119] neg_lo:[0,0,1] neg_hi:[0,0,1]
	v_mov_b32_e32 v115, v121
	s_cbranch_execz .LBB54_219
	s_branch .LBB54_220
.LBB54_218:
                                        ; implicit-def: $vgpr114_vgpr115
.LBB54_219:
	ds_load_b64 v[114:115], v1
.LBB54_220:
	s_and_saveexec_b32 s22, s1
	s_cbranch_execz .LBB54_224
; %bb.221:
	v_subrev_nc_u32_e32 v116, 33, v0
	s_movk_i32 s1, 0x108
	s_movk_i32 s24, 0x2c8
	s_mov_b32 s23, 0
.LBB54_222:                             ; =>This Inner Loop Header: Depth=1
	scratch_load_b64 v[118:119], off, s1
	v_dual_mov_b32 v117, s24 :: v_dual_add_nc_u32 v116, -1, v116
	s_add_co_i32 s24, s24, 8
	s_wait_xcnt 0x0
	s_add_co_i32 s1, s1, 8
	ds_load_b64 v[120:121], v117
	v_cmp_eq_u32_e32 vcc_lo, 0, v116
	s_or_b32 s23, vcc_lo, s23
	s_wait_loadcnt_dscnt 0x0
	v_pk_mul_f32 v[122:123], v[120:121], v[118:119] op_sel:[1,1] op_sel_hi:[0,1]
	s_delay_alu instid0(VALU_DEP_1) | instskip(SKIP_1) | instid1(VALU_DEP_2)
	v_pk_fma_f32 v[124:125], v[120:121], v[118:119], v[122:123] op_sel_hi:[1,0,1]
	v_pk_fma_f32 v[118:119], v[120:121], v[118:119], v[122:123] neg_lo:[0,0,1] neg_hi:[0,0,1]
	v_mov_b32_e32 v119, v125
	s_delay_alu instid0(VALU_DEP_1)
	v_pk_add_f32 v[114:115], v[114:115], v[118:119]
	s_and_not1_b32 exec_lo, exec_lo, s23
	s_cbranch_execnz .LBB54_222
; %bb.223:
	s_or_b32 exec_lo, exec_lo, s23
.LBB54_224:
	s_delay_alu instid0(SALU_CYCLE_1) | instskip(SKIP_4) | instid1(VALU_DEP_1)
	s_or_b32 exec_lo, exec_lo, s22
	v_mov_b32_e32 v116, 0
	ds_load_b64 v[116:117], v116 offset:256
	s_wait_dscnt 0x0
	v_pk_mul_f32 v[118:119], v[114:115], v[116:117] op_sel:[1,1] op_sel_hi:[0,1]
	v_pk_fma_f32 v[120:121], v[114:115], v[116:117], v[118:119] op_sel_hi:[1,0,1]
	v_pk_fma_f32 v[114:115], v[114:115], v[116:117], v[118:119] neg_lo:[0,0,1] neg_hi:[0,0,1]
	s_delay_alu instid0(VALU_DEP_2)
	v_mov_b32_e32 v115, v121
	scratch_store_b64 off, v[114:115], off offset:256
.LBB54_225:
	s_wait_xcnt 0x0
	s_or_b32 exec_lo, exec_lo, s2
	scratch_load_b64 v[114:115], off, off offset:248
	v_cmp_lt_u32_e64 s1, 31, v0
	s_wait_loadcnt 0x0
	ds_store_b64 v1, v[114:115]
	s_wait_storecnt_dscnt 0x0
	s_barrier_signal -1
	s_barrier_wait -1
	s_wait_xcnt 0x0
	s_and_saveexec_b32 s2, s1
	s_cbranch_execz .LBB54_235
; %bb.226:
	s_and_not1_b32 vcc_lo, exec_lo, s3
	s_cbranch_vccnz .LBB54_228
; %bb.227:
	scratch_load_b64 v[114:115], v37, off
	ds_load_b64 v[116:117], v1
	s_wait_loadcnt_dscnt 0x0
	v_pk_mul_f32 v[118:119], v[116:117], v[114:115] op_sel:[1,1] op_sel_hi:[0,1]
	s_delay_alu instid0(VALU_DEP_1) | instskip(SKIP_1) | instid1(VALU_DEP_2)
	v_pk_fma_f32 v[120:121], v[116:117], v[114:115], v[118:119] op_sel_hi:[1,0,1]
	v_pk_fma_f32 v[114:115], v[116:117], v[114:115], v[118:119] neg_lo:[0,0,1] neg_hi:[0,0,1]
	v_mov_b32_e32 v115, v121
	s_cbranch_execz .LBB54_229
	s_branch .LBB54_230
.LBB54_228:
                                        ; implicit-def: $vgpr114_vgpr115
.LBB54_229:
	ds_load_b64 v[114:115], v1
.LBB54_230:
	s_and_saveexec_b32 s22, s0
	s_cbranch_execz .LBB54_234
; %bb.231:
	v_subrev_nc_u32_e32 v116, 32, v0
	s_movk_i32 s23, 0x2c0
	s_mov_b32 s0, 0
.LBB54_232:                             ; =>This Inner Loop Header: Depth=1
	scratch_load_b64 v[118:119], off, s21
	v_dual_mov_b32 v117, s23 :: v_dual_add_nc_u32 v116, -1, v116
	s_add_co_i32 s23, s23, 8
	s_wait_xcnt 0x0
	s_add_co_i32 s21, s21, 8
	ds_load_b64 v[120:121], v117
	v_cmp_eq_u32_e32 vcc_lo, 0, v116
	s_or_b32 s0, vcc_lo, s0
	s_wait_loadcnt_dscnt 0x0
	v_pk_mul_f32 v[122:123], v[120:121], v[118:119] op_sel:[1,1] op_sel_hi:[0,1]
	s_delay_alu instid0(VALU_DEP_1) | instskip(SKIP_1) | instid1(VALU_DEP_2)
	v_pk_fma_f32 v[124:125], v[120:121], v[118:119], v[122:123] op_sel_hi:[1,0,1]
	v_pk_fma_f32 v[118:119], v[120:121], v[118:119], v[122:123] neg_lo:[0,0,1] neg_hi:[0,0,1]
	v_mov_b32_e32 v119, v125
	s_delay_alu instid0(VALU_DEP_1)
	v_pk_add_f32 v[114:115], v[114:115], v[118:119]
	s_and_not1_b32 exec_lo, exec_lo, s0
	s_cbranch_execnz .LBB54_232
; %bb.233:
	s_or_b32 exec_lo, exec_lo, s0
.LBB54_234:
	s_delay_alu instid0(SALU_CYCLE_1) | instskip(SKIP_4) | instid1(VALU_DEP_1)
	s_or_b32 exec_lo, exec_lo, s22
	v_mov_b32_e32 v116, 0
	ds_load_b64 v[116:117], v116 offset:248
	s_wait_dscnt 0x0
	v_pk_mul_f32 v[118:119], v[114:115], v[116:117] op_sel:[1,1] op_sel_hi:[0,1]
	v_pk_fma_f32 v[120:121], v[114:115], v[116:117], v[118:119] op_sel_hi:[1,0,1]
	v_pk_fma_f32 v[114:115], v[114:115], v[116:117], v[118:119] neg_lo:[0,0,1] neg_hi:[0,0,1]
	s_delay_alu instid0(VALU_DEP_2)
	v_mov_b32_e32 v115, v121
	scratch_store_b64 off, v[114:115], off offset:248
.LBB54_235:
	s_wait_xcnt 0x0
	s_or_b32 exec_lo, exec_lo, s2
	scratch_load_b64 v[114:115], off, off offset:240
	v_cmp_lt_u32_e64 s0, 30, v0
	s_wait_loadcnt 0x0
	ds_store_b64 v1, v[114:115]
	s_wait_storecnt_dscnt 0x0
	s_barrier_signal -1
	s_barrier_wait -1
	s_wait_xcnt 0x0
	s_and_saveexec_b32 s2, s0
	s_cbranch_execz .LBB54_245
; %bb.236:
	s_and_not1_b32 vcc_lo, exec_lo, s3
	s_cbranch_vccnz .LBB54_238
; %bb.237:
	scratch_load_b64 v[114:115], v37, off
	ds_load_b64 v[116:117], v1
	s_wait_loadcnt_dscnt 0x0
	v_pk_mul_f32 v[118:119], v[116:117], v[114:115] op_sel:[1,1] op_sel_hi:[0,1]
	s_delay_alu instid0(VALU_DEP_1) | instskip(SKIP_1) | instid1(VALU_DEP_2)
	v_pk_fma_f32 v[120:121], v[116:117], v[114:115], v[118:119] op_sel_hi:[1,0,1]
	v_pk_fma_f32 v[114:115], v[116:117], v[114:115], v[118:119] neg_lo:[0,0,1] neg_hi:[0,0,1]
	v_mov_b32_e32 v115, v121
	s_cbranch_execz .LBB54_239
	s_branch .LBB54_240
.LBB54_238:
                                        ; implicit-def: $vgpr114_vgpr115
.LBB54_239:
	ds_load_b64 v[114:115], v1
.LBB54_240:
	s_and_saveexec_b32 s21, s1
	s_cbranch_execz .LBB54_244
; %bb.241:
	v_subrev_nc_u32_e32 v116, 31, v0
	s_movk_i32 s1, 0xf8
	s_movk_i32 s23, 0x2b8
	s_mov_b32 s22, 0
.LBB54_242:                             ; =>This Inner Loop Header: Depth=1
	scratch_load_b64 v[118:119], off, s1
	v_dual_mov_b32 v117, s23 :: v_dual_add_nc_u32 v116, -1, v116
	s_add_co_i32 s23, s23, 8
	s_wait_xcnt 0x0
	s_add_co_i32 s1, s1, 8
	ds_load_b64 v[120:121], v117
	v_cmp_eq_u32_e32 vcc_lo, 0, v116
	s_or_b32 s22, vcc_lo, s22
	s_wait_loadcnt_dscnt 0x0
	v_pk_mul_f32 v[122:123], v[120:121], v[118:119] op_sel:[1,1] op_sel_hi:[0,1]
	s_delay_alu instid0(VALU_DEP_1) | instskip(SKIP_1) | instid1(VALU_DEP_2)
	v_pk_fma_f32 v[124:125], v[120:121], v[118:119], v[122:123] op_sel_hi:[1,0,1]
	v_pk_fma_f32 v[118:119], v[120:121], v[118:119], v[122:123] neg_lo:[0,0,1] neg_hi:[0,0,1]
	v_mov_b32_e32 v119, v125
	s_delay_alu instid0(VALU_DEP_1)
	v_pk_add_f32 v[114:115], v[114:115], v[118:119]
	s_and_not1_b32 exec_lo, exec_lo, s22
	s_cbranch_execnz .LBB54_242
; %bb.243:
	s_or_b32 exec_lo, exec_lo, s22
.LBB54_244:
	s_delay_alu instid0(SALU_CYCLE_1) | instskip(SKIP_4) | instid1(VALU_DEP_1)
	s_or_b32 exec_lo, exec_lo, s21
	v_mov_b32_e32 v116, 0
	ds_load_b64 v[116:117], v116 offset:240
	s_wait_dscnt 0x0
	v_pk_mul_f32 v[118:119], v[114:115], v[116:117] op_sel:[1,1] op_sel_hi:[0,1]
	v_pk_fma_f32 v[120:121], v[114:115], v[116:117], v[118:119] op_sel_hi:[1,0,1]
	v_pk_fma_f32 v[114:115], v[114:115], v[116:117], v[118:119] neg_lo:[0,0,1] neg_hi:[0,0,1]
	s_delay_alu instid0(VALU_DEP_2)
	v_mov_b32_e32 v115, v121
	scratch_store_b64 off, v[114:115], off offset:240
.LBB54_245:
	s_wait_xcnt 0x0
	s_or_b32 exec_lo, exec_lo, s2
	scratch_load_b64 v[114:115], off, off offset:232
	v_cmp_lt_u32_e64 s1, 29, v0
	s_wait_loadcnt 0x0
	ds_store_b64 v1, v[114:115]
	s_wait_storecnt_dscnt 0x0
	s_barrier_signal -1
	s_barrier_wait -1
	s_wait_xcnt 0x0
	s_and_saveexec_b32 s2, s1
	s_cbranch_execz .LBB54_255
; %bb.246:
	s_and_not1_b32 vcc_lo, exec_lo, s3
	s_cbranch_vccnz .LBB54_248
; %bb.247:
	scratch_load_b64 v[114:115], v37, off
	ds_load_b64 v[116:117], v1
	s_wait_loadcnt_dscnt 0x0
	v_pk_mul_f32 v[118:119], v[116:117], v[114:115] op_sel:[1,1] op_sel_hi:[0,1]
	s_delay_alu instid0(VALU_DEP_1) | instskip(SKIP_1) | instid1(VALU_DEP_2)
	v_pk_fma_f32 v[120:121], v[116:117], v[114:115], v[118:119] op_sel_hi:[1,0,1]
	v_pk_fma_f32 v[114:115], v[116:117], v[114:115], v[118:119] neg_lo:[0,0,1] neg_hi:[0,0,1]
	v_mov_b32_e32 v115, v121
	s_cbranch_execz .LBB54_249
	s_branch .LBB54_250
.LBB54_248:
                                        ; implicit-def: $vgpr114_vgpr115
.LBB54_249:
	ds_load_b64 v[114:115], v1
.LBB54_250:
	s_and_saveexec_b32 s21, s0
	s_cbranch_execz .LBB54_254
; %bb.251:
	v_subrev_nc_u32_e32 v116, 30, v0
	s_movk_i32 s22, 0x2b0
	s_mov_b32 s0, 0
.LBB54_252:                             ; =>This Inner Loop Header: Depth=1
	scratch_load_b64 v[118:119], off, s20
	v_dual_mov_b32 v117, s22 :: v_dual_add_nc_u32 v116, -1, v116
	s_add_co_i32 s22, s22, 8
	s_wait_xcnt 0x0
	s_add_co_i32 s20, s20, 8
	ds_load_b64 v[120:121], v117
	v_cmp_eq_u32_e32 vcc_lo, 0, v116
	s_or_b32 s0, vcc_lo, s0
	s_wait_loadcnt_dscnt 0x0
	v_pk_mul_f32 v[122:123], v[120:121], v[118:119] op_sel:[1,1] op_sel_hi:[0,1]
	s_delay_alu instid0(VALU_DEP_1) | instskip(SKIP_1) | instid1(VALU_DEP_2)
	v_pk_fma_f32 v[124:125], v[120:121], v[118:119], v[122:123] op_sel_hi:[1,0,1]
	v_pk_fma_f32 v[118:119], v[120:121], v[118:119], v[122:123] neg_lo:[0,0,1] neg_hi:[0,0,1]
	v_mov_b32_e32 v119, v125
	s_delay_alu instid0(VALU_DEP_1)
	v_pk_add_f32 v[114:115], v[114:115], v[118:119]
	s_and_not1_b32 exec_lo, exec_lo, s0
	s_cbranch_execnz .LBB54_252
; %bb.253:
	s_or_b32 exec_lo, exec_lo, s0
.LBB54_254:
	s_delay_alu instid0(SALU_CYCLE_1) | instskip(SKIP_4) | instid1(VALU_DEP_1)
	s_or_b32 exec_lo, exec_lo, s21
	v_mov_b32_e32 v116, 0
	ds_load_b64 v[116:117], v116 offset:232
	s_wait_dscnt 0x0
	v_pk_mul_f32 v[118:119], v[114:115], v[116:117] op_sel:[1,1] op_sel_hi:[0,1]
	v_pk_fma_f32 v[120:121], v[114:115], v[116:117], v[118:119] op_sel_hi:[1,0,1]
	v_pk_fma_f32 v[114:115], v[114:115], v[116:117], v[118:119] neg_lo:[0,0,1] neg_hi:[0,0,1]
	s_delay_alu instid0(VALU_DEP_2)
	v_mov_b32_e32 v115, v121
	scratch_store_b64 off, v[114:115], off offset:232
.LBB54_255:
	s_wait_xcnt 0x0
	s_or_b32 exec_lo, exec_lo, s2
	scratch_load_b64 v[114:115], off, off offset:224
	v_cmp_lt_u32_e64 s0, 28, v0
	s_wait_loadcnt 0x0
	ds_store_b64 v1, v[114:115]
	s_wait_storecnt_dscnt 0x0
	s_barrier_signal -1
	s_barrier_wait -1
	s_wait_xcnt 0x0
	s_and_saveexec_b32 s2, s0
	s_cbranch_execz .LBB54_265
; %bb.256:
	s_and_not1_b32 vcc_lo, exec_lo, s3
	s_cbranch_vccnz .LBB54_258
; %bb.257:
	scratch_load_b64 v[114:115], v37, off
	ds_load_b64 v[116:117], v1
	s_wait_loadcnt_dscnt 0x0
	v_pk_mul_f32 v[118:119], v[116:117], v[114:115] op_sel:[1,1] op_sel_hi:[0,1]
	s_delay_alu instid0(VALU_DEP_1) | instskip(SKIP_1) | instid1(VALU_DEP_2)
	v_pk_fma_f32 v[120:121], v[116:117], v[114:115], v[118:119] op_sel_hi:[1,0,1]
	v_pk_fma_f32 v[114:115], v[116:117], v[114:115], v[118:119] neg_lo:[0,0,1] neg_hi:[0,0,1]
	v_mov_b32_e32 v115, v121
	s_cbranch_execz .LBB54_259
	s_branch .LBB54_260
.LBB54_258:
                                        ; implicit-def: $vgpr114_vgpr115
.LBB54_259:
	ds_load_b64 v[114:115], v1
.LBB54_260:
	s_and_saveexec_b32 s20, s1
	s_cbranch_execz .LBB54_264
; %bb.261:
	v_subrev_nc_u32_e32 v116, 29, v0
	s_movk_i32 s1, 0xe8
	s_movk_i32 s22, 0x2a8
	s_mov_b32 s21, 0
.LBB54_262:                             ; =>This Inner Loop Header: Depth=1
	scratch_load_b64 v[118:119], off, s1
	v_dual_mov_b32 v117, s22 :: v_dual_add_nc_u32 v116, -1, v116
	s_add_co_i32 s22, s22, 8
	s_wait_xcnt 0x0
	s_add_co_i32 s1, s1, 8
	ds_load_b64 v[120:121], v117
	v_cmp_eq_u32_e32 vcc_lo, 0, v116
	s_or_b32 s21, vcc_lo, s21
	s_wait_loadcnt_dscnt 0x0
	v_pk_mul_f32 v[122:123], v[120:121], v[118:119] op_sel:[1,1] op_sel_hi:[0,1]
	s_delay_alu instid0(VALU_DEP_1) | instskip(SKIP_1) | instid1(VALU_DEP_2)
	v_pk_fma_f32 v[124:125], v[120:121], v[118:119], v[122:123] op_sel_hi:[1,0,1]
	v_pk_fma_f32 v[118:119], v[120:121], v[118:119], v[122:123] neg_lo:[0,0,1] neg_hi:[0,0,1]
	v_mov_b32_e32 v119, v125
	s_delay_alu instid0(VALU_DEP_1)
	v_pk_add_f32 v[114:115], v[114:115], v[118:119]
	s_and_not1_b32 exec_lo, exec_lo, s21
	s_cbranch_execnz .LBB54_262
; %bb.263:
	s_or_b32 exec_lo, exec_lo, s21
.LBB54_264:
	s_delay_alu instid0(SALU_CYCLE_1) | instskip(SKIP_4) | instid1(VALU_DEP_1)
	s_or_b32 exec_lo, exec_lo, s20
	v_mov_b32_e32 v116, 0
	ds_load_b64 v[116:117], v116 offset:224
	s_wait_dscnt 0x0
	v_pk_mul_f32 v[118:119], v[114:115], v[116:117] op_sel:[1,1] op_sel_hi:[0,1]
	v_pk_fma_f32 v[120:121], v[114:115], v[116:117], v[118:119] op_sel_hi:[1,0,1]
	v_pk_fma_f32 v[114:115], v[114:115], v[116:117], v[118:119] neg_lo:[0,0,1] neg_hi:[0,0,1]
	s_delay_alu instid0(VALU_DEP_2)
	v_mov_b32_e32 v115, v121
	scratch_store_b64 off, v[114:115], off offset:224
.LBB54_265:
	s_wait_xcnt 0x0
	s_or_b32 exec_lo, exec_lo, s2
	scratch_load_b64 v[114:115], off, off offset:216
	v_cmp_lt_u32_e64 s1, 27, v0
	s_wait_loadcnt 0x0
	ds_store_b64 v1, v[114:115]
	s_wait_storecnt_dscnt 0x0
	s_barrier_signal -1
	s_barrier_wait -1
	s_wait_xcnt 0x0
	s_and_saveexec_b32 s2, s1
	s_cbranch_execz .LBB54_275
; %bb.266:
	s_and_not1_b32 vcc_lo, exec_lo, s3
	s_cbranch_vccnz .LBB54_268
; %bb.267:
	scratch_load_b64 v[114:115], v37, off
	ds_load_b64 v[116:117], v1
	s_wait_loadcnt_dscnt 0x0
	v_pk_mul_f32 v[118:119], v[116:117], v[114:115] op_sel:[1,1] op_sel_hi:[0,1]
	s_delay_alu instid0(VALU_DEP_1) | instskip(SKIP_1) | instid1(VALU_DEP_2)
	v_pk_fma_f32 v[120:121], v[116:117], v[114:115], v[118:119] op_sel_hi:[1,0,1]
	v_pk_fma_f32 v[114:115], v[116:117], v[114:115], v[118:119] neg_lo:[0,0,1] neg_hi:[0,0,1]
	v_mov_b32_e32 v115, v121
	s_cbranch_execz .LBB54_269
	s_branch .LBB54_270
.LBB54_268:
                                        ; implicit-def: $vgpr114_vgpr115
.LBB54_269:
	ds_load_b64 v[114:115], v1
.LBB54_270:
	s_and_saveexec_b32 s20, s0
	s_cbranch_execz .LBB54_274
; %bb.271:
	v_subrev_nc_u32_e32 v116, 28, v0
	s_movk_i32 s21, 0x2a0
	s_mov_b32 s0, 0
.LBB54_272:                             ; =>This Inner Loop Header: Depth=1
	scratch_load_b64 v[118:119], off, s19
	v_dual_mov_b32 v117, s21 :: v_dual_add_nc_u32 v116, -1, v116
	s_add_co_i32 s21, s21, 8
	s_wait_xcnt 0x0
	s_add_co_i32 s19, s19, 8
	ds_load_b64 v[120:121], v117
	v_cmp_eq_u32_e32 vcc_lo, 0, v116
	s_or_b32 s0, vcc_lo, s0
	s_wait_loadcnt_dscnt 0x0
	v_pk_mul_f32 v[122:123], v[120:121], v[118:119] op_sel:[1,1] op_sel_hi:[0,1]
	s_delay_alu instid0(VALU_DEP_1) | instskip(SKIP_1) | instid1(VALU_DEP_2)
	v_pk_fma_f32 v[124:125], v[120:121], v[118:119], v[122:123] op_sel_hi:[1,0,1]
	v_pk_fma_f32 v[118:119], v[120:121], v[118:119], v[122:123] neg_lo:[0,0,1] neg_hi:[0,0,1]
	v_mov_b32_e32 v119, v125
	s_delay_alu instid0(VALU_DEP_1)
	v_pk_add_f32 v[114:115], v[114:115], v[118:119]
	s_and_not1_b32 exec_lo, exec_lo, s0
	s_cbranch_execnz .LBB54_272
; %bb.273:
	s_or_b32 exec_lo, exec_lo, s0
.LBB54_274:
	s_delay_alu instid0(SALU_CYCLE_1) | instskip(SKIP_4) | instid1(VALU_DEP_1)
	s_or_b32 exec_lo, exec_lo, s20
	v_mov_b32_e32 v116, 0
	ds_load_b64 v[116:117], v116 offset:216
	s_wait_dscnt 0x0
	v_pk_mul_f32 v[118:119], v[114:115], v[116:117] op_sel:[1,1] op_sel_hi:[0,1]
	v_pk_fma_f32 v[120:121], v[114:115], v[116:117], v[118:119] op_sel_hi:[1,0,1]
	v_pk_fma_f32 v[114:115], v[114:115], v[116:117], v[118:119] neg_lo:[0,0,1] neg_hi:[0,0,1]
	s_delay_alu instid0(VALU_DEP_2)
	v_mov_b32_e32 v115, v121
	scratch_store_b64 off, v[114:115], off offset:216
.LBB54_275:
	s_wait_xcnt 0x0
	s_or_b32 exec_lo, exec_lo, s2
	scratch_load_b64 v[114:115], off, off offset:208
	v_cmp_lt_u32_e64 s0, 26, v0
	s_wait_loadcnt 0x0
	ds_store_b64 v1, v[114:115]
	s_wait_storecnt_dscnt 0x0
	s_barrier_signal -1
	s_barrier_wait -1
	s_wait_xcnt 0x0
	s_and_saveexec_b32 s2, s0
	s_cbranch_execz .LBB54_285
; %bb.276:
	s_and_not1_b32 vcc_lo, exec_lo, s3
	s_cbranch_vccnz .LBB54_278
; %bb.277:
	scratch_load_b64 v[114:115], v37, off
	ds_load_b64 v[116:117], v1
	s_wait_loadcnt_dscnt 0x0
	v_pk_mul_f32 v[118:119], v[116:117], v[114:115] op_sel:[1,1] op_sel_hi:[0,1]
	s_delay_alu instid0(VALU_DEP_1) | instskip(SKIP_1) | instid1(VALU_DEP_2)
	v_pk_fma_f32 v[120:121], v[116:117], v[114:115], v[118:119] op_sel_hi:[1,0,1]
	v_pk_fma_f32 v[114:115], v[116:117], v[114:115], v[118:119] neg_lo:[0,0,1] neg_hi:[0,0,1]
	v_mov_b32_e32 v115, v121
	s_cbranch_execz .LBB54_279
	s_branch .LBB54_280
.LBB54_278:
                                        ; implicit-def: $vgpr114_vgpr115
.LBB54_279:
	ds_load_b64 v[114:115], v1
.LBB54_280:
	s_and_saveexec_b32 s19, s1
	s_cbranch_execz .LBB54_284
; %bb.281:
	v_subrev_nc_u32_e32 v116, 27, v0
	s_movk_i32 s1, 0xd8
	s_movk_i32 s21, 0x298
	s_mov_b32 s20, 0
.LBB54_282:                             ; =>This Inner Loop Header: Depth=1
	scratch_load_b64 v[118:119], off, s1
	v_dual_mov_b32 v117, s21 :: v_dual_add_nc_u32 v116, -1, v116
	s_add_co_i32 s21, s21, 8
	s_wait_xcnt 0x0
	s_add_co_i32 s1, s1, 8
	ds_load_b64 v[120:121], v117
	v_cmp_eq_u32_e32 vcc_lo, 0, v116
	s_or_b32 s20, vcc_lo, s20
	s_wait_loadcnt_dscnt 0x0
	v_pk_mul_f32 v[122:123], v[120:121], v[118:119] op_sel:[1,1] op_sel_hi:[0,1]
	s_delay_alu instid0(VALU_DEP_1) | instskip(SKIP_1) | instid1(VALU_DEP_2)
	v_pk_fma_f32 v[124:125], v[120:121], v[118:119], v[122:123] op_sel_hi:[1,0,1]
	v_pk_fma_f32 v[118:119], v[120:121], v[118:119], v[122:123] neg_lo:[0,0,1] neg_hi:[0,0,1]
	v_mov_b32_e32 v119, v125
	s_delay_alu instid0(VALU_DEP_1)
	v_pk_add_f32 v[114:115], v[114:115], v[118:119]
	s_and_not1_b32 exec_lo, exec_lo, s20
	s_cbranch_execnz .LBB54_282
; %bb.283:
	s_or_b32 exec_lo, exec_lo, s20
.LBB54_284:
	s_delay_alu instid0(SALU_CYCLE_1) | instskip(SKIP_4) | instid1(VALU_DEP_1)
	s_or_b32 exec_lo, exec_lo, s19
	v_mov_b32_e32 v116, 0
	ds_load_b64 v[116:117], v116 offset:208
	s_wait_dscnt 0x0
	v_pk_mul_f32 v[118:119], v[114:115], v[116:117] op_sel:[1,1] op_sel_hi:[0,1]
	v_pk_fma_f32 v[120:121], v[114:115], v[116:117], v[118:119] op_sel_hi:[1,0,1]
	v_pk_fma_f32 v[114:115], v[114:115], v[116:117], v[118:119] neg_lo:[0,0,1] neg_hi:[0,0,1]
	s_delay_alu instid0(VALU_DEP_2)
	v_mov_b32_e32 v115, v121
	scratch_store_b64 off, v[114:115], off offset:208
.LBB54_285:
	s_wait_xcnt 0x0
	s_or_b32 exec_lo, exec_lo, s2
	scratch_load_b64 v[114:115], off, off offset:200
	v_cmp_lt_u32_e64 s1, 25, v0
	s_wait_loadcnt 0x0
	ds_store_b64 v1, v[114:115]
	s_wait_storecnt_dscnt 0x0
	s_barrier_signal -1
	s_barrier_wait -1
	s_wait_xcnt 0x0
	s_and_saveexec_b32 s2, s1
	s_cbranch_execz .LBB54_295
; %bb.286:
	s_and_not1_b32 vcc_lo, exec_lo, s3
	s_cbranch_vccnz .LBB54_288
; %bb.287:
	scratch_load_b64 v[114:115], v37, off
	ds_load_b64 v[116:117], v1
	s_wait_loadcnt_dscnt 0x0
	v_pk_mul_f32 v[118:119], v[116:117], v[114:115] op_sel:[1,1] op_sel_hi:[0,1]
	s_delay_alu instid0(VALU_DEP_1) | instskip(SKIP_1) | instid1(VALU_DEP_2)
	v_pk_fma_f32 v[120:121], v[116:117], v[114:115], v[118:119] op_sel_hi:[1,0,1]
	v_pk_fma_f32 v[114:115], v[116:117], v[114:115], v[118:119] neg_lo:[0,0,1] neg_hi:[0,0,1]
	v_mov_b32_e32 v115, v121
	s_cbranch_execz .LBB54_289
	s_branch .LBB54_290
.LBB54_288:
                                        ; implicit-def: $vgpr114_vgpr115
.LBB54_289:
	ds_load_b64 v[114:115], v1
.LBB54_290:
	s_and_saveexec_b32 s19, s0
	s_cbranch_execz .LBB54_294
; %bb.291:
	v_subrev_nc_u32_e32 v116, 26, v0
	s_movk_i32 s20, 0x290
	s_mov_b32 s0, 0
.LBB54_292:                             ; =>This Inner Loop Header: Depth=1
	scratch_load_b64 v[118:119], off, s18
	v_dual_mov_b32 v117, s20 :: v_dual_add_nc_u32 v116, -1, v116
	s_add_co_i32 s20, s20, 8
	s_wait_xcnt 0x0
	s_add_co_i32 s18, s18, 8
	ds_load_b64 v[120:121], v117
	v_cmp_eq_u32_e32 vcc_lo, 0, v116
	s_or_b32 s0, vcc_lo, s0
	s_wait_loadcnt_dscnt 0x0
	v_pk_mul_f32 v[122:123], v[120:121], v[118:119] op_sel:[1,1] op_sel_hi:[0,1]
	s_delay_alu instid0(VALU_DEP_1) | instskip(SKIP_1) | instid1(VALU_DEP_2)
	v_pk_fma_f32 v[124:125], v[120:121], v[118:119], v[122:123] op_sel_hi:[1,0,1]
	v_pk_fma_f32 v[118:119], v[120:121], v[118:119], v[122:123] neg_lo:[0,0,1] neg_hi:[0,0,1]
	v_mov_b32_e32 v119, v125
	s_delay_alu instid0(VALU_DEP_1)
	v_pk_add_f32 v[114:115], v[114:115], v[118:119]
	s_and_not1_b32 exec_lo, exec_lo, s0
	s_cbranch_execnz .LBB54_292
; %bb.293:
	s_or_b32 exec_lo, exec_lo, s0
.LBB54_294:
	s_delay_alu instid0(SALU_CYCLE_1) | instskip(SKIP_4) | instid1(VALU_DEP_1)
	s_or_b32 exec_lo, exec_lo, s19
	v_mov_b32_e32 v116, 0
	ds_load_b64 v[116:117], v116 offset:200
	s_wait_dscnt 0x0
	v_pk_mul_f32 v[118:119], v[114:115], v[116:117] op_sel:[1,1] op_sel_hi:[0,1]
	v_pk_fma_f32 v[120:121], v[114:115], v[116:117], v[118:119] op_sel_hi:[1,0,1]
	v_pk_fma_f32 v[114:115], v[114:115], v[116:117], v[118:119] neg_lo:[0,0,1] neg_hi:[0,0,1]
	s_delay_alu instid0(VALU_DEP_2)
	v_mov_b32_e32 v115, v121
	scratch_store_b64 off, v[114:115], off offset:200
.LBB54_295:
	s_wait_xcnt 0x0
	s_or_b32 exec_lo, exec_lo, s2
	scratch_load_b64 v[114:115], off, off offset:192
	v_cmp_lt_u32_e64 s0, 24, v0
	s_wait_loadcnt 0x0
	ds_store_b64 v1, v[114:115]
	s_wait_storecnt_dscnt 0x0
	s_barrier_signal -1
	s_barrier_wait -1
	s_wait_xcnt 0x0
	s_and_saveexec_b32 s2, s0
	s_cbranch_execz .LBB54_305
; %bb.296:
	s_and_not1_b32 vcc_lo, exec_lo, s3
	s_cbranch_vccnz .LBB54_298
; %bb.297:
	scratch_load_b64 v[114:115], v37, off
	ds_load_b64 v[116:117], v1
	s_wait_loadcnt_dscnt 0x0
	v_pk_mul_f32 v[118:119], v[116:117], v[114:115] op_sel:[1,1] op_sel_hi:[0,1]
	s_delay_alu instid0(VALU_DEP_1) | instskip(SKIP_1) | instid1(VALU_DEP_2)
	v_pk_fma_f32 v[120:121], v[116:117], v[114:115], v[118:119] op_sel_hi:[1,0,1]
	v_pk_fma_f32 v[114:115], v[116:117], v[114:115], v[118:119] neg_lo:[0,0,1] neg_hi:[0,0,1]
	v_mov_b32_e32 v115, v121
	s_cbranch_execz .LBB54_299
	s_branch .LBB54_300
.LBB54_298:
                                        ; implicit-def: $vgpr114_vgpr115
.LBB54_299:
	ds_load_b64 v[114:115], v1
.LBB54_300:
	s_and_saveexec_b32 s18, s1
	s_cbranch_execz .LBB54_304
; %bb.301:
	v_subrev_nc_u32_e32 v116, 25, v0
	s_movk_i32 s1, 0xc8
	s_movk_i32 s20, 0x288
	s_mov_b32 s19, 0
.LBB54_302:                             ; =>This Inner Loop Header: Depth=1
	scratch_load_b64 v[118:119], off, s1
	v_dual_mov_b32 v117, s20 :: v_dual_add_nc_u32 v116, -1, v116
	s_add_co_i32 s20, s20, 8
	s_wait_xcnt 0x0
	s_add_co_i32 s1, s1, 8
	ds_load_b64 v[120:121], v117
	v_cmp_eq_u32_e32 vcc_lo, 0, v116
	s_or_b32 s19, vcc_lo, s19
	s_wait_loadcnt_dscnt 0x0
	v_pk_mul_f32 v[122:123], v[120:121], v[118:119] op_sel:[1,1] op_sel_hi:[0,1]
	s_delay_alu instid0(VALU_DEP_1) | instskip(SKIP_1) | instid1(VALU_DEP_2)
	v_pk_fma_f32 v[124:125], v[120:121], v[118:119], v[122:123] op_sel_hi:[1,0,1]
	v_pk_fma_f32 v[118:119], v[120:121], v[118:119], v[122:123] neg_lo:[0,0,1] neg_hi:[0,0,1]
	v_mov_b32_e32 v119, v125
	s_delay_alu instid0(VALU_DEP_1)
	v_pk_add_f32 v[114:115], v[114:115], v[118:119]
	s_and_not1_b32 exec_lo, exec_lo, s19
	s_cbranch_execnz .LBB54_302
; %bb.303:
	s_or_b32 exec_lo, exec_lo, s19
.LBB54_304:
	s_delay_alu instid0(SALU_CYCLE_1) | instskip(SKIP_4) | instid1(VALU_DEP_1)
	s_or_b32 exec_lo, exec_lo, s18
	v_mov_b32_e32 v116, 0
	ds_load_b64 v[116:117], v116 offset:192
	s_wait_dscnt 0x0
	v_pk_mul_f32 v[118:119], v[114:115], v[116:117] op_sel:[1,1] op_sel_hi:[0,1]
	v_pk_fma_f32 v[120:121], v[114:115], v[116:117], v[118:119] op_sel_hi:[1,0,1]
	v_pk_fma_f32 v[114:115], v[114:115], v[116:117], v[118:119] neg_lo:[0,0,1] neg_hi:[0,0,1]
	s_delay_alu instid0(VALU_DEP_2)
	v_mov_b32_e32 v115, v121
	scratch_store_b64 off, v[114:115], off offset:192
.LBB54_305:
	s_wait_xcnt 0x0
	s_or_b32 exec_lo, exec_lo, s2
	scratch_load_b64 v[114:115], off, off offset:184
	v_cmp_lt_u32_e64 s1, 23, v0
	s_wait_loadcnt 0x0
	ds_store_b64 v1, v[114:115]
	s_wait_storecnt_dscnt 0x0
	s_barrier_signal -1
	s_barrier_wait -1
	s_wait_xcnt 0x0
	s_and_saveexec_b32 s2, s1
	s_cbranch_execz .LBB54_315
; %bb.306:
	s_and_not1_b32 vcc_lo, exec_lo, s3
	s_cbranch_vccnz .LBB54_308
; %bb.307:
	scratch_load_b64 v[114:115], v37, off
	ds_load_b64 v[116:117], v1
	s_wait_loadcnt_dscnt 0x0
	v_pk_mul_f32 v[118:119], v[116:117], v[114:115] op_sel:[1,1] op_sel_hi:[0,1]
	s_delay_alu instid0(VALU_DEP_1) | instskip(SKIP_1) | instid1(VALU_DEP_2)
	v_pk_fma_f32 v[120:121], v[116:117], v[114:115], v[118:119] op_sel_hi:[1,0,1]
	v_pk_fma_f32 v[114:115], v[116:117], v[114:115], v[118:119] neg_lo:[0,0,1] neg_hi:[0,0,1]
	v_mov_b32_e32 v115, v121
	s_cbranch_execz .LBB54_309
	s_branch .LBB54_310
.LBB54_308:
                                        ; implicit-def: $vgpr114_vgpr115
.LBB54_309:
	ds_load_b64 v[114:115], v1
.LBB54_310:
	s_and_saveexec_b32 s18, s0
	s_cbranch_execz .LBB54_314
; %bb.311:
	v_subrev_nc_u32_e32 v116, 24, v0
	s_movk_i32 s19, 0x280
	s_mov_b32 s0, 0
.LBB54_312:                             ; =>This Inner Loop Header: Depth=1
	scratch_load_b64 v[118:119], off, s17
	v_dual_mov_b32 v117, s19 :: v_dual_add_nc_u32 v116, -1, v116
	s_add_co_i32 s19, s19, 8
	s_wait_xcnt 0x0
	s_add_co_i32 s17, s17, 8
	ds_load_b64 v[120:121], v117
	v_cmp_eq_u32_e32 vcc_lo, 0, v116
	s_or_b32 s0, vcc_lo, s0
	s_wait_loadcnt_dscnt 0x0
	v_pk_mul_f32 v[122:123], v[120:121], v[118:119] op_sel:[1,1] op_sel_hi:[0,1]
	s_delay_alu instid0(VALU_DEP_1) | instskip(SKIP_1) | instid1(VALU_DEP_2)
	v_pk_fma_f32 v[124:125], v[120:121], v[118:119], v[122:123] op_sel_hi:[1,0,1]
	v_pk_fma_f32 v[118:119], v[120:121], v[118:119], v[122:123] neg_lo:[0,0,1] neg_hi:[0,0,1]
	v_mov_b32_e32 v119, v125
	s_delay_alu instid0(VALU_DEP_1)
	v_pk_add_f32 v[114:115], v[114:115], v[118:119]
	s_and_not1_b32 exec_lo, exec_lo, s0
	s_cbranch_execnz .LBB54_312
; %bb.313:
	s_or_b32 exec_lo, exec_lo, s0
.LBB54_314:
	s_delay_alu instid0(SALU_CYCLE_1) | instskip(SKIP_4) | instid1(VALU_DEP_1)
	s_or_b32 exec_lo, exec_lo, s18
	v_mov_b32_e32 v116, 0
	ds_load_b64 v[116:117], v116 offset:184
	s_wait_dscnt 0x0
	v_pk_mul_f32 v[118:119], v[114:115], v[116:117] op_sel:[1,1] op_sel_hi:[0,1]
	v_pk_fma_f32 v[120:121], v[114:115], v[116:117], v[118:119] op_sel_hi:[1,0,1]
	v_pk_fma_f32 v[114:115], v[114:115], v[116:117], v[118:119] neg_lo:[0,0,1] neg_hi:[0,0,1]
	s_delay_alu instid0(VALU_DEP_2)
	v_mov_b32_e32 v115, v121
	scratch_store_b64 off, v[114:115], off offset:184
.LBB54_315:
	s_wait_xcnt 0x0
	s_or_b32 exec_lo, exec_lo, s2
	scratch_load_b64 v[114:115], off, off offset:176
	v_cmp_lt_u32_e64 s0, 22, v0
	s_wait_loadcnt 0x0
	ds_store_b64 v1, v[114:115]
	s_wait_storecnt_dscnt 0x0
	s_barrier_signal -1
	s_barrier_wait -1
	s_wait_xcnt 0x0
	s_and_saveexec_b32 s2, s0
	s_cbranch_execz .LBB54_325
; %bb.316:
	s_and_not1_b32 vcc_lo, exec_lo, s3
	s_cbranch_vccnz .LBB54_318
; %bb.317:
	scratch_load_b64 v[114:115], v37, off
	ds_load_b64 v[116:117], v1
	s_wait_loadcnt_dscnt 0x0
	v_pk_mul_f32 v[118:119], v[116:117], v[114:115] op_sel:[1,1] op_sel_hi:[0,1]
	s_delay_alu instid0(VALU_DEP_1) | instskip(SKIP_1) | instid1(VALU_DEP_2)
	v_pk_fma_f32 v[120:121], v[116:117], v[114:115], v[118:119] op_sel_hi:[1,0,1]
	v_pk_fma_f32 v[114:115], v[116:117], v[114:115], v[118:119] neg_lo:[0,0,1] neg_hi:[0,0,1]
	v_mov_b32_e32 v115, v121
	s_cbranch_execz .LBB54_319
	s_branch .LBB54_320
.LBB54_318:
                                        ; implicit-def: $vgpr114_vgpr115
.LBB54_319:
	ds_load_b64 v[114:115], v1
.LBB54_320:
	s_and_saveexec_b32 s17, s1
	s_cbranch_execz .LBB54_324
; %bb.321:
	v_subrev_nc_u32_e32 v116, 23, v0
	s_movk_i32 s1, 0xb8
	s_movk_i32 s19, 0x278
	s_mov_b32 s18, 0
.LBB54_322:                             ; =>This Inner Loop Header: Depth=1
	scratch_load_b64 v[118:119], off, s1
	v_dual_mov_b32 v117, s19 :: v_dual_add_nc_u32 v116, -1, v116
	s_add_co_i32 s19, s19, 8
	s_wait_xcnt 0x0
	s_add_co_i32 s1, s1, 8
	ds_load_b64 v[120:121], v117
	v_cmp_eq_u32_e32 vcc_lo, 0, v116
	s_or_b32 s18, vcc_lo, s18
	s_wait_loadcnt_dscnt 0x0
	v_pk_mul_f32 v[122:123], v[120:121], v[118:119] op_sel:[1,1] op_sel_hi:[0,1]
	s_delay_alu instid0(VALU_DEP_1) | instskip(SKIP_1) | instid1(VALU_DEP_2)
	v_pk_fma_f32 v[124:125], v[120:121], v[118:119], v[122:123] op_sel_hi:[1,0,1]
	v_pk_fma_f32 v[118:119], v[120:121], v[118:119], v[122:123] neg_lo:[0,0,1] neg_hi:[0,0,1]
	v_mov_b32_e32 v119, v125
	s_delay_alu instid0(VALU_DEP_1)
	v_pk_add_f32 v[114:115], v[114:115], v[118:119]
	s_and_not1_b32 exec_lo, exec_lo, s18
	s_cbranch_execnz .LBB54_322
; %bb.323:
	s_or_b32 exec_lo, exec_lo, s18
.LBB54_324:
	s_delay_alu instid0(SALU_CYCLE_1) | instskip(SKIP_4) | instid1(VALU_DEP_1)
	s_or_b32 exec_lo, exec_lo, s17
	v_mov_b32_e32 v116, 0
	ds_load_b64 v[116:117], v116 offset:176
	s_wait_dscnt 0x0
	v_pk_mul_f32 v[118:119], v[114:115], v[116:117] op_sel:[1,1] op_sel_hi:[0,1]
	v_pk_fma_f32 v[120:121], v[114:115], v[116:117], v[118:119] op_sel_hi:[1,0,1]
	v_pk_fma_f32 v[114:115], v[114:115], v[116:117], v[118:119] neg_lo:[0,0,1] neg_hi:[0,0,1]
	s_delay_alu instid0(VALU_DEP_2)
	v_mov_b32_e32 v115, v121
	scratch_store_b64 off, v[114:115], off offset:176
.LBB54_325:
	s_wait_xcnt 0x0
	s_or_b32 exec_lo, exec_lo, s2
	scratch_load_b64 v[114:115], off, off offset:168
	v_cmp_lt_u32_e64 s1, 21, v0
	s_wait_loadcnt 0x0
	ds_store_b64 v1, v[114:115]
	s_wait_storecnt_dscnt 0x0
	s_barrier_signal -1
	s_barrier_wait -1
	s_wait_xcnt 0x0
	s_and_saveexec_b32 s2, s1
	s_cbranch_execz .LBB54_335
; %bb.326:
	s_and_not1_b32 vcc_lo, exec_lo, s3
	s_cbranch_vccnz .LBB54_328
; %bb.327:
	scratch_load_b64 v[114:115], v37, off
	ds_load_b64 v[116:117], v1
	s_wait_loadcnt_dscnt 0x0
	v_pk_mul_f32 v[118:119], v[116:117], v[114:115] op_sel:[1,1] op_sel_hi:[0,1]
	s_delay_alu instid0(VALU_DEP_1) | instskip(SKIP_1) | instid1(VALU_DEP_2)
	v_pk_fma_f32 v[120:121], v[116:117], v[114:115], v[118:119] op_sel_hi:[1,0,1]
	v_pk_fma_f32 v[114:115], v[116:117], v[114:115], v[118:119] neg_lo:[0,0,1] neg_hi:[0,0,1]
	v_mov_b32_e32 v115, v121
	s_cbranch_execz .LBB54_329
	s_branch .LBB54_330
.LBB54_328:
                                        ; implicit-def: $vgpr114_vgpr115
.LBB54_329:
	ds_load_b64 v[114:115], v1
.LBB54_330:
	s_and_saveexec_b32 s17, s0
	s_cbranch_execz .LBB54_334
; %bb.331:
	v_subrev_nc_u32_e32 v116, 22, v0
	s_movk_i32 s18, 0x270
	s_mov_b32 s0, 0
.LBB54_332:                             ; =>This Inner Loop Header: Depth=1
	scratch_load_b64 v[118:119], off, s16
	v_dual_mov_b32 v117, s18 :: v_dual_add_nc_u32 v116, -1, v116
	s_add_co_i32 s18, s18, 8
	s_wait_xcnt 0x0
	s_add_co_i32 s16, s16, 8
	ds_load_b64 v[120:121], v117
	v_cmp_eq_u32_e32 vcc_lo, 0, v116
	s_or_b32 s0, vcc_lo, s0
	s_wait_loadcnt_dscnt 0x0
	v_pk_mul_f32 v[122:123], v[120:121], v[118:119] op_sel:[1,1] op_sel_hi:[0,1]
	s_delay_alu instid0(VALU_DEP_1) | instskip(SKIP_1) | instid1(VALU_DEP_2)
	v_pk_fma_f32 v[124:125], v[120:121], v[118:119], v[122:123] op_sel_hi:[1,0,1]
	v_pk_fma_f32 v[118:119], v[120:121], v[118:119], v[122:123] neg_lo:[0,0,1] neg_hi:[0,0,1]
	v_mov_b32_e32 v119, v125
	s_delay_alu instid0(VALU_DEP_1)
	v_pk_add_f32 v[114:115], v[114:115], v[118:119]
	s_and_not1_b32 exec_lo, exec_lo, s0
	s_cbranch_execnz .LBB54_332
; %bb.333:
	s_or_b32 exec_lo, exec_lo, s0
.LBB54_334:
	s_delay_alu instid0(SALU_CYCLE_1) | instskip(SKIP_4) | instid1(VALU_DEP_1)
	s_or_b32 exec_lo, exec_lo, s17
	v_mov_b32_e32 v116, 0
	ds_load_b64 v[116:117], v116 offset:168
	s_wait_dscnt 0x0
	v_pk_mul_f32 v[118:119], v[114:115], v[116:117] op_sel:[1,1] op_sel_hi:[0,1]
	v_pk_fma_f32 v[120:121], v[114:115], v[116:117], v[118:119] op_sel_hi:[1,0,1]
	v_pk_fma_f32 v[114:115], v[114:115], v[116:117], v[118:119] neg_lo:[0,0,1] neg_hi:[0,0,1]
	s_delay_alu instid0(VALU_DEP_2)
	v_mov_b32_e32 v115, v121
	scratch_store_b64 off, v[114:115], off offset:168
.LBB54_335:
	s_wait_xcnt 0x0
	s_or_b32 exec_lo, exec_lo, s2
	scratch_load_b64 v[114:115], off, off offset:160
	v_cmp_lt_u32_e64 s0, 20, v0
	s_wait_loadcnt 0x0
	ds_store_b64 v1, v[114:115]
	s_wait_storecnt_dscnt 0x0
	s_barrier_signal -1
	s_barrier_wait -1
	s_wait_xcnt 0x0
	s_and_saveexec_b32 s2, s0
	s_cbranch_execz .LBB54_345
; %bb.336:
	s_and_not1_b32 vcc_lo, exec_lo, s3
	s_cbranch_vccnz .LBB54_338
; %bb.337:
	scratch_load_b64 v[114:115], v37, off
	ds_load_b64 v[116:117], v1
	s_wait_loadcnt_dscnt 0x0
	v_pk_mul_f32 v[118:119], v[116:117], v[114:115] op_sel:[1,1] op_sel_hi:[0,1]
	s_delay_alu instid0(VALU_DEP_1) | instskip(SKIP_1) | instid1(VALU_DEP_2)
	v_pk_fma_f32 v[120:121], v[116:117], v[114:115], v[118:119] op_sel_hi:[1,0,1]
	v_pk_fma_f32 v[114:115], v[116:117], v[114:115], v[118:119] neg_lo:[0,0,1] neg_hi:[0,0,1]
	v_mov_b32_e32 v115, v121
	s_cbranch_execz .LBB54_339
	s_branch .LBB54_340
.LBB54_338:
                                        ; implicit-def: $vgpr114_vgpr115
.LBB54_339:
	ds_load_b64 v[114:115], v1
.LBB54_340:
	s_and_saveexec_b32 s16, s1
	s_cbranch_execz .LBB54_344
; %bb.341:
	v_subrev_nc_u32_e32 v116, 21, v0
	s_movk_i32 s1, 0xa8
	s_movk_i32 s18, 0x268
	s_mov_b32 s17, 0
.LBB54_342:                             ; =>This Inner Loop Header: Depth=1
	scratch_load_b64 v[118:119], off, s1
	v_dual_mov_b32 v117, s18 :: v_dual_add_nc_u32 v116, -1, v116
	s_add_co_i32 s18, s18, 8
	s_wait_xcnt 0x0
	s_add_co_i32 s1, s1, 8
	ds_load_b64 v[120:121], v117
	v_cmp_eq_u32_e32 vcc_lo, 0, v116
	s_or_b32 s17, vcc_lo, s17
	s_wait_loadcnt_dscnt 0x0
	v_pk_mul_f32 v[122:123], v[120:121], v[118:119] op_sel:[1,1] op_sel_hi:[0,1]
	s_delay_alu instid0(VALU_DEP_1) | instskip(SKIP_1) | instid1(VALU_DEP_2)
	v_pk_fma_f32 v[124:125], v[120:121], v[118:119], v[122:123] op_sel_hi:[1,0,1]
	v_pk_fma_f32 v[118:119], v[120:121], v[118:119], v[122:123] neg_lo:[0,0,1] neg_hi:[0,0,1]
	v_mov_b32_e32 v119, v125
	s_delay_alu instid0(VALU_DEP_1)
	v_pk_add_f32 v[114:115], v[114:115], v[118:119]
	s_and_not1_b32 exec_lo, exec_lo, s17
	s_cbranch_execnz .LBB54_342
; %bb.343:
	s_or_b32 exec_lo, exec_lo, s17
.LBB54_344:
	s_delay_alu instid0(SALU_CYCLE_1) | instskip(SKIP_4) | instid1(VALU_DEP_1)
	s_or_b32 exec_lo, exec_lo, s16
	v_mov_b32_e32 v116, 0
	ds_load_b64 v[116:117], v116 offset:160
	s_wait_dscnt 0x0
	v_pk_mul_f32 v[118:119], v[114:115], v[116:117] op_sel:[1,1] op_sel_hi:[0,1]
	v_pk_fma_f32 v[120:121], v[114:115], v[116:117], v[118:119] op_sel_hi:[1,0,1]
	v_pk_fma_f32 v[114:115], v[114:115], v[116:117], v[118:119] neg_lo:[0,0,1] neg_hi:[0,0,1]
	s_delay_alu instid0(VALU_DEP_2)
	v_mov_b32_e32 v115, v121
	scratch_store_b64 off, v[114:115], off offset:160
.LBB54_345:
	s_wait_xcnt 0x0
	s_or_b32 exec_lo, exec_lo, s2
	scratch_load_b64 v[114:115], off, off offset:152
	v_cmp_lt_u32_e64 s1, 19, v0
	s_wait_loadcnt 0x0
	ds_store_b64 v1, v[114:115]
	s_wait_storecnt_dscnt 0x0
	s_barrier_signal -1
	s_barrier_wait -1
	s_wait_xcnt 0x0
	s_and_saveexec_b32 s2, s1
	s_cbranch_execz .LBB54_355
; %bb.346:
	s_and_not1_b32 vcc_lo, exec_lo, s3
	s_cbranch_vccnz .LBB54_348
; %bb.347:
	scratch_load_b64 v[114:115], v37, off
	ds_load_b64 v[116:117], v1
	s_wait_loadcnt_dscnt 0x0
	v_pk_mul_f32 v[118:119], v[116:117], v[114:115] op_sel:[1,1] op_sel_hi:[0,1]
	s_delay_alu instid0(VALU_DEP_1) | instskip(SKIP_1) | instid1(VALU_DEP_2)
	v_pk_fma_f32 v[120:121], v[116:117], v[114:115], v[118:119] op_sel_hi:[1,0,1]
	v_pk_fma_f32 v[114:115], v[116:117], v[114:115], v[118:119] neg_lo:[0,0,1] neg_hi:[0,0,1]
	v_mov_b32_e32 v115, v121
	s_cbranch_execz .LBB54_349
	s_branch .LBB54_350
.LBB54_348:
                                        ; implicit-def: $vgpr114_vgpr115
.LBB54_349:
	ds_load_b64 v[114:115], v1
.LBB54_350:
	s_and_saveexec_b32 s16, s0
	s_cbranch_execz .LBB54_354
; %bb.351:
	v_subrev_nc_u32_e32 v116, 20, v0
	s_movk_i32 s17, 0x260
	s_mov_b32 s0, 0
.LBB54_352:                             ; =>This Inner Loop Header: Depth=1
	scratch_load_b64 v[118:119], off, s15
	v_dual_mov_b32 v117, s17 :: v_dual_add_nc_u32 v116, -1, v116
	s_add_co_i32 s17, s17, 8
	s_wait_xcnt 0x0
	s_add_co_i32 s15, s15, 8
	ds_load_b64 v[120:121], v117
	v_cmp_eq_u32_e32 vcc_lo, 0, v116
	s_or_b32 s0, vcc_lo, s0
	s_wait_loadcnt_dscnt 0x0
	v_pk_mul_f32 v[122:123], v[120:121], v[118:119] op_sel:[1,1] op_sel_hi:[0,1]
	s_delay_alu instid0(VALU_DEP_1) | instskip(SKIP_1) | instid1(VALU_DEP_2)
	v_pk_fma_f32 v[124:125], v[120:121], v[118:119], v[122:123] op_sel_hi:[1,0,1]
	v_pk_fma_f32 v[118:119], v[120:121], v[118:119], v[122:123] neg_lo:[0,0,1] neg_hi:[0,0,1]
	v_mov_b32_e32 v119, v125
	s_delay_alu instid0(VALU_DEP_1)
	v_pk_add_f32 v[114:115], v[114:115], v[118:119]
	s_and_not1_b32 exec_lo, exec_lo, s0
	s_cbranch_execnz .LBB54_352
; %bb.353:
	s_or_b32 exec_lo, exec_lo, s0
.LBB54_354:
	s_delay_alu instid0(SALU_CYCLE_1) | instskip(SKIP_4) | instid1(VALU_DEP_1)
	s_or_b32 exec_lo, exec_lo, s16
	v_mov_b32_e32 v116, 0
	ds_load_b64 v[116:117], v116 offset:152
	s_wait_dscnt 0x0
	v_pk_mul_f32 v[118:119], v[114:115], v[116:117] op_sel:[1,1] op_sel_hi:[0,1]
	v_pk_fma_f32 v[120:121], v[114:115], v[116:117], v[118:119] op_sel_hi:[1,0,1]
	v_pk_fma_f32 v[114:115], v[114:115], v[116:117], v[118:119] neg_lo:[0,0,1] neg_hi:[0,0,1]
	s_delay_alu instid0(VALU_DEP_2)
	v_mov_b32_e32 v115, v121
	scratch_store_b64 off, v[114:115], off offset:152
.LBB54_355:
	s_wait_xcnt 0x0
	s_or_b32 exec_lo, exec_lo, s2
	scratch_load_b64 v[114:115], off, off offset:144
	v_cmp_lt_u32_e64 s0, 18, v0
	s_wait_loadcnt 0x0
	ds_store_b64 v1, v[114:115]
	s_wait_storecnt_dscnt 0x0
	s_barrier_signal -1
	s_barrier_wait -1
	s_wait_xcnt 0x0
	s_and_saveexec_b32 s2, s0
	s_cbranch_execz .LBB54_365
; %bb.356:
	s_and_not1_b32 vcc_lo, exec_lo, s3
	s_cbranch_vccnz .LBB54_358
; %bb.357:
	scratch_load_b64 v[114:115], v37, off
	ds_load_b64 v[116:117], v1
	s_wait_loadcnt_dscnt 0x0
	v_pk_mul_f32 v[118:119], v[116:117], v[114:115] op_sel:[1,1] op_sel_hi:[0,1]
	s_delay_alu instid0(VALU_DEP_1) | instskip(SKIP_1) | instid1(VALU_DEP_2)
	v_pk_fma_f32 v[120:121], v[116:117], v[114:115], v[118:119] op_sel_hi:[1,0,1]
	v_pk_fma_f32 v[114:115], v[116:117], v[114:115], v[118:119] neg_lo:[0,0,1] neg_hi:[0,0,1]
	v_mov_b32_e32 v115, v121
	s_cbranch_execz .LBB54_359
	s_branch .LBB54_360
.LBB54_358:
                                        ; implicit-def: $vgpr114_vgpr115
.LBB54_359:
	ds_load_b64 v[114:115], v1
.LBB54_360:
	s_and_saveexec_b32 s15, s1
	s_cbranch_execz .LBB54_364
; %bb.361:
	v_subrev_nc_u32_e32 v116, 19, v0
	s_movk_i32 s1, 0x98
	s_movk_i32 s17, 0x258
	s_mov_b32 s16, 0
.LBB54_362:                             ; =>This Inner Loop Header: Depth=1
	scratch_load_b64 v[118:119], off, s1
	v_dual_mov_b32 v117, s17 :: v_dual_add_nc_u32 v116, -1, v116
	s_add_co_i32 s17, s17, 8
	s_wait_xcnt 0x0
	s_add_co_i32 s1, s1, 8
	ds_load_b64 v[120:121], v117
	v_cmp_eq_u32_e32 vcc_lo, 0, v116
	s_or_b32 s16, vcc_lo, s16
	s_wait_loadcnt_dscnt 0x0
	v_pk_mul_f32 v[122:123], v[120:121], v[118:119] op_sel:[1,1] op_sel_hi:[0,1]
	s_delay_alu instid0(VALU_DEP_1) | instskip(SKIP_1) | instid1(VALU_DEP_2)
	v_pk_fma_f32 v[124:125], v[120:121], v[118:119], v[122:123] op_sel_hi:[1,0,1]
	v_pk_fma_f32 v[118:119], v[120:121], v[118:119], v[122:123] neg_lo:[0,0,1] neg_hi:[0,0,1]
	v_mov_b32_e32 v119, v125
	s_delay_alu instid0(VALU_DEP_1)
	v_pk_add_f32 v[114:115], v[114:115], v[118:119]
	s_and_not1_b32 exec_lo, exec_lo, s16
	s_cbranch_execnz .LBB54_362
; %bb.363:
	s_or_b32 exec_lo, exec_lo, s16
.LBB54_364:
	s_delay_alu instid0(SALU_CYCLE_1) | instskip(SKIP_4) | instid1(VALU_DEP_1)
	s_or_b32 exec_lo, exec_lo, s15
	v_mov_b32_e32 v116, 0
	ds_load_b64 v[116:117], v116 offset:144
	s_wait_dscnt 0x0
	v_pk_mul_f32 v[118:119], v[114:115], v[116:117] op_sel:[1,1] op_sel_hi:[0,1]
	v_pk_fma_f32 v[120:121], v[114:115], v[116:117], v[118:119] op_sel_hi:[1,0,1]
	v_pk_fma_f32 v[114:115], v[114:115], v[116:117], v[118:119] neg_lo:[0,0,1] neg_hi:[0,0,1]
	s_delay_alu instid0(VALU_DEP_2)
	v_mov_b32_e32 v115, v121
	scratch_store_b64 off, v[114:115], off offset:144
.LBB54_365:
	s_wait_xcnt 0x0
	s_or_b32 exec_lo, exec_lo, s2
	scratch_load_b64 v[114:115], off, off offset:136
	v_cmp_lt_u32_e64 s1, 17, v0
	s_wait_loadcnt 0x0
	ds_store_b64 v1, v[114:115]
	s_wait_storecnt_dscnt 0x0
	s_barrier_signal -1
	s_barrier_wait -1
	s_wait_xcnt 0x0
	s_and_saveexec_b32 s2, s1
	s_cbranch_execz .LBB54_375
; %bb.366:
	s_and_not1_b32 vcc_lo, exec_lo, s3
	s_cbranch_vccnz .LBB54_368
; %bb.367:
	scratch_load_b64 v[114:115], v37, off
	ds_load_b64 v[116:117], v1
	s_wait_loadcnt_dscnt 0x0
	v_pk_mul_f32 v[118:119], v[116:117], v[114:115] op_sel:[1,1] op_sel_hi:[0,1]
	s_delay_alu instid0(VALU_DEP_1) | instskip(SKIP_1) | instid1(VALU_DEP_2)
	v_pk_fma_f32 v[120:121], v[116:117], v[114:115], v[118:119] op_sel_hi:[1,0,1]
	v_pk_fma_f32 v[114:115], v[116:117], v[114:115], v[118:119] neg_lo:[0,0,1] neg_hi:[0,0,1]
	v_mov_b32_e32 v115, v121
	s_cbranch_execz .LBB54_369
	s_branch .LBB54_370
.LBB54_368:
                                        ; implicit-def: $vgpr114_vgpr115
.LBB54_369:
	ds_load_b64 v[114:115], v1
.LBB54_370:
	s_and_saveexec_b32 s15, s0
	s_cbranch_execz .LBB54_374
; %bb.371:
	v_subrev_nc_u32_e32 v116, 18, v0
	s_movk_i32 s16, 0x250
	s_mov_b32 s0, 0
.LBB54_372:                             ; =>This Inner Loop Header: Depth=1
	scratch_load_b64 v[118:119], off, s14
	v_dual_mov_b32 v117, s16 :: v_dual_add_nc_u32 v116, -1, v116
	s_add_co_i32 s16, s16, 8
	s_wait_xcnt 0x0
	s_add_co_i32 s14, s14, 8
	ds_load_b64 v[120:121], v117
	v_cmp_eq_u32_e32 vcc_lo, 0, v116
	s_or_b32 s0, vcc_lo, s0
	s_wait_loadcnt_dscnt 0x0
	v_pk_mul_f32 v[122:123], v[120:121], v[118:119] op_sel:[1,1] op_sel_hi:[0,1]
	s_delay_alu instid0(VALU_DEP_1) | instskip(SKIP_1) | instid1(VALU_DEP_2)
	v_pk_fma_f32 v[124:125], v[120:121], v[118:119], v[122:123] op_sel_hi:[1,0,1]
	v_pk_fma_f32 v[118:119], v[120:121], v[118:119], v[122:123] neg_lo:[0,0,1] neg_hi:[0,0,1]
	v_mov_b32_e32 v119, v125
	s_delay_alu instid0(VALU_DEP_1)
	v_pk_add_f32 v[114:115], v[114:115], v[118:119]
	s_and_not1_b32 exec_lo, exec_lo, s0
	s_cbranch_execnz .LBB54_372
; %bb.373:
	s_or_b32 exec_lo, exec_lo, s0
.LBB54_374:
	s_delay_alu instid0(SALU_CYCLE_1) | instskip(SKIP_4) | instid1(VALU_DEP_1)
	s_or_b32 exec_lo, exec_lo, s15
	v_mov_b32_e32 v116, 0
	ds_load_b64 v[116:117], v116 offset:136
	s_wait_dscnt 0x0
	v_pk_mul_f32 v[118:119], v[114:115], v[116:117] op_sel:[1,1] op_sel_hi:[0,1]
	v_pk_fma_f32 v[120:121], v[114:115], v[116:117], v[118:119] op_sel_hi:[1,0,1]
	v_pk_fma_f32 v[114:115], v[114:115], v[116:117], v[118:119] neg_lo:[0,0,1] neg_hi:[0,0,1]
	s_delay_alu instid0(VALU_DEP_2)
	v_mov_b32_e32 v115, v121
	scratch_store_b64 off, v[114:115], off offset:136
.LBB54_375:
	s_wait_xcnt 0x0
	s_or_b32 exec_lo, exec_lo, s2
	scratch_load_b64 v[114:115], off, off offset:128
	v_cmp_lt_u32_e64 s0, 16, v0
	s_wait_loadcnt 0x0
	ds_store_b64 v1, v[114:115]
	s_wait_storecnt_dscnt 0x0
	s_barrier_signal -1
	s_barrier_wait -1
	s_wait_xcnt 0x0
	s_and_saveexec_b32 s2, s0
	s_cbranch_execz .LBB54_385
; %bb.376:
	s_and_not1_b32 vcc_lo, exec_lo, s3
	s_cbranch_vccnz .LBB54_378
; %bb.377:
	scratch_load_b64 v[114:115], v37, off
	ds_load_b64 v[116:117], v1
	s_wait_loadcnt_dscnt 0x0
	v_pk_mul_f32 v[118:119], v[116:117], v[114:115] op_sel:[1,1] op_sel_hi:[0,1]
	s_delay_alu instid0(VALU_DEP_1) | instskip(SKIP_1) | instid1(VALU_DEP_2)
	v_pk_fma_f32 v[120:121], v[116:117], v[114:115], v[118:119] op_sel_hi:[1,0,1]
	v_pk_fma_f32 v[114:115], v[116:117], v[114:115], v[118:119] neg_lo:[0,0,1] neg_hi:[0,0,1]
	v_mov_b32_e32 v115, v121
	s_cbranch_execz .LBB54_379
	s_branch .LBB54_380
.LBB54_378:
                                        ; implicit-def: $vgpr114_vgpr115
.LBB54_379:
	ds_load_b64 v[114:115], v1
.LBB54_380:
	s_and_saveexec_b32 s14, s1
	s_cbranch_execz .LBB54_384
; %bb.381:
	v_subrev_nc_u32_e32 v116, 17, v0
	s_movk_i32 s1, 0x88
	s_movk_i32 s16, 0x248
	s_mov_b32 s15, 0
.LBB54_382:                             ; =>This Inner Loop Header: Depth=1
	scratch_load_b64 v[118:119], off, s1
	v_dual_mov_b32 v117, s16 :: v_dual_add_nc_u32 v116, -1, v116
	s_add_co_i32 s16, s16, 8
	s_wait_xcnt 0x0
	s_add_co_i32 s1, s1, 8
	ds_load_b64 v[120:121], v117
	v_cmp_eq_u32_e32 vcc_lo, 0, v116
	s_or_b32 s15, vcc_lo, s15
	s_wait_loadcnt_dscnt 0x0
	v_pk_mul_f32 v[122:123], v[120:121], v[118:119] op_sel:[1,1] op_sel_hi:[0,1]
	s_delay_alu instid0(VALU_DEP_1) | instskip(SKIP_1) | instid1(VALU_DEP_2)
	v_pk_fma_f32 v[124:125], v[120:121], v[118:119], v[122:123] op_sel_hi:[1,0,1]
	v_pk_fma_f32 v[118:119], v[120:121], v[118:119], v[122:123] neg_lo:[0,0,1] neg_hi:[0,0,1]
	v_mov_b32_e32 v119, v125
	s_delay_alu instid0(VALU_DEP_1)
	v_pk_add_f32 v[114:115], v[114:115], v[118:119]
	s_and_not1_b32 exec_lo, exec_lo, s15
	s_cbranch_execnz .LBB54_382
; %bb.383:
	s_or_b32 exec_lo, exec_lo, s15
.LBB54_384:
	s_delay_alu instid0(SALU_CYCLE_1) | instskip(SKIP_4) | instid1(VALU_DEP_1)
	s_or_b32 exec_lo, exec_lo, s14
	v_mov_b32_e32 v116, 0
	ds_load_b64 v[116:117], v116 offset:128
	s_wait_dscnt 0x0
	v_pk_mul_f32 v[118:119], v[114:115], v[116:117] op_sel:[1,1] op_sel_hi:[0,1]
	v_pk_fma_f32 v[120:121], v[114:115], v[116:117], v[118:119] op_sel_hi:[1,0,1]
	v_pk_fma_f32 v[114:115], v[114:115], v[116:117], v[118:119] neg_lo:[0,0,1] neg_hi:[0,0,1]
	s_delay_alu instid0(VALU_DEP_2)
	v_mov_b32_e32 v115, v121
	scratch_store_b64 off, v[114:115], off offset:128
.LBB54_385:
	s_wait_xcnt 0x0
	s_or_b32 exec_lo, exec_lo, s2
	scratch_load_b64 v[114:115], off, off offset:120
	v_cmp_lt_u32_e64 s1, 15, v0
	s_wait_loadcnt 0x0
	ds_store_b64 v1, v[114:115]
	s_wait_storecnt_dscnt 0x0
	s_barrier_signal -1
	s_barrier_wait -1
	s_wait_xcnt 0x0
	s_and_saveexec_b32 s2, s1
	s_cbranch_execz .LBB54_395
; %bb.386:
	s_and_not1_b32 vcc_lo, exec_lo, s3
	s_cbranch_vccnz .LBB54_388
; %bb.387:
	scratch_load_b64 v[114:115], v37, off
	ds_load_b64 v[116:117], v1
	s_wait_loadcnt_dscnt 0x0
	v_pk_mul_f32 v[118:119], v[116:117], v[114:115] op_sel:[1,1] op_sel_hi:[0,1]
	s_delay_alu instid0(VALU_DEP_1) | instskip(SKIP_1) | instid1(VALU_DEP_2)
	v_pk_fma_f32 v[120:121], v[116:117], v[114:115], v[118:119] op_sel_hi:[1,0,1]
	v_pk_fma_f32 v[114:115], v[116:117], v[114:115], v[118:119] neg_lo:[0,0,1] neg_hi:[0,0,1]
	v_mov_b32_e32 v115, v121
	s_cbranch_execz .LBB54_389
	s_branch .LBB54_390
.LBB54_388:
                                        ; implicit-def: $vgpr114_vgpr115
.LBB54_389:
	ds_load_b64 v[114:115], v1
.LBB54_390:
	s_and_saveexec_b32 s14, s0
	s_cbranch_execz .LBB54_394
; %bb.391:
	v_add_nc_u32_e32 v116, -16, v0
	s_movk_i32 s15, 0x240
	s_mov_b32 s0, 0
.LBB54_392:                             ; =>This Inner Loop Header: Depth=1
	scratch_load_b64 v[118:119], off, s13
	v_dual_mov_b32 v117, s15 :: v_dual_add_nc_u32 v116, -1, v116
	s_add_co_i32 s15, s15, 8
	s_wait_xcnt 0x0
	s_add_co_i32 s13, s13, 8
	ds_load_b64 v[120:121], v117
	v_cmp_eq_u32_e32 vcc_lo, 0, v116
	s_or_b32 s0, vcc_lo, s0
	s_wait_loadcnt_dscnt 0x0
	v_pk_mul_f32 v[122:123], v[120:121], v[118:119] op_sel:[1,1] op_sel_hi:[0,1]
	s_delay_alu instid0(VALU_DEP_1) | instskip(SKIP_1) | instid1(VALU_DEP_2)
	v_pk_fma_f32 v[124:125], v[120:121], v[118:119], v[122:123] op_sel_hi:[1,0,1]
	v_pk_fma_f32 v[118:119], v[120:121], v[118:119], v[122:123] neg_lo:[0,0,1] neg_hi:[0,0,1]
	v_mov_b32_e32 v119, v125
	s_delay_alu instid0(VALU_DEP_1)
	v_pk_add_f32 v[114:115], v[114:115], v[118:119]
	s_and_not1_b32 exec_lo, exec_lo, s0
	s_cbranch_execnz .LBB54_392
; %bb.393:
	s_or_b32 exec_lo, exec_lo, s0
.LBB54_394:
	s_delay_alu instid0(SALU_CYCLE_1) | instskip(SKIP_4) | instid1(VALU_DEP_1)
	s_or_b32 exec_lo, exec_lo, s14
	v_mov_b32_e32 v116, 0
	ds_load_b64 v[116:117], v116 offset:120
	s_wait_dscnt 0x0
	v_pk_mul_f32 v[118:119], v[114:115], v[116:117] op_sel:[1,1] op_sel_hi:[0,1]
	v_pk_fma_f32 v[120:121], v[114:115], v[116:117], v[118:119] op_sel_hi:[1,0,1]
	v_pk_fma_f32 v[114:115], v[114:115], v[116:117], v[118:119] neg_lo:[0,0,1] neg_hi:[0,0,1]
	s_delay_alu instid0(VALU_DEP_2)
	v_mov_b32_e32 v115, v121
	scratch_store_b64 off, v[114:115], off offset:120
.LBB54_395:
	s_wait_xcnt 0x0
	s_or_b32 exec_lo, exec_lo, s2
	scratch_load_b64 v[114:115], off, off offset:112
	v_cmp_lt_u32_e64 s0, 14, v0
	s_wait_loadcnt 0x0
	ds_store_b64 v1, v[114:115]
	s_wait_storecnt_dscnt 0x0
	s_barrier_signal -1
	s_barrier_wait -1
	s_wait_xcnt 0x0
	s_and_saveexec_b32 s2, s0
	s_cbranch_execz .LBB54_405
; %bb.396:
	s_and_not1_b32 vcc_lo, exec_lo, s3
	s_cbranch_vccnz .LBB54_398
; %bb.397:
	scratch_load_b64 v[114:115], v37, off
	ds_load_b64 v[116:117], v1
	s_wait_loadcnt_dscnt 0x0
	v_pk_mul_f32 v[118:119], v[116:117], v[114:115] op_sel:[1,1] op_sel_hi:[0,1]
	s_delay_alu instid0(VALU_DEP_1) | instskip(SKIP_1) | instid1(VALU_DEP_2)
	v_pk_fma_f32 v[120:121], v[116:117], v[114:115], v[118:119] op_sel_hi:[1,0,1]
	v_pk_fma_f32 v[114:115], v[116:117], v[114:115], v[118:119] neg_lo:[0,0,1] neg_hi:[0,0,1]
	v_mov_b32_e32 v115, v121
	s_cbranch_execz .LBB54_399
	s_branch .LBB54_400
.LBB54_398:
                                        ; implicit-def: $vgpr114_vgpr115
.LBB54_399:
	ds_load_b64 v[114:115], v1
.LBB54_400:
	s_and_saveexec_b32 s13, s1
	s_cbranch_execz .LBB54_404
; %bb.401:
	v_add_nc_u32_e32 v116, -15, v0
	s_movk_i32 s1, 0x78
	s_movk_i32 s15, 0x238
	s_mov_b32 s14, 0
.LBB54_402:                             ; =>This Inner Loop Header: Depth=1
	scratch_load_b64 v[118:119], off, s1
	v_dual_mov_b32 v117, s15 :: v_dual_add_nc_u32 v116, -1, v116
	s_add_co_i32 s15, s15, 8
	s_wait_xcnt 0x0
	s_add_co_i32 s1, s1, 8
	ds_load_b64 v[120:121], v117
	v_cmp_eq_u32_e32 vcc_lo, 0, v116
	s_or_b32 s14, vcc_lo, s14
	s_wait_loadcnt_dscnt 0x0
	v_pk_mul_f32 v[122:123], v[120:121], v[118:119] op_sel:[1,1] op_sel_hi:[0,1]
	s_delay_alu instid0(VALU_DEP_1) | instskip(SKIP_1) | instid1(VALU_DEP_2)
	v_pk_fma_f32 v[124:125], v[120:121], v[118:119], v[122:123] op_sel_hi:[1,0,1]
	v_pk_fma_f32 v[118:119], v[120:121], v[118:119], v[122:123] neg_lo:[0,0,1] neg_hi:[0,0,1]
	v_mov_b32_e32 v119, v125
	s_delay_alu instid0(VALU_DEP_1)
	v_pk_add_f32 v[114:115], v[114:115], v[118:119]
	s_and_not1_b32 exec_lo, exec_lo, s14
	s_cbranch_execnz .LBB54_402
; %bb.403:
	s_or_b32 exec_lo, exec_lo, s14
.LBB54_404:
	s_delay_alu instid0(SALU_CYCLE_1) | instskip(SKIP_4) | instid1(VALU_DEP_1)
	s_or_b32 exec_lo, exec_lo, s13
	v_mov_b32_e32 v116, 0
	ds_load_b64 v[116:117], v116 offset:112
	s_wait_dscnt 0x0
	v_pk_mul_f32 v[118:119], v[114:115], v[116:117] op_sel:[1,1] op_sel_hi:[0,1]
	v_pk_fma_f32 v[120:121], v[114:115], v[116:117], v[118:119] op_sel_hi:[1,0,1]
	v_pk_fma_f32 v[114:115], v[114:115], v[116:117], v[118:119] neg_lo:[0,0,1] neg_hi:[0,0,1]
	s_delay_alu instid0(VALU_DEP_2)
	v_mov_b32_e32 v115, v121
	scratch_store_b64 off, v[114:115], off offset:112
.LBB54_405:
	s_wait_xcnt 0x0
	s_or_b32 exec_lo, exec_lo, s2
	scratch_load_b64 v[114:115], off, off offset:104
	v_cmp_lt_u32_e64 s1, 13, v0
	s_wait_loadcnt 0x0
	ds_store_b64 v1, v[114:115]
	s_wait_storecnt_dscnt 0x0
	s_barrier_signal -1
	s_barrier_wait -1
	s_wait_xcnt 0x0
	s_and_saveexec_b32 s2, s1
	s_cbranch_execz .LBB54_415
; %bb.406:
	s_and_not1_b32 vcc_lo, exec_lo, s3
	s_cbranch_vccnz .LBB54_408
; %bb.407:
	scratch_load_b64 v[114:115], v37, off
	ds_load_b64 v[116:117], v1
	s_wait_loadcnt_dscnt 0x0
	v_pk_mul_f32 v[118:119], v[116:117], v[114:115] op_sel:[1,1] op_sel_hi:[0,1]
	s_delay_alu instid0(VALU_DEP_1) | instskip(SKIP_1) | instid1(VALU_DEP_2)
	v_pk_fma_f32 v[120:121], v[116:117], v[114:115], v[118:119] op_sel_hi:[1,0,1]
	v_pk_fma_f32 v[114:115], v[116:117], v[114:115], v[118:119] neg_lo:[0,0,1] neg_hi:[0,0,1]
	v_mov_b32_e32 v115, v121
	s_cbranch_execz .LBB54_409
	s_branch .LBB54_410
.LBB54_408:
                                        ; implicit-def: $vgpr114_vgpr115
.LBB54_409:
	ds_load_b64 v[114:115], v1
.LBB54_410:
	s_and_saveexec_b32 s13, s0
	s_cbranch_execz .LBB54_414
; %bb.411:
	v_add_nc_u32_e32 v116, -14, v0
	s_movk_i32 s14, 0x230
	s_mov_b32 s0, 0
.LBB54_412:                             ; =>This Inner Loop Header: Depth=1
	scratch_load_b64 v[118:119], off, s12
	v_dual_mov_b32 v117, s14 :: v_dual_add_nc_u32 v116, -1, v116
	s_add_co_i32 s14, s14, 8
	s_wait_xcnt 0x0
	s_add_co_i32 s12, s12, 8
	ds_load_b64 v[120:121], v117
	v_cmp_eq_u32_e32 vcc_lo, 0, v116
	s_or_b32 s0, vcc_lo, s0
	s_wait_loadcnt_dscnt 0x0
	v_pk_mul_f32 v[122:123], v[120:121], v[118:119] op_sel:[1,1] op_sel_hi:[0,1]
	s_delay_alu instid0(VALU_DEP_1) | instskip(SKIP_1) | instid1(VALU_DEP_2)
	v_pk_fma_f32 v[124:125], v[120:121], v[118:119], v[122:123] op_sel_hi:[1,0,1]
	v_pk_fma_f32 v[118:119], v[120:121], v[118:119], v[122:123] neg_lo:[0,0,1] neg_hi:[0,0,1]
	v_mov_b32_e32 v119, v125
	s_delay_alu instid0(VALU_DEP_1)
	v_pk_add_f32 v[114:115], v[114:115], v[118:119]
	s_and_not1_b32 exec_lo, exec_lo, s0
	s_cbranch_execnz .LBB54_412
; %bb.413:
	s_or_b32 exec_lo, exec_lo, s0
.LBB54_414:
	s_delay_alu instid0(SALU_CYCLE_1) | instskip(SKIP_4) | instid1(VALU_DEP_1)
	s_or_b32 exec_lo, exec_lo, s13
	v_mov_b32_e32 v116, 0
	ds_load_b64 v[116:117], v116 offset:104
	s_wait_dscnt 0x0
	v_pk_mul_f32 v[118:119], v[114:115], v[116:117] op_sel:[1,1] op_sel_hi:[0,1]
	v_pk_fma_f32 v[120:121], v[114:115], v[116:117], v[118:119] op_sel_hi:[1,0,1]
	v_pk_fma_f32 v[114:115], v[114:115], v[116:117], v[118:119] neg_lo:[0,0,1] neg_hi:[0,0,1]
	s_delay_alu instid0(VALU_DEP_2)
	v_mov_b32_e32 v115, v121
	scratch_store_b64 off, v[114:115], off offset:104
.LBB54_415:
	s_wait_xcnt 0x0
	s_or_b32 exec_lo, exec_lo, s2
	scratch_load_b64 v[114:115], off, off offset:96
	v_cmp_lt_u32_e64 s0, 12, v0
	s_wait_loadcnt 0x0
	ds_store_b64 v1, v[114:115]
	s_wait_storecnt_dscnt 0x0
	s_barrier_signal -1
	s_barrier_wait -1
	s_wait_xcnt 0x0
	s_and_saveexec_b32 s2, s0
	s_cbranch_execz .LBB54_425
; %bb.416:
	s_and_not1_b32 vcc_lo, exec_lo, s3
	s_cbranch_vccnz .LBB54_418
; %bb.417:
	scratch_load_b64 v[114:115], v37, off
	ds_load_b64 v[116:117], v1
	s_wait_loadcnt_dscnt 0x0
	v_pk_mul_f32 v[118:119], v[116:117], v[114:115] op_sel:[1,1] op_sel_hi:[0,1]
	s_delay_alu instid0(VALU_DEP_1) | instskip(SKIP_1) | instid1(VALU_DEP_2)
	v_pk_fma_f32 v[120:121], v[116:117], v[114:115], v[118:119] op_sel_hi:[1,0,1]
	v_pk_fma_f32 v[114:115], v[116:117], v[114:115], v[118:119] neg_lo:[0,0,1] neg_hi:[0,0,1]
	v_mov_b32_e32 v115, v121
	s_cbranch_execz .LBB54_419
	s_branch .LBB54_420
.LBB54_418:
                                        ; implicit-def: $vgpr114_vgpr115
.LBB54_419:
	ds_load_b64 v[114:115], v1
.LBB54_420:
	s_and_saveexec_b32 s12, s1
	s_cbranch_execz .LBB54_424
; %bb.421:
	v_add_nc_u32_e32 v116, -13, v0
	s_movk_i32 s1, 0x68
	s_movk_i32 s14, 0x228
	s_mov_b32 s13, 0
.LBB54_422:                             ; =>This Inner Loop Header: Depth=1
	scratch_load_b64 v[118:119], off, s1
	v_dual_mov_b32 v117, s14 :: v_dual_add_nc_u32 v116, -1, v116
	s_add_co_i32 s14, s14, 8
	s_wait_xcnt 0x0
	s_add_co_i32 s1, s1, 8
	ds_load_b64 v[120:121], v117
	v_cmp_eq_u32_e32 vcc_lo, 0, v116
	s_or_b32 s13, vcc_lo, s13
	s_wait_loadcnt_dscnt 0x0
	v_pk_mul_f32 v[122:123], v[120:121], v[118:119] op_sel:[1,1] op_sel_hi:[0,1]
	s_delay_alu instid0(VALU_DEP_1) | instskip(SKIP_1) | instid1(VALU_DEP_2)
	v_pk_fma_f32 v[124:125], v[120:121], v[118:119], v[122:123] op_sel_hi:[1,0,1]
	v_pk_fma_f32 v[118:119], v[120:121], v[118:119], v[122:123] neg_lo:[0,0,1] neg_hi:[0,0,1]
	v_mov_b32_e32 v119, v125
	s_delay_alu instid0(VALU_DEP_1)
	v_pk_add_f32 v[114:115], v[114:115], v[118:119]
	s_and_not1_b32 exec_lo, exec_lo, s13
	s_cbranch_execnz .LBB54_422
; %bb.423:
	s_or_b32 exec_lo, exec_lo, s13
.LBB54_424:
	s_delay_alu instid0(SALU_CYCLE_1) | instskip(SKIP_4) | instid1(VALU_DEP_1)
	s_or_b32 exec_lo, exec_lo, s12
	v_mov_b32_e32 v116, 0
	ds_load_b64 v[116:117], v116 offset:96
	s_wait_dscnt 0x0
	v_pk_mul_f32 v[118:119], v[114:115], v[116:117] op_sel:[1,1] op_sel_hi:[0,1]
	v_pk_fma_f32 v[120:121], v[114:115], v[116:117], v[118:119] op_sel_hi:[1,0,1]
	v_pk_fma_f32 v[114:115], v[114:115], v[116:117], v[118:119] neg_lo:[0,0,1] neg_hi:[0,0,1]
	s_delay_alu instid0(VALU_DEP_2)
	v_mov_b32_e32 v115, v121
	scratch_store_b64 off, v[114:115], off offset:96
.LBB54_425:
	s_wait_xcnt 0x0
	s_or_b32 exec_lo, exec_lo, s2
	scratch_load_b64 v[114:115], off, off offset:88
	v_cmp_lt_u32_e64 s1, 11, v0
	s_wait_loadcnt 0x0
	ds_store_b64 v1, v[114:115]
	s_wait_storecnt_dscnt 0x0
	s_barrier_signal -1
	s_barrier_wait -1
	s_wait_xcnt 0x0
	s_and_saveexec_b32 s2, s1
	s_cbranch_execz .LBB54_435
; %bb.426:
	s_and_not1_b32 vcc_lo, exec_lo, s3
	s_cbranch_vccnz .LBB54_428
; %bb.427:
	scratch_load_b64 v[114:115], v37, off
	ds_load_b64 v[116:117], v1
	s_wait_loadcnt_dscnt 0x0
	v_pk_mul_f32 v[118:119], v[116:117], v[114:115] op_sel:[1,1] op_sel_hi:[0,1]
	s_delay_alu instid0(VALU_DEP_1) | instskip(SKIP_1) | instid1(VALU_DEP_2)
	v_pk_fma_f32 v[120:121], v[116:117], v[114:115], v[118:119] op_sel_hi:[1,0,1]
	v_pk_fma_f32 v[114:115], v[116:117], v[114:115], v[118:119] neg_lo:[0,0,1] neg_hi:[0,0,1]
	v_mov_b32_e32 v115, v121
	s_cbranch_execz .LBB54_429
	s_branch .LBB54_430
.LBB54_428:
                                        ; implicit-def: $vgpr114_vgpr115
.LBB54_429:
	ds_load_b64 v[114:115], v1
.LBB54_430:
	s_and_saveexec_b32 s12, s0
	s_cbranch_execz .LBB54_434
; %bb.431:
	v_add_nc_u32_e32 v116, -12, v0
	s_movk_i32 s13, 0x220
	s_mov_b32 s0, 0
.LBB54_432:                             ; =>This Inner Loop Header: Depth=1
	scratch_load_b64 v[118:119], off, s11
	v_dual_mov_b32 v117, s13 :: v_dual_add_nc_u32 v116, -1, v116
	s_add_co_i32 s13, s13, 8
	s_wait_xcnt 0x0
	s_add_co_i32 s11, s11, 8
	ds_load_b64 v[120:121], v117
	v_cmp_eq_u32_e32 vcc_lo, 0, v116
	s_or_b32 s0, vcc_lo, s0
	s_wait_loadcnt_dscnt 0x0
	v_pk_mul_f32 v[122:123], v[120:121], v[118:119] op_sel:[1,1] op_sel_hi:[0,1]
	s_delay_alu instid0(VALU_DEP_1) | instskip(SKIP_1) | instid1(VALU_DEP_2)
	v_pk_fma_f32 v[124:125], v[120:121], v[118:119], v[122:123] op_sel_hi:[1,0,1]
	v_pk_fma_f32 v[118:119], v[120:121], v[118:119], v[122:123] neg_lo:[0,0,1] neg_hi:[0,0,1]
	v_mov_b32_e32 v119, v125
	s_delay_alu instid0(VALU_DEP_1)
	v_pk_add_f32 v[114:115], v[114:115], v[118:119]
	s_and_not1_b32 exec_lo, exec_lo, s0
	s_cbranch_execnz .LBB54_432
; %bb.433:
	s_or_b32 exec_lo, exec_lo, s0
.LBB54_434:
	s_delay_alu instid0(SALU_CYCLE_1) | instskip(SKIP_4) | instid1(VALU_DEP_1)
	s_or_b32 exec_lo, exec_lo, s12
	v_mov_b32_e32 v116, 0
	ds_load_b64 v[116:117], v116 offset:88
	s_wait_dscnt 0x0
	v_pk_mul_f32 v[118:119], v[114:115], v[116:117] op_sel:[1,1] op_sel_hi:[0,1]
	v_pk_fma_f32 v[120:121], v[114:115], v[116:117], v[118:119] op_sel_hi:[1,0,1]
	v_pk_fma_f32 v[114:115], v[114:115], v[116:117], v[118:119] neg_lo:[0,0,1] neg_hi:[0,0,1]
	s_delay_alu instid0(VALU_DEP_2)
	v_mov_b32_e32 v115, v121
	scratch_store_b64 off, v[114:115], off offset:88
.LBB54_435:
	s_wait_xcnt 0x0
	s_or_b32 exec_lo, exec_lo, s2
	scratch_load_b64 v[114:115], off, off offset:80
	v_cmp_lt_u32_e64 s0, 10, v0
	s_wait_loadcnt 0x0
	ds_store_b64 v1, v[114:115]
	s_wait_storecnt_dscnt 0x0
	s_barrier_signal -1
	s_barrier_wait -1
	s_wait_xcnt 0x0
	s_and_saveexec_b32 s2, s0
	s_cbranch_execz .LBB54_445
; %bb.436:
	s_and_not1_b32 vcc_lo, exec_lo, s3
	s_cbranch_vccnz .LBB54_438
; %bb.437:
	scratch_load_b64 v[114:115], v37, off
	ds_load_b64 v[116:117], v1
	s_wait_loadcnt_dscnt 0x0
	v_pk_mul_f32 v[118:119], v[116:117], v[114:115] op_sel:[1,1] op_sel_hi:[0,1]
	s_delay_alu instid0(VALU_DEP_1) | instskip(SKIP_1) | instid1(VALU_DEP_2)
	v_pk_fma_f32 v[120:121], v[116:117], v[114:115], v[118:119] op_sel_hi:[1,0,1]
	v_pk_fma_f32 v[114:115], v[116:117], v[114:115], v[118:119] neg_lo:[0,0,1] neg_hi:[0,0,1]
	v_mov_b32_e32 v115, v121
	s_cbranch_execz .LBB54_439
	s_branch .LBB54_440
.LBB54_438:
                                        ; implicit-def: $vgpr114_vgpr115
.LBB54_439:
	ds_load_b64 v[114:115], v1
.LBB54_440:
	s_and_saveexec_b32 s11, s1
	s_cbranch_execz .LBB54_444
; %bb.441:
	v_add_nc_u32_e32 v116, -11, v0
	s_movk_i32 s1, 0x58
	s_movk_i32 s13, 0x218
	s_mov_b32 s12, 0
.LBB54_442:                             ; =>This Inner Loop Header: Depth=1
	scratch_load_b64 v[118:119], off, s1
	v_dual_mov_b32 v117, s13 :: v_dual_add_nc_u32 v116, -1, v116
	s_add_co_i32 s13, s13, 8
	s_wait_xcnt 0x0
	s_add_co_i32 s1, s1, 8
	ds_load_b64 v[120:121], v117
	v_cmp_eq_u32_e32 vcc_lo, 0, v116
	s_or_b32 s12, vcc_lo, s12
	s_wait_loadcnt_dscnt 0x0
	v_pk_mul_f32 v[122:123], v[120:121], v[118:119] op_sel:[1,1] op_sel_hi:[0,1]
	s_delay_alu instid0(VALU_DEP_1) | instskip(SKIP_1) | instid1(VALU_DEP_2)
	v_pk_fma_f32 v[124:125], v[120:121], v[118:119], v[122:123] op_sel_hi:[1,0,1]
	v_pk_fma_f32 v[118:119], v[120:121], v[118:119], v[122:123] neg_lo:[0,0,1] neg_hi:[0,0,1]
	v_mov_b32_e32 v119, v125
	s_delay_alu instid0(VALU_DEP_1)
	v_pk_add_f32 v[114:115], v[114:115], v[118:119]
	s_and_not1_b32 exec_lo, exec_lo, s12
	s_cbranch_execnz .LBB54_442
; %bb.443:
	s_or_b32 exec_lo, exec_lo, s12
.LBB54_444:
	s_delay_alu instid0(SALU_CYCLE_1) | instskip(SKIP_4) | instid1(VALU_DEP_1)
	s_or_b32 exec_lo, exec_lo, s11
	v_mov_b32_e32 v116, 0
	ds_load_b64 v[116:117], v116 offset:80
	s_wait_dscnt 0x0
	v_pk_mul_f32 v[118:119], v[114:115], v[116:117] op_sel:[1,1] op_sel_hi:[0,1]
	v_pk_fma_f32 v[120:121], v[114:115], v[116:117], v[118:119] op_sel_hi:[1,0,1]
	v_pk_fma_f32 v[114:115], v[114:115], v[116:117], v[118:119] neg_lo:[0,0,1] neg_hi:[0,0,1]
	s_delay_alu instid0(VALU_DEP_2)
	v_mov_b32_e32 v115, v121
	scratch_store_b64 off, v[114:115], off offset:80
.LBB54_445:
	s_wait_xcnt 0x0
	s_or_b32 exec_lo, exec_lo, s2
	scratch_load_b64 v[114:115], off, off offset:72
	v_cmp_lt_u32_e64 s1, 9, v0
	s_wait_loadcnt 0x0
	ds_store_b64 v1, v[114:115]
	s_wait_storecnt_dscnt 0x0
	s_barrier_signal -1
	s_barrier_wait -1
	s_wait_xcnt 0x0
	s_and_saveexec_b32 s2, s1
	s_cbranch_execz .LBB54_455
; %bb.446:
	s_and_not1_b32 vcc_lo, exec_lo, s3
	s_cbranch_vccnz .LBB54_448
; %bb.447:
	scratch_load_b64 v[114:115], v37, off
	ds_load_b64 v[116:117], v1
	s_wait_loadcnt_dscnt 0x0
	v_pk_mul_f32 v[118:119], v[116:117], v[114:115] op_sel:[1,1] op_sel_hi:[0,1]
	s_delay_alu instid0(VALU_DEP_1) | instskip(SKIP_1) | instid1(VALU_DEP_2)
	v_pk_fma_f32 v[120:121], v[116:117], v[114:115], v[118:119] op_sel_hi:[1,0,1]
	v_pk_fma_f32 v[114:115], v[116:117], v[114:115], v[118:119] neg_lo:[0,0,1] neg_hi:[0,0,1]
	v_mov_b32_e32 v115, v121
	s_cbranch_execz .LBB54_449
	s_branch .LBB54_450
.LBB54_448:
                                        ; implicit-def: $vgpr114_vgpr115
.LBB54_449:
	ds_load_b64 v[114:115], v1
.LBB54_450:
	s_and_saveexec_b32 s11, s0
	s_cbranch_execz .LBB54_454
; %bb.451:
	v_add_nc_u32_e32 v116, -10, v0
	s_movk_i32 s12, 0x210
	s_mov_b32 s0, 0
.LBB54_452:                             ; =>This Inner Loop Header: Depth=1
	scratch_load_b64 v[118:119], off, s10
	v_dual_mov_b32 v117, s12 :: v_dual_add_nc_u32 v116, -1, v116
	s_add_co_i32 s12, s12, 8
	s_wait_xcnt 0x0
	s_add_co_i32 s10, s10, 8
	ds_load_b64 v[120:121], v117
	v_cmp_eq_u32_e32 vcc_lo, 0, v116
	s_or_b32 s0, vcc_lo, s0
	s_wait_loadcnt_dscnt 0x0
	v_pk_mul_f32 v[122:123], v[120:121], v[118:119] op_sel:[1,1] op_sel_hi:[0,1]
	s_delay_alu instid0(VALU_DEP_1) | instskip(SKIP_1) | instid1(VALU_DEP_2)
	v_pk_fma_f32 v[124:125], v[120:121], v[118:119], v[122:123] op_sel_hi:[1,0,1]
	v_pk_fma_f32 v[118:119], v[120:121], v[118:119], v[122:123] neg_lo:[0,0,1] neg_hi:[0,0,1]
	v_mov_b32_e32 v119, v125
	s_delay_alu instid0(VALU_DEP_1)
	v_pk_add_f32 v[114:115], v[114:115], v[118:119]
	s_and_not1_b32 exec_lo, exec_lo, s0
	s_cbranch_execnz .LBB54_452
; %bb.453:
	s_or_b32 exec_lo, exec_lo, s0
.LBB54_454:
	s_delay_alu instid0(SALU_CYCLE_1) | instskip(SKIP_4) | instid1(VALU_DEP_1)
	s_or_b32 exec_lo, exec_lo, s11
	v_mov_b32_e32 v116, 0
	ds_load_b64 v[116:117], v116 offset:72
	s_wait_dscnt 0x0
	v_pk_mul_f32 v[118:119], v[114:115], v[116:117] op_sel:[1,1] op_sel_hi:[0,1]
	v_pk_fma_f32 v[120:121], v[114:115], v[116:117], v[118:119] op_sel_hi:[1,0,1]
	v_pk_fma_f32 v[114:115], v[114:115], v[116:117], v[118:119] neg_lo:[0,0,1] neg_hi:[0,0,1]
	s_delay_alu instid0(VALU_DEP_2)
	v_mov_b32_e32 v115, v121
	scratch_store_b64 off, v[114:115], off offset:72
.LBB54_455:
	s_wait_xcnt 0x0
	s_or_b32 exec_lo, exec_lo, s2
	scratch_load_b64 v[114:115], off, off offset:64
	v_cmp_lt_u32_e64 s0, 8, v0
	s_wait_loadcnt 0x0
	ds_store_b64 v1, v[114:115]
	s_wait_storecnt_dscnt 0x0
	s_barrier_signal -1
	s_barrier_wait -1
	s_wait_xcnt 0x0
	s_and_saveexec_b32 s2, s0
	s_cbranch_execz .LBB54_465
; %bb.456:
	s_and_not1_b32 vcc_lo, exec_lo, s3
	s_cbranch_vccnz .LBB54_458
; %bb.457:
	scratch_load_b64 v[114:115], v37, off
	ds_load_b64 v[116:117], v1
	s_wait_loadcnt_dscnt 0x0
	v_pk_mul_f32 v[118:119], v[116:117], v[114:115] op_sel:[1,1] op_sel_hi:[0,1]
	s_delay_alu instid0(VALU_DEP_1) | instskip(SKIP_1) | instid1(VALU_DEP_2)
	v_pk_fma_f32 v[120:121], v[116:117], v[114:115], v[118:119] op_sel_hi:[1,0,1]
	v_pk_fma_f32 v[114:115], v[116:117], v[114:115], v[118:119] neg_lo:[0,0,1] neg_hi:[0,0,1]
	v_mov_b32_e32 v115, v121
	s_cbranch_execz .LBB54_459
	s_branch .LBB54_460
.LBB54_458:
                                        ; implicit-def: $vgpr114_vgpr115
.LBB54_459:
	ds_load_b64 v[114:115], v1
.LBB54_460:
	s_and_saveexec_b32 s10, s1
	s_cbranch_execz .LBB54_464
; %bb.461:
	v_add_nc_u32_e32 v116, -9, v0
	s_movk_i32 s1, 0x48
	s_movk_i32 s12, 0x208
	s_mov_b32 s11, 0
.LBB54_462:                             ; =>This Inner Loop Header: Depth=1
	scratch_load_b64 v[118:119], off, s1
	v_dual_mov_b32 v117, s12 :: v_dual_add_nc_u32 v116, -1, v116
	s_add_co_i32 s12, s12, 8
	s_wait_xcnt 0x0
	s_add_co_i32 s1, s1, 8
	ds_load_b64 v[120:121], v117
	v_cmp_eq_u32_e32 vcc_lo, 0, v116
	s_or_b32 s11, vcc_lo, s11
	s_wait_loadcnt_dscnt 0x0
	v_pk_mul_f32 v[122:123], v[120:121], v[118:119] op_sel:[1,1] op_sel_hi:[0,1]
	s_delay_alu instid0(VALU_DEP_1) | instskip(SKIP_1) | instid1(VALU_DEP_2)
	v_pk_fma_f32 v[124:125], v[120:121], v[118:119], v[122:123] op_sel_hi:[1,0,1]
	v_pk_fma_f32 v[118:119], v[120:121], v[118:119], v[122:123] neg_lo:[0,0,1] neg_hi:[0,0,1]
	v_mov_b32_e32 v119, v125
	s_delay_alu instid0(VALU_DEP_1)
	v_pk_add_f32 v[114:115], v[114:115], v[118:119]
	s_and_not1_b32 exec_lo, exec_lo, s11
	s_cbranch_execnz .LBB54_462
; %bb.463:
	s_or_b32 exec_lo, exec_lo, s11
.LBB54_464:
	s_delay_alu instid0(SALU_CYCLE_1) | instskip(SKIP_4) | instid1(VALU_DEP_1)
	s_or_b32 exec_lo, exec_lo, s10
	v_mov_b32_e32 v116, 0
	ds_load_b64 v[116:117], v116 offset:64
	s_wait_dscnt 0x0
	v_pk_mul_f32 v[118:119], v[114:115], v[116:117] op_sel:[1,1] op_sel_hi:[0,1]
	v_pk_fma_f32 v[120:121], v[114:115], v[116:117], v[118:119] op_sel_hi:[1,0,1]
	v_pk_fma_f32 v[114:115], v[114:115], v[116:117], v[118:119] neg_lo:[0,0,1] neg_hi:[0,0,1]
	s_delay_alu instid0(VALU_DEP_2)
	v_mov_b32_e32 v115, v121
	scratch_store_b64 off, v[114:115], off offset:64
.LBB54_465:
	s_wait_xcnt 0x0
	s_or_b32 exec_lo, exec_lo, s2
	scratch_load_b64 v[114:115], off, off offset:56
	v_cmp_lt_u32_e64 s1, 7, v0
	s_wait_loadcnt 0x0
	ds_store_b64 v1, v[114:115]
	s_wait_storecnt_dscnt 0x0
	s_barrier_signal -1
	s_barrier_wait -1
	s_wait_xcnt 0x0
	s_and_saveexec_b32 s2, s1
	s_cbranch_execz .LBB54_475
; %bb.466:
	s_and_not1_b32 vcc_lo, exec_lo, s3
	s_cbranch_vccnz .LBB54_468
; %bb.467:
	scratch_load_b64 v[114:115], v37, off
	ds_load_b64 v[116:117], v1
	s_wait_loadcnt_dscnt 0x0
	v_pk_mul_f32 v[118:119], v[116:117], v[114:115] op_sel:[1,1] op_sel_hi:[0,1]
	s_delay_alu instid0(VALU_DEP_1) | instskip(SKIP_1) | instid1(VALU_DEP_2)
	v_pk_fma_f32 v[120:121], v[116:117], v[114:115], v[118:119] op_sel_hi:[1,0,1]
	v_pk_fma_f32 v[114:115], v[116:117], v[114:115], v[118:119] neg_lo:[0,0,1] neg_hi:[0,0,1]
	v_mov_b32_e32 v115, v121
	s_cbranch_execz .LBB54_469
	s_branch .LBB54_470
.LBB54_468:
                                        ; implicit-def: $vgpr114_vgpr115
.LBB54_469:
	ds_load_b64 v[114:115], v1
.LBB54_470:
	s_and_saveexec_b32 s10, s0
	s_cbranch_execz .LBB54_474
; %bb.471:
	v_add_nc_u32_e32 v116, -8, v0
	s_movk_i32 s11, 0x200
	s_mov_b32 s0, 0
.LBB54_472:                             ; =>This Inner Loop Header: Depth=1
	scratch_load_b64 v[118:119], off, s9
	v_dual_mov_b32 v117, s11 :: v_dual_add_nc_u32 v116, -1, v116
	s_add_co_i32 s11, s11, 8
	s_wait_xcnt 0x0
	s_add_co_i32 s9, s9, 8
	ds_load_b64 v[120:121], v117
	v_cmp_eq_u32_e32 vcc_lo, 0, v116
	s_or_b32 s0, vcc_lo, s0
	s_wait_loadcnt_dscnt 0x0
	v_pk_mul_f32 v[122:123], v[120:121], v[118:119] op_sel:[1,1] op_sel_hi:[0,1]
	s_delay_alu instid0(VALU_DEP_1) | instskip(SKIP_1) | instid1(VALU_DEP_2)
	v_pk_fma_f32 v[124:125], v[120:121], v[118:119], v[122:123] op_sel_hi:[1,0,1]
	v_pk_fma_f32 v[118:119], v[120:121], v[118:119], v[122:123] neg_lo:[0,0,1] neg_hi:[0,0,1]
	v_mov_b32_e32 v119, v125
	s_delay_alu instid0(VALU_DEP_1)
	v_pk_add_f32 v[114:115], v[114:115], v[118:119]
	s_and_not1_b32 exec_lo, exec_lo, s0
	s_cbranch_execnz .LBB54_472
; %bb.473:
	s_or_b32 exec_lo, exec_lo, s0
.LBB54_474:
	s_delay_alu instid0(SALU_CYCLE_1) | instskip(SKIP_4) | instid1(VALU_DEP_1)
	s_or_b32 exec_lo, exec_lo, s10
	v_mov_b32_e32 v116, 0
	ds_load_b64 v[116:117], v116 offset:56
	s_wait_dscnt 0x0
	v_pk_mul_f32 v[118:119], v[114:115], v[116:117] op_sel:[1,1] op_sel_hi:[0,1]
	v_pk_fma_f32 v[120:121], v[114:115], v[116:117], v[118:119] op_sel_hi:[1,0,1]
	v_pk_fma_f32 v[114:115], v[114:115], v[116:117], v[118:119] neg_lo:[0,0,1] neg_hi:[0,0,1]
	s_delay_alu instid0(VALU_DEP_2)
	v_mov_b32_e32 v115, v121
	scratch_store_b64 off, v[114:115], off offset:56
.LBB54_475:
	s_wait_xcnt 0x0
	s_or_b32 exec_lo, exec_lo, s2
	scratch_load_b64 v[114:115], off, off offset:48
	v_cmp_lt_u32_e64 s0, 6, v0
	s_wait_loadcnt 0x0
	ds_store_b64 v1, v[114:115]
	s_wait_storecnt_dscnt 0x0
	s_barrier_signal -1
	s_barrier_wait -1
	s_wait_xcnt 0x0
	s_and_saveexec_b32 s2, s0
	s_cbranch_execz .LBB54_485
; %bb.476:
	s_and_not1_b32 vcc_lo, exec_lo, s3
	s_cbranch_vccnz .LBB54_478
; %bb.477:
	scratch_load_b64 v[114:115], v37, off
	ds_load_b64 v[116:117], v1
	s_wait_loadcnt_dscnt 0x0
	v_pk_mul_f32 v[118:119], v[116:117], v[114:115] op_sel:[1,1] op_sel_hi:[0,1]
	s_delay_alu instid0(VALU_DEP_1) | instskip(SKIP_1) | instid1(VALU_DEP_2)
	v_pk_fma_f32 v[120:121], v[116:117], v[114:115], v[118:119] op_sel_hi:[1,0,1]
	v_pk_fma_f32 v[114:115], v[116:117], v[114:115], v[118:119] neg_lo:[0,0,1] neg_hi:[0,0,1]
	v_mov_b32_e32 v115, v121
	s_cbranch_execz .LBB54_479
	s_branch .LBB54_480
.LBB54_478:
                                        ; implicit-def: $vgpr114_vgpr115
.LBB54_479:
	ds_load_b64 v[114:115], v1
.LBB54_480:
	s_and_saveexec_b32 s9, s1
	s_cbranch_execz .LBB54_484
; %bb.481:
	v_add_nc_u32_e32 v116, -7, v0
	s_mov_b32 s1, 56
	s_movk_i32 s11, 0x1f8
	s_mov_b32 s10, 0
.LBB54_482:                             ; =>This Inner Loop Header: Depth=1
	scratch_load_b64 v[118:119], off, s1
	v_dual_mov_b32 v117, s11 :: v_dual_add_nc_u32 v116, -1, v116
	s_add_co_i32 s11, s11, 8
	s_wait_xcnt 0x0
	s_add_co_i32 s1, s1, 8
	ds_load_b64 v[120:121], v117
	v_cmp_eq_u32_e32 vcc_lo, 0, v116
	s_or_b32 s10, vcc_lo, s10
	s_wait_loadcnt_dscnt 0x0
	v_pk_mul_f32 v[122:123], v[120:121], v[118:119] op_sel:[1,1] op_sel_hi:[0,1]
	s_delay_alu instid0(VALU_DEP_1) | instskip(SKIP_1) | instid1(VALU_DEP_2)
	v_pk_fma_f32 v[124:125], v[120:121], v[118:119], v[122:123] op_sel_hi:[1,0,1]
	v_pk_fma_f32 v[118:119], v[120:121], v[118:119], v[122:123] neg_lo:[0,0,1] neg_hi:[0,0,1]
	v_mov_b32_e32 v119, v125
	s_delay_alu instid0(VALU_DEP_1)
	v_pk_add_f32 v[114:115], v[114:115], v[118:119]
	s_and_not1_b32 exec_lo, exec_lo, s10
	s_cbranch_execnz .LBB54_482
; %bb.483:
	s_or_b32 exec_lo, exec_lo, s10
.LBB54_484:
	s_delay_alu instid0(SALU_CYCLE_1) | instskip(SKIP_4) | instid1(VALU_DEP_1)
	s_or_b32 exec_lo, exec_lo, s9
	v_mov_b32_e32 v116, 0
	ds_load_b64 v[116:117], v116 offset:48
	s_wait_dscnt 0x0
	v_pk_mul_f32 v[118:119], v[114:115], v[116:117] op_sel:[1,1] op_sel_hi:[0,1]
	v_pk_fma_f32 v[120:121], v[114:115], v[116:117], v[118:119] op_sel_hi:[1,0,1]
	v_pk_fma_f32 v[114:115], v[114:115], v[116:117], v[118:119] neg_lo:[0,0,1] neg_hi:[0,0,1]
	s_delay_alu instid0(VALU_DEP_2)
	v_mov_b32_e32 v115, v121
	scratch_store_b64 off, v[114:115], off offset:48
.LBB54_485:
	s_wait_xcnt 0x0
	s_or_b32 exec_lo, exec_lo, s2
	scratch_load_b64 v[114:115], off, off offset:40
	v_cmp_lt_u32_e64 s1, 5, v0
	s_wait_loadcnt 0x0
	ds_store_b64 v1, v[114:115]
	s_wait_storecnt_dscnt 0x0
	s_barrier_signal -1
	s_barrier_wait -1
	s_wait_xcnt 0x0
	s_and_saveexec_b32 s2, s1
	s_cbranch_execz .LBB54_495
; %bb.486:
	s_and_not1_b32 vcc_lo, exec_lo, s3
	s_cbranch_vccnz .LBB54_488
; %bb.487:
	scratch_load_b64 v[114:115], v37, off
	ds_load_b64 v[116:117], v1
	s_wait_loadcnt_dscnt 0x0
	v_pk_mul_f32 v[118:119], v[116:117], v[114:115] op_sel:[1,1] op_sel_hi:[0,1]
	s_delay_alu instid0(VALU_DEP_1) | instskip(SKIP_1) | instid1(VALU_DEP_2)
	v_pk_fma_f32 v[120:121], v[116:117], v[114:115], v[118:119] op_sel_hi:[1,0,1]
	v_pk_fma_f32 v[114:115], v[116:117], v[114:115], v[118:119] neg_lo:[0,0,1] neg_hi:[0,0,1]
	v_mov_b32_e32 v115, v121
	s_cbranch_execz .LBB54_489
	s_branch .LBB54_490
.LBB54_488:
                                        ; implicit-def: $vgpr114_vgpr115
.LBB54_489:
	ds_load_b64 v[114:115], v1
.LBB54_490:
	s_and_saveexec_b32 s9, s0
	s_cbranch_execz .LBB54_494
; %bb.491:
	v_add_nc_u32_e32 v116, -6, v0
	s_movk_i32 s10, 0x1f0
	s_mov_b32 s0, 0
.LBB54_492:                             ; =>This Inner Loop Header: Depth=1
	scratch_load_b64 v[118:119], off, s8
	v_dual_mov_b32 v117, s10 :: v_dual_add_nc_u32 v116, -1, v116
	s_add_co_i32 s10, s10, 8
	s_wait_xcnt 0x0
	s_add_co_i32 s8, s8, 8
	ds_load_b64 v[120:121], v117
	v_cmp_eq_u32_e32 vcc_lo, 0, v116
	s_or_b32 s0, vcc_lo, s0
	s_wait_loadcnt_dscnt 0x0
	v_pk_mul_f32 v[122:123], v[120:121], v[118:119] op_sel:[1,1] op_sel_hi:[0,1]
	s_delay_alu instid0(VALU_DEP_1) | instskip(SKIP_1) | instid1(VALU_DEP_2)
	v_pk_fma_f32 v[124:125], v[120:121], v[118:119], v[122:123] op_sel_hi:[1,0,1]
	v_pk_fma_f32 v[118:119], v[120:121], v[118:119], v[122:123] neg_lo:[0,0,1] neg_hi:[0,0,1]
	v_mov_b32_e32 v119, v125
	s_delay_alu instid0(VALU_DEP_1)
	v_pk_add_f32 v[114:115], v[114:115], v[118:119]
	s_and_not1_b32 exec_lo, exec_lo, s0
	s_cbranch_execnz .LBB54_492
; %bb.493:
	s_or_b32 exec_lo, exec_lo, s0
.LBB54_494:
	s_delay_alu instid0(SALU_CYCLE_1) | instskip(SKIP_4) | instid1(VALU_DEP_1)
	s_or_b32 exec_lo, exec_lo, s9
	v_mov_b32_e32 v116, 0
	ds_load_b64 v[116:117], v116 offset:40
	s_wait_dscnt 0x0
	v_pk_mul_f32 v[118:119], v[114:115], v[116:117] op_sel:[1,1] op_sel_hi:[0,1]
	v_pk_fma_f32 v[120:121], v[114:115], v[116:117], v[118:119] op_sel_hi:[1,0,1]
	v_pk_fma_f32 v[114:115], v[114:115], v[116:117], v[118:119] neg_lo:[0,0,1] neg_hi:[0,0,1]
	s_delay_alu instid0(VALU_DEP_2)
	v_mov_b32_e32 v115, v121
	scratch_store_b64 off, v[114:115], off offset:40
.LBB54_495:
	s_wait_xcnt 0x0
	s_or_b32 exec_lo, exec_lo, s2
	scratch_load_b64 v[114:115], off, off offset:32
	v_cmp_lt_u32_e64 s0, 4, v0
	s_wait_loadcnt 0x0
	ds_store_b64 v1, v[114:115]
	s_wait_storecnt_dscnt 0x0
	s_barrier_signal -1
	s_barrier_wait -1
	s_wait_xcnt 0x0
	s_and_saveexec_b32 s2, s0
	s_cbranch_execz .LBB54_505
; %bb.496:
	s_and_not1_b32 vcc_lo, exec_lo, s3
	s_cbranch_vccnz .LBB54_498
; %bb.497:
	scratch_load_b64 v[114:115], v37, off
	ds_load_b64 v[116:117], v1
	s_wait_loadcnt_dscnt 0x0
	v_pk_mul_f32 v[118:119], v[116:117], v[114:115] op_sel:[1,1] op_sel_hi:[0,1]
	s_delay_alu instid0(VALU_DEP_1) | instskip(SKIP_1) | instid1(VALU_DEP_2)
	v_pk_fma_f32 v[120:121], v[116:117], v[114:115], v[118:119] op_sel_hi:[1,0,1]
	v_pk_fma_f32 v[114:115], v[116:117], v[114:115], v[118:119] neg_lo:[0,0,1] neg_hi:[0,0,1]
	v_mov_b32_e32 v115, v121
	s_cbranch_execz .LBB54_499
	s_branch .LBB54_500
.LBB54_498:
                                        ; implicit-def: $vgpr114_vgpr115
.LBB54_499:
	ds_load_b64 v[114:115], v1
.LBB54_500:
	s_and_saveexec_b32 s8, s1
	s_cbranch_execz .LBB54_504
; %bb.501:
	v_add_nc_u32_e32 v116, -5, v0
	s_mov_b32 s1, 40
	s_movk_i32 s10, 0x1e8
	s_mov_b32 s9, 0
.LBB54_502:                             ; =>This Inner Loop Header: Depth=1
	scratch_load_b64 v[118:119], off, s1
	v_dual_mov_b32 v117, s10 :: v_dual_add_nc_u32 v116, -1, v116
	s_add_co_i32 s10, s10, 8
	s_wait_xcnt 0x0
	s_add_co_i32 s1, s1, 8
	ds_load_b64 v[120:121], v117
	v_cmp_eq_u32_e32 vcc_lo, 0, v116
	s_or_b32 s9, vcc_lo, s9
	s_wait_loadcnt_dscnt 0x0
	v_pk_mul_f32 v[122:123], v[120:121], v[118:119] op_sel:[1,1] op_sel_hi:[0,1]
	s_delay_alu instid0(VALU_DEP_1) | instskip(SKIP_1) | instid1(VALU_DEP_2)
	v_pk_fma_f32 v[124:125], v[120:121], v[118:119], v[122:123] op_sel_hi:[1,0,1]
	v_pk_fma_f32 v[118:119], v[120:121], v[118:119], v[122:123] neg_lo:[0,0,1] neg_hi:[0,0,1]
	v_mov_b32_e32 v119, v125
	s_delay_alu instid0(VALU_DEP_1)
	v_pk_add_f32 v[114:115], v[114:115], v[118:119]
	s_and_not1_b32 exec_lo, exec_lo, s9
	s_cbranch_execnz .LBB54_502
; %bb.503:
	s_or_b32 exec_lo, exec_lo, s9
.LBB54_504:
	s_delay_alu instid0(SALU_CYCLE_1) | instskip(SKIP_4) | instid1(VALU_DEP_1)
	s_or_b32 exec_lo, exec_lo, s8
	v_mov_b32_e32 v116, 0
	ds_load_b64 v[116:117], v116 offset:32
	s_wait_dscnt 0x0
	v_pk_mul_f32 v[118:119], v[114:115], v[116:117] op_sel:[1,1] op_sel_hi:[0,1]
	v_pk_fma_f32 v[120:121], v[114:115], v[116:117], v[118:119] op_sel_hi:[1,0,1]
	v_pk_fma_f32 v[114:115], v[114:115], v[116:117], v[118:119] neg_lo:[0,0,1] neg_hi:[0,0,1]
	s_delay_alu instid0(VALU_DEP_2)
	v_mov_b32_e32 v115, v121
	scratch_store_b64 off, v[114:115], off offset:32
.LBB54_505:
	s_wait_xcnt 0x0
	s_or_b32 exec_lo, exec_lo, s2
	scratch_load_b64 v[114:115], off, off offset:24
	v_cmp_lt_u32_e64 s2, 3, v0
	s_wait_loadcnt 0x0
	ds_store_b64 v1, v[114:115]
	s_wait_storecnt_dscnt 0x0
	s_barrier_signal -1
	s_barrier_wait -1
	s_wait_xcnt 0x0
	s_and_saveexec_b32 s1, s2
	s_cbranch_execz .LBB54_515
; %bb.506:
	s_and_not1_b32 vcc_lo, exec_lo, s3
	s_cbranch_vccnz .LBB54_508
; %bb.507:
	scratch_load_b64 v[114:115], v37, off
	ds_load_b64 v[116:117], v1
	s_wait_loadcnt_dscnt 0x0
	v_pk_mul_f32 v[118:119], v[116:117], v[114:115] op_sel:[1,1] op_sel_hi:[0,1]
	s_delay_alu instid0(VALU_DEP_1) | instskip(SKIP_1) | instid1(VALU_DEP_2)
	v_pk_fma_f32 v[120:121], v[116:117], v[114:115], v[118:119] op_sel_hi:[1,0,1]
	v_pk_fma_f32 v[114:115], v[116:117], v[114:115], v[118:119] neg_lo:[0,0,1] neg_hi:[0,0,1]
	v_mov_b32_e32 v115, v121
	s_cbranch_execz .LBB54_509
	s_branch .LBB54_510
.LBB54_508:
                                        ; implicit-def: $vgpr114_vgpr115
.LBB54_509:
	ds_load_b64 v[114:115], v1
.LBB54_510:
	s_and_saveexec_b32 s8, s0
	s_cbranch_execz .LBB54_514
; %bb.511:
	v_add_nc_u32_e32 v116, -4, v0
	s_movk_i32 s9, 0x1e0
	s_mov_b32 s0, 0
.LBB54_512:                             ; =>This Inner Loop Header: Depth=1
	scratch_load_b64 v[118:119], off, s5
	v_dual_mov_b32 v117, s9 :: v_dual_add_nc_u32 v116, -1, v116
	s_add_co_i32 s9, s9, 8
	s_wait_xcnt 0x0
	s_add_co_i32 s5, s5, 8
	ds_load_b64 v[120:121], v117
	v_cmp_eq_u32_e32 vcc_lo, 0, v116
	s_or_b32 s0, vcc_lo, s0
	s_wait_loadcnt_dscnt 0x0
	v_pk_mul_f32 v[122:123], v[120:121], v[118:119] op_sel:[1,1] op_sel_hi:[0,1]
	s_delay_alu instid0(VALU_DEP_1) | instskip(SKIP_1) | instid1(VALU_DEP_2)
	v_pk_fma_f32 v[124:125], v[120:121], v[118:119], v[122:123] op_sel_hi:[1,0,1]
	v_pk_fma_f32 v[118:119], v[120:121], v[118:119], v[122:123] neg_lo:[0,0,1] neg_hi:[0,0,1]
	v_mov_b32_e32 v119, v125
	s_delay_alu instid0(VALU_DEP_1)
	v_pk_add_f32 v[114:115], v[114:115], v[118:119]
	s_and_not1_b32 exec_lo, exec_lo, s0
	s_cbranch_execnz .LBB54_512
; %bb.513:
	s_or_b32 exec_lo, exec_lo, s0
.LBB54_514:
	s_delay_alu instid0(SALU_CYCLE_1) | instskip(SKIP_4) | instid1(VALU_DEP_1)
	s_or_b32 exec_lo, exec_lo, s8
	v_mov_b32_e32 v116, 0
	ds_load_b64 v[116:117], v116 offset:24
	s_wait_dscnt 0x0
	v_pk_mul_f32 v[118:119], v[114:115], v[116:117] op_sel:[1,1] op_sel_hi:[0,1]
	v_pk_fma_f32 v[120:121], v[114:115], v[116:117], v[118:119] op_sel_hi:[1,0,1]
	v_pk_fma_f32 v[114:115], v[114:115], v[116:117], v[118:119] neg_lo:[0,0,1] neg_hi:[0,0,1]
	s_delay_alu instid0(VALU_DEP_2)
	v_mov_b32_e32 v115, v121
	scratch_store_b64 off, v[114:115], off offset:24
.LBB54_515:
	s_wait_xcnt 0x0
	s_or_b32 exec_lo, exec_lo, s1
	scratch_load_b64 v[114:115], off, off offset:16
	v_cmp_lt_u32_e64 s1, 2, v0
	s_wait_loadcnt 0x0
	ds_store_b64 v1, v[114:115]
	s_wait_storecnt_dscnt 0x0
	s_barrier_signal -1
	s_barrier_wait -1
	s_wait_xcnt 0x0
	s_and_saveexec_b32 s0, s1
	s_cbranch_execz .LBB54_525
; %bb.516:
	s_and_not1_b32 vcc_lo, exec_lo, s3
	s_cbranch_vccnz .LBB54_518
; %bb.517:
	scratch_load_b64 v[114:115], v37, off
	ds_load_b64 v[116:117], v1
	s_wait_loadcnt_dscnt 0x0
	v_pk_mul_f32 v[118:119], v[116:117], v[114:115] op_sel:[1,1] op_sel_hi:[0,1]
	s_delay_alu instid0(VALU_DEP_1) | instskip(SKIP_1) | instid1(VALU_DEP_2)
	v_pk_fma_f32 v[120:121], v[116:117], v[114:115], v[118:119] op_sel_hi:[1,0,1]
	v_pk_fma_f32 v[114:115], v[116:117], v[114:115], v[118:119] neg_lo:[0,0,1] neg_hi:[0,0,1]
	v_mov_b32_e32 v115, v121
	s_cbranch_execz .LBB54_519
	s_branch .LBB54_520
.LBB54_518:
                                        ; implicit-def: $vgpr114_vgpr115
.LBB54_519:
	ds_load_b64 v[114:115], v1
.LBB54_520:
	s_and_saveexec_b32 s5, s2
	s_cbranch_execz .LBB54_524
; %bb.521:
	v_add_nc_u32_e32 v116, -3, v0
	s_mov_b32 s2, 24
	s_movk_i32 s9, 0x1d8
	s_mov_b32 s8, 0
.LBB54_522:                             ; =>This Inner Loop Header: Depth=1
	scratch_load_b64 v[118:119], off, s2
	v_dual_mov_b32 v117, s9 :: v_dual_add_nc_u32 v116, -1, v116
	s_add_co_i32 s9, s9, 8
	s_wait_xcnt 0x0
	s_add_co_i32 s2, s2, 8
	ds_load_b64 v[120:121], v117
	v_cmp_eq_u32_e32 vcc_lo, 0, v116
	s_or_b32 s8, vcc_lo, s8
	s_wait_loadcnt_dscnt 0x0
	v_pk_mul_f32 v[122:123], v[120:121], v[118:119] op_sel:[1,1] op_sel_hi:[0,1]
	s_delay_alu instid0(VALU_DEP_1) | instskip(SKIP_1) | instid1(VALU_DEP_2)
	v_pk_fma_f32 v[124:125], v[120:121], v[118:119], v[122:123] op_sel_hi:[1,0,1]
	v_pk_fma_f32 v[118:119], v[120:121], v[118:119], v[122:123] neg_lo:[0,0,1] neg_hi:[0,0,1]
	v_mov_b32_e32 v119, v125
	s_delay_alu instid0(VALU_DEP_1)
	v_pk_add_f32 v[114:115], v[114:115], v[118:119]
	s_and_not1_b32 exec_lo, exec_lo, s8
	s_cbranch_execnz .LBB54_522
; %bb.523:
	s_or_b32 exec_lo, exec_lo, s8
.LBB54_524:
	s_delay_alu instid0(SALU_CYCLE_1) | instskip(SKIP_4) | instid1(VALU_DEP_1)
	s_or_b32 exec_lo, exec_lo, s5
	v_mov_b32_e32 v116, 0
	ds_load_b64 v[116:117], v116 offset:16
	s_wait_dscnt 0x0
	v_pk_mul_f32 v[118:119], v[114:115], v[116:117] op_sel:[1,1] op_sel_hi:[0,1]
	v_pk_fma_f32 v[120:121], v[114:115], v[116:117], v[118:119] op_sel_hi:[1,0,1]
	v_pk_fma_f32 v[114:115], v[114:115], v[116:117], v[118:119] neg_lo:[0,0,1] neg_hi:[0,0,1]
	s_delay_alu instid0(VALU_DEP_2)
	v_mov_b32_e32 v115, v121
	scratch_store_b64 off, v[114:115], off offset:16
.LBB54_525:
	s_wait_xcnt 0x0
	s_or_b32 exec_lo, exec_lo, s0
	scratch_load_b64 v[114:115], off, off offset:8
	v_cmp_lt_u32_e64 s0, 1, v0
	s_wait_loadcnt 0x0
	ds_store_b64 v1, v[114:115]
	s_wait_storecnt_dscnt 0x0
	s_barrier_signal -1
	s_barrier_wait -1
	s_wait_xcnt 0x0
	s_and_saveexec_b32 s2, s0
	s_cbranch_execz .LBB54_535
; %bb.526:
	s_and_not1_b32 vcc_lo, exec_lo, s3
	s_cbranch_vccnz .LBB54_528
; %bb.527:
	scratch_load_b64 v[114:115], v37, off
	ds_load_b64 v[116:117], v1
	s_wait_loadcnt_dscnt 0x0
	v_pk_mul_f32 v[118:119], v[116:117], v[114:115] op_sel:[1,1] op_sel_hi:[0,1]
	s_delay_alu instid0(VALU_DEP_1) | instskip(SKIP_1) | instid1(VALU_DEP_2)
	v_pk_fma_f32 v[120:121], v[116:117], v[114:115], v[118:119] op_sel_hi:[1,0,1]
	v_pk_fma_f32 v[114:115], v[116:117], v[114:115], v[118:119] neg_lo:[0,0,1] neg_hi:[0,0,1]
	v_mov_b32_e32 v115, v121
	s_cbranch_execz .LBB54_529
	s_branch .LBB54_530
.LBB54_528:
                                        ; implicit-def: $vgpr114_vgpr115
.LBB54_529:
	ds_load_b64 v[114:115], v1
.LBB54_530:
	s_and_saveexec_b32 s5, s1
	s_cbranch_execz .LBB54_534
; %bb.531:
	v_add_nc_u32_e32 v116, -2, v0
	s_movk_i32 s8, 0x1d0
	s_mov_b32 s1, 0
.LBB54_532:                             ; =>This Inner Loop Header: Depth=1
	scratch_load_b64 v[118:119], off, s4
	v_dual_mov_b32 v117, s8 :: v_dual_add_nc_u32 v116, -1, v116
	s_add_co_i32 s8, s8, 8
	s_wait_xcnt 0x0
	s_add_co_i32 s4, s4, 8
	ds_load_b64 v[120:121], v117
	v_cmp_eq_u32_e32 vcc_lo, 0, v116
	s_or_b32 s1, vcc_lo, s1
	s_wait_loadcnt_dscnt 0x0
	v_pk_mul_f32 v[122:123], v[120:121], v[118:119] op_sel:[1,1] op_sel_hi:[0,1]
	s_delay_alu instid0(VALU_DEP_1) | instskip(SKIP_1) | instid1(VALU_DEP_2)
	v_pk_fma_f32 v[124:125], v[120:121], v[118:119], v[122:123] op_sel_hi:[1,0,1]
	v_pk_fma_f32 v[118:119], v[120:121], v[118:119], v[122:123] neg_lo:[0,0,1] neg_hi:[0,0,1]
	v_mov_b32_e32 v119, v125
	s_delay_alu instid0(VALU_DEP_1)
	v_pk_add_f32 v[114:115], v[114:115], v[118:119]
	s_and_not1_b32 exec_lo, exec_lo, s1
	s_cbranch_execnz .LBB54_532
; %bb.533:
	s_or_b32 exec_lo, exec_lo, s1
.LBB54_534:
	s_delay_alu instid0(SALU_CYCLE_1) | instskip(SKIP_4) | instid1(VALU_DEP_1)
	s_or_b32 exec_lo, exec_lo, s5
	v_mov_b32_e32 v116, 0
	ds_load_b64 v[116:117], v116 offset:8
	s_wait_dscnt 0x0
	v_pk_mul_f32 v[118:119], v[114:115], v[116:117] op_sel:[1,1] op_sel_hi:[0,1]
	v_pk_fma_f32 v[120:121], v[114:115], v[116:117], v[118:119] op_sel_hi:[1,0,1]
	v_pk_fma_f32 v[114:115], v[114:115], v[116:117], v[118:119] neg_lo:[0,0,1] neg_hi:[0,0,1]
	s_delay_alu instid0(VALU_DEP_2)
	v_mov_b32_e32 v115, v121
	scratch_store_b64 off, v[114:115], off offset:8
.LBB54_535:
	s_wait_xcnt 0x0
	s_or_b32 exec_lo, exec_lo, s2
	scratch_load_b64 v[114:115], off, off
	s_mov_b32 s2, 0
	s_mov_b32 s1, 0
	s_mov_b32 s5, exec_lo
                                        ; implicit-def: $vgpr150
                                        ; implicit-def: $sgpr4
	s_wait_loadcnt 0x0
	ds_store_b64 v1, v[114:115]
	s_wait_storecnt_dscnt 0x0
	s_barrier_signal -1
	s_barrier_wait -1
	s_wait_xcnt 0x0
	v_cmpx_ne_u32_e32 0, v0
	s_cbranch_execz .LBB54_545
; %bb.536:
	s_and_not1_b32 vcc_lo, exec_lo, s3
	s_cbranch_vccnz .LBB54_538
; %bb.537:
	scratch_load_b64 v[116:117], v37, off
	ds_load_b64 v[118:119], v1
	s_wait_loadcnt_dscnt 0x0
	v_dual_mul_f32 v114, v119, v117 :: v_dual_mul_f32 v115, v118, v117
	s_delay_alu instid0(VALU_DEP_1)
	v_dual_fma_f32 v114, v118, v116, -v114 :: v_dual_fmac_f32 v115, v119, v116
	s_and_not1_b32 vcc_lo, exec_lo, s1
	s_cbranch_vccz .LBB54_539
	s_branch .LBB54_540
.LBB54_538:
                                        ; implicit-def: $vgpr114
.LBB54_539:
	ds_load_b64 v[114:115], v1
.LBB54_540:
	s_and_saveexec_b32 s1, s0
	s_cbranch_execz .LBB54_544
; %bb.541:
	v_add_nc_u32_e32 v116, -1, v0
	s_or_b32 s0, 0, 8
	s_movk_i32 s8, 0x1c8
	s_mov_b32 s4, 0
.LBB54_542:                             ; =>This Inner Loop Header: Depth=1
	scratch_load_b64 v[118:119], off, s0
	v_mov_b32_e32 v117, s8
	s_add_co_i32 s8, s8, 8
	s_wait_xcnt 0x0
	s_add_co_i32 s0, s0, 8
	v_add_nc_u32_e32 v116, -1, v116
	ds_load_b64 v[120:121], v117
	v_cmp_eq_u32_e32 vcc_lo, 0, v116
	s_or_b32 s4, vcc_lo, s4
	s_wait_loadcnt_dscnt 0x0
	v_dual_mul_f32 v117, v121, v119 :: v_dual_mul_f32 v119, v120, v119
	s_delay_alu instid0(VALU_DEP_1) | instskip(NEXT) | instid1(VALU_DEP_1)
	v_dual_fma_f32 v117, v120, v118, -v117 :: v_dual_fmac_f32 v119, v121, v118
	v_dual_add_f32 v114, v114, v117 :: v_dual_add_f32 v115, v115, v119
	s_and_not1_b32 exec_lo, exec_lo, s4
	s_cbranch_execnz .LBB54_542
; %bb.543:
	s_or_b32 exec_lo, exec_lo, s4
.LBB54_544:
	s_delay_alu instid0(SALU_CYCLE_1)
	s_or_b32 exec_lo, exec_lo, s1
	v_mov_b32_e32 v116, 0
	s_mov_b32 s1, exec_lo
	s_or_b32 s4, 0, 4
	ds_load_b64 v[116:117], v116
	s_wait_dscnt 0x0
	v_dual_mul_f32 v118, v115, v117 :: v_dual_mul_f32 v150, v114, v117
	s_delay_alu instid0(VALU_DEP_1) | instskip(NEXT) | instid1(VALU_DEP_2)
	v_fma_f32 v114, v114, v116, -v118
	v_fmac_f32_e32 v150, v115, v116
	scratch_store_b32 off, v114, off
.LBB54_545:
	s_wait_xcnt 0x0
	s_or_b32 exec_lo, exec_lo, s5
	s_delay_alu instid0(SALU_CYCLE_1)
	s_and_b32 vcc_lo, exec_lo, s2
	s_cbranch_vccz .LBB54_1081
.LBB54_546:
	scratch_load_b64 v[114:115], off, off offset:8
	v_cmp_eq_u32_e64 s0, 0, v0
	s_wait_loadcnt 0x0
	ds_store_b64 v1, v[114:115]
	s_wait_storecnt_dscnt 0x0
	s_barrier_signal -1
	s_barrier_wait -1
	s_wait_xcnt 0x0
	s_and_saveexec_b32 s2, s0
	s_cbranch_execz .LBB54_552
; %bb.547:
	s_and_b32 vcc_lo, exec_lo, s3
	s_cbranch_vccz .LBB54_549
; %bb.548:
	scratch_load_b64 v[114:115], v37, off
	ds_load_b64 v[116:117], v1
	s_wait_loadcnt_dscnt 0x0
	v_pk_mul_f32 v[118:119], v[116:117], v[114:115] op_sel:[1,1] op_sel_hi:[0,1]
	v_pk_mul_f32 v[120:121], v[116:117], v[114:115] op_sel_hi:[1,0]
	s_delay_alu instid0(VALU_DEP_2) | instskip(NEXT) | instid1(VALU_DEP_2)
	v_pk_fma_f32 v[114:115], v[116:117], v[114:115], v[118:119] op_sel_hi:[1,0,1]
	v_sub_f32_e32 v114, v120, v118
	s_cbranch_execz .LBB54_550
	s_branch .LBB54_551
.LBB54_549:
                                        ; implicit-def: $vgpr115
.LBB54_550:
	ds_load_b64 v[114:115], v1
.LBB54_551:
	s_wait_dscnt 0x0
	v_dual_mov_b32 v116, 0 :: v_dual_mov_b32 v118, v115
	v_mov_b32_e32 v119, v114
	ds_load_b64 v[116:117], v116 offset:8
	s_wait_dscnt 0x0
	v_pk_mul_f32 v[118:119], v[118:119], v[116:117] op_sel:[0,1]
	s_delay_alu instid0(VALU_DEP_1) | instskip(SKIP_1) | instid1(VALU_DEP_2)
	v_pk_fma_f32 v[120:121], v[114:115], v[116:117], v[118:119] op_sel_hi:[1,0,1]
	v_pk_fma_f32 v[114:115], v[114:115], v[116:117], v[118:119] neg_lo:[0,0,1] neg_hi:[0,0,1]
	v_mov_b32_e32 v115, v121
	scratch_store_b64 off, v[114:115], off offset:8
.LBB54_552:
	s_wait_xcnt 0x0
	s_or_b32 exec_lo, exec_lo, s2
	scratch_load_b64 v[114:115], off, off offset:16
	v_cndmask_b32_e64 v116, 0, 1, s3
	s_mov_b32 s2, exec_lo
	s_wait_loadcnt 0x0
	ds_store_b64 v1, v[114:115]
	s_wait_storecnt_dscnt 0x0
	s_barrier_signal -1
	s_barrier_wait -1
	s_wait_xcnt 0x0
	v_cmpx_gt_u32_e32 2, v0
	s_cbranch_execz .LBB54_560
; %bb.553:
	s_and_not1_b32 vcc_lo, exec_lo, s3
	s_cbranch_vccnz .LBB54_555
; %bb.554:
	scratch_load_b64 v[114:115], v37, off
	ds_load_b64 v[118:119], v1
	s_wait_loadcnt_dscnt 0x0
	v_pk_mul_f32 v[120:121], v[118:119], v[114:115] op_sel:[1,1] op_sel_hi:[0,1]
	s_delay_alu instid0(VALU_DEP_1) | instskip(SKIP_1) | instid1(VALU_DEP_2)
	v_pk_fma_f32 v[122:123], v[118:119], v[114:115], v[120:121] op_sel_hi:[1,0,1]
	v_pk_fma_f32 v[114:115], v[118:119], v[114:115], v[120:121] neg_lo:[0,0,1] neg_hi:[0,0,1]
	v_mov_b32_e32 v115, v123
	s_cbranch_execz .LBB54_556
	s_branch .LBB54_557
.LBB54_555:
                                        ; implicit-def: $vgpr114_vgpr115
.LBB54_556:
	ds_load_b64 v[114:115], v1
.LBB54_557:
	s_and_saveexec_b32 s3, s0
	s_cbranch_execz .LBB54_559
; %bb.558:
	scratch_load_b64 v[118:119], off, off offset:8
	v_mov_b32_e32 v117, 0
	ds_load_b64 v[120:121], v117 offset:456
	s_wait_loadcnt_dscnt 0x0
	v_pk_mul_f32 v[122:123], v[120:121], v[118:119] op_sel:[1,1] op_sel_hi:[0,1]
	s_delay_alu instid0(VALU_DEP_1) | instskip(SKIP_1) | instid1(VALU_DEP_2)
	v_pk_fma_f32 v[124:125], v[120:121], v[118:119], v[122:123] op_sel_hi:[1,0,1]
	v_pk_fma_f32 v[118:119], v[120:121], v[118:119], v[122:123] neg_lo:[0,0,1] neg_hi:[0,0,1]
	v_mov_b32_e32 v119, v125
	s_delay_alu instid0(VALU_DEP_1)
	v_pk_add_f32 v[114:115], v[114:115], v[118:119]
.LBB54_559:
	s_or_b32 exec_lo, exec_lo, s3
	v_mov_b32_e32 v117, 0
	ds_load_b64 v[118:119], v117 offset:16
	s_wait_dscnt 0x0
	v_pk_mul_f32 v[120:121], v[114:115], v[118:119] op_sel:[1,1] op_sel_hi:[0,1]
	s_delay_alu instid0(VALU_DEP_1) | instskip(SKIP_1) | instid1(VALU_DEP_2)
	v_pk_fma_f32 v[122:123], v[114:115], v[118:119], v[120:121] op_sel_hi:[1,0,1]
	v_pk_fma_f32 v[114:115], v[114:115], v[118:119], v[120:121] neg_lo:[0,0,1] neg_hi:[0,0,1]
	v_mov_b32_e32 v115, v123
	scratch_store_b64 off, v[114:115], off offset:16
.LBB54_560:
	s_wait_xcnt 0x0
	s_or_b32 exec_lo, exec_lo, s2
	scratch_load_b64 v[114:115], off, off offset:24
	s_mov_b32 s2, exec_lo
	s_wait_loadcnt 0x0
	ds_store_b64 v1, v[114:115]
	s_wait_storecnt_dscnt 0x0
	s_barrier_signal -1
	s_barrier_wait -1
	s_wait_xcnt 0x0
	v_cmpx_gt_u32_e32 3, v0
	s_cbranch_execz .LBB54_570
; %bb.561:
	v_cmp_ne_u32_e32 vcc_lo, 1, v116
	s_cbranch_vccnz .LBB54_563
; %bb.562:
	scratch_load_b64 v[114:115], v37, off
	ds_load_b64 v[118:119], v1
	s_wait_loadcnt_dscnt 0x0
	v_pk_mul_f32 v[120:121], v[118:119], v[114:115] op_sel:[1,1] op_sel_hi:[0,1]
	s_delay_alu instid0(VALU_DEP_1) | instskip(SKIP_1) | instid1(VALU_DEP_2)
	v_pk_fma_f32 v[122:123], v[118:119], v[114:115], v[120:121] op_sel_hi:[1,0,1]
	v_pk_fma_f32 v[114:115], v[118:119], v[114:115], v[120:121] neg_lo:[0,0,1] neg_hi:[0,0,1]
	v_mov_b32_e32 v115, v123
	s_cbranch_execz .LBB54_564
	s_branch .LBB54_565
.LBB54_563:
                                        ; implicit-def: $vgpr114_vgpr115
.LBB54_564:
	ds_load_b64 v[114:115], v1
.LBB54_565:
	s_mov_b32 s3, exec_lo
	v_cmpx_ne_u32_e32 2, v0
	s_cbranch_execz .LBB54_569
; %bb.566:
	scratch_load_b64 v[118:119], v37, off offset:8
	ds_load_b64 v[120:121], v1 offset:8
	s_wait_loadcnt_dscnt 0x0
	v_pk_mul_f32 v[122:123], v[120:121], v[118:119] op_sel:[1,1] op_sel_hi:[0,1]
	s_delay_alu instid0(VALU_DEP_1) | instskip(SKIP_1) | instid1(VALU_DEP_2)
	v_pk_fma_f32 v[124:125], v[120:121], v[118:119], v[122:123] op_sel_hi:[1,0,1]
	v_pk_fma_f32 v[118:119], v[120:121], v[118:119], v[122:123] neg_lo:[0,0,1] neg_hi:[0,0,1]
	v_mov_b32_e32 v119, v125
	s_delay_alu instid0(VALU_DEP_1)
	v_pk_add_f32 v[114:115], v[114:115], v[118:119]
	s_and_saveexec_b32 s4, s0
	s_cbranch_execz .LBB54_568
; %bb.567:
	scratch_load_b64 v[118:119], off, off offset:16
	v_mov_b32_e32 v117, 0
	ds_load_b64 v[120:121], v117 offset:464
	s_wait_loadcnt_dscnt 0x0
	v_pk_mul_f32 v[122:123], v[120:121], v[118:119] op_sel:[1,1] op_sel_hi:[0,1]
	s_delay_alu instid0(VALU_DEP_1) | instskip(SKIP_1) | instid1(VALU_DEP_2)
	v_pk_fma_f32 v[124:125], v[120:121], v[118:119], v[122:123] op_sel_hi:[1,0,1]
	v_pk_fma_f32 v[118:119], v[120:121], v[118:119], v[122:123] neg_lo:[0,0,1] neg_hi:[0,0,1]
	v_mov_b32_e32 v119, v125
	s_delay_alu instid0(VALU_DEP_1)
	v_pk_add_f32 v[114:115], v[114:115], v[118:119]
.LBB54_568:
	s_or_b32 exec_lo, exec_lo, s4
.LBB54_569:
	s_delay_alu instid0(SALU_CYCLE_1) | instskip(SKIP_4) | instid1(VALU_DEP_1)
	s_or_b32 exec_lo, exec_lo, s3
	v_mov_b32_e32 v117, 0
	ds_load_b64 v[118:119], v117 offset:24
	s_wait_dscnt 0x0
	v_pk_mul_f32 v[120:121], v[114:115], v[118:119] op_sel:[1,1] op_sel_hi:[0,1]
	v_pk_fma_f32 v[122:123], v[114:115], v[118:119], v[120:121] op_sel_hi:[1,0,1]
	v_pk_fma_f32 v[114:115], v[114:115], v[118:119], v[120:121] neg_lo:[0,0,1] neg_hi:[0,0,1]
	s_delay_alu instid0(VALU_DEP_2)
	v_mov_b32_e32 v115, v123
	scratch_store_b64 off, v[114:115], off offset:24
.LBB54_570:
	s_wait_xcnt 0x0
	s_or_b32 exec_lo, exec_lo, s2
	scratch_load_b64 v[114:115], off, off offset:32
	s_mov_b32 s0, exec_lo
	s_wait_loadcnt 0x0
	ds_store_b64 v1, v[114:115]
	s_wait_storecnt_dscnt 0x0
	s_barrier_signal -1
	s_barrier_wait -1
	s_wait_xcnt 0x0
	v_cmpx_gt_u32_e32 4, v0
	s_cbranch_execz .LBB54_580
; %bb.571:
	v_cmp_ne_u32_e32 vcc_lo, 1, v116
	s_cbranch_vccnz .LBB54_573
; %bb.572:
	scratch_load_b64 v[114:115], v37, off
	ds_load_b64 v[118:119], v1
	s_wait_loadcnt_dscnt 0x0
	v_pk_mul_f32 v[120:121], v[118:119], v[114:115] op_sel:[1,1] op_sel_hi:[0,1]
	s_delay_alu instid0(VALU_DEP_1) | instskip(SKIP_1) | instid1(VALU_DEP_2)
	v_pk_fma_f32 v[122:123], v[118:119], v[114:115], v[120:121] op_sel_hi:[1,0,1]
	v_pk_fma_f32 v[114:115], v[118:119], v[114:115], v[120:121] neg_lo:[0,0,1] neg_hi:[0,0,1]
	v_mov_b32_e32 v115, v123
	s_cbranch_execz .LBB54_574
	s_branch .LBB54_575
.LBB54_573:
                                        ; implicit-def: $vgpr114_vgpr115
.LBB54_574:
	ds_load_b64 v[114:115], v1
.LBB54_575:
	s_mov_b32 s2, exec_lo
	v_cmpx_ne_u32_e32 3, v0
	s_cbranch_execz .LBB54_579
; %bb.576:
	v_add_nc_u32_e32 v117, 0x1c8, v36
	v_add3_u32 v118, 0, v36, 8
	v_mov_b32_e32 v119, v0
	s_mov_b32 s3, 0
.LBB54_577:                             ; =>This Inner Loop Header: Depth=1
	scratch_load_b64 v[120:121], v118, off
	ds_load_b64 v[122:123], v117
	s_wait_xcnt 0x0
	v_dual_add_nc_u32 v117, 8, v117 :: v_dual_add_nc_u32 v118, 8, v118
	s_wait_loadcnt_dscnt 0x0
	v_pk_mul_f32 v[124:125], v[122:123], v[120:121] op_sel:[1,1] op_sel_hi:[0,1]
	s_delay_alu instid0(VALU_DEP_1) | instskip(SKIP_2) | instid1(VALU_DEP_3)
	v_pk_fma_f32 v[126:127], v[122:123], v[120:121], v[124:125] op_sel_hi:[1,0,1]
	v_add_nc_u32_e32 v119, 1, v119
	v_pk_fma_f32 v[120:121], v[122:123], v[120:121], v[124:125] neg_lo:[0,0,1] neg_hi:[0,0,1]
	v_mov_b32_e32 v121, v127
	s_delay_alu instid0(VALU_DEP_3) | instskip(NEXT) | instid1(VALU_DEP_2)
	v_cmp_lt_u32_e32 vcc_lo, 2, v119
	v_pk_add_f32 v[114:115], v[114:115], v[120:121]
	s_or_b32 s3, vcc_lo, s3
	s_delay_alu instid0(SALU_CYCLE_1)
	s_and_not1_b32 exec_lo, exec_lo, s3
	s_cbranch_execnz .LBB54_577
; %bb.578:
	s_or_b32 exec_lo, exec_lo, s3
.LBB54_579:
	s_delay_alu instid0(SALU_CYCLE_1) | instskip(SKIP_4) | instid1(VALU_DEP_1)
	s_or_b32 exec_lo, exec_lo, s2
	v_mov_b32_e32 v117, 0
	ds_load_b64 v[118:119], v117 offset:32
	s_wait_dscnt 0x0
	v_pk_mul_f32 v[120:121], v[114:115], v[118:119] op_sel:[1,1] op_sel_hi:[0,1]
	v_pk_fma_f32 v[122:123], v[114:115], v[118:119], v[120:121] op_sel_hi:[1,0,1]
	v_pk_fma_f32 v[114:115], v[114:115], v[118:119], v[120:121] neg_lo:[0,0,1] neg_hi:[0,0,1]
	s_delay_alu instid0(VALU_DEP_2)
	v_mov_b32_e32 v115, v123
	scratch_store_b64 off, v[114:115], off offset:32
.LBB54_580:
	s_wait_xcnt 0x0
	s_or_b32 exec_lo, exec_lo, s0
	scratch_load_b64 v[114:115], off, off offset:40
	s_mov_b32 s0, exec_lo
	s_wait_loadcnt 0x0
	ds_store_b64 v1, v[114:115]
	s_wait_storecnt_dscnt 0x0
	s_barrier_signal -1
	s_barrier_wait -1
	s_wait_xcnt 0x0
	v_cmpx_gt_u32_e32 5, v0
	s_cbranch_execz .LBB54_590
; %bb.581:
	v_cmp_ne_u32_e32 vcc_lo, 1, v116
	s_cbranch_vccnz .LBB54_583
; %bb.582:
	scratch_load_b64 v[114:115], v37, off
	ds_load_b64 v[118:119], v1
	s_wait_loadcnt_dscnt 0x0
	v_pk_mul_f32 v[120:121], v[118:119], v[114:115] op_sel:[1,1] op_sel_hi:[0,1]
	s_delay_alu instid0(VALU_DEP_1) | instskip(SKIP_1) | instid1(VALU_DEP_2)
	v_pk_fma_f32 v[122:123], v[118:119], v[114:115], v[120:121] op_sel_hi:[1,0,1]
	v_pk_fma_f32 v[114:115], v[118:119], v[114:115], v[120:121] neg_lo:[0,0,1] neg_hi:[0,0,1]
	v_mov_b32_e32 v115, v123
	s_cbranch_execz .LBB54_584
	s_branch .LBB54_585
.LBB54_583:
                                        ; implicit-def: $vgpr114_vgpr115
.LBB54_584:
	ds_load_b64 v[114:115], v1
.LBB54_585:
	s_mov_b32 s2, exec_lo
	v_cmpx_ne_u32_e32 4, v0
	s_cbranch_execz .LBB54_589
; %bb.586:
	v_add_nc_u32_e32 v117, 0x1c8, v36
	v_add3_u32 v118, 0, v36, 8
	v_mov_b32_e32 v119, v0
	s_mov_b32 s3, 0
.LBB54_587:                             ; =>This Inner Loop Header: Depth=1
	scratch_load_b64 v[120:121], v118, off
	ds_load_b64 v[122:123], v117
	s_wait_xcnt 0x0
	v_dual_add_nc_u32 v117, 8, v117 :: v_dual_add_nc_u32 v118, 8, v118
	s_wait_loadcnt_dscnt 0x0
	v_pk_mul_f32 v[124:125], v[122:123], v[120:121] op_sel:[1,1] op_sel_hi:[0,1]
	s_delay_alu instid0(VALU_DEP_1) | instskip(SKIP_2) | instid1(VALU_DEP_3)
	v_pk_fma_f32 v[126:127], v[122:123], v[120:121], v[124:125] op_sel_hi:[1,0,1]
	v_add_nc_u32_e32 v119, 1, v119
	v_pk_fma_f32 v[120:121], v[122:123], v[120:121], v[124:125] neg_lo:[0,0,1] neg_hi:[0,0,1]
	v_mov_b32_e32 v121, v127
	s_delay_alu instid0(VALU_DEP_3) | instskip(NEXT) | instid1(VALU_DEP_2)
	v_cmp_lt_u32_e32 vcc_lo, 3, v119
	v_pk_add_f32 v[114:115], v[114:115], v[120:121]
	s_or_b32 s3, vcc_lo, s3
	s_delay_alu instid0(SALU_CYCLE_1)
	s_and_not1_b32 exec_lo, exec_lo, s3
	s_cbranch_execnz .LBB54_587
; %bb.588:
	s_or_b32 exec_lo, exec_lo, s3
.LBB54_589:
	s_delay_alu instid0(SALU_CYCLE_1) | instskip(SKIP_4) | instid1(VALU_DEP_1)
	s_or_b32 exec_lo, exec_lo, s2
	v_mov_b32_e32 v117, 0
	ds_load_b64 v[118:119], v117 offset:40
	s_wait_dscnt 0x0
	v_pk_mul_f32 v[120:121], v[114:115], v[118:119] op_sel:[1,1] op_sel_hi:[0,1]
	v_pk_fma_f32 v[122:123], v[114:115], v[118:119], v[120:121] op_sel_hi:[1,0,1]
	v_pk_fma_f32 v[114:115], v[114:115], v[118:119], v[120:121] neg_lo:[0,0,1] neg_hi:[0,0,1]
	s_delay_alu instid0(VALU_DEP_2)
	v_mov_b32_e32 v115, v123
	scratch_store_b64 off, v[114:115], off offset:40
.LBB54_590:
	s_wait_xcnt 0x0
	s_or_b32 exec_lo, exec_lo, s0
	scratch_load_b64 v[114:115], off, off offset:48
	s_mov_b32 s0, exec_lo
	s_wait_loadcnt 0x0
	ds_store_b64 v1, v[114:115]
	s_wait_storecnt_dscnt 0x0
	s_barrier_signal -1
	s_barrier_wait -1
	s_wait_xcnt 0x0
	v_cmpx_gt_u32_e32 6, v0
	s_cbranch_execz .LBB54_600
; %bb.591:
	v_cmp_ne_u32_e32 vcc_lo, 1, v116
	s_cbranch_vccnz .LBB54_593
; %bb.592:
	scratch_load_b64 v[114:115], v37, off
	ds_load_b64 v[118:119], v1
	s_wait_loadcnt_dscnt 0x0
	v_pk_mul_f32 v[120:121], v[118:119], v[114:115] op_sel:[1,1] op_sel_hi:[0,1]
	s_delay_alu instid0(VALU_DEP_1) | instskip(SKIP_1) | instid1(VALU_DEP_2)
	v_pk_fma_f32 v[122:123], v[118:119], v[114:115], v[120:121] op_sel_hi:[1,0,1]
	v_pk_fma_f32 v[114:115], v[118:119], v[114:115], v[120:121] neg_lo:[0,0,1] neg_hi:[0,0,1]
	v_mov_b32_e32 v115, v123
	s_cbranch_execz .LBB54_594
	s_branch .LBB54_595
.LBB54_593:
                                        ; implicit-def: $vgpr114_vgpr115
.LBB54_594:
	ds_load_b64 v[114:115], v1
.LBB54_595:
	s_mov_b32 s2, exec_lo
	v_cmpx_ne_u32_e32 5, v0
	s_cbranch_execz .LBB54_599
; %bb.596:
	v_add_nc_u32_e32 v117, 0x1c8, v36
	v_add3_u32 v118, 0, v36, 8
	v_mov_b32_e32 v119, v0
	s_mov_b32 s3, 0
.LBB54_597:                             ; =>This Inner Loop Header: Depth=1
	scratch_load_b64 v[120:121], v118, off
	ds_load_b64 v[122:123], v117
	s_wait_xcnt 0x0
	v_dual_add_nc_u32 v117, 8, v117 :: v_dual_add_nc_u32 v118, 8, v118
	s_wait_loadcnt_dscnt 0x0
	v_pk_mul_f32 v[124:125], v[122:123], v[120:121] op_sel:[1,1] op_sel_hi:[0,1]
	s_delay_alu instid0(VALU_DEP_1) | instskip(SKIP_2) | instid1(VALU_DEP_3)
	v_pk_fma_f32 v[126:127], v[122:123], v[120:121], v[124:125] op_sel_hi:[1,0,1]
	v_add_nc_u32_e32 v119, 1, v119
	v_pk_fma_f32 v[120:121], v[122:123], v[120:121], v[124:125] neg_lo:[0,0,1] neg_hi:[0,0,1]
	v_mov_b32_e32 v121, v127
	s_delay_alu instid0(VALU_DEP_3) | instskip(NEXT) | instid1(VALU_DEP_2)
	v_cmp_lt_u32_e32 vcc_lo, 4, v119
	v_pk_add_f32 v[114:115], v[114:115], v[120:121]
	s_or_b32 s3, vcc_lo, s3
	s_delay_alu instid0(SALU_CYCLE_1)
	s_and_not1_b32 exec_lo, exec_lo, s3
	s_cbranch_execnz .LBB54_597
; %bb.598:
	s_or_b32 exec_lo, exec_lo, s3
.LBB54_599:
	s_delay_alu instid0(SALU_CYCLE_1) | instskip(SKIP_4) | instid1(VALU_DEP_1)
	s_or_b32 exec_lo, exec_lo, s2
	v_mov_b32_e32 v117, 0
	ds_load_b64 v[118:119], v117 offset:48
	s_wait_dscnt 0x0
	v_pk_mul_f32 v[120:121], v[114:115], v[118:119] op_sel:[1,1] op_sel_hi:[0,1]
	v_pk_fma_f32 v[122:123], v[114:115], v[118:119], v[120:121] op_sel_hi:[1,0,1]
	v_pk_fma_f32 v[114:115], v[114:115], v[118:119], v[120:121] neg_lo:[0,0,1] neg_hi:[0,0,1]
	s_delay_alu instid0(VALU_DEP_2)
	v_mov_b32_e32 v115, v123
	scratch_store_b64 off, v[114:115], off offset:48
.LBB54_600:
	s_wait_xcnt 0x0
	s_or_b32 exec_lo, exec_lo, s0
	scratch_load_b64 v[114:115], off, off offset:56
	s_mov_b32 s0, exec_lo
	s_wait_loadcnt 0x0
	ds_store_b64 v1, v[114:115]
	s_wait_storecnt_dscnt 0x0
	s_barrier_signal -1
	s_barrier_wait -1
	s_wait_xcnt 0x0
	v_cmpx_gt_u32_e32 7, v0
	s_cbranch_execz .LBB54_610
; %bb.601:
	v_cmp_ne_u32_e32 vcc_lo, 1, v116
	s_cbranch_vccnz .LBB54_603
; %bb.602:
	scratch_load_b64 v[114:115], v37, off
	ds_load_b64 v[118:119], v1
	s_wait_loadcnt_dscnt 0x0
	v_pk_mul_f32 v[120:121], v[118:119], v[114:115] op_sel:[1,1] op_sel_hi:[0,1]
	s_delay_alu instid0(VALU_DEP_1) | instskip(SKIP_1) | instid1(VALU_DEP_2)
	v_pk_fma_f32 v[122:123], v[118:119], v[114:115], v[120:121] op_sel_hi:[1,0,1]
	v_pk_fma_f32 v[114:115], v[118:119], v[114:115], v[120:121] neg_lo:[0,0,1] neg_hi:[0,0,1]
	v_mov_b32_e32 v115, v123
	s_cbranch_execz .LBB54_604
	s_branch .LBB54_605
.LBB54_603:
                                        ; implicit-def: $vgpr114_vgpr115
.LBB54_604:
	ds_load_b64 v[114:115], v1
.LBB54_605:
	s_mov_b32 s2, exec_lo
	v_cmpx_ne_u32_e32 6, v0
	s_cbranch_execz .LBB54_609
; %bb.606:
	v_add_nc_u32_e32 v117, 0x1c8, v36
	v_add3_u32 v118, 0, v36, 8
	v_mov_b32_e32 v119, v0
	s_mov_b32 s3, 0
.LBB54_607:                             ; =>This Inner Loop Header: Depth=1
	scratch_load_b64 v[120:121], v118, off
	ds_load_b64 v[122:123], v117
	s_wait_xcnt 0x0
	v_dual_add_nc_u32 v117, 8, v117 :: v_dual_add_nc_u32 v118, 8, v118
	s_wait_loadcnt_dscnt 0x0
	v_pk_mul_f32 v[124:125], v[122:123], v[120:121] op_sel:[1,1] op_sel_hi:[0,1]
	s_delay_alu instid0(VALU_DEP_1) | instskip(SKIP_2) | instid1(VALU_DEP_3)
	v_pk_fma_f32 v[126:127], v[122:123], v[120:121], v[124:125] op_sel_hi:[1,0,1]
	v_add_nc_u32_e32 v119, 1, v119
	v_pk_fma_f32 v[120:121], v[122:123], v[120:121], v[124:125] neg_lo:[0,0,1] neg_hi:[0,0,1]
	v_mov_b32_e32 v121, v127
	s_delay_alu instid0(VALU_DEP_3) | instskip(NEXT) | instid1(VALU_DEP_2)
	v_cmp_lt_u32_e32 vcc_lo, 5, v119
	v_pk_add_f32 v[114:115], v[114:115], v[120:121]
	s_or_b32 s3, vcc_lo, s3
	s_delay_alu instid0(SALU_CYCLE_1)
	s_and_not1_b32 exec_lo, exec_lo, s3
	s_cbranch_execnz .LBB54_607
; %bb.608:
	s_or_b32 exec_lo, exec_lo, s3
.LBB54_609:
	s_delay_alu instid0(SALU_CYCLE_1) | instskip(SKIP_4) | instid1(VALU_DEP_1)
	s_or_b32 exec_lo, exec_lo, s2
	v_mov_b32_e32 v117, 0
	ds_load_b64 v[118:119], v117 offset:56
	s_wait_dscnt 0x0
	v_pk_mul_f32 v[120:121], v[114:115], v[118:119] op_sel:[1,1] op_sel_hi:[0,1]
	v_pk_fma_f32 v[122:123], v[114:115], v[118:119], v[120:121] op_sel_hi:[1,0,1]
	v_pk_fma_f32 v[114:115], v[114:115], v[118:119], v[120:121] neg_lo:[0,0,1] neg_hi:[0,0,1]
	s_delay_alu instid0(VALU_DEP_2)
	v_mov_b32_e32 v115, v123
	scratch_store_b64 off, v[114:115], off offset:56
.LBB54_610:
	s_wait_xcnt 0x0
	s_or_b32 exec_lo, exec_lo, s0
	scratch_load_b64 v[114:115], off, off offset:64
	s_mov_b32 s0, exec_lo
	s_wait_loadcnt 0x0
	ds_store_b64 v1, v[114:115]
	s_wait_storecnt_dscnt 0x0
	s_barrier_signal -1
	s_barrier_wait -1
	s_wait_xcnt 0x0
	v_cmpx_gt_u32_e32 8, v0
	s_cbranch_execz .LBB54_620
; %bb.611:
	v_cmp_ne_u32_e32 vcc_lo, 1, v116
	s_cbranch_vccnz .LBB54_613
; %bb.612:
	scratch_load_b64 v[114:115], v37, off
	ds_load_b64 v[118:119], v1
	s_wait_loadcnt_dscnt 0x0
	v_pk_mul_f32 v[120:121], v[118:119], v[114:115] op_sel:[1,1] op_sel_hi:[0,1]
	s_delay_alu instid0(VALU_DEP_1) | instskip(SKIP_1) | instid1(VALU_DEP_2)
	v_pk_fma_f32 v[122:123], v[118:119], v[114:115], v[120:121] op_sel_hi:[1,0,1]
	v_pk_fma_f32 v[114:115], v[118:119], v[114:115], v[120:121] neg_lo:[0,0,1] neg_hi:[0,0,1]
	v_mov_b32_e32 v115, v123
	s_cbranch_execz .LBB54_614
	s_branch .LBB54_615
.LBB54_613:
                                        ; implicit-def: $vgpr114_vgpr115
.LBB54_614:
	ds_load_b64 v[114:115], v1
.LBB54_615:
	s_mov_b32 s2, exec_lo
	v_cmpx_ne_u32_e32 7, v0
	s_cbranch_execz .LBB54_619
; %bb.616:
	v_add_nc_u32_e32 v117, 0x1c8, v36
	v_add3_u32 v118, 0, v36, 8
	v_mov_b32_e32 v119, v0
	s_mov_b32 s3, 0
.LBB54_617:                             ; =>This Inner Loop Header: Depth=1
	scratch_load_b64 v[120:121], v118, off
	ds_load_b64 v[122:123], v117
	s_wait_xcnt 0x0
	v_dual_add_nc_u32 v117, 8, v117 :: v_dual_add_nc_u32 v118, 8, v118
	s_wait_loadcnt_dscnt 0x0
	v_pk_mul_f32 v[124:125], v[122:123], v[120:121] op_sel:[1,1] op_sel_hi:[0,1]
	s_delay_alu instid0(VALU_DEP_1) | instskip(SKIP_2) | instid1(VALU_DEP_3)
	v_pk_fma_f32 v[126:127], v[122:123], v[120:121], v[124:125] op_sel_hi:[1,0,1]
	v_add_nc_u32_e32 v119, 1, v119
	v_pk_fma_f32 v[120:121], v[122:123], v[120:121], v[124:125] neg_lo:[0,0,1] neg_hi:[0,0,1]
	v_mov_b32_e32 v121, v127
	s_delay_alu instid0(VALU_DEP_3) | instskip(NEXT) | instid1(VALU_DEP_2)
	v_cmp_lt_u32_e32 vcc_lo, 6, v119
	v_pk_add_f32 v[114:115], v[114:115], v[120:121]
	s_or_b32 s3, vcc_lo, s3
	s_delay_alu instid0(SALU_CYCLE_1)
	s_and_not1_b32 exec_lo, exec_lo, s3
	s_cbranch_execnz .LBB54_617
; %bb.618:
	s_or_b32 exec_lo, exec_lo, s3
.LBB54_619:
	s_delay_alu instid0(SALU_CYCLE_1) | instskip(SKIP_4) | instid1(VALU_DEP_1)
	s_or_b32 exec_lo, exec_lo, s2
	v_mov_b32_e32 v117, 0
	ds_load_b64 v[118:119], v117 offset:64
	s_wait_dscnt 0x0
	v_pk_mul_f32 v[120:121], v[114:115], v[118:119] op_sel:[1,1] op_sel_hi:[0,1]
	v_pk_fma_f32 v[122:123], v[114:115], v[118:119], v[120:121] op_sel_hi:[1,0,1]
	v_pk_fma_f32 v[114:115], v[114:115], v[118:119], v[120:121] neg_lo:[0,0,1] neg_hi:[0,0,1]
	s_delay_alu instid0(VALU_DEP_2)
	v_mov_b32_e32 v115, v123
	scratch_store_b64 off, v[114:115], off offset:64
.LBB54_620:
	s_wait_xcnt 0x0
	s_or_b32 exec_lo, exec_lo, s0
	scratch_load_b64 v[114:115], off, off offset:72
	s_mov_b32 s0, exec_lo
	s_wait_loadcnt 0x0
	ds_store_b64 v1, v[114:115]
	s_wait_storecnt_dscnt 0x0
	s_barrier_signal -1
	s_barrier_wait -1
	s_wait_xcnt 0x0
	v_cmpx_gt_u32_e32 9, v0
	s_cbranch_execz .LBB54_630
; %bb.621:
	v_cmp_ne_u32_e32 vcc_lo, 1, v116
	s_cbranch_vccnz .LBB54_623
; %bb.622:
	scratch_load_b64 v[114:115], v37, off
	ds_load_b64 v[118:119], v1
	s_wait_loadcnt_dscnt 0x0
	v_pk_mul_f32 v[120:121], v[118:119], v[114:115] op_sel:[1,1] op_sel_hi:[0,1]
	s_delay_alu instid0(VALU_DEP_1) | instskip(SKIP_1) | instid1(VALU_DEP_2)
	v_pk_fma_f32 v[122:123], v[118:119], v[114:115], v[120:121] op_sel_hi:[1,0,1]
	v_pk_fma_f32 v[114:115], v[118:119], v[114:115], v[120:121] neg_lo:[0,0,1] neg_hi:[0,0,1]
	v_mov_b32_e32 v115, v123
	s_cbranch_execz .LBB54_624
	s_branch .LBB54_625
.LBB54_623:
                                        ; implicit-def: $vgpr114_vgpr115
.LBB54_624:
	ds_load_b64 v[114:115], v1
.LBB54_625:
	s_mov_b32 s2, exec_lo
	v_cmpx_ne_u32_e32 8, v0
	s_cbranch_execz .LBB54_629
; %bb.626:
	v_add_nc_u32_e32 v117, 0x1c8, v36
	v_add3_u32 v118, 0, v36, 8
	v_mov_b32_e32 v119, v0
	s_mov_b32 s3, 0
.LBB54_627:                             ; =>This Inner Loop Header: Depth=1
	scratch_load_b64 v[120:121], v118, off
	ds_load_b64 v[122:123], v117
	s_wait_xcnt 0x0
	v_dual_add_nc_u32 v117, 8, v117 :: v_dual_add_nc_u32 v118, 8, v118
	s_wait_loadcnt_dscnt 0x0
	v_pk_mul_f32 v[124:125], v[122:123], v[120:121] op_sel:[1,1] op_sel_hi:[0,1]
	s_delay_alu instid0(VALU_DEP_1) | instskip(SKIP_2) | instid1(VALU_DEP_3)
	v_pk_fma_f32 v[126:127], v[122:123], v[120:121], v[124:125] op_sel_hi:[1,0,1]
	v_add_nc_u32_e32 v119, 1, v119
	v_pk_fma_f32 v[120:121], v[122:123], v[120:121], v[124:125] neg_lo:[0,0,1] neg_hi:[0,0,1]
	v_mov_b32_e32 v121, v127
	s_delay_alu instid0(VALU_DEP_3) | instskip(NEXT) | instid1(VALU_DEP_2)
	v_cmp_lt_u32_e32 vcc_lo, 7, v119
	v_pk_add_f32 v[114:115], v[114:115], v[120:121]
	s_or_b32 s3, vcc_lo, s3
	s_delay_alu instid0(SALU_CYCLE_1)
	s_and_not1_b32 exec_lo, exec_lo, s3
	s_cbranch_execnz .LBB54_627
; %bb.628:
	s_or_b32 exec_lo, exec_lo, s3
.LBB54_629:
	s_delay_alu instid0(SALU_CYCLE_1) | instskip(SKIP_4) | instid1(VALU_DEP_1)
	s_or_b32 exec_lo, exec_lo, s2
	v_mov_b32_e32 v117, 0
	ds_load_b64 v[118:119], v117 offset:72
	s_wait_dscnt 0x0
	v_pk_mul_f32 v[120:121], v[114:115], v[118:119] op_sel:[1,1] op_sel_hi:[0,1]
	v_pk_fma_f32 v[122:123], v[114:115], v[118:119], v[120:121] op_sel_hi:[1,0,1]
	v_pk_fma_f32 v[114:115], v[114:115], v[118:119], v[120:121] neg_lo:[0,0,1] neg_hi:[0,0,1]
	s_delay_alu instid0(VALU_DEP_2)
	v_mov_b32_e32 v115, v123
	scratch_store_b64 off, v[114:115], off offset:72
.LBB54_630:
	s_wait_xcnt 0x0
	s_or_b32 exec_lo, exec_lo, s0
	scratch_load_b64 v[114:115], off, off offset:80
	s_mov_b32 s0, exec_lo
	s_wait_loadcnt 0x0
	ds_store_b64 v1, v[114:115]
	s_wait_storecnt_dscnt 0x0
	s_barrier_signal -1
	s_barrier_wait -1
	s_wait_xcnt 0x0
	v_cmpx_gt_u32_e32 10, v0
	s_cbranch_execz .LBB54_640
; %bb.631:
	v_cmp_ne_u32_e32 vcc_lo, 1, v116
	s_cbranch_vccnz .LBB54_633
; %bb.632:
	scratch_load_b64 v[114:115], v37, off
	ds_load_b64 v[118:119], v1
	s_wait_loadcnt_dscnt 0x0
	v_pk_mul_f32 v[120:121], v[118:119], v[114:115] op_sel:[1,1] op_sel_hi:[0,1]
	s_delay_alu instid0(VALU_DEP_1) | instskip(SKIP_1) | instid1(VALU_DEP_2)
	v_pk_fma_f32 v[122:123], v[118:119], v[114:115], v[120:121] op_sel_hi:[1,0,1]
	v_pk_fma_f32 v[114:115], v[118:119], v[114:115], v[120:121] neg_lo:[0,0,1] neg_hi:[0,0,1]
	v_mov_b32_e32 v115, v123
	s_cbranch_execz .LBB54_634
	s_branch .LBB54_635
.LBB54_633:
                                        ; implicit-def: $vgpr114_vgpr115
.LBB54_634:
	ds_load_b64 v[114:115], v1
.LBB54_635:
	s_mov_b32 s2, exec_lo
	v_cmpx_ne_u32_e32 9, v0
	s_cbranch_execz .LBB54_639
; %bb.636:
	v_add_nc_u32_e32 v117, 0x1c8, v36
	v_add3_u32 v118, 0, v36, 8
	v_mov_b32_e32 v119, v0
	s_mov_b32 s3, 0
.LBB54_637:                             ; =>This Inner Loop Header: Depth=1
	scratch_load_b64 v[120:121], v118, off
	ds_load_b64 v[122:123], v117
	s_wait_xcnt 0x0
	v_dual_add_nc_u32 v117, 8, v117 :: v_dual_add_nc_u32 v118, 8, v118
	s_wait_loadcnt_dscnt 0x0
	v_pk_mul_f32 v[124:125], v[122:123], v[120:121] op_sel:[1,1] op_sel_hi:[0,1]
	s_delay_alu instid0(VALU_DEP_1) | instskip(SKIP_2) | instid1(VALU_DEP_3)
	v_pk_fma_f32 v[126:127], v[122:123], v[120:121], v[124:125] op_sel_hi:[1,0,1]
	v_add_nc_u32_e32 v119, 1, v119
	v_pk_fma_f32 v[120:121], v[122:123], v[120:121], v[124:125] neg_lo:[0,0,1] neg_hi:[0,0,1]
	v_mov_b32_e32 v121, v127
	s_delay_alu instid0(VALU_DEP_3) | instskip(NEXT) | instid1(VALU_DEP_2)
	v_cmp_lt_u32_e32 vcc_lo, 8, v119
	v_pk_add_f32 v[114:115], v[114:115], v[120:121]
	s_or_b32 s3, vcc_lo, s3
	s_delay_alu instid0(SALU_CYCLE_1)
	s_and_not1_b32 exec_lo, exec_lo, s3
	s_cbranch_execnz .LBB54_637
; %bb.638:
	s_or_b32 exec_lo, exec_lo, s3
.LBB54_639:
	s_delay_alu instid0(SALU_CYCLE_1) | instskip(SKIP_4) | instid1(VALU_DEP_1)
	s_or_b32 exec_lo, exec_lo, s2
	v_mov_b32_e32 v117, 0
	ds_load_b64 v[118:119], v117 offset:80
	s_wait_dscnt 0x0
	v_pk_mul_f32 v[120:121], v[114:115], v[118:119] op_sel:[1,1] op_sel_hi:[0,1]
	v_pk_fma_f32 v[122:123], v[114:115], v[118:119], v[120:121] op_sel_hi:[1,0,1]
	v_pk_fma_f32 v[114:115], v[114:115], v[118:119], v[120:121] neg_lo:[0,0,1] neg_hi:[0,0,1]
	s_delay_alu instid0(VALU_DEP_2)
	v_mov_b32_e32 v115, v123
	scratch_store_b64 off, v[114:115], off offset:80
.LBB54_640:
	s_wait_xcnt 0x0
	s_or_b32 exec_lo, exec_lo, s0
	scratch_load_b64 v[114:115], off, off offset:88
	s_mov_b32 s0, exec_lo
	s_wait_loadcnt 0x0
	ds_store_b64 v1, v[114:115]
	s_wait_storecnt_dscnt 0x0
	s_barrier_signal -1
	s_barrier_wait -1
	s_wait_xcnt 0x0
	v_cmpx_gt_u32_e32 11, v0
	s_cbranch_execz .LBB54_650
; %bb.641:
	v_cmp_ne_u32_e32 vcc_lo, 1, v116
	s_cbranch_vccnz .LBB54_643
; %bb.642:
	scratch_load_b64 v[114:115], v37, off
	ds_load_b64 v[118:119], v1
	s_wait_loadcnt_dscnt 0x0
	v_pk_mul_f32 v[120:121], v[118:119], v[114:115] op_sel:[1,1] op_sel_hi:[0,1]
	s_delay_alu instid0(VALU_DEP_1) | instskip(SKIP_1) | instid1(VALU_DEP_2)
	v_pk_fma_f32 v[122:123], v[118:119], v[114:115], v[120:121] op_sel_hi:[1,0,1]
	v_pk_fma_f32 v[114:115], v[118:119], v[114:115], v[120:121] neg_lo:[0,0,1] neg_hi:[0,0,1]
	v_mov_b32_e32 v115, v123
	s_cbranch_execz .LBB54_644
	s_branch .LBB54_645
.LBB54_643:
                                        ; implicit-def: $vgpr114_vgpr115
.LBB54_644:
	ds_load_b64 v[114:115], v1
.LBB54_645:
	s_mov_b32 s2, exec_lo
	v_cmpx_ne_u32_e32 10, v0
	s_cbranch_execz .LBB54_649
; %bb.646:
	v_add_nc_u32_e32 v117, 0x1c8, v36
	v_add3_u32 v118, 0, v36, 8
	v_mov_b32_e32 v119, v0
	s_mov_b32 s3, 0
.LBB54_647:                             ; =>This Inner Loop Header: Depth=1
	scratch_load_b64 v[120:121], v118, off
	ds_load_b64 v[122:123], v117
	s_wait_xcnt 0x0
	v_dual_add_nc_u32 v117, 8, v117 :: v_dual_add_nc_u32 v118, 8, v118
	s_wait_loadcnt_dscnt 0x0
	v_pk_mul_f32 v[124:125], v[122:123], v[120:121] op_sel:[1,1] op_sel_hi:[0,1]
	s_delay_alu instid0(VALU_DEP_1) | instskip(SKIP_2) | instid1(VALU_DEP_3)
	v_pk_fma_f32 v[126:127], v[122:123], v[120:121], v[124:125] op_sel_hi:[1,0,1]
	v_add_nc_u32_e32 v119, 1, v119
	v_pk_fma_f32 v[120:121], v[122:123], v[120:121], v[124:125] neg_lo:[0,0,1] neg_hi:[0,0,1]
	v_mov_b32_e32 v121, v127
	s_delay_alu instid0(VALU_DEP_3) | instskip(NEXT) | instid1(VALU_DEP_2)
	v_cmp_lt_u32_e32 vcc_lo, 9, v119
	v_pk_add_f32 v[114:115], v[114:115], v[120:121]
	s_or_b32 s3, vcc_lo, s3
	s_delay_alu instid0(SALU_CYCLE_1)
	s_and_not1_b32 exec_lo, exec_lo, s3
	s_cbranch_execnz .LBB54_647
; %bb.648:
	s_or_b32 exec_lo, exec_lo, s3
.LBB54_649:
	s_delay_alu instid0(SALU_CYCLE_1) | instskip(SKIP_4) | instid1(VALU_DEP_1)
	s_or_b32 exec_lo, exec_lo, s2
	v_mov_b32_e32 v117, 0
	ds_load_b64 v[118:119], v117 offset:88
	s_wait_dscnt 0x0
	v_pk_mul_f32 v[120:121], v[114:115], v[118:119] op_sel:[1,1] op_sel_hi:[0,1]
	v_pk_fma_f32 v[122:123], v[114:115], v[118:119], v[120:121] op_sel_hi:[1,0,1]
	v_pk_fma_f32 v[114:115], v[114:115], v[118:119], v[120:121] neg_lo:[0,0,1] neg_hi:[0,0,1]
	s_delay_alu instid0(VALU_DEP_2)
	v_mov_b32_e32 v115, v123
	scratch_store_b64 off, v[114:115], off offset:88
.LBB54_650:
	s_wait_xcnt 0x0
	s_or_b32 exec_lo, exec_lo, s0
	scratch_load_b64 v[114:115], off, off offset:96
	s_mov_b32 s0, exec_lo
	s_wait_loadcnt 0x0
	ds_store_b64 v1, v[114:115]
	s_wait_storecnt_dscnt 0x0
	s_barrier_signal -1
	s_barrier_wait -1
	s_wait_xcnt 0x0
	v_cmpx_gt_u32_e32 12, v0
	s_cbranch_execz .LBB54_660
; %bb.651:
	v_cmp_ne_u32_e32 vcc_lo, 1, v116
	s_cbranch_vccnz .LBB54_653
; %bb.652:
	scratch_load_b64 v[114:115], v37, off
	ds_load_b64 v[118:119], v1
	s_wait_loadcnt_dscnt 0x0
	v_pk_mul_f32 v[120:121], v[118:119], v[114:115] op_sel:[1,1] op_sel_hi:[0,1]
	s_delay_alu instid0(VALU_DEP_1) | instskip(SKIP_1) | instid1(VALU_DEP_2)
	v_pk_fma_f32 v[122:123], v[118:119], v[114:115], v[120:121] op_sel_hi:[1,0,1]
	v_pk_fma_f32 v[114:115], v[118:119], v[114:115], v[120:121] neg_lo:[0,0,1] neg_hi:[0,0,1]
	v_mov_b32_e32 v115, v123
	s_cbranch_execz .LBB54_654
	s_branch .LBB54_655
.LBB54_653:
                                        ; implicit-def: $vgpr114_vgpr115
.LBB54_654:
	ds_load_b64 v[114:115], v1
.LBB54_655:
	s_mov_b32 s2, exec_lo
	v_cmpx_ne_u32_e32 11, v0
	s_cbranch_execz .LBB54_659
; %bb.656:
	v_add_nc_u32_e32 v117, 0x1c8, v36
	v_add3_u32 v118, 0, v36, 8
	v_mov_b32_e32 v119, v0
	s_mov_b32 s3, 0
.LBB54_657:                             ; =>This Inner Loop Header: Depth=1
	scratch_load_b64 v[120:121], v118, off
	ds_load_b64 v[122:123], v117
	s_wait_xcnt 0x0
	v_dual_add_nc_u32 v117, 8, v117 :: v_dual_add_nc_u32 v118, 8, v118
	s_wait_loadcnt_dscnt 0x0
	v_pk_mul_f32 v[124:125], v[122:123], v[120:121] op_sel:[1,1] op_sel_hi:[0,1]
	s_delay_alu instid0(VALU_DEP_1) | instskip(SKIP_2) | instid1(VALU_DEP_3)
	v_pk_fma_f32 v[126:127], v[122:123], v[120:121], v[124:125] op_sel_hi:[1,0,1]
	v_add_nc_u32_e32 v119, 1, v119
	v_pk_fma_f32 v[120:121], v[122:123], v[120:121], v[124:125] neg_lo:[0,0,1] neg_hi:[0,0,1]
	v_mov_b32_e32 v121, v127
	s_delay_alu instid0(VALU_DEP_3) | instskip(NEXT) | instid1(VALU_DEP_2)
	v_cmp_lt_u32_e32 vcc_lo, 10, v119
	v_pk_add_f32 v[114:115], v[114:115], v[120:121]
	s_or_b32 s3, vcc_lo, s3
	s_delay_alu instid0(SALU_CYCLE_1)
	s_and_not1_b32 exec_lo, exec_lo, s3
	s_cbranch_execnz .LBB54_657
; %bb.658:
	s_or_b32 exec_lo, exec_lo, s3
.LBB54_659:
	s_delay_alu instid0(SALU_CYCLE_1) | instskip(SKIP_4) | instid1(VALU_DEP_1)
	s_or_b32 exec_lo, exec_lo, s2
	v_mov_b32_e32 v117, 0
	ds_load_b64 v[118:119], v117 offset:96
	s_wait_dscnt 0x0
	v_pk_mul_f32 v[120:121], v[114:115], v[118:119] op_sel:[1,1] op_sel_hi:[0,1]
	v_pk_fma_f32 v[122:123], v[114:115], v[118:119], v[120:121] op_sel_hi:[1,0,1]
	v_pk_fma_f32 v[114:115], v[114:115], v[118:119], v[120:121] neg_lo:[0,0,1] neg_hi:[0,0,1]
	s_delay_alu instid0(VALU_DEP_2)
	v_mov_b32_e32 v115, v123
	scratch_store_b64 off, v[114:115], off offset:96
.LBB54_660:
	s_wait_xcnt 0x0
	s_or_b32 exec_lo, exec_lo, s0
	scratch_load_b64 v[114:115], off, off offset:104
	s_mov_b32 s0, exec_lo
	s_wait_loadcnt 0x0
	ds_store_b64 v1, v[114:115]
	s_wait_storecnt_dscnt 0x0
	s_barrier_signal -1
	s_barrier_wait -1
	s_wait_xcnt 0x0
	v_cmpx_gt_u32_e32 13, v0
	s_cbranch_execz .LBB54_670
; %bb.661:
	v_cmp_ne_u32_e32 vcc_lo, 1, v116
	s_cbranch_vccnz .LBB54_663
; %bb.662:
	scratch_load_b64 v[114:115], v37, off
	ds_load_b64 v[118:119], v1
	s_wait_loadcnt_dscnt 0x0
	v_pk_mul_f32 v[120:121], v[118:119], v[114:115] op_sel:[1,1] op_sel_hi:[0,1]
	s_delay_alu instid0(VALU_DEP_1) | instskip(SKIP_1) | instid1(VALU_DEP_2)
	v_pk_fma_f32 v[122:123], v[118:119], v[114:115], v[120:121] op_sel_hi:[1,0,1]
	v_pk_fma_f32 v[114:115], v[118:119], v[114:115], v[120:121] neg_lo:[0,0,1] neg_hi:[0,0,1]
	v_mov_b32_e32 v115, v123
	s_cbranch_execz .LBB54_664
	s_branch .LBB54_665
.LBB54_663:
                                        ; implicit-def: $vgpr114_vgpr115
.LBB54_664:
	ds_load_b64 v[114:115], v1
.LBB54_665:
	s_mov_b32 s2, exec_lo
	v_cmpx_ne_u32_e32 12, v0
	s_cbranch_execz .LBB54_669
; %bb.666:
	v_add_nc_u32_e32 v117, 0x1c8, v36
	v_add3_u32 v118, 0, v36, 8
	v_mov_b32_e32 v119, v0
	s_mov_b32 s3, 0
.LBB54_667:                             ; =>This Inner Loop Header: Depth=1
	scratch_load_b64 v[120:121], v118, off
	ds_load_b64 v[122:123], v117
	s_wait_xcnt 0x0
	v_dual_add_nc_u32 v117, 8, v117 :: v_dual_add_nc_u32 v118, 8, v118
	s_wait_loadcnt_dscnt 0x0
	v_pk_mul_f32 v[124:125], v[122:123], v[120:121] op_sel:[1,1] op_sel_hi:[0,1]
	s_delay_alu instid0(VALU_DEP_1) | instskip(SKIP_2) | instid1(VALU_DEP_3)
	v_pk_fma_f32 v[126:127], v[122:123], v[120:121], v[124:125] op_sel_hi:[1,0,1]
	v_add_nc_u32_e32 v119, 1, v119
	v_pk_fma_f32 v[120:121], v[122:123], v[120:121], v[124:125] neg_lo:[0,0,1] neg_hi:[0,0,1]
	v_mov_b32_e32 v121, v127
	s_delay_alu instid0(VALU_DEP_3) | instskip(NEXT) | instid1(VALU_DEP_2)
	v_cmp_lt_u32_e32 vcc_lo, 11, v119
	v_pk_add_f32 v[114:115], v[114:115], v[120:121]
	s_or_b32 s3, vcc_lo, s3
	s_delay_alu instid0(SALU_CYCLE_1)
	s_and_not1_b32 exec_lo, exec_lo, s3
	s_cbranch_execnz .LBB54_667
; %bb.668:
	s_or_b32 exec_lo, exec_lo, s3
.LBB54_669:
	s_delay_alu instid0(SALU_CYCLE_1) | instskip(SKIP_4) | instid1(VALU_DEP_1)
	s_or_b32 exec_lo, exec_lo, s2
	v_mov_b32_e32 v117, 0
	ds_load_b64 v[118:119], v117 offset:104
	s_wait_dscnt 0x0
	v_pk_mul_f32 v[120:121], v[114:115], v[118:119] op_sel:[1,1] op_sel_hi:[0,1]
	v_pk_fma_f32 v[122:123], v[114:115], v[118:119], v[120:121] op_sel_hi:[1,0,1]
	v_pk_fma_f32 v[114:115], v[114:115], v[118:119], v[120:121] neg_lo:[0,0,1] neg_hi:[0,0,1]
	s_delay_alu instid0(VALU_DEP_2)
	v_mov_b32_e32 v115, v123
	scratch_store_b64 off, v[114:115], off offset:104
.LBB54_670:
	s_wait_xcnt 0x0
	s_or_b32 exec_lo, exec_lo, s0
	scratch_load_b64 v[114:115], off, off offset:112
	s_mov_b32 s0, exec_lo
	s_wait_loadcnt 0x0
	ds_store_b64 v1, v[114:115]
	s_wait_storecnt_dscnt 0x0
	s_barrier_signal -1
	s_barrier_wait -1
	s_wait_xcnt 0x0
	v_cmpx_gt_u32_e32 14, v0
	s_cbranch_execz .LBB54_680
; %bb.671:
	v_cmp_ne_u32_e32 vcc_lo, 1, v116
	s_cbranch_vccnz .LBB54_673
; %bb.672:
	scratch_load_b64 v[114:115], v37, off
	ds_load_b64 v[118:119], v1
	s_wait_loadcnt_dscnt 0x0
	v_pk_mul_f32 v[120:121], v[118:119], v[114:115] op_sel:[1,1] op_sel_hi:[0,1]
	s_delay_alu instid0(VALU_DEP_1) | instskip(SKIP_1) | instid1(VALU_DEP_2)
	v_pk_fma_f32 v[122:123], v[118:119], v[114:115], v[120:121] op_sel_hi:[1,0,1]
	v_pk_fma_f32 v[114:115], v[118:119], v[114:115], v[120:121] neg_lo:[0,0,1] neg_hi:[0,0,1]
	v_mov_b32_e32 v115, v123
	s_cbranch_execz .LBB54_674
	s_branch .LBB54_675
.LBB54_673:
                                        ; implicit-def: $vgpr114_vgpr115
.LBB54_674:
	ds_load_b64 v[114:115], v1
.LBB54_675:
	s_mov_b32 s2, exec_lo
	v_cmpx_ne_u32_e32 13, v0
	s_cbranch_execz .LBB54_679
; %bb.676:
	v_add_nc_u32_e32 v117, 0x1c8, v36
	v_add3_u32 v118, 0, v36, 8
	v_mov_b32_e32 v119, v0
	s_mov_b32 s3, 0
.LBB54_677:                             ; =>This Inner Loop Header: Depth=1
	scratch_load_b64 v[120:121], v118, off
	ds_load_b64 v[122:123], v117
	s_wait_xcnt 0x0
	v_dual_add_nc_u32 v117, 8, v117 :: v_dual_add_nc_u32 v118, 8, v118
	s_wait_loadcnt_dscnt 0x0
	v_pk_mul_f32 v[124:125], v[122:123], v[120:121] op_sel:[1,1] op_sel_hi:[0,1]
	s_delay_alu instid0(VALU_DEP_1) | instskip(SKIP_2) | instid1(VALU_DEP_3)
	v_pk_fma_f32 v[126:127], v[122:123], v[120:121], v[124:125] op_sel_hi:[1,0,1]
	v_add_nc_u32_e32 v119, 1, v119
	v_pk_fma_f32 v[120:121], v[122:123], v[120:121], v[124:125] neg_lo:[0,0,1] neg_hi:[0,0,1]
	v_mov_b32_e32 v121, v127
	s_delay_alu instid0(VALU_DEP_3) | instskip(NEXT) | instid1(VALU_DEP_2)
	v_cmp_lt_u32_e32 vcc_lo, 12, v119
	v_pk_add_f32 v[114:115], v[114:115], v[120:121]
	s_or_b32 s3, vcc_lo, s3
	s_delay_alu instid0(SALU_CYCLE_1)
	s_and_not1_b32 exec_lo, exec_lo, s3
	s_cbranch_execnz .LBB54_677
; %bb.678:
	s_or_b32 exec_lo, exec_lo, s3
.LBB54_679:
	s_delay_alu instid0(SALU_CYCLE_1) | instskip(SKIP_4) | instid1(VALU_DEP_1)
	s_or_b32 exec_lo, exec_lo, s2
	v_mov_b32_e32 v117, 0
	ds_load_b64 v[118:119], v117 offset:112
	s_wait_dscnt 0x0
	v_pk_mul_f32 v[120:121], v[114:115], v[118:119] op_sel:[1,1] op_sel_hi:[0,1]
	v_pk_fma_f32 v[122:123], v[114:115], v[118:119], v[120:121] op_sel_hi:[1,0,1]
	v_pk_fma_f32 v[114:115], v[114:115], v[118:119], v[120:121] neg_lo:[0,0,1] neg_hi:[0,0,1]
	s_delay_alu instid0(VALU_DEP_2)
	v_mov_b32_e32 v115, v123
	scratch_store_b64 off, v[114:115], off offset:112
.LBB54_680:
	s_wait_xcnt 0x0
	s_or_b32 exec_lo, exec_lo, s0
	scratch_load_b64 v[114:115], off, off offset:120
	s_mov_b32 s0, exec_lo
	s_wait_loadcnt 0x0
	ds_store_b64 v1, v[114:115]
	s_wait_storecnt_dscnt 0x0
	s_barrier_signal -1
	s_barrier_wait -1
	s_wait_xcnt 0x0
	v_cmpx_gt_u32_e32 15, v0
	s_cbranch_execz .LBB54_690
; %bb.681:
	v_cmp_ne_u32_e32 vcc_lo, 1, v116
	s_cbranch_vccnz .LBB54_683
; %bb.682:
	scratch_load_b64 v[114:115], v37, off
	ds_load_b64 v[118:119], v1
	s_wait_loadcnt_dscnt 0x0
	v_pk_mul_f32 v[120:121], v[118:119], v[114:115] op_sel:[1,1] op_sel_hi:[0,1]
	s_delay_alu instid0(VALU_DEP_1) | instskip(SKIP_1) | instid1(VALU_DEP_2)
	v_pk_fma_f32 v[122:123], v[118:119], v[114:115], v[120:121] op_sel_hi:[1,0,1]
	v_pk_fma_f32 v[114:115], v[118:119], v[114:115], v[120:121] neg_lo:[0,0,1] neg_hi:[0,0,1]
	v_mov_b32_e32 v115, v123
	s_cbranch_execz .LBB54_684
	s_branch .LBB54_685
.LBB54_683:
                                        ; implicit-def: $vgpr114_vgpr115
.LBB54_684:
	ds_load_b64 v[114:115], v1
.LBB54_685:
	s_mov_b32 s2, exec_lo
	v_cmpx_ne_u32_e32 14, v0
	s_cbranch_execz .LBB54_689
; %bb.686:
	v_add_nc_u32_e32 v117, 0x1c8, v36
	v_add3_u32 v118, 0, v36, 8
	v_mov_b32_e32 v119, v0
	s_mov_b32 s3, 0
.LBB54_687:                             ; =>This Inner Loop Header: Depth=1
	scratch_load_b64 v[120:121], v118, off
	ds_load_b64 v[122:123], v117
	s_wait_xcnt 0x0
	v_dual_add_nc_u32 v117, 8, v117 :: v_dual_add_nc_u32 v118, 8, v118
	s_wait_loadcnt_dscnt 0x0
	v_pk_mul_f32 v[124:125], v[122:123], v[120:121] op_sel:[1,1] op_sel_hi:[0,1]
	s_delay_alu instid0(VALU_DEP_1) | instskip(SKIP_2) | instid1(VALU_DEP_3)
	v_pk_fma_f32 v[126:127], v[122:123], v[120:121], v[124:125] op_sel_hi:[1,0,1]
	v_add_nc_u32_e32 v119, 1, v119
	v_pk_fma_f32 v[120:121], v[122:123], v[120:121], v[124:125] neg_lo:[0,0,1] neg_hi:[0,0,1]
	v_mov_b32_e32 v121, v127
	s_delay_alu instid0(VALU_DEP_3) | instskip(NEXT) | instid1(VALU_DEP_2)
	v_cmp_lt_u32_e32 vcc_lo, 13, v119
	v_pk_add_f32 v[114:115], v[114:115], v[120:121]
	s_or_b32 s3, vcc_lo, s3
	s_delay_alu instid0(SALU_CYCLE_1)
	s_and_not1_b32 exec_lo, exec_lo, s3
	s_cbranch_execnz .LBB54_687
; %bb.688:
	s_or_b32 exec_lo, exec_lo, s3
.LBB54_689:
	s_delay_alu instid0(SALU_CYCLE_1) | instskip(SKIP_4) | instid1(VALU_DEP_1)
	s_or_b32 exec_lo, exec_lo, s2
	v_mov_b32_e32 v117, 0
	ds_load_b64 v[118:119], v117 offset:120
	s_wait_dscnt 0x0
	v_pk_mul_f32 v[120:121], v[114:115], v[118:119] op_sel:[1,1] op_sel_hi:[0,1]
	v_pk_fma_f32 v[122:123], v[114:115], v[118:119], v[120:121] op_sel_hi:[1,0,1]
	v_pk_fma_f32 v[114:115], v[114:115], v[118:119], v[120:121] neg_lo:[0,0,1] neg_hi:[0,0,1]
	s_delay_alu instid0(VALU_DEP_2)
	v_mov_b32_e32 v115, v123
	scratch_store_b64 off, v[114:115], off offset:120
.LBB54_690:
	s_wait_xcnt 0x0
	s_or_b32 exec_lo, exec_lo, s0
	scratch_load_b64 v[114:115], off, off offset:128
	s_mov_b32 s0, exec_lo
	s_wait_loadcnt 0x0
	ds_store_b64 v1, v[114:115]
	s_wait_storecnt_dscnt 0x0
	s_barrier_signal -1
	s_barrier_wait -1
	s_wait_xcnt 0x0
	v_cmpx_gt_u32_e32 16, v0
	s_cbranch_execz .LBB54_700
; %bb.691:
	v_cmp_ne_u32_e32 vcc_lo, 1, v116
	s_cbranch_vccnz .LBB54_693
; %bb.692:
	scratch_load_b64 v[114:115], v37, off
	ds_load_b64 v[118:119], v1
	s_wait_loadcnt_dscnt 0x0
	v_pk_mul_f32 v[120:121], v[118:119], v[114:115] op_sel:[1,1] op_sel_hi:[0,1]
	s_delay_alu instid0(VALU_DEP_1) | instskip(SKIP_1) | instid1(VALU_DEP_2)
	v_pk_fma_f32 v[122:123], v[118:119], v[114:115], v[120:121] op_sel_hi:[1,0,1]
	v_pk_fma_f32 v[114:115], v[118:119], v[114:115], v[120:121] neg_lo:[0,0,1] neg_hi:[0,0,1]
	v_mov_b32_e32 v115, v123
	s_cbranch_execz .LBB54_694
	s_branch .LBB54_695
.LBB54_693:
                                        ; implicit-def: $vgpr114_vgpr115
.LBB54_694:
	ds_load_b64 v[114:115], v1
.LBB54_695:
	s_mov_b32 s2, exec_lo
	v_cmpx_ne_u32_e32 15, v0
	s_cbranch_execz .LBB54_699
; %bb.696:
	v_add_nc_u32_e32 v117, 0x1c8, v36
	v_add3_u32 v118, 0, v36, 8
	v_mov_b32_e32 v119, v0
	s_mov_b32 s3, 0
.LBB54_697:                             ; =>This Inner Loop Header: Depth=1
	scratch_load_b64 v[120:121], v118, off
	ds_load_b64 v[122:123], v117
	s_wait_xcnt 0x0
	v_dual_add_nc_u32 v117, 8, v117 :: v_dual_add_nc_u32 v118, 8, v118
	s_wait_loadcnt_dscnt 0x0
	v_pk_mul_f32 v[124:125], v[122:123], v[120:121] op_sel:[1,1] op_sel_hi:[0,1]
	s_delay_alu instid0(VALU_DEP_1) | instskip(SKIP_2) | instid1(VALU_DEP_3)
	v_pk_fma_f32 v[126:127], v[122:123], v[120:121], v[124:125] op_sel_hi:[1,0,1]
	v_add_nc_u32_e32 v119, 1, v119
	v_pk_fma_f32 v[120:121], v[122:123], v[120:121], v[124:125] neg_lo:[0,0,1] neg_hi:[0,0,1]
	v_mov_b32_e32 v121, v127
	s_delay_alu instid0(VALU_DEP_3) | instskip(NEXT) | instid1(VALU_DEP_2)
	v_cmp_lt_u32_e32 vcc_lo, 14, v119
	v_pk_add_f32 v[114:115], v[114:115], v[120:121]
	s_or_b32 s3, vcc_lo, s3
	s_delay_alu instid0(SALU_CYCLE_1)
	s_and_not1_b32 exec_lo, exec_lo, s3
	s_cbranch_execnz .LBB54_697
; %bb.698:
	s_or_b32 exec_lo, exec_lo, s3
.LBB54_699:
	s_delay_alu instid0(SALU_CYCLE_1) | instskip(SKIP_4) | instid1(VALU_DEP_1)
	s_or_b32 exec_lo, exec_lo, s2
	v_mov_b32_e32 v117, 0
	ds_load_b64 v[118:119], v117 offset:128
	s_wait_dscnt 0x0
	v_pk_mul_f32 v[120:121], v[114:115], v[118:119] op_sel:[1,1] op_sel_hi:[0,1]
	v_pk_fma_f32 v[122:123], v[114:115], v[118:119], v[120:121] op_sel_hi:[1,0,1]
	v_pk_fma_f32 v[114:115], v[114:115], v[118:119], v[120:121] neg_lo:[0,0,1] neg_hi:[0,0,1]
	s_delay_alu instid0(VALU_DEP_2)
	v_mov_b32_e32 v115, v123
	scratch_store_b64 off, v[114:115], off offset:128
.LBB54_700:
	s_wait_xcnt 0x0
	s_or_b32 exec_lo, exec_lo, s0
	scratch_load_b64 v[114:115], off, off offset:136
	s_mov_b32 s0, exec_lo
	s_wait_loadcnt 0x0
	ds_store_b64 v1, v[114:115]
	s_wait_storecnt_dscnt 0x0
	s_barrier_signal -1
	s_barrier_wait -1
	s_wait_xcnt 0x0
	v_cmpx_gt_u32_e32 17, v0
	s_cbranch_execz .LBB54_710
; %bb.701:
	v_cmp_ne_u32_e32 vcc_lo, 1, v116
	s_cbranch_vccnz .LBB54_703
; %bb.702:
	scratch_load_b64 v[114:115], v37, off
	ds_load_b64 v[118:119], v1
	s_wait_loadcnt_dscnt 0x0
	v_pk_mul_f32 v[120:121], v[118:119], v[114:115] op_sel:[1,1] op_sel_hi:[0,1]
	s_delay_alu instid0(VALU_DEP_1) | instskip(SKIP_1) | instid1(VALU_DEP_2)
	v_pk_fma_f32 v[122:123], v[118:119], v[114:115], v[120:121] op_sel_hi:[1,0,1]
	v_pk_fma_f32 v[114:115], v[118:119], v[114:115], v[120:121] neg_lo:[0,0,1] neg_hi:[0,0,1]
	v_mov_b32_e32 v115, v123
	s_cbranch_execz .LBB54_704
	s_branch .LBB54_705
.LBB54_703:
                                        ; implicit-def: $vgpr114_vgpr115
.LBB54_704:
	ds_load_b64 v[114:115], v1
.LBB54_705:
	s_mov_b32 s2, exec_lo
	v_cmpx_ne_u32_e32 16, v0
	s_cbranch_execz .LBB54_709
; %bb.706:
	v_add_nc_u32_e32 v117, 0x1c8, v36
	v_add3_u32 v118, 0, v36, 8
	v_mov_b32_e32 v119, v0
	s_mov_b32 s3, 0
.LBB54_707:                             ; =>This Inner Loop Header: Depth=1
	scratch_load_b64 v[120:121], v118, off
	ds_load_b64 v[122:123], v117
	s_wait_xcnt 0x0
	v_dual_add_nc_u32 v117, 8, v117 :: v_dual_add_nc_u32 v118, 8, v118
	s_wait_loadcnt_dscnt 0x0
	v_pk_mul_f32 v[124:125], v[122:123], v[120:121] op_sel:[1,1] op_sel_hi:[0,1]
	s_delay_alu instid0(VALU_DEP_1) | instskip(SKIP_2) | instid1(VALU_DEP_3)
	v_pk_fma_f32 v[126:127], v[122:123], v[120:121], v[124:125] op_sel_hi:[1,0,1]
	v_add_nc_u32_e32 v119, 1, v119
	v_pk_fma_f32 v[120:121], v[122:123], v[120:121], v[124:125] neg_lo:[0,0,1] neg_hi:[0,0,1]
	v_mov_b32_e32 v121, v127
	s_delay_alu instid0(VALU_DEP_3) | instskip(NEXT) | instid1(VALU_DEP_2)
	v_cmp_lt_u32_e32 vcc_lo, 15, v119
	v_pk_add_f32 v[114:115], v[114:115], v[120:121]
	s_or_b32 s3, vcc_lo, s3
	s_delay_alu instid0(SALU_CYCLE_1)
	s_and_not1_b32 exec_lo, exec_lo, s3
	s_cbranch_execnz .LBB54_707
; %bb.708:
	s_or_b32 exec_lo, exec_lo, s3
.LBB54_709:
	s_delay_alu instid0(SALU_CYCLE_1) | instskip(SKIP_4) | instid1(VALU_DEP_1)
	s_or_b32 exec_lo, exec_lo, s2
	v_mov_b32_e32 v117, 0
	ds_load_b64 v[118:119], v117 offset:136
	s_wait_dscnt 0x0
	v_pk_mul_f32 v[120:121], v[114:115], v[118:119] op_sel:[1,1] op_sel_hi:[0,1]
	v_pk_fma_f32 v[122:123], v[114:115], v[118:119], v[120:121] op_sel_hi:[1,0,1]
	v_pk_fma_f32 v[114:115], v[114:115], v[118:119], v[120:121] neg_lo:[0,0,1] neg_hi:[0,0,1]
	s_delay_alu instid0(VALU_DEP_2)
	v_mov_b32_e32 v115, v123
	scratch_store_b64 off, v[114:115], off offset:136
.LBB54_710:
	s_wait_xcnt 0x0
	s_or_b32 exec_lo, exec_lo, s0
	scratch_load_b64 v[114:115], off, off offset:144
	s_mov_b32 s0, exec_lo
	s_wait_loadcnt 0x0
	ds_store_b64 v1, v[114:115]
	s_wait_storecnt_dscnt 0x0
	s_barrier_signal -1
	s_barrier_wait -1
	s_wait_xcnt 0x0
	v_cmpx_gt_u32_e32 18, v0
	s_cbranch_execz .LBB54_720
; %bb.711:
	v_cmp_ne_u32_e32 vcc_lo, 1, v116
	s_cbranch_vccnz .LBB54_713
; %bb.712:
	scratch_load_b64 v[114:115], v37, off
	ds_load_b64 v[118:119], v1
	s_wait_loadcnt_dscnt 0x0
	v_pk_mul_f32 v[120:121], v[118:119], v[114:115] op_sel:[1,1] op_sel_hi:[0,1]
	s_delay_alu instid0(VALU_DEP_1) | instskip(SKIP_1) | instid1(VALU_DEP_2)
	v_pk_fma_f32 v[122:123], v[118:119], v[114:115], v[120:121] op_sel_hi:[1,0,1]
	v_pk_fma_f32 v[114:115], v[118:119], v[114:115], v[120:121] neg_lo:[0,0,1] neg_hi:[0,0,1]
	v_mov_b32_e32 v115, v123
	s_cbranch_execz .LBB54_714
	s_branch .LBB54_715
.LBB54_713:
                                        ; implicit-def: $vgpr114_vgpr115
.LBB54_714:
	ds_load_b64 v[114:115], v1
.LBB54_715:
	s_mov_b32 s2, exec_lo
	v_cmpx_ne_u32_e32 17, v0
	s_cbranch_execz .LBB54_719
; %bb.716:
	v_add_nc_u32_e32 v117, 0x1c8, v36
	v_add3_u32 v118, 0, v36, 8
	v_mov_b32_e32 v119, v0
	s_mov_b32 s3, 0
.LBB54_717:                             ; =>This Inner Loop Header: Depth=1
	scratch_load_b64 v[120:121], v118, off
	ds_load_b64 v[122:123], v117
	s_wait_xcnt 0x0
	v_dual_add_nc_u32 v117, 8, v117 :: v_dual_add_nc_u32 v118, 8, v118
	s_wait_loadcnt_dscnt 0x0
	v_pk_mul_f32 v[124:125], v[122:123], v[120:121] op_sel:[1,1] op_sel_hi:[0,1]
	s_delay_alu instid0(VALU_DEP_1) | instskip(SKIP_2) | instid1(VALU_DEP_3)
	v_pk_fma_f32 v[126:127], v[122:123], v[120:121], v[124:125] op_sel_hi:[1,0,1]
	v_add_nc_u32_e32 v119, 1, v119
	v_pk_fma_f32 v[120:121], v[122:123], v[120:121], v[124:125] neg_lo:[0,0,1] neg_hi:[0,0,1]
	v_mov_b32_e32 v121, v127
	s_delay_alu instid0(VALU_DEP_3) | instskip(NEXT) | instid1(VALU_DEP_2)
	v_cmp_lt_u32_e32 vcc_lo, 16, v119
	v_pk_add_f32 v[114:115], v[114:115], v[120:121]
	s_or_b32 s3, vcc_lo, s3
	s_delay_alu instid0(SALU_CYCLE_1)
	s_and_not1_b32 exec_lo, exec_lo, s3
	s_cbranch_execnz .LBB54_717
; %bb.718:
	s_or_b32 exec_lo, exec_lo, s3
.LBB54_719:
	s_delay_alu instid0(SALU_CYCLE_1) | instskip(SKIP_4) | instid1(VALU_DEP_1)
	s_or_b32 exec_lo, exec_lo, s2
	v_mov_b32_e32 v117, 0
	ds_load_b64 v[118:119], v117 offset:144
	s_wait_dscnt 0x0
	v_pk_mul_f32 v[120:121], v[114:115], v[118:119] op_sel:[1,1] op_sel_hi:[0,1]
	v_pk_fma_f32 v[122:123], v[114:115], v[118:119], v[120:121] op_sel_hi:[1,0,1]
	v_pk_fma_f32 v[114:115], v[114:115], v[118:119], v[120:121] neg_lo:[0,0,1] neg_hi:[0,0,1]
	s_delay_alu instid0(VALU_DEP_2)
	v_mov_b32_e32 v115, v123
	scratch_store_b64 off, v[114:115], off offset:144
.LBB54_720:
	s_wait_xcnt 0x0
	s_or_b32 exec_lo, exec_lo, s0
	scratch_load_b64 v[114:115], off, off offset:152
	s_mov_b32 s0, exec_lo
	s_wait_loadcnt 0x0
	ds_store_b64 v1, v[114:115]
	s_wait_storecnt_dscnt 0x0
	s_barrier_signal -1
	s_barrier_wait -1
	s_wait_xcnt 0x0
	v_cmpx_gt_u32_e32 19, v0
	s_cbranch_execz .LBB54_730
; %bb.721:
	v_cmp_ne_u32_e32 vcc_lo, 1, v116
	s_cbranch_vccnz .LBB54_723
; %bb.722:
	scratch_load_b64 v[114:115], v37, off
	ds_load_b64 v[118:119], v1
	s_wait_loadcnt_dscnt 0x0
	v_pk_mul_f32 v[120:121], v[118:119], v[114:115] op_sel:[1,1] op_sel_hi:[0,1]
	s_delay_alu instid0(VALU_DEP_1) | instskip(SKIP_1) | instid1(VALU_DEP_2)
	v_pk_fma_f32 v[122:123], v[118:119], v[114:115], v[120:121] op_sel_hi:[1,0,1]
	v_pk_fma_f32 v[114:115], v[118:119], v[114:115], v[120:121] neg_lo:[0,0,1] neg_hi:[0,0,1]
	v_mov_b32_e32 v115, v123
	s_cbranch_execz .LBB54_724
	s_branch .LBB54_725
.LBB54_723:
                                        ; implicit-def: $vgpr114_vgpr115
.LBB54_724:
	ds_load_b64 v[114:115], v1
.LBB54_725:
	s_mov_b32 s2, exec_lo
	v_cmpx_ne_u32_e32 18, v0
	s_cbranch_execz .LBB54_729
; %bb.726:
	v_add_nc_u32_e32 v117, 0x1c8, v36
	v_add3_u32 v118, 0, v36, 8
	v_mov_b32_e32 v119, v0
	s_mov_b32 s3, 0
.LBB54_727:                             ; =>This Inner Loop Header: Depth=1
	scratch_load_b64 v[120:121], v118, off
	ds_load_b64 v[122:123], v117
	s_wait_xcnt 0x0
	v_dual_add_nc_u32 v117, 8, v117 :: v_dual_add_nc_u32 v118, 8, v118
	s_wait_loadcnt_dscnt 0x0
	v_pk_mul_f32 v[124:125], v[122:123], v[120:121] op_sel:[1,1] op_sel_hi:[0,1]
	s_delay_alu instid0(VALU_DEP_1) | instskip(SKIP_2) | instid1(VALU_DEP_3)
	v_pk_fma_f32 v[126:127], v[122:123], v[120:121], v[124:125] op_sel_hi:[1,0,1]
	v_add_nc_u32_e32 v119, 1, v119
	v_pk_fma_f32 v[120:121], v[122:123], v[120:121], v[124:125] neg_lo:[0,0,1] neg_hi:[0,0,1]
	v_mov_b32_e32 v121, v127
	s_delay_alu instid0(VALU_DEP_3) | instskip(NEXT) | instid1(VALU_DEP_2)
	v_cmp_lt_u32_e32 vcc_lo, 17, v119
	v_pk_add_f32 v[114:115], v[114:115], v[120:121]
	s_or_b32 s3, vcc_lo, s3
	s_delay_alu instid0(SALU_CYCLE_1)
	s_and_not1_b32 exec_lo, exec_lo, s3
	s_cbranch_execnz .LBB54_727
; %bb.728:
	s_or_b32 exec_lo, exec_lo, s3
.LBB54_729:
	s_delay_alu instid0(SALU_CYCLE_1) | instskip(SKIP_4) | instid1(VALU_DEP_1)
	s_or_b32 exec_lo, exec_lo, s2
	v_mov_b32_e32 v117, 0
	ds_load_b64 v[118:119], v117 offset:152
	s_wait_dscnt 0x0
	v_pk_mul_f32 v[120:121], v[114:115], v[118:119] op_sel:[1,1] op_sel_hi:[0,1]
	v_pk_fma_f32 v[122:123], v[114:115], v[118:119], v[120:121] op_sel_hi:[1,0,1]
	v_pk_fma_f32 v[114:115], v[114:115], v[118:119], v[120:121] neg_lo:[0,0,1] neg_hi:[0,0,1]
	s_delay_alu instid0(VALU_DEP_2)
	v_mov_b32_e32 v115, v123
	scratch_store_b64 off, v[114:115], off offset:152
.LBB54_730:
	s_wait_xcnt 0x0
	s_or_b32 exec_lo, exec_lo, s0
	scratch_load_b64 v[114:115], off, off offset:160
	s_mov_b32 s0, exec_lo
	s_wait_loadcnt 0x0
	ds_store_b64 v1, v[114:115]
	s_wait_storecnt_dscnt 0x0
	s_barrier_signal -1
	s_barrier_wait -1
	s_wait_xcnt 0x0
	v_cmpx_gt_u32_e32 20, v0
	s_cbranch_execz .LBB54_740
; %bb.731:
	v_cmp_ne_u32_e32 vcc_lo, 1, v116
	s_cbranch_vccnz .LBB54_733
; %bb.732:
	scratch_load_b64 v[114:115], v37, off
	ds_load_b64 v[118:119], v1
	s_wait_loadcnt_dscnt 0x0
	v_pk_mul_f32 v[120:121], v[118:119], v[114:115] op_sel:[1,1] op_sel_hi:[0,1]
	s_delay_alu instid0(VALU_DEP_1) | instskip(SKIP_1) | instid1(VALU_DEP_2)
	v_pk_fma_f32 v[122:123], v[118:119], v[114:115], v[120:121] op_sel_hi:[1,0,1]
	v_pk_fma_f32 v[114:115], v[118:119], v[114:115], v[120:121] neg_lo:[0,0,1] neg_hi:[0,0,1]
	v_mov_b32_e32 v115, v123
	s_cbranch_execz .LBB54_734
	s_branch .LBB54_735
.LBB54_733:
                                        ; implicit-def: $vgpr114_vgpr115
.LBB54_734:
	ds_load_b64 v[114:115], v1
.LBB54_735:
	s_mov_b32 s2, exec_lo
	v_cmpx_ne_u32_e32 19, v0
	s_cbranch_execz .LBB54_739
; %bb.736:
	v_add_nc_u32_e32 v117, 0x1c8, v36
	v_add3_u32 v118, 0, v36, 8
	v_mov_b32_e32 v119, v0
	s_mov_b32 s3, 0
.LBB54_737:                             ; =>This Inner Loop Header: Depth=1
	scratch_load_b64 v[120:121], v118, off
	ds_load_b64 v[122:123], v117
	s_wait_xcnt 0x0
	v_dual_add_nc_u32 v117, 8, v117 :: v_dual_add_nc_u32 v118, 8, v118
	s_wait_loadcnt_dscnt 0x0
	v_pk_mul_f32 v[124:125], v[122:123], v[120:121] op_sel:[1,1] op_sel_hi:[0,1]
	s_delay_alu instid0(VALU_DEP_1) | instskip(SKIP_2) | instid1(VALU_DEP_3)
	v_pk_fma_f32 v[126:127], v[122:123], v[120:121], v[124:125] op_sel_hi:[1,0,1]
	v_add_nc_u32_e32 v119, 1, v119
	v_pk_fma_f32 v[120:121], v[122:123], v[120:121], v[124:125] neg_lo:[0,0,1] neg_hi:[0,0,1]
	v_mov_b32_e32 v121, v127
	s_delay_alu instid0(VALU_DEP_3) | instskip(NEXT) | instid1(VALU_DEP_2)
	v_cmp_lt_u32_e32 vcc_lo, 18, v119
	v_pk_add_f32 v[114:115], v[114:115], v[120:121]
	s_or_b32 s3, vcc_lo, s3
	s_delay_alu instid0(SALU_CYCLE_1)
	s_and_not1_b32 exec_lo, exec_lo, s3
	s_cbranch_execnz .LBB54_737
; %bb.738:
	s_or_b32 exec_lo, exec_lo, s3
.LBB54_739:
	s_delay_alu instid0(SALU_CYCLE_1) | instskip(SKIP_4) | instid1(VALU_DEP_1)
	s_or_b32 exec_lo, exec_lo, s2
	v_mov_b32_e32 v117, 0
	ds_load_b64 v[118:119], v117 offset:160
	s_wait_dscnt 0x0
	v_pk_mul_f32 v[120:121], v[114:115], v[118:119] op_sel:[1,1] op_sel_hi:[0,1]
	v_pk_fma_f32 v[122:123], v[114:115], v[118:119], v[120:121] op_sel_hi:[1,0,1]
	v_pk_fma_f32 v[114:115], v[114:115], v[118:119], v[120:121] neg_lo:[0,0,1] neg_hi:[0,0,1]
	s_delay_alu instid0(VALU_DEP_2)
	v_mov_b32_e32 v115, v123
	scratch_store_b64 off, v[114:115], off offset:160
.LBB54_740:
	s_wait_xcnt 0x0
	s_or_b32 exec_lo, exec_lo, s0
	scratch_load_b64 v[114:115], off, off offset:168
	s_mov_b32 s0, exec_lo
	s_wait_loadcnt 0x0
	ds_store_b64 v1, v[114:115]
	s_wait_storecnt_dscnt 0x0
	s_barrier_signal -1
	s_barrier_wait -1
	s_wait_xcnt 0x0
	v_cmpx_gt_u32_e32 21, v0
	s_cbranch_execz .LBB54_750
; %bb.741:
	v_cmp_ne_u32_e32 vcc_lo, 1, v116
	s_cbranch_vccnz .LBB54_743
; %bb.742:
	scratch_load_b64 v[114:115], v37, off
	ds_load_b64 v[118:119], v1
	s_wait_loadcnt_dscnt 0x0
	v_pk_mul_f32 v[120:121], v[118:119], v[114:115] op_sel:[1,1] op_sel_hi:[0,1]
	s_delay_alu instid0(VALU_DEP_1) | instskip(SKIP_1) | instid1(VALU_DEP_2)
	v_pk_fma_f32 v[122:123], v[118:119], v[114:115], v[120:121] op_sel_hi:[1,0,1]
	v_pk_fma_f32 v[114:115], v[118:119], v[114:115], v[120:121] neg_lo:[0,0,1] neg_hi:[0,0,1]
	v_mov_b32_e32 v115, v123
	s_cbranch_execz .LBB54_744
	s_branch .LBB54_745
.LBB54_743:
                                        ; implicit-def: $vgpr114_vgpr115
.LBB54_744:
	ds_load_b64 v[114:115], v1
.LBB54_745:
	s_mov_b32 s2, exec_lo
	v_cmpx_ne_u32_e32 20, v0
	s_cbranch_execz .LBB54_749
; %bb.746:
	v_add_nc_u32_e32 v117, 0x1c8, v36
	v_add3_u32 v118, 0, v36, 8
	v_mov_b32_e32 v119, v0
	s_mov_b32 s3, 0
.LBB54_747:                             ; =>This Inner Loop Header: Depth=1
	scratch_load_b64 v[120:121], v118, off
	ds_load_b64 v[122:123], v117
	s_wait_xcnt 0x0
	v_dual_add_nc_u32 v117, 8, v117 :: v_dual_add_nc_u32 v118, 8, v118
	s_wait_loadcnt_dscnt 0x0
	v_pk_mul_f32 v[124:125], v[122:123], v[120:121] op_sel:[1,1] op_sel_hi:[0,1]
	s_delay_alu instid0(VALU_DEP_1) | instskip(SKIP_2) | instid1(VALU_DEP_3)
	v_pk_fma_f32 v[126:127], v[122:123], v[120:121], v[124:125] op_sel_hi:[1,0,1]
	v_add_nc_u32_e32 v119, 1, v119
	v_pk_fma_f32 v[120:121], v[122:123], v[120:121], v[124:125] neg_lo:[0,0,1] neg_hi:[0,0,1]
	v_mov_b32_e32 v121, v127
	s_delay_alu instid0(VALU_DEP_3) | instskip(NEXT) | instid1(VALU_DEP_2)
	v_cmp_lt_u32_e32 vcc_lo, 19, v119
	v_pk_add_f32 v[114:115], v[114:115], v[120:121]
	s_or_b32 s3, vcc_lo, s3
	s_delay_alu instid0(SALU_CYCLE_1)
	s_and_not1_b32 exec_lo, exec_lo, s3
	s_cbranch_execnz .LBB54_747
; %bb.748:
	s_or_b32 exec_lo, exec_lo, s3
.LBB54_749:
	s_delay_alu instid0(SALU_CYCLE_1) | instskip(SKIP_4) | instid1(VALU_DEP_1)
	s_or_b32 exec_lo, exec_lo, s2
	v_mov_b32_e32 v117, 0
	ds_load_b64 v[118:119], v117 offset:168
	s_wait_dscnt 0x0
	v_pk_mul_f32 v[120:121], v[114:115], v[118:119] op_sel:[1,1] op_sel_hi:[0,1]
	v_pk_fma_f32 v[122:123], v[114:115], v[118:119], v[120:121] op_sel_hi:[1,0,1]
	v_pk_fma_f32 v[114:115], v[114:115], v[118:119], v[120:121] neg_lo:[0,0,1] neg_hi:[0,0,1]
	s_delay_alu instid0(VALU_DEP_2)
	v_mov_b32_e32 v115, v123
	scratch_store_b64 off, v[114:115], off offset:168
.LBB54_750:
	s_wait_xcnt 0x0
	s_or_b32 exec_lo, exec_lo, s0
	scratch_load_b64 v[114:115], off, off offset:176
	s_mov_b32 s0, exec_lo
	s_wait_loadcnt 0x0
	ds_store_b64 v1, v[114:115]
	s_wait_storecnt_dscnt 0x0
	s_barrier_signal -1
	s_barrier_wait -1
	s_wait_xcnt 0x0
	v_cmpx_gt_u32_e32 22, v0
	s_cbranch_execz .LBB54_760
; %bb.751:
	v_cmp_ne_u32_e32 vcc_lo, 1, v116
	s_cbranch_vccnz .LBB54_753
; %bb.752:
	scratch_load_b64 v[114:115], v37, off
	ds_load_b64 v[118:119], v1
	s_wait_loadcnt_dscnt 0x0
	v_pk_mul_f32 v[120:121], v[118:119], v[114:115] op_sel:[1,1] op_sel_hi:[0,1]
	s_delay_alu instid0(VALU_DEP_1) | instskip(SKIP_1) | instid1(VALU_DEP_2)
	v_pk_fma_f32 v[122:123], v[118:119], v[114:115], v[120:121] op_sel_hi:[1,0,1]
	v_pk_fma_f32 v[114:115], v[118:119], v[114:115], v[120:121] neg_lo:[0,0,1] neg_hi:[0,0,1]
	v_mov_b32_e32 v115, v123
	s_cbranch_execz .LBB54_754
	s_branch .LBB54_755
.LBB54_753:
                                        ; implicit-def: $vgpr114_vgpr115
.LBB54_754:
	ds_load_b64 v[114:115], v1
.LBB54_755:
	s_mov_b32 s2, exec_lo
	v_cmpx_ne_u32_e32 21, v0
	s_cbranch_execz .LBB54_759
; %bb.756:
	v_add_nc_u32_e32 v117, 0x1c8, v36
	v_add3_u32 v118, 0, v36, 8
	v_mov_b32_e32 v119, v0
	s_mov_b32 s3, 0
.LBB54_757:                             ; =>This Inner Loop Header: Depth=1
	scratch_load_b64 v[120:121], v118, off
	ds_load_b64 v[122:123], v117
	s_wait_xcnt 0x0
	v_dual_add_nc_u32 v117, 8, v117 :: v_dual_add_nc_u32 v118, 8, v118
	s_wait_loadcnt_dscnt 0x0
	v_pk_mul_f32 v[124:125], v[122:123], v[120:121] op_sel:[1,1] op_sel_hi:[0,1]
	s_delay_alu instid0(VALU_DEP_1) | instskip(SKIP_2) | instid1(VALU_DEP_3)
	v_pk_fma_f32 v[126:127], v[122:123], v[120:121], v[124:125] op_sel_hi:[1,0,1]
	v_add_nc_u32_e32 v119, 1, v119
	v_pk_fma_f32 v[120:121], v[122:123], v[120:121], v[124:125] neg_lo:[0,0,1] neg_hi:[0,0,1]
	v_mov_b32_e32 v121, v127
	s_delay_alu instid0(VALU_DEP_3) | instskip(NEXT) | instid1(VALU_DEP_2)
	v_cmp_lt_u32_e32 vcc_lo, 20, v119
	v_pk_add_f32 v[114:115], v[114:115], v[120:121]
	s_or_b32 s3, vcc_lo, s3
	s_delay_alu instid0(SALU_CYCLE_1)
	s_and_not1_b32 exec_lo, exec_lo, s3
	s_cbranch_execnz .LBB54_757
; %bb.758:
	s_or_b32 exec_lo, exec_lo, s3
.LBB54_759:
	s_delay_alu instid0(SALU_CYCLE_1) | instskip(SKIP_4) | instid1(VALU_DEP_1)
	s_or_b32 exec_lo, exec_lo, s2
	v_mov_b32_e32 v117, 0
	ds_load_b64 v[118:119], v117 offset:176
	s_wait_dscnt 0x0
	v_pk_mul_f32 v[120:121], v[114:115], v[118:119] op_sel:[1,1] op_sel_hi:[0,1]
	v_pk_fma_f32 v[122:123], v[114:115], v[118:119], v[120:121] op_sel_hi:[1,0,1]
	v_pk_fma_f32 v[114:115], v[114:115], v[118:119], v[120:121] neg_lo:[0,0,1] neg_hi:[0,0,1]
	s_delay_alu instid0(VALU_DEP_2)
	v_mov_b32_e32 v115, v123
	scratch_store_b64 off, v[114:115], off offset:176
.LBB54_760:
	s_wait_xcnt 0x0
	s_or_b32 exec_lo, exec_lo, s0
	scratch_load_b64 v[114:115], off, off offset:184
	s_mov_b32 s0, exec_lo
	s_wait_loadcnt 0x0
	ds_store_b64 v1, v[114:115]
	s_wait_storecnt_dscnt 0x0
	s_barrier_signal -1
	s_barrier_wait -1
	s_wait_xcnt 0x0
	v_cmpx_gt_u32_e32 23, v0
	s_cbranch_execz .LBB54_770
; %bb.761:
	v_cmp_ne_u32_e32 vcc_lo, 1, v116
	s_cbranch_vccnz .LBB54_763
; %bb.762:
	scratch_load_b64 v[114:115], v37, off
	ds_load_b64 v[118:119], v1
	s_wait_loadcnt_dscnt 0x0
	v_pk_mul_f32 v[120:121], v[118:119], v[114:115] op_sel:[1,1] op_sel_hi:[0,1]
	s_delay_alu instid0(VALU_DEP_1) | instskip(SKIP_1) | instid1(VALU_DEP_2)
	v_pk_fma_f32 v[122:123], v[118:119], v[114:115], v[120:121] op_sel_hi:[1,0,1]
	v_pk_fma_f32 v[114:115], v[118:119], v[114:115], v[120:121] neg_lo:[0,0,1] neg_hi:[0,0,1]
	v_mov_b32_e32 v115, v123
	s_cbranch_execz .LBB54_764
	s_branch .LBB54_765
.LBB54_763:
                                        ; implicit-def: $vgpr114_vgpr115
.LBB54_764:
	ds_load_b64 v[114:115], v1
.LBB54_765:
	s_mov_b32 s2, exec_lo
	v_cmpx_ne_u32_e32 22, v0
	s_cbranch_execz .LBB54_769
; %bb.766:
	v_add_nc_u32_e32 v117, 0x1c8, v36
	v_add3_u32 v118, 0, v36, 8
	v_mov_b32_e32 v119, v0
	s_mov_b32 s3, 0
.LBB54_767:                             ; =>This Inner Loop Header: Depth=1
	scratch_load_b64 v[120:121], v118, off
	ds_load_b64 v[122:123], v117
	s_wait_xcnt 0x0
	v_dual_add_nc_u32 v117, 8, v117 :: v_dual_add_nc_u32 v118, 8, v118
	s_wait_loadcnt_dscnt 0x0
	v_pk_mul_f32 v[124:125], v[122:123], v[120:121] op_sel:[1,1] op_sel_hi:[0,1]
	s_delay_alu instid0(VALU_DEP_1) | instskip(SKIP_2) | instid1(VALU_DEP_3)
	v_pk_fma_f32 v[126:127], v[122:123], v[120:121], v[124:125] op_sel_hi:[1,0,1]
	v_add_nc_u32_e32 v119, 1, v119
	v_pk_fma_f32 v[120:121], v[122:123], v[120:121], v[124:125] neg_lo:[0,0,1] neg_hi:[0,0,1]
	v_mov_b32_e32 v121, v127
	s_delay_alu instid0(VALU_DEP_3) | instskip(NEXT) | instid1(VALU_DEP_2)
	v_cmp_lt_u32_e32 vcc_lo, 21, v119
	v_pk_add_f32 v[114:115], v[114:115], v[120:121]
	s_or_b32 s3, vcc_lo, s3
	s_delay_alu instid0(SALU_CYCLE_1)
	s_and_not1_b32 exec_lo, exec_lo, s3
	s_cbranch_execnz .LBB54_767
; %bb.768:
	s_or_b32 exec_lo, exec_lo, s3
.LBB54_769:
	s_delay_alu instid0(SALU_CYCLE_1) | instskip(SKIP_4) | instid1(VALU_DEP_1)
	s_or_b32 exec_lo, exec_lo, s2
	v_mov_b32_e32 v117, 0
	ds_load_b64 v[118:119], v117 offset:184
	s_wait_dscnt 0x0
	v_pk_mul_f32 v[120:121], v[114:115], v[118:119] op_sel:[1,1] op_sel_hi:[0,1]
	v_pk_fma_f32 v[122:123], v[114:115], v[118:119], v[120:121] op_sel_hi:[1,0,1]
	v_pk_fma_f32 v[114:115], v[114:115], v[118:119], v[120:121] neg_lo:[0,0,1] neg_hi:[0,0,1]
	s_delay_alu instid0(VALU_DEP_2)
	v_mov_b32_e32 v115, v123
	scratch_store_b64 off, v[114:115], off offset:184
.LBB54_770:
	s_wait_xcnt 0x0
	s_or_b32 exec_lo, exec_lo, s0
	scratch_load_b64 v[114:115], off, off offset:192
	s_mov_b32 s0, exec_lo
	s_wait_loadcnt 0x0
	ds_store_b64 v1, v[114:115]
	s_wait_storecnt_dscnt 0x0
	s_barrier_signal -1
	s_barrier_wait -1
	s_wait_xcnt 0x0
	v_cmpx_gt_u32_e32 24, v0
	s_cbranch_execz .LBB54_780
; %bb.771:
	v_cmp_ne_u32_e32 vcc_lo, 1, v116
	s_cbranch_vccnz .LBB54_773
; %bb.772:
	scratch_load_b64 v[114:115], v37, off
	ds_load_b64 v[118:119], v1
	s_wait_loadcnt_dscnt 0x0
	v_pk_mul_f32 v[120:121], v[118:119], v[114:115] op_sel:[1,1] op_sel_hi:[0,1]
	s_delay_alu instid0(VALU_DEP_1) | instskip(SKIP_1) | instid1(VALU_DEP_2)
	v_pk_fma_f32 v[122:123], v[118:119], v[114:115], v[120:121] op_sel_hi:[1,0,1]
	v_pk_fma_f32 v[114:115], v[118:119], v[114:115], v[120:121] neg_lo:[0,0,1] neg_hi:[0,0,1]
	v_mov_b32_e32 v115, v123
	s_cbranch_execz .LBB54_774
	s_branch .LBB54_775
.LBB54_773:
                                        ; implicit-def: $vgpr114_vgpr115
.LBB54_774:
	ds_load_b64 v[114:115], v1
.LBB54_775:
	s_mov_b32 s2, exec_lo
	v_cmpx_ne_u32_e32 23, v0
	s_cbranch_execz .LBB54_779
; %bb.776:
	v_add_nc_u32_e32 v117, 0x1c8, v36
	v_add3_u32 v118, 0, v36, 8
	v_mov_b32_e32 v119, v0
	s_mov_b32 s3, 0
.LBB54_777:                             ; =>This Inner Loop Header: Depth=1
	scratch_load_b64 v[120:121], v118, off
	ds_load_b64 v[122:123], v117
	s_wait_xcnt 0x0
	v_dual_add_nc_u32 v117, 8, v117 :: v_dual_add_nc_u32 v118, 8, v118
	s_wait_loadcnt_dscnt 0x0
	v_pk_mul_f32 v[124:125], v[122:123], v[120:121] op_sel:[1,1] op_sel_hi:[0,1]
	s_delay_alu instid0(VALU_DEP_1) | instskip(SKIP_2) | instid1(VALU_DEP_3)
	v_pk_fma_f32 v[126:127], v[122:123], v[120:121], v[124:125] op_sel_hi:[1,0,1]
	v_add_nc_u32_e32 v119, 1, v119
	v_pk_fma_f32 v[120:121], v[122:123], v[120:121], v[124:125] neg_lo:[0,0,1] neg_hi:[0,0,1]
	v_mov_b32_e32 v121, v127
	s_delay_alu instid0(VALU_DEP_3) | instskip(NEXT) | instid1(VALU_DEP_2)
	v_cmp_lt_u32_e32 vcc_lo, 22, v119
	v_pk_add_f32 v[114:115], v[114:115], v[120:121]
	s_or_b32 s3, vcc_lo, s3
	s_delay_alu instid0(SALU_CYCLE_1)
	s_and_not1_b32 exec_lo, exec_lo, s3
	s_cbranch_execnz .LBB54_777
; %bb.778:
	s_or_b32 exec_lo, exec_lo, s3
.LBB54_779:
	s_delay_alu instid0(SALU_CYCLE_1) | instskip(SKIP_4) | instid1(VALU_DEP_1)
	s_or_b32 exec_lo, exec_lo, s2
	v_mov_b32_e32 v117, 0
	ds_load_b64 v[118:119], v117 offset:192
	s_wait_dscnt 0x0
	v_pk_mul_f32 v[120:121], v[114:115], v[118:119] op_sel:[1,1] op_sel_hi:[0,1]
	v_pk_fma_f32 v[122:123], v[114:115], v[118:119], v[120:121] op_sel_hi:[1,0,1]
	v_pk_fma_f32 v[114:115], v[114:115], v[118:119], v[120:121] neg_lo:[0,0,1] neg_hi:[0,0,1]
	s_delay_alu instid0(VALU_DEP_2)
	v_mov_b32_e32 v115, v123
	scratch_store_b64 off, v[114:115], off offset:192
.LBB54_780:
	s_wait_xcnt 0x0
	s_or_b32 exec_lo, exec_lo, s0
	scratch_load_b64 v[114:115], off, off offset:200
	s_mov_b32 s0, exec_lo
	s_wait_loadcnt 0x0
	ds_store_b64 v1, v[114:115]
	s_wait_storecnt_dscnt 0x0
	s_barrier_signal -1
	s_barrier_wait -1
	s_wait_xcnt 0x0
	v_cmpx_gt_u32_e32 25, v0
	s_cbranch_execz .LBB54_790
; %bb.781:
	v_cmp_ne_u32_e32 vcc_lo, 1, v116
	s_cbranch_vccnz .LBB54_783
; %bb.782:
	scratch_load_b64 v[114:115], v37, off
	ds_load_b64 v[118:119], v1
	s_wait_loadcnt_dscnt 0x0
	v_pk_mul_f32 v[120:121], v[118:119], v[114:115] op_sel:[1,1] op_sel_hi:[0,1]
	s_delay_alu instid0(VALU_DEP_1) | instskip(SKIP_1) | instid1(VALU_DEP_2)
	v_pk_fma_f32 v[122:123], v[118:119], v[114:115], v[120:121] op_sel_hi:[1,0,1]
	v_pk_fma_f32 v[114:115], v[118:119], v[114:115], v[120:121] neg_lo:[0,0,1] neg_hi:[0,0,1]
	v_mov_b32_e32 v115, v123
	s_cbranch_execz .LBB54_784
	s_branch .LBB54_785
.LBB54_783:
                                        ; implicit-def: $vgpr114_vgpr115
.LBB54_784:
	ds_load_b64 v[114:115], v1
.LBB54_785:
	s_mov_b32 s2, exec_lo
	v_cmpx_ne_u32_e32 24, v0
	s_cbranch_execz .LBB54_789
; %bb.786:
	v_add_nc_u32_e32 v117, 0x1c8, v36
	v_add3_u32 v118, 0, v36, 8
	v_mov_b32_e32 v119, v0
	s_mov_b32 s3, 0
.LBB54_787:                             ; =>This Inner Loop Header: Depth=1
	scratch_load_b64 v[120:121], v118, off
	ds_load_b64 v[122:123], v117
	s_wait_xcnt 0x0
	v_dual_add_nc_u32 v117, 8, v117 :: v_dual_add_nc_u32 v118, 8, v118
	s_wait_loadcnt_dscnt 0x0
	v_pk_mul_f32 v[124:125], v[122:123], v[120:121] op_sel:[1,1] op_sel_hi:[0,1]
	s_delay_alu instid0(VALU_DEP_1) | instskip(SKIP_2) | instid1(VALU_DEP_3)
	v_pk_fma_f32 v[126:127], v[122:123], v[120:121], v[124:125] op_sel_hi:[1,0,1]
	v_add_nc_u32_e32 v119, 1, v119
	v_pk_fma_f32 v[120:121], v[122:123], v[120:121], v[124:125] neg_lo:[0,0,1] neg_hi:[0,0,1]
	v_mov_b32_e32 v121, v127
	s_delay_alu instid0(VALU_DEP_3) | instskip(NEXT) | instid1(VALU_DEP_2)
	v_cmp_lt_u32_e32 vcc_lo, 23, v119
	v_pk_add_f32 v[114:115], v[114:115], v[120:121]
	s_or_b32 s3, vcc_lo, s3
	s_delay_alu instid0(SALU_CYCLE_1)
	s_and_not1_b32 exec_lo, exec_lo, s3
	s_cbranch_execnz .LBB54_787
; %bb.788:
	s_or_b32 exec_lo, exec_lo, s3
.LBB54_789:
	s_delay_alu instid0(SALU_CYCLE_1) | instskip(SKIP_4) | instid1(VALU_DEP_1)
	s_or_b32 exec_lo, exec_lo, s2
	v_mov_b32_e32 v117, 0
	ds_load_b64 v[118:119], v117 offset:200
	s_wait_dscnt 0x0
	v_pk_mul_f32 v[120:121], v[114:115], v[118:119] op_sel:[1,1] op_sel_hi:[0,1]
	v_pk_fma_f32 v[122:123], v[114:115], v[118:119], v[120:121] op_sel_hi:[1,0,1]
	v_pk_fma_f32 v[114:115], v[114:115], v[118:119], v[120:121] neg_lo:[0,0,1] neg_hi:[0,0,1]
	s_delay_alu instid0(VALU_DEP_2)
	v_mov_b32_e32 v115, v123
	scratch_store_b64 off, v[114:115], off offset:200
.LBB54_790:
	s_wait_xcnt 0x0
	s_or_b32 exec_lo, exec_lo, s0
	scratch_load_b64 v[114:115], off, off offset:208
	s_mov_b32 s0, exec_lo
	s_wait_loadcnt 0x0
	ds_store_b64 v1, v[114:115]
	s_wait_storecnt_dscnt 0x0
	s_barrier_signal -1
	s_barrier_wait -1
	s_wait_xcnt 0x0
	v_cmpx_gt_u32_e32 26, v0
	s_cbranch_execz .LBB54_800
; %bb.791:
	v_cmp_ne_u32_e32 vcc_lo, 1, v116
	s_cbranch_vccnz .LBB54_793
; %bb.792:
	scratch_load_b64 v[114:115], v37, off
	ds_load_b64 v[118:119], v1
	s_wait_loadcnt_dscnt 0x0
	v_pk_mul_f32 v[120:121], v[118:119], v[114:115] op_sel:[1,1] op_sel_hi:[0,1]
	s_delay_alu instid0(VALU_DEP_1) | instskip(SKIP_1) | instid1(VALU_DEP_2)
	v_pk_fma_f32 v[122:123], v[118:119], v[114:115], v[120:121] op_sel_hi:[1,0,1]
	v_pk_fma_f32 v[114:115], v[118:119], v[114:115], v[120:121] neg_lo:[0,0,1] neg_hi:[0,0,1]
	v_mov_b32_e32 v115, v123
	s_cbranch_execz .LBB54_794
	s_branch .LBB54_795
.LBB54_793:
                                        ; implicit-def: $vgpr114_vgpr115
.LBB54_794:
	ds_load_b64 v[114:115], v1
.LBB54_795:
	s_mov_b32 s2, exec_lo
	v_cmpx_ne_u32_e32 25, v0
	s_cbranch_execz .LBB54_799
; %bb.796:
	v_add_nc_u32_e32 v117, 0x1c8, v36
	v_add3_u32 v118, 0, v36, 8
	v_mov_b32_e32 v119, v0
	s_mov_b32 s3, 0
.LBB54_797:                             ; =>This Inner Loop Header: Depth=1
	scratch_load_b64 v[120:121], v118, off
	ds_load_b64 v[122:123], v117
	s_wait_xcnt 0x0
	v_dual_add_nc_u32 v117, 8, v117 :: v_dual_add_nc_u32 v118, 8, v118
	s_wait_loadcnt_dscnt 0x0
	v_pk_mul_f32 v[124:125], v[122:123], v[120:121] op_sel:[1,1] op_sel_hi:[0,1]
	s_delay_alu instid0(VALU_DEP_1) | instskip(SKIP_2) | instid1(VALU_DEP_3)
	v_pk_fma_f32 v[126:127], v[122:123], v[120:121], v[124:125] op_sel_hi:[1,0,1]
	v_add_nc_u32_e32 v119, 1, v119
	v_pk_fma_f32 v[120:121], v[122:123], v[120:121], v[124:125] neg_lo:[0,0,1] neg_hi:[0,0,1]
	v_mov_b32_e32 v121, v127
	s_delay_alu instid0(VALU_DEP_3) | instskip(NEXT) | instid1(VALU_DEP_2)
	v_cmp_lt_u32_e32 vcc_lo, 24, v119
	v_pk_add_f32 v[114:115], v[114:115], v[120:121]
	s_or_b32 s3, vcc_lo, s3
	s_delay_alu instid0(SALU_CYCLE_1)
	s_and_not1_b32 exec_lo, exec_lo, s3
	s_cbranch_execnz .LBB54_797
; %bb.798:
	s_or_b32 exec_lo, exec_lo, s3
.LBB54_799:
	s_delay_alu instid0(SALU_CYCLE_1) | instskip(SKIP_4) | instid1(VALU_DEP_1)
	s_or_b32 exec_lo, exec_lo, s2
	v_mov_b32_e32 v117, 0
	ds_load_b64 v[118:119], v117 offset:208
	s_wait_dscnt 0x0
	v_pk_mul_f32 v[120:121], v[114:115], v[118:119] op_sel:[1,1] op_sel_hi:[0,1]
	v_pk_fma_f32 v[122:123], v[114:115], v[118:119], v[120:121] op_sel_hi:[1,0,1]
	v_pk_fma_f32 v[114:115], v[114:115], v[118:119], v[120:121] neg_lo:[0,0,1] neg_hi:[0,0,1]
	s_delay_alu instid0(VALU_DEP_2)
	v_mov_b32_e32 v115, v123
	scratch_store_b64 off, v[114:115], off offset:208
.LBB54_800:
	s_wait_xcnt 0x0
	s_or_b32 exec_lo, exec_lo, s0
	scratch_load_b64 v[114:115], off, off offset:216
	s_mov_b32 s0, exec_lo
	s_wait_loadcnt 0x0
	ds_store_b64 v1, v[114:115]
	s_wait_storecnt_dscnt 0x0
	s_barrier_signal -1
	s_barrier_wait -1
	s_wait_xcnt 0x0
	v_cmpx_gt_u32_e32 27, v0
	s_cbranch_execz .LBB54_810
; %bb.801:
	v_cmp_ne_u32_e32 vcc_lo, 1, v116
	s_cbranch_vccnz .LBB54_803
; %bb.802:
	scratch_load_b64 v[114:115], v37, off
	ds_load_b64 v[118:119], v1
	s_wait_loadcnt_dscnt 0x0
	v_pk_mul_f32 v[120:121], v[118:119], v[114:115] op_sel:[1,1] op_sel_hi:[0,1]
	s_delay_alu instid0(VALU_DEP_1) | instskip(SKIP_1) | instid1(VALU_DEP_2)
	v_pk_fma_f32 v[122:123], v[118:119], v[114:115], v[120:121] op_sel_hi:[1,0,1]
	v_pk_fma_f32 v[114:115], v[118:119], v[114:115], v[120:121] neg_lo:[0,0,1] neg_hi:[0,0,1]
	v_mov_b32_e32 v115, v123
	s_cbranch_execz .LBB54_804
	s_branch .LBB54_805
.LBB54_803:
                                        ; implicit-def: $vgpr114_vgpr115
.LBB54_804:
	ds_load_b64 v[114:115], v1
.LBB54_805:
	s_mov_b32 s2, exec_lo
	v_cmpx_ne_u32_e32 26, v0
	s_cbranch_execz .LBB54_809
; %bb.806:
	v_add_nc_u32_e32 v117, 0x1c8, v36
	v_add3_u32 v118, 0, v36, 8
	v_mov_b32_e32 v119, v0
	s_mov_b32 s3, 0
.LBB54_807:                             ; =>This Inner Loop Header: Depth=1
	scratch_load_b64 v[120:121], v118, off
	ds_load_b64 v[122:123], v117
	s_wait_xcnt 0x0
	v_dual_add_nc_u32 v117, 8, v117 :: v_dual_add_nc_u32 v118, 8, v118
	s_wait_loadcnt_dscnt 0x0
	v_pk_mul_f32 v[124:125], v[122:123], v[120:121] op_sel:[1,1] op_sel_hi:[0,1]
	s_delay_alu instid0(VALU_DEP_1) | instskip(SKIP_2) | instid1(VALU_DEP_3)
	v_pk_fma_f32 v[126:127], v[122:123], v[120:121], v[124:125] op_sel_hi:[1,0,1]
	v_add_nc_u32_e32 v119, 1, v119
	v_pk_fma_f32 v[120:121], v[122:123], v[120:121], v[124:125] neg_lo:[0,0,1] neg_hi:[0,0,1]
	v_mov_b32_e32 v121, v127
	s_delay_alu instid0(VALU_DEP_3) | instskip(NEXT) | instid1(VALU_DEP_2)
	v_cmp_lt_u32_e32 vcc_lo, 25, v119
	v_pk_add_f32 v[114:115], v[114:115], v[120:121]
	s_or_b32 s3, vcc_lo, s3
	s_delay_alu instid0(SALU_CYCLE_1)
	s_and_not1_b32 exec_lo, exec_lo, s3
	s_cbranch_execnz .LBB54_807
; %bb.808:
	s_or_b32 exec_lo, exec_lo, s3
.LBB54_809:
	s_delay_alu instid0(SALU_CYCLE_1) | instskip(SKIP_4) | instid1(VALU_DEP_1)
	s_or_b32 exec_lo, exec_lo, s2
	v_mov_b32_e32 v117, 0
	ds_load_b64 v[118:119], v117 offset:216
	s_wait_dscnt 0x0
	v_pk_mul_f32 v[120:121], v[114:115], v[118:119] op_sel:[1,1] op_sel_hi:[0,1]
	v_pk_fma_f32 v[122:123], v[114:115], v[118:119], v[120:121] op_sel_hi:[1,0,1]
	v_pk_fma_f32 v[114:115], v[114:115], v[118:119], v[120:121] neg_lo:[0,0,1] neg_hi:[0,0,1]
	s_delay_alu instid0(VALU_DEP_2)
	v_mov_b32_e32 v115, v123
	scratch_store_b64 off, v[114:115], off offset:216
.LBB54_810:
	s_wait_xcnt 0x0
	s_or_b32 exec_lo, exec_lo, s0
	scratch_load_b64 v[114:115], off, off offset:224
	s_mov_b32 s0, exec_lo
	s_wait_loadcnt 0x0
	ds_store_b64 v1, v[114:115]
	s_wait_storecnt_dscnt 0x0
	s_barrier_signal -1
	s_barrier_wait -1
	s_wait_xcnt 0x0
	v_cmpx_gt_u32_e32 28, v0
	s_cbranch_execz .LBB54_820
; %bb.811:
	v_cmp_ne_u32_e32 vcc_lo, 1, v116
	s_cbranch_vccnz .LBB54_813
; %bb.812:
	scratch_load_b64 v[114:115], v37, off
	ds_load_b64 v[118:119], v1
	s_wait_loadcnt_dscnt 0x0
	v_pk_mul_f32 v[120:121], v[118:119], v[114:115] op_sel:[1,1] op_sel_hi:[0,1]
	s_delay_alu instid0(VALU_DEP_1) | instskip(SKIP_1) | instid1(VALU_DEP_2)
	v_pk_fma_f32 v[122:123], v[118:119], v[114:115], v[120:121] op_sel_hi:[1,0,1]
	v_pk_fma_f32 v[114:115], v[118:119], v[114:115], v[120:121] neg_lo:[0,0,1] neg_hi:[0,0,1]
	v_mov_b32_e32 v115, v123
	s_cbranch_execz .LBB54_814
	s_branch .LBB54_815
.LBB54_813:
                                        ; implicit-def: $vgpr114_vgpr115
.LBB54_814:
	ds_load_b64 v[114:115], v1
.LBB54_815:
	s_mov_b32 s2, exec_lo
	v_cmpx_ne_u32_e32 27, v0
	s_cbranch_execz .LBB54_819
; %bb.816:
	v_add_nc_u32_e32 v117, 0x1c8, v36
	v_add3_u32 v118, 0, v36, 8
	v_mov_b32_e32 v119, v0
	s_mov_b32 s3, 0
.LBB54_817:                             ; =>This Inner Loop Header: Depth=1
	scratch_load_b64 v[120:121], v118, off
	ds_load_b64 v[122:123], v117
	s_wait_xcnt 0x0
	v_dual_add_nc_u32 v117, 8, v117 :: v_dual_add_nc_u32 v118, 8, v118
	s_wait_loadcnt_dscnt 0x0
	v_pk_mul_f32 v[124:125], v[122:123], v[120:121] op_sel:[1,1] op_sel_hi:[0,1]
	s_delay_alu instid0(VALU_DEP_1) | instskip(SKIP_2) | instid1(VALU_DEP_3)
	v_pk_fma_f32 v[126:127], v[122:123], v[120:121], v[124:125] op_sel_hi:[1,0,1]
	v_add_nc_u32_e32 v119, 1, v119
	v_pk_fma_f32 v[120:121], v[122:123], v[120:121], v[124:125] neg_lo:[0,0,1] neg_hi:[0,0,1]
	v_mov_b32_e32 v121, v127
	s_delay_alu instid0(VALU_DEP_3) | instskip(NEXT) | instid1(VALU_DEP_2)
	v_cmp_lt_u32_e32 vcc_lo, 26, v119
	v_pk_add_f32 v[114:115], v[114:115], v[120:121]
	s_or_b32 s3, vcc_lo, s3
	s_delay_alu instid0(SALU_CYCLE_1)
	s_and_not1_b32 exec_lo, exec_lo, s3
	s_cbranch_execnz .LBB54_817
; %bb.818:
	s_or_b32 exec_lo, exec_lo, s3
.LBB54_819:
	s_delay_alu instid0(SALU_CYCLE_1) | instskip(SKIP_4) | instid1(VALU_DEP_1)
	s_or_b32 exec_lo, exec_lo, s2
	v_mov_b32_e32 v117, 0
	ds_load_b64 v[118:119], v117 offset:224
	s_wait_dscnt 0x0
	v_pk_mul_f32 v[120:121], v[114:115], v[118:119] op_sel:[1,1] op_sel_hi:[0,1]
	v_pk_fma_f32 v[122:123], v[114:115], v[118:119], v[120:121] op_sel_hi:[1,0,1]
	v_pk_fma_f32 v[114:115], v[114:115], v[118:119], v[120:121] neg_lo:[0,0,1] neg_hi:[0,0,1]
	s_delay_alu instid0(VALU_DEP_2)
	v_mov_b32_e32 v115, v123
	scratch_store_b64 off, v[114:115], off offset:224
.LBB54_820:
	s_wait_xcnt 0x0
	s_or_b32 exec_lo, exec_lo, s0
	scratch_load_b64 v[114:115], off, off offset:232
	s_mov_b32 s0, exec_lo
	s_wait_loadcnt 0x0
	ds_store_b64 v1, v[114:115]
	s_wait_storecnt_dscnt 0x0
	s_barrier_signal -1
	s_barrier_wait -1
	s_wait_xcnt 0x0
	v_cmpx_gt_u32_e32 29, v0
	s_cbranch_execz .LBB54_830
; %bb.821:
	v_cmp_ne_u32_e32 vcc_lo, 1, v116
	s_cbranch_vccnz .LBB54_823
; %bb.822:
	scratch_load_b64 v[114:115], v37, off
	ds_load_b64 v[118:119], v1
	s_wait_loadcnt_dscnt 0x0
	v_pk_mul_f32 v[120:121], v[118:119], v[114:115] op_sel:[1,1] op_sel_hi:[0,1]
	s_delay_alu instid0(VALU_DEP_1) | instskip(SKIP_1) | instid1(VALU_DEP_2)
	v_pk_fma_f32 v[122:123], v[118:119], v[114:115], v[120:121] op_sel_hi:[1,0,1]
	v_pk_fma_f32 v[114:115], v[118:119], v[114:115], v[120:121] neg_lo:[0,0,1] neg_hi:[0,0,1]
	v_mov_b32_e32 v115, v123
	s_cbranch_execz .LBB54_824
	s_branch .LBB54_825
.LBB54_823:
                                        ; implicit-def: $vgpr114_vgpr115
.LBB54_824:
	ds_load_b64 v[114:115], v1
.LBB54_825:
	s_mov_b32 s2, exec_lo
	v_cmpx_ne_u32_e32 28, v0
	s_cbranch_execz .LBB54_829
; %bb.826:
	v_add_nc_u32_e32 v117, 0x1c8, v36
	v_add3_u32 v118, 0, v36, 8
	v_mov_b32_e32 v119, v0
	s_mov_b32 s3, 0
.LBB54_827:                             ; =>This Inner Loop Header: Depth=1
	scratch_load_b64 v[120:121], v118, off
	ds_load_b64 v[122:123], v117
	s_wait_xcnt 0x0
	v_dual_add_nc_u32 v117, 8, v117 :: v_dual_add_nc_u32 v118, 8, v118
	s_wait_loadcnt_dscnt 0x0
	v_pk_mul_f32 v[124:125], v[122:123], v[120:121] op_sel:[1,1] op_sel_hi:[0,1]
	s_delay_alu instid0(VALU_DEP_1) | instskip(SKIP_2) | instid1(VALU_DEP_3)
	v_pk_fma_f32 v[126:127], v[122:123], v[120:121], v[124:125] op_sel_hi:[1,0,1]
	v_add_nc_u32_e32 v119, 1, v119
	v_pk_fma_f32 v[120:121], v[122:123], v[120:121], v[124:125] neg_lo:[0,0,1] neg_hi:[0,0,1]
	v_mov_b32_e32 v121, v127
	s_delay_alu instid0(VALU_DEP_3) | instskip(NEXT) | instid1(VALU_DEP_2)
	v_cmp_lt_u32_e32 vcc_lo, 27, v119
	v_pk_add_f32 v[114:115], v[114:115], v[120:121]
	s_or_b32 s3, vcc_lo, s3
	s_delay_alu instid0(SALU_CYCLE_1)
	s_and_not1_b32 exec_lo, exec_lo, s3
	s_cbranch_execnz .LBB54_827
; %bb.828:
	s_or_b32 exec_lo, exec_lo, s3
.LBB54_829:
	s_delay_alu instid0(SALU_CYCLE_1) | instskip(SKIP_4) | instid1(VALU_DEP_1)
	s_or_b32 exec_lo, exec_lo, s2
	v_mov_b32_e32 v117, 0
	ds_load_b64 v[118:119], v117 offset:232
	s_wait_dscnt 0x0
	v_pk_mul_f32 v[120:121], v[114:115], v[118:119] op_sel:[1,1] op_sel_hi:[0,1]
	v_pk_fma_f32 v[122:123], v[114:115], v[118:119], v[120:121] op_sel_hi:[1,0,1]
	v_pk_fma_f32 v[114:115], v[114:115], v[118:119], v[120:121] neg_lo:[0,0,1] neg_hi:[0,0,1]
	s_delay_alu instid0(VALU_DEP_2)
	v_mov_b32_e32 v115, v123
	scratch_store_b64 off, v[114:115], off offset:232
.LBB54_830:
	s_wait_xcnt 0x0
	s_or_b32 exec_lo, exec_lo, s0
	scratch_load_b64 v[114:115], off, off offset:240
	s_mov_b32 s0, exec_lo
	s_wait_loadcnt 0x0
	ds_store_b64 v1, v[114:115]
	s_wait_storecnt_dscnt 0x0
	s_barrier_signal -1
	s_barrier_wait -1
	s_wait_xcnt 0x0
	v_cmpx_gt_u32_e32 30, v0
	s_cbranch_execz .LBB54_840
; %bb.831:
	v_cmp_ne_u32_e32 vcc_lo, 1, v116
	s_cbranch_vccnz .LBB54_833
; %bb.832:
	scratch_load_b64 v[114:115], v37, off
	ds_load_b64 v[118:119], v1
	s_wait_loadcnt_dscnt 0x0
	v_pk_mul_f32 v[120:121], v[118:119], v[114:115] op_sel:[1,1] op_sel_hi:[0,1]
	s_delay_alu instid0(VALU_DEP_1) | instskip(SKIP_1) | instid1(VALU_DEP_2)
	v_pk_fma_f32 v[122:123], v[118:119], v[114:115], v[120:121] op_sel_hi:[1,0,1]
	v_pk_fma_f32 v[114:115], v[118:119], v[114:115], v[120:121] neg_lo:[0,0,1] neg_hi:[0,0,1]
	v_mov_b32_e32 v115, v123
	s_cbranch_execz .LBB54_834
	s_branch .LBB54_835
.LBB54_833:
                                        ; implicit-def: $vgpr114_vgpr115
.LBB54_834:
	ds_load_b64 v[114:115], v1
.LBB54_835:
	s_mov_b32 s2, exec_lo
	v_cmpx_ne_u32_e32 29, v0
	s_cbranch_execz .LBB54_839
; %bb.836:
	v_add_nc_u32_e32 v117, 0x1c8, v36
	v_add3_u32 v118, 0, v36, 8
	v_mov_b32_e32 v119, v0
	s_mov_b32 s3, 0
.LBB54_837:                             ; =>This Inner Loop Header: Depth=1
	scratch_load_b64 v[120:121], v118, off
	ds_load_b64 v[122:123], v117
	s_wait_xcnt 0x0
	v_dual_add_nc_u32 v117, 8, v117 :: v_dual_add_nc_u32 v118, 8, v118
	s_wait_loadcnt_dscnt 0x0
	v_pk_mul_f32 v[124:125], v[122:123], v[120:121] op_sel:[1,1] op_sel_hi:[0,1]
	s_delay_alu instid0(VALU_DEP_1) | instskip(SKIP_2) | instid1(VALU_DEP_3)
	v_pk_fma_f32 v[126:127], v[122:123], v[120:121], v[124:125] op_sel_hi:[1,0,1]
	v_add_nc_u32_e32 v119, 1, v119
	v_pk_fma_f32 v[120:121], v[122:123], v[120:121], v[124:125] neg_lo:[0,0,1] neg_hi:[0,0,1]
	v_mov_b32_e32 v121, v127
	s_delay_alu instid0(VALU_DEP_3) | instskip(NEXT) | instid1(VALU_DEP_2)
	v_cmp_lt_u32_e32 vcc_lo, 28, v119
	v_pk_add_f32 v[114:115], v[114:115], v[120:121]
	s_or_b32 s3, vcc_lo, s3
	s_delay_alu instid0(SALU_CYCLE_1)
	s_and_not1_b32 exec_lo, exec_lo, s3
	s_cbranch_execnz .LBB54_837
; %bb.838:
	s_or_b32 exec_lo, exec_lo, s3
.LBB54_839:
	s_delay_alu instid0(SALU_CYCLE_1) | instskip(SKIP_4) | instid1(VALU_DEP_1)
	s_or_b32 exec_lo, exec_lo, s2
	v_mov_b32_e32 v117, 0
	ds_load_b64 v[118:119], v117 offset:240
	s_wait_dscnt 0x0
	v_pk_mul_f32 v[120:121], v[114:115], v[118:119] op_sel:[1,1] op_sel_hi:[0,1]
	v_pk_fma_f32 v[122:123], v[114:115], v[118:119], v[120:121] op_sel_hi:[1,0,1]
	v_pk_fma_f32 v[114:115], v[114:115], v[118:119], v[120:121] neg_lo:[0,0,1] neg_hi:[0,0,1]
	s_delay_alu instid0(VALU_DEP_2)
	v_mov_b32_e32 v115, v123
	scratch_store_b64 off, v[114:115], off offset:240
.LBB54_840:
	s_wait_xcnt 0x0
	s_or_b32 exec_lo, exec_lo, s0
	scratch_load_b64 v[114:115], off, off offset:248
	s_mov_b32 s0, exec_lo
	s_wait_loadcnt 0x0
	ds_store_b64 v1, v[114:115]
	s_wait_storecnt_dscnt 0x0
	s_barrier_signal -1
	s_barrier_wait -1
	s_wait_xcnt 0x0
	v_cmpx_gt_u32_e32 31, v0
	s_cbranch_execz .LBB54_850
; %bb.841:
	v_cmp_ne_u32_e32 vcc_lo, 1, v116
	s_cbranch_vccnz .LBB54_843
; %bb.842:
	scratch_load_b64 v[114:115], v37, off
	ds_load_b64 v[118:119], v1
	s_wait_loadcnt_dscnt 0x0
	v_pk_mul_f32 v[120:121], v[118:119], v[114:115] op_sel:[1,1] op_sel_hi:[0,1]
	s_delay_alu instid0(VALU_DEP_1) | instskip(SKIP_1) | instid1(VALU_DEP_2)
	v_pk_fma_f32 v[122:123], v[118:119], v[114:115], v[120:121] op_sel_hi:[1,0,1]
	v_pk_fma_f32 v[114:115], v[118:119], v[114:115], v[120:121] neg_lo:[0,0,1] neg_hi:[0,0,1]
	v_mov_b32_e32 v115, v123
	s_cbranch_execz .LBB54_844
	s_branch .LBB54_845
.LBB54_843:
                                        ; implicit-def: $vgpr114_vgpr115
.LBB54_844:
	ds_load_b64 v[114:115], v1
.LBB54_845:
	s_mov_b32 s2, exec_lo
	v_cmpx_ne_u32_e32 30, v0
	s_cbranch_execz .LBB54_849
; %bb.846:
	v_add_nc_u32_e32 v117, 0x1c8, v36
	v_add3_u32 v118, 0, v36, 8
	v_mov_b32_e32 v119, v0
	s_mov_b32 s3, 0
.LBB54_847:                             ; =>This Inner Loop Header: Depth=1
	scratch_load_b64 v[120:121], v118, off
	ds_load_b64 v[122:123], v117
	s_wait_xcnt 0x0
	v_dual_add_nc_u32 v117, 8, v117 :: v_dual_add_nc_u32 v118, 8, v118
	s_wait_loadcnt_dscnt 0x0
	v_pk_mul_f32 v[124:125], v[122:123], v[120:121] op_sel:[1,1] op_sel_hi:[0,1]
	s_delay_alu instid0(VALU_DEP_1) | instskip(SKIP_2) | instid1(VALU_DEP_3)
	v_pk_fma_f32 v[126:127], v[122:123], v[120:121], v[124:125] op_sel_hi:[1,0,1]
	v_add_nc_u32_e32 v119, 1, v119
	v_pk_fma_f32 v[120:121], v[122:123], v[120:121], v[124:125] neg_lo:[0,0,1] neg_hi:[0,0,1]
	v_mov_b32_e32 v121, v127
	s_delay_alu instid0(VALU_DEP_3) | instskip(NEXT) | instid1(VALU_DEP_2)
	v_cmp_lt_u32_e32 vcc_lo, 29, v119
	v_pk_add_f32 v[114:115], v[114:115], v[120:121]
	s_or_b32 s3, vcc_lo, s3
	s_delay_alu instid0(SALU_CYCLE_1)
	s_and_not1_b32 exec_lo, exec_lo, s3
	s_cbranch_execnz .LBB54_847
; %bb.848:
	s_or_b32 exec_lo, exec_lo, s3
.LBB54_849:
	s_delay_alu instid0(SALU_CYCLE_1) | instskip(SKIP_4) | instid1(VALU_DEP_1)
	s_or_b32 exec_lo, exec_lo, s2
	v_mov_b32_e32 v117, 0
	ds_load_b64 v[118:119], v117 offset:248
	s_wait_dscnt 0x0
	v_pk_mul_f32 v[120:121], v[114:115], v[118:119] op_sel:[1,1] op_sel_hi:[0,1]
	v_pk_fma_f32 v[122:123], v[114:115], v[118:119], v[120:121] op_sel_hi:[1,0,1]
	v_pk_fma_f32 v[114:115], v[114:115], v[118:119], v[120:121] neg_lo:[0,0,1] neg_hi:[0,0,1]
	s_delay_alu instid0(VALU_DEP_2)
	v_mov_b32_e32 v115, v123
	scratch_store_b64 off, v[114:115], off offset:248
.LBB54_850:
	s_wait_xcnt 0x0
	s_or_b32 exec_lo, exec_lo, s0
	scratch_load_b64 v[114:115], off, off offset:256
	s_mov_b32 s0, exec_lo
	s_wait_loadcnt 0x0
	ds_store_b64 v1, v[114:115]
	s_wait_storecnt_dscnt 0x0
	s_barrier_signal -1
	s_barrier_wait -1
	s_wait_xcnt 0x0
	v_cmpx_gt_u32_e32 32, v0
	s_cbranch_execz .LBB54_860
; %bb.851:
	v_cmp_ne_u32_e32 vcc_lo, 1, v116
	s_cbranch_vccnz .LBB54_853
; %bb.852:
	scratch_load_b64 v[114:115], v37, off
	ds_load_b64 v[118:119], v1
	s_wait_loadcnt_dscnt 0x0
	v_pk_mul_f32 v[120:121], v[118:119], v[114:115] op_sel:[1,1] op_sel_hi:[0,1]
	s_delay_alu instid0(VALU_DEP_1) | instskip(SKIP_1) | instid1(VALU_DEP_2)
	v_pk_fma_f32 v[122:123], v[118:119], v[114:115], v[120:121] op_sel_hi:[1,0,1]
	v_pk_fma_f32 v[114:115], v[118:119], v[114:115], v[120:121] neg_lo:[0,0,1] neg_hi:[0,0,1]
	v_mov_b32_e32 v115, v123
	s_cbranch_execz .LBB54_854
	s_branch .LBB54_855
.LBB54_853:
                                        ; implicit-def: $vgpr114_vgpr115
.LBB54_854:
	ds_load_b64 v[114:115], v1
.LBB54_855:
	s_mov_b32 s2, exec_lo
	v_cmpx_ne_u32_e32 31, v0
	s_cbranch_execz .LBB54_859
; %bb.856:
	v_add_nc_u32_e32 v117, 0x1c8, v36
	v_add3_u32 v118, 0, v36, 8
	v_mov_b32_e32 v119, v0
	s_mov_b32 s3, 0
.LBB54_857:                             ; =>This Inner Loop Header: Depth=1
	scratch_load_b64 v[120:121], v118, off
	ds_load_b64 v[122:123], v117
	s_wait_xcnt 0x0
	v_dual_add_nc_u32 v117, 8, v117 :: v_dual_add_nc_u32 v118, 8, v118
	s_wait_loadcnt_dscnt 0x0
	v_pk_mul_f32 v[124:125], v[122:123], v[120:121] op_sel:[1,1] op_sel_hi:[0,1]
	s_delay_alu instid0(VALU_DEP_1) | instskip(SKIP_2) | instid1(VALU_DEP_3)
	v_pk_fma_f32 v[126:127], v[122:123], v[120:121], v[124:125] op_sel_hi:[1,0,1]
	v_add_nc_u32_e32 v119, 1, v119
	v_pk_fma_f32 v[120:121], v[122:123], v[120:121], v[124:125] neg_lo:[0,0,1] neg_hi:[0,0,1]
	v_mov_b32_e32 v121, v127
	s_delay_alu instid0(VALU_DEP_3) | instskip(NEXT) | instid1(VALU_DEP_2)
	v_cmp_lt_u32_e32 vcc_lo, 30, v119
	v_pk_add_f32 v[114:115], v[114:115], v[120:121]
	s_or_b32 s3, vcc_lo, s3
	s_delay_alu instid0(SALU_CYCLE_1)
	s_and_not1_b32 exec_lo, exec_lo, s3
	s_cbranch_execnz .LBB54_857
; %bb.858:
	s_or_b32 exec_lo, exec_lo, s3
.LBB54_859:
	s_delay_alu instid0(SALU_CYCLE_1) | instskip(SKIP_4) | instid1(VALU_DEP_1)
	s_or_b32 exec_lo, exec_lo, s2
	v_mov_b32_e32 v117, 0
	ds_load_b64 v[118:119], v117 offset:256
	s_wait_dscnt 0x0
	v_pk_mul_f32 v[120:121], v[114:115], v[118:119] op_sel:[1,1] op_sel_hi:[0,1]
	v_pk_fma_f32 v[122:123], v[114:115], v[118:119], v[120:121] op_sel_hi:[1,0,1]
	v_pk_fma_f32 v[114:115], v[114:115], v[118:119], v[120:121] neg_lo:[0,0,1] neg_hi:[0,0,1]
	s_delay_alu instid0(VALU_DEP_2)
	v_mov_b32_e32 v115, v123
	scratch_store_b64 off, v[114:115], off offset:256
.LBB54_860:
	s_wait_xcnt 0x0
	s_or_b32 exec_lo, exec_lo, s0
	scratch_load_b64 v[114:115], off, off offset:264
	s_mov_b32 s0, exec_lo
	s_wait_loadcnt 0x0
	ds_store_b64 v1, v[114:115]
	s_wait_storecnt_dscnt 0x0
	s_barrier_signal -1
	s_barrier_wait -1
	s_wait_xcnt 0x0
	v_cmpx_gt_u32_e32 33, v0
	s_cbranch_execz .LBB54_870
; %bb.861:
	v_cmp_ne_u32_e32 vcc_lo, 1, v116
	s_cbranch_vccnz .LBB54_863
; %bb.862:
	scratch_load_b64 v[114:115], v37, off
	ds_load_b64 v[118:119], v1
	s_wait_loadcnt_dscnt 0x0
	v_pk_mul_f32 v[120:121], v[118:119], v[114:115] op_sel:[1,1] op_sel_hi:[0,1]
	s_delay_alu instid0(VALU_DEP_1) | instskip(SKIP_1) | instid1(VALU_DEP_2)
	v_pk_fma_f32 v[122:123], v[118:119], v[114:115], v[120:121] op_sel_hi:[1,0,1]
	v_pk_fma_f32 v[114:115], v[118:119], v[114:115], v[120:121] neg_lo:[0,0,1] neg_hi:[0,0,1]
	v_mov_b32_e32 v115, v123
	s_cbranch_execz .LBB54_864
	s_branch .LBB54_865
.LBB54_863:
                                        ; implicit-def: $vgpr114_vgpr115
.LBB54_864:
	ds_load_b64 v[114:115], v1
.LBB54_865:
	s_mov_b32 s2, exec_lo
	v_cmpx_ne_u32_e32 32, v0
	s_cbranch_execz .LBB54_869
; %bb.866:
	v_add_nc_u32_e32 v117, 0x1c8, v36
	v_add3_u32 v118, 0, v36, 8
	v_mov_b32_e32 v119, v0
	s_mov_b32 s3, 0
.LBB54_867:                             ; =>This Inner Loop Header: Depth=1
	scratch_load_b64 v[120:121], v118, off
	ds_load_b64 v[122:123], v117
	s_wait_xcnt 0x0
	v_dual_add_nc_u32 v117, 8, v117 :: v_dual_add_nc_u32 v118, 8, v118
	s_wait_loadcnt_dscnt 0x0
	v_pk_mul_f32 v[124:125], v[122:123], v[120:121] op_sel:[1,1] op_sel_hi:[0,1]
	s_delay_alu instid0(VALU_DEP_1) | instskip(SKIP_2) | instid1(VALU_DEP_3)
	v_pk_fma_f32 v[126:127], v[122:123], v[120:121], v[124:125] op_sel_hi:[1,0,1]
	v_add_nc_u32_e32 v119, 1, v119
	v_pk_fma_f32 v[120:121], v[122:123], v[120:121], v[124:125] neg_lo:[0,0,1] neg_hi:[0,0,1]
	v_mov_b32_e32 v121, v127
	s_delay_alu instid0(VALU_DEP_3) | instskip(NEXT) | instid1(VALU_DEP_2)
	v_cmp_lt_u32_e32 vcc_lo, 31, v119
	v_pk_add_f32 v[114:115], v[114:115], v[120:121]
	s_or_b32 s3, vcc_lo, s3
	s_delay_alu instid0(SALU_CYCLE_1)
	s_and_not1_b32 exec_lo, exec_lo, s3
	s_cbranch_execnz .LBB54_867
; %bb.868:
	s_or_b32 exec_lo, exec_lo, s3
.LBB54_869:
	s_delay_alu instid0(SALU_CYCLE_1) | instskip(SKIP_4) | instid1(VALU_DEP_1)
	s_or_b32 exec_lo, exec_lo, s2
	v_mov_b32_e32 v117, 0
	ds_load_b64 v[118:119], v117 offset:264
	s_wait_dscnt 0x0
	v_pk_mul_f32 v[120:121], v[114:115], v[118:119] op_sel:[1,1] op_sel_hi:[0,1]
	v_pk_fma_f32 v[122:123], v[114:115], v[118:119], v[120:121] op_sel_hi:[1,0,1]
	v_pk_fma_f32 v[114:115], v[114:115], v[118:119], v[120:121] neg_lo:[0,0,1] neg_hi:[0,0,1]
	s_delay_alu instid0(VALU_DEP_2)
	v_mov_b32_e32 v115, v123
	scratch_store_b64 off, v[114:115], off offset:264
.LBB54_870:
	s_wait_xcnt 0x0
	s_or_b32 exec_lo, exec_lo, s0
	scratch_load_b64 v[114:115], off, off offset:272
	s_mov_b32 s0, exec_lo
	s_wait_loadcnt 0x0
	ds_store_b64 v1, v[114:115]
	s_wait_storecnt_dscnt 0x0
	s_barrier_signal -1
	s_barrier_wait -1
	s_wait_xcnt 0x0
	v_cmpx_gt_u32_e32 34, v0
	s_cbranch_execz .LBB54_880
; %bb.871:
	v_cmp_ne_u32_e32 vcc_lo, 1, v116
	s_cbranch_vccnz .LBB54_873
; %bb.872:
	scratch_load_b64 v[114:115], v37, off
	ds_load_b64 v[118:119], v1
	s_wait_loadcnt_dscnt 0x0
	v_pk_mul_f32 v[120:121], v[118:119], v[114:115] op_sel:[1,1] op_sel_hi:[0,1]
	s_delay_alu instid0(VALU_DEP_1) | instskip(SKIP_1) | instid1(VALU_DEP_2)
	v_pk_fma_f32 v[122:123], v[118:119], v[114:115], v[120:121] op_sel_hi:[1,0,1]
	v_pk_fma_f32 v[114:115], v[118:119], v[114:115], v[120:121] neg_lo:[0,0,1] neg_hi:[0,0,1]
	v_mov_b32_e32 v115, v123
	s_cbranch_execz .LBB54_874
	s_branch .LBB54_875
.LBB54_873:
                                        ; implicit-def: $vgpr114_vgpr115
.LBB54_874:
	ds_load_b64 v[114:115], v1
.LBB54_875:
	s_mov_b32 s2, exec_lo
	v_cmpx_ne_u32_e32 33, v0
	s_cbranch_execz .LBB54_879
; %bb.876:
	v_add_nc_u32_e32 v117, 0x1c8, v36
	v_add3_u32 v118, 0, v36, 8
	v_mov_b32_e32 v119, v0
	s_mov_b32 s3, 0
.LBB54_877:                             ; =>This Inner Loop Header: Depth=1
	scratch_load_b64 v[120:121], v118, off
	ds_load_b64 v[122:123], v117
	s_wait_xcnt 0x0
	v_dual_add_nc_u32 v117, 8, v117 :: v_dual_add_nc_u32 v118, 8, v118
	s_wait_loadcnt_dscnt 0x0
	v_pk_mul_f32 v[124:125], v[122:123], v[120:121] op_sel:[1,1] op_sel_hi:[0,1]
	s_delay_alu instid0(VALU_DEP_1) | instskip(SKIP_2) | instid1(VALU_DEP_3)
	v_pk_fma_f32 v[126:127], v[122:123], v[120:121], v[124:125] op_sel_hi:[1,0,1]
	v_add_nc_u32_e32 v119, 1, v119
	v_pk_fma_f32 v[120:121], v[122:123], v[120:121], v[124:125] neg_lo:[0,0,1] neg_hi:[0,0,1]
	v_mov_b32_e32 v121, v127
	s_delay_alu instid0(VALU_DEP_3) | instskip(NEXT) | instid1(VALU_DEP_2)
	v_cmp_lt_u32_e32 vcc_lo, 32, v119
	v_pk_add_f32 v[114:115], v[114:115], v[120:121]
	s_or_b32 s3, vcc_lo, s3
	s_delay_alu instid0(SALU_CYCLE_1)
	s_and_not1_b32 exec_lo, exec_lo, s3
	s_cbranch_execnz .LBB54_877
; %bb.878:
	s_or_b32 exec_lo, exec_lo, s3
.LBB54_879:
	s_delay_alu instid0(SALU_CYCLE_1) | instskip(SKIP_4) | instid1(VALU_DEP_1)
	s_or_b32 exec_lo, exec_lo, s2
	v_mov_b32_e32 v117, 0
	ds_load_b64 v[118:119], v117 offset:272
	s_wait_dscnt 0x0
	v_pk_mul_f32 v[120:121], v[114:115], v[118:119] op_sel:[1,1] op_sel_hi:[0,1]
	v_pk_fma_f32 v[122:123], v[114:115], v[118:119], v[120:121] op_sel_hi:[1,0,1]
	v_pk_fma_f32 v[114:115], v[114:115], v[118:119], v[120:121] neg_lo:[0,0,1] neg_hi:[0,0,1]
	s_delay_alu instid0(VALU_DEP_2)
	v_mov_b32_e32 v115, v123
	scratch_store_b64 off, v[114:115], off offset:272
.LBB54_880:
	s_wait_xcnt 0x0
	s_or_b32 exec_lo, exec_lo, s0
	scratch_load_b64 v[114:115], off, off offset:280
	s_mov_b32 s0, exec_lo
	s_wait_loadcnt 0x0
	ds_store_b64 v1, v[114:115]
	s_wait_storecnt_dscnt 0x0
	s_barrier_signal -1
	s_barrier_wait -1
	s_wait_xcnt 0x0
	v_cmpx_gt_u32_e32 35, v0
	s_cbranch_execz .LBB54_890
; %bb.881:
	v_cmp_ne_u32_e32 vcc_lo, 1, v116
	s_cbranch_vccnz .LBB54_883
; %bb.882:
	scratch_load_b64 v[114:115], v37, off
	ds_load_b64 v[118:119], v1
	s_wait_loadcnt_dscnt 0x0
	v_pk_mul_f32 v[120:121], v[118:119], v[114:115] op_sel:[1,1] op_sel_hi:[0,1]
	s_delay_alu instid0(VALU_DEP_1) | instskip(SKIP_1) | instid1(VALU_DEP_2)
	v_pk_fma_f32 v[122:123], v[118:119], v[114:115], v[120:121] op_sel_hi:[1,0,1]
	v_pk_fma_f32 v[114:115], v[118:119], v[114:115], v[120:121] neg_lo:[0,0,1] neg_hi:[0,0,1]
	v_mov_b32_e32 v115, v123
	s_cbranch_execz .LBB54_884
	s_branch .LBB54_885
.LBB54_883:
                                        ; implicit-def: $vgpr114_vgpr115
.LBB54_884:
	ds_load_b64 v[114:115], v1
.LBB54_885:
	s_mov_b32 s2, exec_lo
	v_cmpx_ne_u32_e32 34, v0
	s_cbranch_execz .LBB54_889
; %bb.886:
	v_add_nc_u32_e32 v117, 0x1c8, v36
	v_add3_u32 v118, 0, v36, 8
	v_mov_b32_e32 v119, v0
	s_mov_b32 s3, 0
.LBB54_887:                             ; =>This Inner Loop Header: Depth=1
	scratch_load_b64 v[120:121], v118, off
	ds_load_b64 v[122:123], v117
	s_wait_xcnt 0x0
	v_dual_add_nc_u32 v117, 8, v117 :: v_dual_add_nc_u32 v118, 8, v118
	s_wait_loadcnt_dscnt 0x0
	v_pk_mul_f32 v[124:125], v[122:123], v[120:121] op_sel:[1,1] op_sel_hi:[0,1]
	s_delay_alu instid0(VALU_DEP_1) | instskip(SKIP_2) | instid1(VALU_DEP_3)
	v_pk_fma_f32 v[126:127], v[122:123], v[120:121], v[124:125] op_sel_hi:[1,0,1]
	v_add_nc_u32_e32 v119, 1, v119
	v_pk_fma_f32 v[120:121], v[122:123], v[120:121], v[124:125] neg_lo:[0,0,1] neg_hi:[0,0,1]
	v_mov_b32_e32 v121, v127
	s_delay_alu instid0(VALU_DEP_3) | instskip(NEXT) | instid1(VALU_DEP_2)
	v_cmp_lt_u32_e32 vcc_lo, 33, v119
	v_pk_add_f32 v[114:115], v[114:115], v[120:121]
	s_or_b32 s3, vcc_lo, s3
	s_delay_alu instid0(SALU_CYCLE_1)
	s_and_not1_b32 exec_lo, exec_lo, s3
	s_cbranch_execnz .LBB54_887
; %bb.888:
	s_or_b32 exec_lo, exec_lo, s3
.LBB54_889:
	s_delay_alu instid0(SALU_CYCLE_1) | instskip(SKIP_4) | instid1(VALU_DEP_1)
	s_or_b32 exec_lo, exec_lo, s2
	v_mov_b32_e32 v117, 0
	ds_load_b64 v[118:119], v117 offset:280
	s_wait_dscnt 0x0
	v_pk_mul_f32 v[120:121], v[114:115], v[118:119] op_sel:[1,1] op_sel_hi:[0,1]
	v_pk_fma_f32 v[122:123], v[114:115], v[118:119], v[120:121] op_sel_hi:[1,0,1]
	v_pk_fma_f32 v[114:115], v[114:115], v[118:119], v[120:121] neg_lo:[0,0,1] neg_hi:[0,0,1]
	s_delay_alu instid0(VALU_DEP_2)
	v_mov_b32_e32 v115, v123
	scratch_store_b64 off, v[114:115], off offset:280
.LBB54_890:
	s_wait_xcnt 0x0
	s_or_b32 exec_lo, exec_lo, s0
	scratch_load_b64 v[114:115], off, off offset:288
	s_mov_b32 s0, exec_lo
	s_wait_loadcnt 0x0
	ds_store_b64 v1, v[114:115]
	s_wait_storecnt_dscnt 0x0
	s_barrier_signal -1
	s_barrier_wait -1
	s_wait_xcnt 0x0
	v_cmpx_gt_u32_e32 36, v0
	s_cbranch_execz .LBB54_900
; %bb.891:
	v_cmp_ne_u32_e32 vcc_lo, 1, v116
	s_cbranch_vccnz .LBB54_893
; %bb.892:
	scratch_load_b64 v[114:115], v37, off
	ds_load_b64 v[118:119], v1
	s_wait_loadcnt_dscnt 0x0
	v_pk_mul_f32 v[120:121], v[118:119], v[114:115] op_sel:[1,1] op_sel_hi:[0,1]
	s_delay_alu instid0(VALU_DEP_1) | instskip(SKIP_1) | instid1(VALU_DEP_2)
	v_pk_fma_f32 v[122:123], v[118:119], v[114:115], v[120:121] op_sel_hi:[1,0,1]
	v_pk_fma_f32 v[114:115], v[118:119], v[114:115], v[120:121] neg_lo:[0,0,1] neg_hi:[0,0,1]
	v_mov_b32_e32 v115, v123
	s_cbranch_execz .LBB54_894
	s_branch .LBB54_895
.LBB54_893:
                                        ; implicit-def: $vgpr114_vgpr115
.LBB54_894:
	ds_load_b64 v[114:115], v1
.LBB54_895:
	s_mov_b32 s2, exec_lo
	v_cmpx_ne_u32_e32 35, v0
	s_cbranch_execz .LBB54_899
; %bb.896:
	v_add_nc_u32_e32 v117, 0x1c8, v36
	v_add3_u32 v118, 0, v36, 8
	v_mov_b32_e32 v119, v0
	s_mov_b32 s3, 0
.LBB54_897:                             ; =>This Inner Loop Header: Depth=1
	scratch_load_b64 v[120:121], v118, off
	ds_load_b64 v[122:123], v117
	s_wait_xcnt 0x0
	v_dual_add_nc_u32 v117, 8, v117 :: v_dual_add_nc_u32 v118, 8, v118
	s_wait_loadcnt_dscnt 0x0
	v_pk_mul_f32 v[124:125], v[122:123], v[120:121] op_sel:[1,1] op_sel_hi:[0,1]
	s_delay_alu instid0(VALU_DEP_1) | instskip(SKIP_2) | instid1(VALU_DEP_3)
	v_pk_fma_f32 v[126:127], v[122:123], v[120:121], v[124:125] op_sel_hi:[1,0,1]
	v_add_nc_u32_e32 v119, 1, v119
	v_pk_fma_f32 v[120:121], v[122:123], v[120:121], v[124:125] neg_lo:[0,0,1] neg_hi:[0,0,1]
	v_mov_b32_e32 v121, v127
	s_delay_alu instid0(VALU_DEP_3) | instskip(NEXT) | instid1(VALU_DEP_2)
	v_cmp_lt_u32_e32 vcc_lo, 34, v119
	v_pk_add_f32 v[114:115], v[114:115], v[120:121]
	s_or_b32 s3, vcc_lo, s3
	s_delay_alu instid0(SALU_CYCLE_1)
	s_and_not1_b32 exec_lo, exec_lo, s3
	s_cbranch_execnz .LBB54_897
; %bb.898:
	s_or_b32 exec_lo, exec_lo, s3
.LBB54_899:
	s_delay_alu instid0(SALU_CYCLE_1) | instskip(SKIP_4) | instid1(VALU_DEP_1)
	s_or_b32 exec_lo, exec_lo, s2
	v_mov_b32_e32 v117, 0
	ds_load_b64 v[118:119], v117 offset:288
	s_wait_dscnt 0x0
	v_pk_mul_f32 v[120:121], v[114:115], v[118:119] op_sel:[1,1] op_sel_hi:[0,1]
	v_pk_fma_f32 v[122:123], v[114:115], v[118:119], v[120:121] op_sel_hi:[1,0,1]
	v_pk_fma_f32 v[114:115], v[114:115], v[118:119], v[120:121] neg_lo:[0,0,1] neg_hi:[0,0,1]
	s_delay_alu instid0(VALU_DEP_2)
	v_mov_b32_e32 v115, v123
	scratch_store_b64 off, v[114:115], off offset:288
.LBB54_900:
	s_wait_xcnt 0x0
	s_or_b32 exec_lo, exec_lo, s0
	scratch_load_b64 v[114:115], off, off offset:296
	s_mov_b32 s0, exec_lo
	s_wait_loadcnt 0x0
	ds_store_b64 v1, v[114:115]
	s_wait_storecnt_dscnt 0x0
	s_barrier_signal -1
	s_barrier_wait -1
	s_wait_xcnt 0x0
	v_cmpx_gt_u32_e32 37, v0
	s_cbranch_execz .LBB54_910
; %bb.901:
	v_cmp_ne_u32_e32 vcc_lo, 1, v116
	s_cbranch_vccnz .LBB54_903
; %bb.902:
	scratch_load_b64 v[114:115], v37, off
	ds_load_b64 v[118:119], v1
	s_wait_loadcnt_dscnt 0x0
	v_pk_mul_f32 v[120:121], v[118:119], v[114:115] op_sel:[1,1] op_sel_hi:[0,1]
	s_delay_alu instid0(VALU_DEP_1) | instskip(SKIP_1) | instid1(VALU_DEP_2)
	v_pk_fma_f32 v[122:123], v[118:119], v[114:115], v[120:121] op_sel_hi:[1,0,1]
	v_pk_fma_f32 v[114:115], v[118:119], v[114:115], v[120:121] neg_lo:[0,0,1] neg_hi:[0,0,1]
	v_mov_b32_e32 v115, v123
	s_cbranch_execz .LBB54_904
	s_branch .LBB54_905
.LBB54_903:
                                        ; implicit-def: $vgpr114_vgpr115
.LBB54_904:
	ds_load_b64 v[114:115], v1
.LBB54_905:
	s_mov_b32 s2, exec_lo
	v_cmpx_ne_u32_e32 36, v0
	s_cbranch_execz .LBB54_909
; %bb.906:
	v_add_nc_u32_e32 v117, 0x1c8, v36
	v_add3_u32 v118, 0, v36, 8
	v_mov_b32_e32 v119, v0
	s_mov_b32 s3, 0
.LBB54_907:                             ; =>This Inner Loop Header: Depth=1
	scratch_load_b64 v[120:121], v118, off
	ds_load_b64 v[122:123], v117
	s_wait_xcnt 0x0
	v_dual_add_nc_u32 v117, 8, v117 :: v_dual_add_nc_u32 v118, 8, v118
	s_wait_loadcnt_dscnt 0x0
	v_pk_mul_f32 v[124:125], v[122:123], v[120:121] op_sel:[1,1] op_sel_hi:[0,1]
	s_delay_alu instid0(VALU_DEP_1) | instskip(SKIP_2) | instid1(VALU_DEP_3)
	v_pk_fma_f32 v[126:127], v[122:123], v[120:121], v[124:125] op_sel_hi:[1,0,1]
	v_add_nc_u32_e32 v119, 1, v119
	v_pk_fma_f32 v[120:121], v[122:123], v[120:121], v[124:125] neg_lo:[0,0,1] neg_hi:[0,0,1]
	v_mov_b32_e32 v121, v127
	s_delay_alu instid0(VALU_DEP_3) | instskip(NEXT) | instid1(VALU_DEP_2)
	v_cmp_lt_u32_e32 vcc_lo, 35, v119
	v_pk_add_f32 v[114:115], v[114:115], v[120:121]
	s_or_b32 s3, vcc_lo, s3
	s_delay_alu instid0(SALU_CYCLE_1)
	s_and_not1_b32 exec_lo, exec_lo, s3
	s_cbranch_execnz .LBB54_907
; %bb.908:
	s_or_b32 exec_lo, exec_lo, s3
.LBB54_909:
	s_delay_alu instid0(SALU_CYCLE_1) | instskip(SKIP_4) | instid1(VALU_DEP_1)
	s_or_b32 exec_lo, exec_lo, s2
	v_mov_b32_e32 v117, 0
	ds_load_b64 v[118:119], v117 offset:296
	s_wait_dscnt 0x0
	v_pk_mul_f32 v[120:121], v[114:115], v[118:119] op_sel:[1,1] op_sel_hi:[0,1]
	v_pk_fma_f32 v[122:123], v[114:115], v[118:119], v[120:121] op_sel_hi:[1,0,1]
	v_pk_fma_f32 v[114:115], v[114:115], v[118:119], v[120:121] neg_lo:[0,0,1] neg_hi:[0,0,1]
	s_delay_alu instid0(VALU_DEP_2)
	v_mov_b32_e32 v115, v123
	scratch_store_b64 off, v[114:115], off offset:296
.LBB54_910:
	s_wait_xcnt 0x0
	s_or_b32 exec_lo, exec_lo, s0
	scratch_load_b64 v[114:115], off, off offset:304
	s_mov_b32 s0, exec_lo
	s_wait_loadcnt 0x0
	ds_store_b64 v1, v[114:115]
	s_wait_storecnt_dscnt 0x0
	s_barrier_signal -1
	s_barrier_wait -1
	s_wait_xcnt 0x0
	v_cmpx_gt_u32_e32 38, v0
	s_cbranch_execz .LBB54_920
; %bb.911:
	v_cmp_ne_u32_e32 vcc_lo, 1, v116
	s_cbranch_vccnz .LBB54_913
; %bb.912:
	scratch_load_b64 v[114:115], v37, off
	ds_load_b64 v[118:119], v1
	s_wait_loadcnt_dscnt 0x0
	v_pk_mul_f32 v[120:121], v[118:119], v[114:115] op_sel:[1,1] op_sel_hi:[0,1]
	s_delay_alu instid0(VALU_DEP_1) | instskip(SKIP_1) | instid1(VALU_DEP_2)
	v_pk_fma_f32 v[122:123], v[118:119], v[114:115], v[120:121] op_sel_hi:[1,0,1]
	v_pk_fma_f32 v[114:115], v[118:119], v[114:115], v[120:121] neg_lo:[0,0,1] neg_hi:[0,0,1]
	v_mov_b32_e32 v115, v123
	s_cbranch_execz .LBB54_914
	s_branch .LBB54_915
.LBB54_913:
                                        ; implicit-def: $vgpr114_vgpr115
.LBB54_914:
	ds_load_b64 v[114:115], v1
.LBB54_915:
	s_mov_b32 s2, exec_lo
	v_cmpx_ne_u32_e32 37, v0
	s_cbranch_execz .LBB54_919
; %bb.916:
	v_add_nc_u32_e32 v117, 0x1c8, v36
	v_add3_u32 v118, 0, v36, 8
	v_mov_b32_e32 v119, v0
	s_mov_b32 s3, 0
.LBB54_917:                             ; =>This Inner Loop Header: Depth=1
	scratch_load_b64 v[120:121], v118, off
	ds_load_b64 v[122:123], v117
	s_wait_xcnt 0x0
	v_dual_add_nc_u32 v117, 8, v117 :: v_dual_add_nc_u32 v118, 8, v118
	s_wait_loadcnt_dscnt 0x0
	v_pk_mul_f32 v[124:125], v[122:123], v[120:121] op_sel:[1,1] op_sel_hi:[0,1]
	s_delay_alu instid0(VALU_DEP_1) | instskip(SKIP_2) | instid1(VALU_DEP_3)
	v_pk_fma_f32 v[126:127], v[122:123], v[120:121], v[124:125] op_sel_hi:[1,0,1]
	v_add_nc_u32_e32 v119, 1, v119
	v_pk_fma_f32 v[120:121], v[122:123], v[120:121], v[124:125] neg_lo:[0,0,1] neg_hi:[0,0,1]
	v_mov_b32_e32 v121, v127
	s_delay_alu instid0(VALU_DEP_3) | instskip(NEXT) | instid1(VALU_DEP_2)
	v_cmp_lt_u32_e32 vcc_lo, 36, v119
	v_pk_add_f32 v[114:115], v[114:115], v[120:121]
	s_or_b32 s3, vcc_lo, s3
	s_delay_alu instid0(SALU_CYCLE_1)
	s_and_not1_b32 exec_lo, exec_lo, s3
	s_cbranch_execnz .LBB54_917
; %bb.918:
	s_or_b32 exec_lo, exec_lo, s3
.LBB54_919:
	s_delay_alu instid0(SALU_CYCLE_1) | instskip(SKIP_4) | instid1(VALU_DEP_1)
	s_or_b32 exec_lo, exec_lo, s2
	v_mov_b32_e32 v117, 0
	ds_load_b64 v[118:119], v117 offset:304
	s_wait_dscnt 0x0
	v_pk_mul_f32 v[120:121], v[114:115], v[118:119] op_sel:[1,1] op_sel_hi:[0,1]
	v_pk_fma_f32 v[122:123], v[114:115], v[118:119], v[120:121] op_sel_hi:[1,0,1]
	v_pk_fma_f32 v[114:115], v[114:115], v[118:119], v[120:121] neg_lo:[0,0,1] neg_hi:[0,0,1]
	s_delay_alu instid0(VALU_DEP_2)
	v_mov_b32_e32 v115, v123
	scratch_store_b64 off, v[114:115], off offset:304
.LBB54_920:
	s_wait_xcnt 0x0
	s_or_b32 exec_lo, exec_lo, s0
	scratch_load_b64 v[114:115], off, off offset:312
	s_mov_b32 s0, exec_lo
	s_wait_loadcnt 0x0
	ds_store_b64 v1, v[114:115]
	s_wait_storecnt_dscnt 0x0
	s_barrier_signal -1
	s_barrier_wait -1
	s_wait_xcnt 0x0
	v_cmpx_gt_u32_e32 39, v0
	s_cbranch_execz .LBB54_930
; %bb.921:
	v_cmp_ne_u32_e32 vcc_lo, 1, v116
	s_cbranch_vccnz .LBB54_923
; %bb.922:
	scratch_load_b64 v[114:115], v37, off
	ds_load_b64 v[118:119], v1
	s_wait_loadcnt_dscnt 0x0
	v_pk_mul_f32 v[120:121], v[118:119], v[114:115] op_sel:[1,1] op_sel_hi:[0,1]
	s_delay_alu instid0(VALU_DEP_1) | instskip(SKIP_1) | instid1(VALU_DEP_2)
	v_pk_fma_f32 v[122:123], v[118:119], v[114:115], v[120:121] op_sel_hi:[1,0,1]
	v_pk_fma_f32 v[114:115], v[118:119], v[114:115], v[120:121] neg_lo:[0,0,1] neg_hi:[0,0,1]
	v_mov_b32_e32 v115, v123
	s_cbranch_execz .LBB54_924
	s_branch .LBB54_925
.LBB54_923:
                                        ; implicit-def: $vgpr114_vgpr115
.LBB54_924:
	ds_load_b64 v[114:115], v1
.LBB54_925:
	s_mov_b32 s2, exec_lo
	v_cmpx_ne_u32_e32 38, v0
	s_cbranch_execz .LBB54_929
; %bb.926:
	v_add_nc_u32_e32 v117, 0x1c8, v36
	v_add3_u32 v118, 0, v36, 8
	v_mov_b32_e32 v119, v0
	s_mov_b32 s3, 0
.LBB54_927:                             ; =>This Inner Loop Header: Depth=1
	scratch_load_b64 v[120:121], v118, off
	ds_load_b64 v[122:123], v117
	s_wait_xcnt 0x0
	v_dual_add_nc_u32 v117, 8, v117 :: v_dual_add_nc_u32 v118, 8, v118
	s_wait_loadcnt_dscnt 0x0
	v_pk_mul_f32 v[124:125], v[122:123], v[120:121] op_sel:[1,1] op_sel_hi:[0,1]
	s_delay_alu instid0(VALU_DEP_1) | instskip(SKIP_2) | instid1(VALU_DEP_3)
	v_pk_fma_f32 v[126:127], v[122:123], v[120:121], v[124:125] op_sel_hi:[1,0,1]
	v_add_nc_u32_e32 v119, 1, v119
	v_pk_fma_f32 v[120:121], v[122:123], v[120:121], v[124:125] neg_lo:[0,0,1] neg_hi:[0,0,1]
	v_mov_b32_e32 v121, v127
	s_delay_alu instid0(VALU_DEP_3) | instskip(NEXT) | instid1(VALU_DEP_2)
	v_cmp_lt_u32_e32 vcc_lo, 37, v119
	v_pk_add_f32 v[114:115], v[114:115], v[120:121]
	s_or_b32 s3, vcc_lo, s3
	s_delay_alu instid0(SALU_CYCLE_1)
	s_and_not1_b32 exec_lo, exec_lo, s3
	s_cbranch_execnz .LBB54_927
; %bb.928:
	s_or_b32 exec_lo, exec_lo, s3
.LBB54_929:
	s_delay_alu instid0(SALU_CYCLE_1) | instskip(SKIP_4) | instid1(VALU_DEP_1)
	s_or_b32 exec_lo, exec_lo, s2
	v_mov_b32_e32 v117, 0
	ds_load_b64 v[118:119], v117 offset:312
	s_wait_dscnt 0x0
	v_pk_mul_f32 v[120:121], v[114:115], v[118:119] op_sel:[1,1] op_sel_hi:[0,1]
	v_pk_fma_f32 v[122:123], v[114:115], v[118:119], v[120:121] op_sel_hi:[1,0,1]
	v_pk_fma_f32 v[114:115], v[114:115], v[118:119], v[120:121] neg_lo:[0,0,1] neg_hi:[0,0,1]
	s_delay_alu instid0(VALU_DEP_2)
	v_mov_b32_e32 v115, v123
	scratch_store_b64 off, v[114:115], off offset:312
.LBB54_930:
	s_wait_xcnt 0x0
	s_or_b32 exec_lo, exec_lo, s0
	scratch_load_b64 v[114:115], off, off offset:320
	s_mov_b32 s0, exec_lo
	s_wait_loadcnt 0x0
	ds_store_b64 v1, v[114:115]
	s_wait_storecnt_dscnt 0x0
	s_barrier_signal -1
	s_barrier_wait -1
	s_wait_xcnt 0x0
	v_cmpx_gt_u32_e32 40, v0
	s_cbranch_execz .LBB54_940
; %bb.931:
	v_cmp_ne_u32_e32 vcc_lo, 1, v116
	s_cbranch_vccnz .LBB54_933
; %bb.932:
	scratch_load_b64 v[114:115], v37, off
	ds_load_b64 v[118:119], v1
	s_wait_loadcnt_dscnt 0x0
	v_pk_mul_f32 v[120:121], v[118:119], v[114:115] op_sel:[1,1] op_sel_hi:[0,1]
	s_delay_alu instid0(VALU_DEP_1) | instskip(SKIP_1) | instid1(VALU_DEP_2)
	v_pk_fma_f32 v[122:123], v[118:119], v[114:115], v[120:121] op_sel_hi:[1,0,1]
	v_pk_fma_f32 v[114:115], v[118:119], v[114:115], v[120:121] neg_lo:[0,0,1] neg_hi:[0,0,1]
	v_mov_b32_e32 v115, v123
	s_cbranch_execz .LBB54_934
	s_branch .LBB54_935
.LBB54_933:
                                        ; implicit-def: $vgpr114_vgpr115
.LBB54_934:
	ds_load_b64 v[114:115], v1
.LBB54_935:
	s_mov_b32 s2, exec_lo
	v_cmpx_ne_u32_e32 39, v0
	s_cbranch_execz .LBB54_939
; %bb.936:
	v_add_nc_u32_e32 v117, 0x1c8, v36
	v_add3_u32 v118, 0, v36, 8
	v_mov_b32_e32 v119, v0
	s_mov_b32 s3, 0
.LBB54_937:                             ; =>This Inner Loop Header: Depth=1
	scratch_load_b64 v[120:121], v118, off
	ds_load_b64 v[122:123], v117
	s_wait_xcnt 0x0
	v_dual_add_nc_u32 v117, 8, v117 :: v_dual_add_nc_u32 v118, 8, v118
	s_wait_loadcnt_dscnt 0x0
	v_pk_mul_f32 v[124:125], v[122:123], v[120:121] op_sel:[1,1] op_sel_hi:[0,1]
	s_delay_alu instid0(VALU_DEP_1) | instskip(SKIP_2) | instid1(VALU_DEP_3)
	v_pk_fma_f32 v[126:127], v[122:123], v[120:121], v[124:125] op_sel_hi:[1,0,1]
	v_add_nc_u32_e32 v119, 1, v119
	v_pk_fma_f32 v[120:121], v[122:123], v[120:121], v[124:125] neg_lo:[0,0,1] neg_hi:[0,0,1]
	v_mov_b32_e32 v121, v127
	s_delay_alu instid0(VALU_DEP_3) | instskip(NEXT) | instid1(VALU_DEP_2)
	v_cmp_lt_u32_e32 vcc_lo, 38, v119
	v_pk_add_f32 v[114:115], v[114:115], v[120:121]
	s_or_b32 s3, vcc_lo, s3
	s_delay_alu instid0(SALU_CYCLE_1)
	s_and_not1_b32 exec_lo, exec_lo, s3
	s_cbranch_execnz .LBB54_937
; %bb.938:
	s_or_b32 exec_lo, exec_lo, s3
.LBB54_939:
	s_delay_alu instid0(SALU_CYCLE_1) | instskip(SKIP_4) | instid1(VALU_DEP_1)
	s_or_b32 exec_lo, exec_lo, s2
	v_mov_b32_e32 v117, 0
	ds_load_b64 v[118:119], v117 offset:320
	s_wait_dscnt 0x0
	v_pk_mul_f32 v[120:121], v[114:115], v[118:119] op_sel:[1,1] op_sel_hi:[0,1]
	v_pk_fma_f32 v[122:123], v[114:115], v[118:119], v[120:121] op_sel_hi:[1,0,1]
	v_pk_fma_f32 v[114:115], v[114:115], v[118:119], v[120:121] neg_lo:[0,0,1] neg_hi:[0,0,1]
	s_delay_alu instid0(VALU_DEP_2)
	v_mov_b32_e32 v115, v123
	scratch_store_b64 off, v[114:115], off offset:320
.LBB54_940:
	s_wait_xcnt 0x0
	s_or_b32 exec_lo, exec_lo, s0
	scratch_load_b64 v[114:115], off, off offset:328
	s_mov_b32 s0, exec_lo
	s_wait_loadcnt 0x0
	ds_store_b64 v1, v[114:115]
	s_wait_storecnt_dscnt 0x0
	s_barrier_signal -1
	s_barrier_wait -1
	s_wait_xcnt 0x0
	v_cmpx_gt_u32_e32 41, v0
	s_cbranch_execz .LBB54_950
; %bb.941:
	v_cmp_ne_u32_e32 vcc_lo, 1, v116
	s_cbranch_vccnz .LBB54_943
; %bb.942:
	scratch_load_b64 v[114:115], v37, off
	ds_load_b64 v[118:119], v1
	s_wait_loadcnt_dscnt 0x0
	v_pk_mul_f32 v[120:121], v[118:119], v[114:115] op_sel:[1,1] op_sel_hi:[0,1]
	s_delay_alu instid0(VALU_DEP_1) | instskip(SKIP_1) | instid1(VALU_DEP_2)
	v_pk_fma_f32 v[122:123], v[118:119], v[114:115], v[120:121] op_sel_hi:[1,0,1]
	v_pk_fma_f32 v[114:115], v[118:119], v[114:115], v[120:121] neg_lo:[0,0,1] neg_hi:[0,0,1]
	v_mov_b32_e32 v115, v123
	s_cbranch_execz .LBB54_944
	s_branch .LBB54_945
.LBB54_943:
                                        ; implicit-def: $vgpr114_vgpr115
.LBB54_944:
	ds_load_b64 v[114:115], v1
.LBB54_945:
	s_mov_b32 s2, exec_lo
	v_cmpx_ne_u32_e32 40, v0
	s_cbranch_execz .LBB54_949
; %bb.946:
	v_add_nc_u32_e32 v117, 0x1c8, v36
	v_add3_u32 v118, 0, v36, 8
	v_mov_b32_e32 v119, v0
	s_mov_b32 s3, 0
.LBB54_947:                             ; =>This Inner Loop Header: Depth=1
	scratch_load_b64 v[120:121], v118, off
	ds_load_b64 v[122:123], v117
	s_wait_xcnt 0x0
	v_dual_add_nc_u32 v117, 8, v117 :: v_dual_add_nc_u32 v118, 8, v118
	s_wait_loadcnt_dscnt 0x0
	v_pk_mul_f32 v[124:125], v[122:123], v[120:121] op_sel:[1,1] op_sel_hi:[0,1]
	s_delay_alu instid0(VALU_DEP_1) | instskip(SKIP_2) | instid1(VALU_DEP_3)
	v_pk_fma_f32 v[126:127], v[122:123], v[120:121], v[124:125] op_sel_hi:[1,0,1]
	v_add_nc_u32_e32 v119, 1, v119
	v_pk_fma_f32 v[120:121], v[122:123], v[120:121], v[124:125] neg_lo:[0,0,1] neg_hi:[0,0,1]
	v_mov_b32_e32 v121, v127
	s_delay_alu instid0(VALU_DEP_3) | instskip(NEXT) | instid1(VALU_DEP_2)
	v_cmp_lt_u32_e32 vcc_lo, 39, v119
	v_pk_add_f32 v[114:115], v[114:115], v[120:121]
	s_or_b32 s3, vcc_lo, s3
	s_delay_alu instid0(SALU_CYCLE_1)
	s_and_not1_b32 exec_lo, exec_lo, s3
	s_cbranch_execnz .LBB54_947
; %bb.948:
	s_or_b32 exec_lo, exec_lo, s3
.LBB54_949:
	s_delay_alu instid0(SALU_CYCLE_1) | instskip(SKIP_4) | instid1(VALU_DEP_1)
	s_or_b32 exec_lo, exec_lo, s2
	v_mov_b32_e32 v117, 0
	ds_load_b64 v[118:119], v117 offset:328
	s_wait_dscnt 0x0
	v_pk_mul_f32 v[120:121], v[114:115], v[118:119] op_sel:[1,1] op_sel_hi:[0,1]
	v_pk_fma_f32 v[122:123], v[114:115], v[118:119], v[120:121] op_sel_hi:[1,0,1]
	v_pk_fma_f32 v[114:115], v[114:115], v[118:119], v[120:121] neg_lo:[0,0,1] neg_hi:[0,0,1]
	s_delay_alu instid0(VALU_DEP_2)
	v_mov_b32_e32 v115, v123
	scratch_store_b64 off, v[114:115], off offset:328
.LBB54_950:
	s_wait_xcnt 0x0
	s_or_b32 exec_lo, exec_lo, s0
	scratch_load_b64 v[114:115], off, off offset:336
	s_mov_b32 s0, exec_lo
	s_wait_loadcnt 0x0
	ds_store_b64 v1, v[114:115]
	s_wait_storecnt_dscnt 0x0
	s_barrier_signal -1
	s_barrier_wait -1
	s_wait_xcnt 0x0
	v_cmpx_gt_u32_e32 42, v0
	s_cbranch_execz .LBB54_960
; %bb.951:
	v_cmp_ne_u32_e32 vcc_lo, 1, v116
	s_cbranch_vccnz .LBB54_953
; %bb.952:
	scratch_load_b64 v[114:115], v37, off
	ds_load_b64 v[118:119], v1
	s_wait_loadcnt_dscnt 0x0
	v_pk_mul_f32 v[120:121], v[118:119], v[114:115] op_sel:[1,1] op_sel_hi:[0,1]
	s_delay_alu instid0(VALU_DEP_1) | instskip(SKIP_1) | instid1(VALU_DEP_2)
	v_pk_fma_f32 v[122:123], v[118:119], v[114:115], v[120:121] op_sel_hi:[1,0,1]
	v_pk_fma_f32 v[114:115], v[118:119], v[114:115], v[120:121] neg_lo:[0,0,1] neg_hi:[0,0,1]
	v_mov_b32_e32 v115, v123
	s_cbranch_execz .LBB54_954
	s_branch .LBB54_955
.LBB54_953:
                                        ; implicit-def: $vgpr114_vgpr115
.LBB54_954:
	ds_load_b64 v[114:115], v1
.LBB54_955:
	s_mov_b32 s2, exec_lo
	v_cmpx_ne_u32_e32 41, v0
	s_cbranch_execz .LBB54_959
; %bb.956:
	v_add_nc_u32_e32 v117, 0x1c8, v36
	v_add3_u32 v118, 0, v36, 8
	v_mov_b32_e32 v119, v0
	s_mov_b32 s3, 0
.LBB54_957:                             ; =>This Inner Loop Header: Depth=1
	scratch_load_b64 v[120:121], v118, off
	ds_load_b64 v[122:123], v117
	s_wait_xcnt 0x0
	v_dual_add_nc_u32 v117, 8, v117 :: v_dual_add_nc_u32 v118, 8, v118
	s_wait_loadcnt_dscnt 0x0
	v_pk_mul_f32 v[124:125], v[122:123], v[120:121] op_sel:[1,1] op_sel_hi:[0,1]
	s_delay_alu instid0(VALU_DEP_1) | instskip(SKIP_2) | instid1(VALU_DEP_3)
	v_pk_fma_f32 v[126:127], v[122:123], v[120:121], v[124:125] op_sel_hi:[1,0,1]
	v_add_nc_u32_e32 v119, 1, v119
	v_pk_fma_f32 v[120:121], v[122:123], v[120:121], v[124:125] neg_lo:[0,0,1] neg_hi:[0,0,1]
	v_mov_b32_e32 v121, v127
	s_delay_alu instid0(VALU_DEP_3) | instskip(NEXT) | instid1(VALU_DEP_2)
	v_cmp_lt_u32_e32 vcc_lo, 40, v119
	v_pk_add_f32 v[114:115], v[114:115], v[120:121]
	s_or_b32 s3, vcc_lo, s3
	s_delay_alu instid0(SALU_CYCLE_1)
	s_and_not1_b32 exec_lo, exec_lo, s3
	s_cbranch_execnz .LBB54_957
; %bb.958:
	s_or_b32 exec_lo, exec_lo, s3
.LBB54_959:
	s_delay_alu instid0(SALU_CYCLE_1) | instskip(SKIP_4) | instid1(VALU_DEP_1)
	s_or_b32 exec_lo, exec_lo, s2
	v_mov_b32_e32 v117, 0
	ds_load_b64 v[118:119], v117 offset:336
	s_wait_dscnt 0x0
	v_pk_mul_f32 v[120:121], v[114:115], v[118:119] op_sel:[1,1] op_sel_hi:[0,1]
	v_pk_fma_f32 v[122:123], v[114:115], v[118:119], v[120:121] op_sel_hi:[1,0,1]
	v_pk_fma_f32 v[114:115], v[114:115], v[118:119], v[120:121] neg_lo:[0,0,1] neg_hi:[0,0,1]
	s_delay_alu instid0(VALU_DEP_2)
	v_mov_b32_e32 v115, v123
	scratch_store_b64 off, v[114:115], off offset:336
.LBB54_960:
	s_wait_xcnt 0x0
	s_or_b32 exec_lo, exec_lo, s0
	scratch_load_b64 v[114:115], off, off offset:344
	s_mov_b32 s0, exec_lo
	s_wait_loadcnt 0x0
	ds_store_b64 v1, v[114:115]
	s_wait_storecnt_dscnt 0x0
	s_barrier_signal -1
	s_barrier_wait -1
	s_wait_xcnt 0x0
	v_cmpx_gt_u32_e32 43, v0
	s_cbranch_execz .LBB54_970
; %bb.961:
	v_cmp_ne_u32_e32 vcc_lo, 1, v116
	s_cbranch_vccnz .LBB54_963
; %bb.962:
	scratch_load_b64 v[114:115], v37, off
	ds_load_b64 v[118:119], v1
	s_wait_loadcnt_dscnt 0x0
	v_pk_mul_f32 v[120:121], v[118:119], v[114:115] op_sel:[1,1] op_sel_hi:[0,1]
	s_delay_alu instid0(VALU_DEP_1) | instskip(SKIP_1) | instid1(VALU_DEP_2)
	v_pk_fma_f32 v[122:123], v[118:119], v[114:115], v[120:121] op_sel_hi:[1,0,1]
	v_pk_fma_f32 v[114:115], v[118:119], v[114:115], v[120:121] neg_lo:[0,0,1] neg_hi:[0,0,1]
	v_mov_b32_e32 v115, v123
	s_cbranch_execz .LBB54_964
	s_branch .LBB54_965
.LBB54_963:
                                        ; implicit-def: $vgpr114_vgpr115
.LBB54_964:
	ds_load_b64 v[114:115], v1
.LBB54_965:
	s_mov_b32 s2, exec_lo
	v_cmpx_ne_u32_e32 42, v0
	s_cbranch_execz .LBB54_969
; %bb.966:
	v_add_nc_u32_e32 v117, 0x1c8, v36
	v_add3_u32 v118, 0, v36, 8
	v_mov_b32_e32 v119, v0
	s_mov_b32 s3, 0
.LBB54_967:                             ; =>This Inner Loop Header: Depth=1
	scratch_load_b64 v[120:121], v118, off
	ds_load_b64 v[122:123], v117
	s_wait_xcnt 0x0
	v_dual_add_nc_u32 v117, 8, v117 :: v_dual_add_nc_u32 v118, 8, v118
	s_wait_loadcnt_dscnt 0x0
	v_pk_mul_f32 v[124:125], v[122:123], v[120:121] op_sel:[1,1] op_sel_hi:[0,1]
	s_delay_alu instid0(VALU_DEP_1) | instskip(SKIP_2) | instid1(VALU_DEP_3)
	v_pk_fma_f32 v[126:127], v[122:123], v[120:121], v[124:125] op_sel_hi:[1,0,1]
	v_add_nc_u32_e32 v119, 1, v119
	v_pk_fma_f32 v[120:121], v[122:123], v[120:121], v[124:125] neg_lo:[0,0,1] neg_hi:[0,0,1]
	v_mov_b32_e32 v121, v127
	s_delay_alu instid0(VALU_DEP_3) | instskip(NEXT) | instid1(VALU_DEP_2)
	v_cmp_lt_u32_e32 vcc_lo, 41, v119
	v_pk_add_f32 v[114:115], v[114:115], v[120:121]
	s_or_b32 s3, vcc_lo, s3
	s_delay_alu instid0(SALU_CYCLE_1)
	s_and_not1_b32 exec_lo, exec_lo, s3
	s_cbranch_execnz .LBB54_967
; %bb.968:
	s_or_b32 exec_lo, exec_lo, s3
.LBB54_969:
	s_delay_alu instid0(SALU_CYCLE_1) | instskip(SKIP_4) | instid1(VALU_DEP_1)
	s_or_b32 exec_lo, exec_lo, s2
	v_mov_b32_e32 v117, 0
	ds_load_b64 v[118:119], v117 offset:344
	s_wait_dscnt 0x0
	v_pk_mul_f32 v[120:121], v[114:115], v[118:119] op_sel:[1,1] op_sel_hi:[0,1]
	v_pk_fma_f32 v[122:123], v[114:115], v[118:119], v[120:121] op_sel_hi:[1,0,1]
	v_pk_fma_f32 v[114:115], v[114:115], v[118:119], v[120:121] neg_lo:[0,0,1] neg_hi:[0,0,1]
	s_delay_alu instid0(VALU_DEP_2)
	v_mov_b32_e32 v115, v123
	scratch_store_b64 off, v[114:115], off offset:344
.LBB54_970:
	s_wait_xcnt 0x0
	s_or_b32 exec_lo, exec_lo, s0
	scratch_load_b64 v[114:115], off, off offset:352
	s_mov_b32 s0, exec_lo
	s_wait_loadcnt 0x0
	ds_store_b64 v1, v[114:115]
	s_wait_storecnt_dscnt 0x0
	s_barrier_signal -1
	s_barrier_wait -1
	s_wait_xcnt 0x0
	v_cmpx_gt_u32_e32 44, v0
	s_cbranch_execz .LBB54_980
; %bb.971:
	v_cmp_ne_u32_e32 vcc_lo, 1, v116
	s_cbranch_vccnz .LBB54_973
; %bb.972:
	scratch_load_b64 v[114:115], v37, off
	ds_load_b64 v[118:119], v1
	s_wait_loadcnt_dscnt 0x0
	v_pk_mul_f32 v[120:121], v[118:119], v[114:115] op_sel:[1,1] op_sel_hi:[0,1]
	s_delay_alu instid0(VALU_DEP_1) | instskip(SKIP_1) | instid1(VALU_DEP_2)
	v_pk_fma_f32 v[122:123], v[118:119], v[114:115], v[120:121] op_sel_hi:[1,0,1]
	v_pk_fma_f32 v[114:115], v[118:119], v[114:115], v[120:121] neg_lo:[0,0,1] neg_hi:[0,0,1]
	v_mov_b32_e32 v115, v123
	s_cbranch_execz .LBB54_974
	s_branch .LBB54_975
.LBB54_973:
                                        ; implicit-def: $vgpr114_vgpr115
.LBB54_974:
	ds_load_b64 v[114:115], v1
.LBB54_975:
	s_mov_b32 s2, exec_lo
	v_cmpx_ne_u32_e32 43, v0
	s_cbranch_execz .LBB54_979
; %bb.976:
	v_add_nc_u32_e32 v117, 0x1c8, v36
	v_add3_u32 v118, 0, v36, 8
	v_mov_b32_e32 v119, v0
	s_mov_b32 s3, 0
.LBB54_977:                             ; =>This Inner Loop Header: Depth=1
	scratch_load_b64 v[120:121], v118, off
	ds_load_b64 v[122:123], v117
	s_wait_xcnt 0x0
	v_dual_add_nc_u32 v117, 8, v117 :: v_dual_add_nc_u32 v118, 8, v118
	s_wait_loadcnt_dscnt 0x0
	v_pk_mul_f32 v[124:125], v[122:123], v[120:121] op_sel:[1,1] op_sel_hi:[0,1]
	s_delay_alu instid0(VALU_DEP_1) | instskip(SKIP_2) | instid1(VALU_DEP_3)
	v_pk_fma_f32 v[126:127], v[122:123], v[120:121], v[124:125] op_sel_hi:[1,0,1]
	v_add_nc_u32_e32 v119, 1, v119
	v_pk_fma_f32 v[120:121], v[122:123], v[120:121], v[124:125] neg_lo:[0,0,1] neg_hi:[0,0,1]
	v_mov_b32_e32 v121, v127
	s_delay_alu instid0(VALU_DEP_3) | instskip(NEXT) | instid1(VALU_DEP_2)
	v_cmp_lt_u32_e32 vcc_lo, 42, v119
	v_pk_add_f32 v[114:115], v[114:115], v[120:121]
	s_or_b32 s3, vcc_lo, s3
	s_delay_alu instid0(SALU_CYCLE_1)
	s_and_not1_b32 exec_lo, exec_lo, s3
	s_cbranch_execnz .LBB54_977
; %bb.978:
	s_or_b32 exec_lo, exec_lo, s3
.LBB54_979:
	s_delay_alu instid0(SALU_CYCLE_1) | instskip(SKIP_4) | instid1(VALU_DEP_1)
	s_or_b32 exec_lo, exec_lo, s2
	v_mov_b32_e32 v117, 0
	ds_load_b64 v[118:119], v117 offset:352
	s_wait_dscnt 0x0
	v_pk_mul_f32 v[120:121], v[114:115], v[118:119] op_sel:[1,1] op_sel_hi:[0,1]
	v_pk_fma_f32 v[122:123], v[114:115], v[118:119], v[120:121] op_sel_hi:[1,0,1]
	v_pk_fma_f32 v[114:115], v[114:115], v[118:119], v[120:121] neg_lo:[0,0,1] neg_hi:[0,0,1]
	s_delay_alu instid0(VALU_DEP_2)
	v_mov_b32_e32 v115, v123
	scratch_store_b64 off, v[114:115], off offset:352
.LBB54_980:
	s_wait_xcnt 0x0
	s_or_b32 exec_lo, exec_lo, s0
	scratch_load_b64 v[114:115], off, off offset:360
	s_mov_b32 s0, exec_lo
	s_wait_loadcnt 0x0
	ds_store_b64 v1, v[114:115]
	s_wait_storecnt_dscnt 0x0
	s_barrier_signal -1
	s_barrier_wait -1
	s_wait_xcnt 0x0
	v_cmpx_gt_u32_e32 45, v0
	s_cbranch_execz .LBB54_990
; %bb.981:
	v_cmp_ne_u32_e32 vcc_lo, 1, v116
	s_cbranch_vccnz .LBB54_983
; %bb.982:
	scratch_load_b64 v[114:115], v37, off
	ds_load_b64 v[118:119], v1
	s_wait_loadcnt_dscnt 0x0
	v_pk_mul_f32 v[120:121], v[118:119], v[114:115] op_sel:[1,1] op_sel_hi:[0,1]
	s_delay_alu instid0(VALU_DEP_1) | instskip(SKIP_1) | instid1(VALU_DEP_2)
	v_pk_fma_f32 v[122:123], v[118:119], v[114:115], v[120:121] op_sel_hi:[1,0,1]
	v_pk_fma_f32 v[114:115], v[118:119], v[114:115], v[120:121] neg_lo:[0,0,1] neg_hi:[0,0,1]
	v_mov_b32_e32 v115, v123
	s_cbranch_execz .LBB54_984
	s_branch .LBB54_985
.LBB54_983:
                                        ; implicit-def: $vgpr114_vgpr115
.LBB54_984:
	ds_load_b64 v[114:115], v1
.LBB54_985:
	s_mov_b32 s2, exec_lo
	v_cmpx_ne_u32_e32 44, v0
	s_cbranch_execz .LBB54_989
; %bb.986:
	v_add_nc_u32_e32 v117, 0x1c8, v36
	v_add3_u32 v118, 0, v36, 8
	v_mov_b32_e32 v119, v0
	s_mov_b32 s3, 0
.LBB54_987:                             ; =>This Inner Loop Header: Depth=1
	scratch_load_b64 v[120:121], v118, off
	ds_load_b64 v[122:123], v117
	s_wait_xcnt 0x0
	v_dual_add_nc_u32 v117, 8, v117 :: v_dual_add_nc_u32 v118, 8, v118
	s_wait_loadcnt_dscnt 0x0
	v_pk_mul_f32 v[124:125], v[122:123], v[120:121] op_sel:[1,1] op_sel_hi:[0,1]
	s_delay_alu instid0(VALU_DEP_1) | instskip(SKIP_2) | instid1(VALU_DEP_3)
	v_pk_fma_f32 v[126:127], v[122:123], v[120:121], v[124:125] op_sel_hi:[1,0,1]
	v_add_nc_u32_e32 v119, 1, v119
	v_pk_fma_f32 v[120:121], v[122:123], v[120:121], v[124:125] neg_lo:[0,0,1] neg_hi:[0,0,1]
	v_mov_b32_e32 v121, v127
	s_delay_alu instid0(VALU_DEP_3) | instskip(NEXT) | instid1(VALU_DEP_2)
	v_cmp_lt_u32_e32 vcc_lo, 43, v119
	v_pk_add_f32 v[114:115], v[114:115], v[120:121]
	s_or_b32 s3, vcc_lo, s3
	s_delay_alu instid0(SALU_CYCLE_1)
	s_and_not1_b32 exec_lo, exec_lo, s3
	s_cbranch_execnz .LBB54_987
; %bb.988:
	s_or_b32 exec_lo, exec_lo, s3
.LBB54_989:
	s_delay_alu instid0(SALU_CYCLE_1) | instskip(SKIP_4) | instid1(VALU_DEP_1)
	s_or_b32 exec_lo, exec_lo, s2
	v_mov_b32_e32 v117, 0
	ds_load_b64 v[118:119], v117 offset:360
	s_wait_dscnt 0x0
	v_pk_mul_f32 v[120:121], v[114:115], v[118:119] op_sel:[1,1] op_sel_hi:[0,1]
	v_pk_fma_f32 v[122:123], v[114:115], v[118:119], v[120:121] op_sel_hi:[1,0,1]
	v_pk_fma_f32 v[114:115], v[114:115], v[118:119], v[120:121] neg_lo:[0,0,1] neg_hi:[0,0,1]
	s_delay_alu instid0(VALU_DEP_2)
	v_mov_b32_e32 v115, v123
	scratch_store_b64 off, v[114:115], off offset:360
.LBB54_990:
	s_wait_xcnt 0x0
	s_or_b32 exec_lo, exec_lo, s0
	scratch_load_b64 v[114:115], off, off offset:368
	s_mov_b32 s0, exec_lo
	s_wait_loadcnt 0x0
	ds_store_b64 v1, v[114:115]
	s_wait_storecnt_dscnt 0x0
	s_barrier_signal -1
	s_barrier_wait -1
	s_wait_xcnt 0x0
	v_cmpx_gt_u32_e32 46, v0
	s_cbranch_execz .LBB54_1000
; %bb.991:
	v_cmp_ne_u32_e32 vcc_lo, 1, v116
	s_cbranch_vccnz .LBB54_993
; %bb.992:
	scratch_load_b64 v[114:115], v37, off
	ds_load_b64 v[118:119], v1
	s_wait_loadcnt_dscnt 0x0
	v_pk_mul_f32 v[120:121], v[118:119], v[114:115] op_sel:[1,1] op_sel_hi:[0,1]
	s_delay_alu instid0(VALU_DEP_1) | instskip(SKIP_1) | instid1(VALU_DEP_2)
	v_pk_fma_f32 v[122:123], v[118:119], v[114:115], v[120:121] op_sel_hi:[1,0,1]
	v_pk_fma_f32 v[114:115], v[118:119], v[114:115], v[120:121] neg_lo:[0,0,1] neg_hi:[0,0,1]
	v_mov_b32_e32 v115, v123
	s_cbranch_execz .LBB54_994
	s_branch .LBB54_995
.LBB54_993:
                                        ; implicit-def: $vgpr114_vgpr115
.LBB54_994:
	ds_load_b64 v[114:115], v1
.LBB54_995:
	s_mov_b32 s2, exec_lo
	v_cmpx_ne_u32_e32 45, v0
	s_cbranch_execz .LBB54_999
; %bb.996:
	v_add_nc_u32_e32 v117, 0x1c8, v36
	v_add3_u32 v118, 0, v36, 8
	v_mov_b32_e32 v119, v0
	s_mov_b32 s3, 0
.LBB54_997:                             ; =>This Inner Loop Header: Depth=1
	scratch_load_b64 v[120:121], v118, off
	ds_load_b64 v[122:123], v117
	s_wait_xcnt 0x0
	v_dual_add_nc_u32 v117, 8, v117 :: v_dual_add_nc_u32 v118, 8, v118
	s_wait_loadcnt_dscnt 0x0
	v_pk_mul_f32 v[124:125], v[122:123], v[120:121] op_sel:[1,1] op_sel_hi:[0,1]
	s_delay_alu instid0(VALU_DEP_1) | instskip(SKIP_2) | instid1(VALU_DEP_3)
	v_pk_fma_f32 v[126:127], v[122:123], v[120:121], v[124:125] op_sel_hi:[1,0,1]
	v_add_nc_u32_e32 v119, 1, v119
	v_pk_fma_f32 v[120:121], v[122:123], v[120:121], v[124:125] neg_lo:[0,0,1] neg_hi:[0,0,1]
	v_mov_b32_e32 v121, v127
	s_delay_alu instid0(VALU_DEP_3) | instskip(NEXT) | instid1(VALU_DEP_2)
	v_cmp_lt_u32_e32 vcc_lo, 44, v119
	v_pk_add_f32 v[114:115], v[114:115], v[120:121]
	s_or_b32 s3, vcc_lo, s3
	s_delay_alu instid0(SALU_CYCLE_1)
	s_and_not1_b32 exec_lo, exec_lo, s3
	s_cbranch_execnz .LBB54_997
; %bb.998:
	s_or_b32 exec_lo, exec_lo, s3
.LBB54_999:
	s_delay_alu instid0(SALU_CYCLE_1) | instskip(SKIP_4) | instid1(VALU_DEP_1)
	s_or_b32 exec_lo, exec_lo, s2
	v_mov_b32_e32 v117, 0
	ds_load_b64 v[118:119], v117 offset:368
	s_wait_dscnt 0x0
	v_pk_mul_f32 v[120:121], v[114:115], v[118:119] op_sel:[1,1] op_sel_hi:[0,1]
	v_pk_fma_f32 v[122:123], v[114:115], v[118:119], v[120:121] op_sel_hi:[1,0,1]
	v_pk_fma_f32 v[114:115], v[114:115], v[118:119], v[120:121] neg_lo:[0,0,1] neg_hi:[0,0,1]
	s_delay_alu instid0(VALU_DEP_2)
	v_mov_b32_e32 v115, v123
	scratch_store_b64 off, v[114:115], off offset:368
.LBB54_1000:
	s_wait_xcnt 0x0
	s_or_b32 exec_lo, exec_lo, s0
	scratch_load_b64 v[114:115], off, off offset:376
	s_mov_b32 s0, exec_lo
	s_wait_loadcnt 0x0
	ds_store_b64 v1, v[114:115]
	s_wait_storecnt_dscnt 0x0
	s_barrier_signal -1
	s_barrier_wait -1
	s_wait_xcnt 0x0
	v_cmpx_gt_u32_e32 47, v0
	s_cbranch_execz .LBB54_1010
; %bb.1001:
	v_cmp_ne_u32_e32 vcc_lo, 1, v116
	s_cbranch_vccnz .LBB54_1003
; %bb.1002:
	scratch_load_b64 v[114:115], v37, off
	ds_load_b64 v[118:119], v1
	s_wait_loadcnt_dscnt 0x0
	v_pk_mul_f32 v[120:121], v[118:119], v[114:115] op_sel:[1,1] op_sel_hi:[0,1]
	s_delay_alu instid0(VALU_DEP_1) | instskip(SKIP_1) | instid1(VALU_DEP_2)
	v_pk_fma_f32 v[122:123], v[118:119], v[114:115], v[120:121] op_sel_hi:[1,0,1]
	v_pk_fma_f32 v[114:115], v[118:119], v[114:115], v[120:121] neg_lo:[0,0,1] neg_hi:[0,0,1]
	v_mov_b32_e32 v115, v123
	s_cbranch_execz .LBB54_1004
	s_branch .LBB54_1005
.LBB54_1003:
                                        ; implicit-def: $vgpr114_vgpr115
.LBB54_1004:
	ds_load_b64 v[114:115], v1
.LBB54_1005:
	s_mov_b32 s2, exec_lo
	v_cmpx_ne_u32_e32 46, v0
	s_cbranch_execz .LBB54_1009
; %bb.1006:
	v_add_nc_u32_e32 v117, 0x1c8, v36
	v_add3_u32 v118, 0, v36, 8
	v_mov_b32_e32 v119, v0
	s_mov_b32 s3, 0
.LBB54_1007:                            ; =>This Inner Loop Header: Depth=1
	scratch_load_b64 v[120:121], v118, off
	ds_load_b64 v[122:123], v117
	s_wait_xcnt 0x0
	v_dual_add_nc_u32 v117, 8, v117 :: v_dual_add_nc_u32 v118, 8, v118
	s_wait_loadcnt_dscnt 0x0
	v_pk_mul_f32 v[124:125], v[122:123], v[120:121] op_sel:[1,1] op_sel_hi:[0,1]
	s_delay_alu instid0(VALU_DEP_1) | instskip(SKIP_2) | instid1(VALU_DEP_3)
	v_pk_fma_f32 v[126:127], v[122:123], v[120:121], v[124:125] op_sel_hi:[1,0,1]
	v_add_nc_u32_e32 v119, 1, v119
	v_pk_fma_f32 v[120:121], v[122:123], v[120:121], v[124:125] neg_lo:[0,0,1] neg_hi:[0,0,1]
	v_mov_b32_e32 v121, v127
	s_delay_alu instid0(VALU_DEP_3) | instskip(NEXT) | instid1(VALU_DEP_2)
	v_cmp_lt_u32_e32 vcc_lo, 45, v119
	v_pk_add_f32 v[114:115], v[114:115], v[120:121]
	s_or_b32 s3, vcc_lo, s3
	s_delay_alu instid0(SALU_CYCLE_1)
	s_and_not1_b32 exec_lo, exec_lo, s3
	s_cbranch_execnz .LBB54_1007
; %bb.1008:
	s_or_b32 exec_lo, exec_lo, s3
.LBB54_1009:
	s_delay_alu instid0(SALU_CYCLE_1) | instskip(SKIP_4) | instid1(VALU_DEP_1)
	s_or_b32 exec_lo, exec_lo, s2
	v_mov_b32_e32 v117, 0
	ds_load_b64 v[118:119], v117 offset:376
	s_wait_dscnt 0x0
	v_pk_mul_f32 v[120:121], v[114:115], v[118:119] op_sel:[1,1] op_sel_hi:[0,1]
	v_pk_fma_f32 v[122:123], v[114:115], v[118:119], v[120:121] op_sel_hi:[1,0,1]
	v_pk_fma_f32 v[114:115], v[114:115], v[118:119], v[120:121] neg_lo:[0,0,1] neg_hi:[0,0,1]
	s_delay_alu instid0(VALU_DEP_2)
	v_mov_b32_e32 v115, v123
	scratch_store_b64 off, v[114:115], off offset:376
.LBB54_1010:
	s_wait_xcnt 0x0
	s_or_b32 exec_lo, exec_lo, s0
	scratch_load_b64 v[114:115], off, off offset:384
	s_mov_b32 s0, exec_lo
	s_wait_loadcnt 0x0
	ds_store_b64 v1, v[114:115]
	s_wait_storecnt_dscnt 0x0
	s_barrier_signal -1
	s_barrier_wait -1
	s_wait_xcnt 0x0
	v_cmpx_gt_u32_e32 48, v0
	s_cbranch_execz .LBB54_1020
; %bb.1011:
	v_cmp_ne_u32_e32 vcc_lo, 1, v116
	s_cbranch_vccnz .LBB54_1013
; %bb.1012:
	scratch_load_b64 v[114:115], v37, off
	ds_load_b64 v[118:119], v1
	s_wait_loadcnt_dscnt 0x0
	v_pk_mul_f32 v[120:121], v[118:119], v[114:115] op_sel:[1,1] op_sel_hi:[0,1]
	s_delay_alu instid0(VALU_DEP_1) | instskip(SKIP_1) | instid1(VALU_DEP_2)
	v_pk_fma_f32 v[122:123], v[118:119], v[114:115], v[120:121] op_sel_hi:[1,0,1]
	v_pk_fma_f32 v[114:115], v[118:119], v[114:115], v[120:121] neg_lo:[0,0,1] neg_hi:[0,0,1]
	v_mov_b32_e32 v115, v123
	s_cbranch_execz .LBB54_1014
	s_branch .LBB54_1015
.LBB54_1013:
                                        ; implicit-def: $vgpr114_vgpr115
.LBB54_1014:
	ds_load_b64 v[114:115], v1
.LBB54_1015:
	s_mov_b32 s2, exec_lo
	v_cmpx_ne_u32_e32 47, v0
	s_cbranch_execz .LBB54_1019
; %bb.1016:
	v_add_nc_u32_e32 v117, 0x1c8, v36
	v_add3_u32 v118, 0, v36, 8
	v_mov_b32_e32 v119, v0
	s_mov_b32 s3, 0
.LBB54_1017:                            ; =>This Inner Loop Header: Depth=1
	scratch_load_b64 v[120:121], v118, off
	ds_load_b64 v[122:123], v117
	s_wait_xcnt 0x0
	v_dual_add_nc_u32 v117, 8, v117 :: v_dual_add_nc_u32 v118, 8, v118
	s_wait_loadcnt_dscnt 0x0
	v_pk_mul_f32 v[124:125], v[122:123], v[120:121] op_sel:[1,1] op_sel_hi:[0,1]
	s_delay_alu instid0(VALU_DEP_1) | instskip(SKIP_2) | instid1(VALU_DEP_3)
	v_pk_fma_f32 v[126:127], v[122:123], v[120:121], v[124:125] op_sel_hi:[1,0,1]
	v_add_nc_u32_e32 v119, 1, v119
	v_pk_fma_f32 v[120:121], v[122:123], v[120:121], v[124:125] neg_lo:[0,0,1] neg_hi:[0,0,1]
	v_mov_b32_e32 v121, v127
	s_delay_alu instid0(VALU_DEP_3) | instskip(NEXT) | instid1(VALU_DEP_2)
	v_cmp_lt_u32_e32 vcc_lo, 46, v119
	v_pk_add_f32 v[114:115], v[114:115], v[120:121]
	s_or_b32 s3, vcc_lo, s3
	s_delay_alu instid0(SALU_CYCLE_1)
	s_and_not1_b32 exec_lo, exec_lo, s3
	s_cbranch_execnz .LBB54_1017
; %bb.1018:
	s_or_b32 exec_lo, exec_lo, s3
.LBB54_1019:
	s_delay_alu instid0(SALU_CYCLE_1) | instskip(SKIP_4) | instid1(VALU_DEP_1)
	s_or_b32 exec_lo, exec_lo, s2
	v_mov_b32_e32 v117, 0
	ds_load_b64 v[118:119], v117 offset:384
	s_wait_dscnt 0x0
	v_pk_mul_f32 v[120:121], v[114:115], v[118:119] op_sel:[1,1] op_sel_hi:[0,1]
	v_pk_fma_f32 v[122:123], v[114:115], v[118:119], v[120:121] op_sel_hi:[1,0,1]
	v_pk_fma_f32 v[114:115], v[114:115], v[118:119], v[120:121] neg_lo:[0,0,1] neg_hi:[0,0,1]
	s_delay_alu instid0(VALU_DEP_2)
	v_mov_b32_e32 v115, v123
	scratch_store_b64 off, v[114:115], off offset:384
.LBB54_1020:
	s_wait_xcnt 0x0
	s_or_b32 exec_lo, exec_lo, s0
	scratch_load_b64 v[114:115], off, off offset:392
	s_mov_b32 s0, exec_lo
	s_wait_loadcnt 0x0
	ds_store_b64 v1, v[114:115]
	s_wait_storecnt_dscnt 0x0
	s_barrier_signal -1
	s_barrier_wait -1
	s_wait_xcnt 0x0
	v_cmpx_gt_u32_e32 49, v0
	s_cbranch_execz .LBB54_1030
; %bb.1021:
	v_cmp_ne_u32_e32 vcc_lo, 1, v116
	s_cbranch_vccnz .LBB54_1023
; %bb.1022:
	scratch_load_b64 v[114:115], v37, off
	ds_load_b64 v[118:119], v1
	s_wait_loadcnt_dscnt 0x0
	v_pk_mul_f32 v[120:121], v[118:119], v[114:115] op_sel:[1,1] op_sel_hi:[0,1]
	s_delay_alu instid0(VALU_DEP_1) | instskip(SKIP_1) | instid1(VALU_DEP_2)
	v_pk_fma_f32 v[122:123], v[118:119], v[114:115], v[120:121] op_sel_hi:[1,0,1]
	v_pk_fma_f32 v[114:115], v[118:119], v[114:115], v[120:121] neg_lo:[0,0,1] neg_hi:[0,0,1]
	v_mov_b32_e32 v115, v123
	s_cbranch_execz .LBB54_1024
	s_branch .LBB54_1025
.LBB54_1023:
                                        ; implicit-def: $vgpr114_vgpr115
.LBB54_1024:
	ds_load_b64 v[114:115], v1
.LBB54_1025:
	s_mov_b32 s2, exec_lo
	v_cmpx_ne_u32_e32 48, v0
	s_cbranch_execz .LBB54_1029
; %bb.1026:
	v_add_nc_u32_e32 v117, 0x1c8, v36
	v_add3_u32 v118, 0, v36, 8
	v_mov_b32_e32 v119, v0
	s_mov_b32 s3, 0
.LBB54_1027:                            ; =>This Inner Loop Header: Depth=1
	scratch_load_b64 v[120:121], v118, off
	ds_load_b64 v[122:123], v117
	s_wait_xcnt 0x0
	v_dual_add_nc_u32 v117, 8, v117 :: v_dual_add_nc_u32 v118, 8, v118
	s_wait_loadcnt_dscnt 0x0
	v_pk_mul_f32 v[124:125], v[122:123], v[120:121] op_sel:[1,1] op_sel_hi:[0,1]
	s_delay_alu instid0(VALU_DEP_1) | instskip(SKIP_2) | instid1(VALU_DEP_3)
	v_pk_fma_f32 v[126:127], v[122:123], v[120:121], v[124:125] op_sel_hi:[1,0,1]
	v_add_nc_u32_e32 v119, 1, v119
	v_pk_fma_f32 v[120:121], v[122:123], v[120:121], v[124:125] neg_lo:[0,0,1] neg_hi:[0,0,1]
	v_mov_b32_e32 v121, v127
	s_delay_alu instid0(VALU_DEP_3) | instskip(NEXT) | instid1(VALU_DEP_2)
	v_cmp_lt_u32_e32 vcc_lo, 47, v119
	v_pk_add_f32 v[114:115], v[114:115], v[120:121]
	s_or_b32 s3, vcc_lo, s3
	s_delay_alu instid0(SALU_CYCLE_1)
	s_and_not1_b32 exec_lo, exec_lo, s3
	s_cbranch_execnz .LBB54_1027
; %bb.1028:
	s_or_b32 exec_lo, exec_lo, s3
.LBB54_1029:
	s_delay_alu instid0(SALU_CYCLE_1) | instskip(SKIP_4) | instid1(VALU_DEP_1)
	s_or_b32 exec_lo, exec_lo, s2
	v_mov_b32_e32 v117, 0
	ds_load_b64 v[118:119], v117 offset:392
	s_wait_dscnt 0x0
	v_pk_mul_f32 v[120:121], v[114:115], v[118:119] op_sel:[1,1] op_sel_hi:[0,1]
	v_pk_fma_f32 v[122:123], v[114:115], v[118:119], v[120:121] op_sel_hi:[1,0,1]
	v_pk_fma_f32 v[114:115], v[114:115], v[118:119], v[120:121] neg_lo:[0,0,1] neg_hi:[0,0,1]
	s_delay_alu instid0(VALU_DEP_2)
	v_mov_b32_e32 v115, v123
	scratch_store_b64 off, v[114:115], off offset:392
.LBB54_1030:
	s_wait_xcnt 0x0
	s_or_b32 exec_lo, exec_lo, s0
	scratch_load_b64 v[114:115], off, off offset:400
	s_mov_b32 s0, exec_lo
	s_wait_loadcnt 0x0
	ds_store_b64 v1, v[114:115]
	s_wait_storecnt_dscnt 0x0
	s_barrier_signal -1
	s_barrier_wait -1
	s_wait_xcnt 0x0
	v_cmpx_gt_u32_e32 50, v0
	s_cbranch_execz .LBB54_1040
; %bb.1031:
	v_cmp_ne_u32_e32 vcc_lo, 1, v116
	s_cbranch_vccnz .LBB54_1033
; %bb.1032:
	scratch_load_b64 v[114:115], v37, off
	ds_load_b64 v[118:119], v1
	s_wait_loadcnt_dscnt 0x0
	v_pk_mul_f32 v[120:121], v[118:119], v[114:115] op_sel:[1,1] op_sel_hi:[0,1]
	s_delay_alu instid0(VALU_DEP_1) | instskip(SKIP_1) | instid1(VALU_DEP_2)
	v_pk_fma_f32 v[122:123], v[118:119], v[114:115], v[120:121] op_sel_hi:[1,0,1]
	v_pk_fma_f32 v[114:115], v[118:119], v[114:115], v[120:121] neg_lo:[0,0,1] neg_hi:[0,0,1]
	v_mov_b32_e32 v115, v123
	s_cbranch_execz .LBB54_1034
	s_branch .LBB54_1035
.LBB54_1033:
                                        ; implicit-def: $vgpr114_vgpr115
.LBB54_1034:
	ds_load_b64 v[114:115], v1
.LBB54_1035:
	s_mov_b32 s2, exec_lo
	v_cmpx_ne_u32_e32 49, v0
	s_cbranch_execz .LBB54_1039
; %bb.1036:
	v_add_nc_u32_e32 v117, 0x1c8, v36
	v_add3_u32 v118, 0, v36, 8
	v_mov_b32_e32 v119, v0
	s_mov_b32 s3, 0
.LBB54_1037:                            ; =>This Inner Loop Header: Depth=1
	scratch_load_b64 v[120:121], v118, off
	ds_load_b64 v[122:123], v117
	s_wait_xcnt 0x0
	v_dual_add_nc_u32 v117, 8, v117 :: v_dual_add_nc_u32 v118, 8, v118
	s_wait_loadcnt_dscnt 0x0
	v_pk_mul_f32 v[124:125], v[122:123], v[120:121] op_sel:[1,1] op_sel_hi:[0,1]
	s_delay_alu instid0(VALU_DEP_1) | instskip(SKIP_2) | instid1(VALU_DEP_3)
	v_pk_fma_f32 v[126:127], v[122:123], v[120:121], v[124:125] op_sel_hi:[1,0,1]
	v_add_nc_u32_e32 v119, 1, v119
	v_pk_fma_f32 v[120:121], v[122:123], v[120:121], v[124:125] neg_lo:[0,0,1] neg_hi:[0,0,1]
	v_mov_b32_e32 v121, v127
	s_delay_alu instid0(VALU_DEP_3) | instskip(NEXT) | instid1(VALU_DEP_2)
	v_cmp_lt_u32_e32 vcc_lo, 48, v119
	v_pk_add_f32 v[114:115], v[114:115], v[120:121]
	s_or_b32 s3, vcc_lo, s3
	s_delay_alu instid0(SALU_CYCLE_1)
	s_and_not1_b32 exec_lo, exec_lo, s3
	s_cbranch_execnz .LBB54_1037
; %bb.1038:
	s_or_b32 exec_lo, exec_lo, s3
.LBB54_1039:
	s_delay_alu instid0(SALU_CYCLE_1) | instskip(SKIP_4) | instid1(VALU_DEP_1)
	s_or_b32 exec_lo, exec_lo, s2
	v_mov_b32_e32 v117, 0
	ds_load_b64 v[118:119], v117 offset:400
	s_wait_dscnt 0x0
	v_pk_mul_f32 v[120:121], v[114:115], v[118:119] op_sel:[1,1] op_sel_hi:[0,1]
	v_pk_fma_f32 v[122:123], v[114:115], v[118:119], v[120:121] op_sel_hi:[1,0,1]
	v_pk_fma_f32 v[114:115], v[114:115], v[118:119], v[120:121] neg_lo:[0,0,1] neg_hi:[0,0,1]
	s_delay_alu instid0(VALU_DEP_2)
	v_mov_b32_e32 v115, v123
	scratch_store_b64 off, v[114:115], off offset:400
.LBB54_1040:
	s_wait_xcnt 0x0
	s_or_b32 exec_lo, exec_lo, s0
	scratch_load_b64 v[114:115], off, off offset:408
	s_mov_b32 s0, exec_lo
	s_wait_loadcnt 0x0
	ds_store_b64 v1, v[114:115]
	s_wait_storecnt_dscnt 0x0
	s_barrier_signal -1
	s_barrier_wait -1
	s_wait_xcnt 0x0
	v_cmpx_gt_u32_e32 51, v0
	s_cbranch_execz .LBB54_1050
; %bb.1041:
	v_cmp_ne_u32_e32 vcc_lo, 1, v116
	s_cbranch_vccnz .LBB54_1043
; %bb.1042:
	scratch_load_b64 v[114:115], v37, off
	ds_load_b64 v[118:119], v1
	s_wait_loadcnt_dscnt 0x0
	v_pk_mul_f32 v[120:121], v[118:119], v[114:115] op_sel:[1,1] op_sel_hi:[0,1]
	s_delay_alu instid0(VALU_DEP_1) | instskip(SKIP_1) | instid1(VALU_DEP_2)
	v_pk_fma_f32 v[122:123], v[118:119], v[114:115], v[120:121] op_sel_hi:[1,0,1]
	v_pk_fma_f32 v[114:115], v[118:119], v[114:115], v[120:121] neg_lo:[0,0,1] neg_hi:[0,0,1]
	v_mov_b32_e32 v115, v123
	s_cbranch_execz .LBB54_1044
	s_branch .LBB54_1045
.LBB54_1043:
                                        ; implicit-def: $vgpr114_vgpr115
.LBB54_1044:
	ds_load_b64 v[114:115], v1
.LBB54_1045:
	s_mov_b32 s2, exec_lo
	v_cmpx_ne_u32_e32 50, v0
	s_cbranch_execz .LBB54_1049
; %bb.1046:
	v_add_nc_u32_e32 v117, 0x1c8, v36
	v_add3_u32 v118, 0, v36, 8
	v_mov_b32_e32 v119, v0
	s_mov_b32 s3, 0
.LBB54_1047:                            ; =>This Inner Loop Header: Depth=1
	scratch_load_b64 v[120:121], v118, off
	ds_load_b64 v[122:123], v117
	s_wait_xcnt 0x0
	v_dual_add_nc_u32 v117, 8, v117 :: v_dual_add_nc_u32 v118, 8, v118
	s_wait_loadcnt_dscnt 0x0
	v_pk_mul_f32 v[124:125], v[122:123], v[120:121] op_sel:[1,1] op_sel_hi:[0,1]
	s_delay_alu instid0(VALU_DEP_1) | instskip(SKIP_2) | instid1(VALU_DEP_3)
	v_pk_fma_f32 v[126:127], v[122:123], v[120:121], v[124:125] op_sel_hi:[1,0,1]
	v_add_nc_u32_e32 v119, 1, v119
	v_pk_fma_f32 v[120:121], v[122:123], v[120:121], v[124:125] neg_lo:[0,0,1] neg_hi:[0,0,1]
	v_mov_b32_e32 v121, v127
	s_delay_alu instid0(VALU_DEP_3) | instskip(NEXT) | instid1(VALU_DEP_2)
	v_cmp_lt_u32_e32 vcc_lo, 49, v119
	v_pk_add_f32 v[114:115], v[114:115], v[120:121]
	s_or_b32 s3, vcc_lo, s3
	s_delay_alu instid0(SALU_CYCLE_1)
	s_and_not1_b32 exec_lo, exec_lo, s3
	s_cbranch_execnz .LBB54_1047
; %bb.1048:
	s_or_b32 exec_lo, exec_lo, s3
.LBB54_1049:
	s_delay_alu instid0(SALU_CYCLE_1) | instskip(SKIP_4) | instid1(VALU_DEP_1)
	s_or_b32 exec_lo, exec_lo, s2
	v_mov_b32_e32 v117, 0
	ds_load_b64 v[118:119], v117 offset:408
	s_wait_dscnt 0x0
	v_pk_mul_f32 v[120:121], v[114:115], v[118:119] op_sel:[1,1] op_sel_hi:[0,1]
	v_pk_fma_f32 v[122:123], v[114:115], v[118:119], v[120:121] op_sel_hi:[1,0,1]
	v_pk_fma_f32 v[114:115], v[114:115], v[118:119], v[120:121] neg_lo:[0,0,1] neg_hi:[0,0,1]
	s_delay_alu instid0(VALU_DEP_2)
	v_mov_b32_e32 v115, v123
	scratch_store_b64 off, v[114:115], off offset:408
.LBB54_1050:
	s_wait_xcnt 0x0
	s_or_b32 exec_lo, exec_lo, s0
	scratch_load_b64 v[114:115], off, off offset:416
	s_mov_b32 s0, exec_lo
	s_wait_loadcnt 0x0
	ds_store_b64 v1, v[114:115]
	s_wait_storecnt_dscnt 0x0
	s_barrier_signal -1
	s_barrier_wait -1
	s_wait_xcnt 0x0
	v_cmpx_gt_u32_e32 52, v0
	s_cbranch_execz .LBB54_1060
; %bb.1051:
	v_cmp_ne_u32_e32 vcc_lo, 1, v116
	s_cbranch_vccnz .LBB54_1053
; %bb.1052:
	scratch_load_b64 v[114:115], v37, off
	ds_load_b64 v[118:119], v1
	s_wait_loadcnt_dscnt 0x0
	v_pk_mul_f32 v[120:121], v[118:119], v[114:115] op_sel:[1,1] op_sel_hi:[0,1]
	s_delay_alu instid0(VALU_DEP_1) | instskip(SKIP_1) | instid1(VALU_DEP_2)
	v_pk_fma_f32 v[122:123], v[118:119], v[114:115], v[120:121] op_sel_hi:[1,0,1]
	v_pk_fma_f32 v[114:115], v[118:119], v[114:115], v[120:121] neg_lo:[0,0,1] neg_hi:[0,0,1]
	v_mov_b32_e32 v115, v123
	s_cbranch_execz .LBB54_1054
	s_branch .LBB54_1055
.LBB54_1053:
                                        ; implicit-def: $vgpr114_vgpr115
.LBB54_1054:
	ds_load_b64 v[114:115], v1
.LBB54_1055:
	s_mov_b32 s2, exec_lo
	v_cmpx_ne_u32_e32 51, v0
	s_cbranch_execz .LBB54_1059
; %bb.1056:
	v_add_nc_u32_e32 v117, 0x1c8, v36
	v_add3_u32 v118, 0, v36, 8
	v_mov_b32_e32 v119, v0
	s_mov_b32 s3, 0
.LBB54_1057:                            ; =>This Inner Loop Header: Depth=1
	scratch_load_b64 v[120:121], v118, off
	ds_load_b64 v[122:123], v117
	s_wait_xcnt 0x0
	v_dual_add_nc_u32 v117, 8, v117 :: v_dual_add_nc_u32 v118, 8, v118
	s_wait_loadcnt_dscnt 0x0
	v_pk_mul_f32 v[124:125], v[122:123], v[120:121] op_sel:[1,1] op_sel_hi:[0,1]
	s_delay_alu instid0(VALU_DEP_1) | instskip(SKIP_2) | instid1(VALU_DEP_3)
	v_pk_fma_f32 v[126:127], v[122:123], v[120:121], v[124:125] op_sel_hi:[1,0,1]
	v_add_nc_u32_e32 v119, 1, v119
	v_pk_fma_f32 v[120:121], v[122:123], v[120:121], v[124:125] neg_lo:[0,0,1] neg_hi:[0,0,1]
	v_mov_b32_e32 v121, v127
	s_delay_alu instid0(VALU_DEP_3) | instskip(NEXT) | instid1(VALU_DEP_2)
	v_cmp_lt_u32_e32 vcc_lo, 50, v119
	v_pk_add_f32 v[114:115], v[114:115], v[120:121]
	s_or_b32 s3, vcc_lo, s3
	s_delay_alu instid0(SALU_CYCLE_1)
	s_and_not1_b32 exec_lo, exec_lo, s3
	s_cbranch_execnz .LBB54_1057
; %bb.1058:
	s_or_b32 exec_lo, exec_lo, s3
.LBB54_1059:
	s_delay_alu instid0(SALU_CYCLE_1) | instskip(SKIP_4) | instid1(VALU_DEP_1)
	s_or_b32 exec_lo, exec_lo, s2
	v_mov_b32_e32 v117, 0
	ds_load_b64 v[118:119], v117 offset:416
	s_wait_dscnt 0x0
	v_pk_mul_f32 v[120:121], v[114:115], v[118:119] op_sel:[1,1] op_sel_hi:[0,1]
	v_pk_fma_f32 v[122:123], v[114:115], v[118:119], v[120:121] op_sel_hi:[1,0,1]
	v_pk_fma_f32 v[114:115], v[114:115], v[118:119], v[120:121] neg_lo:[0,0,1] neg_hi:[0,0,1]
	s_delay_alu instid0(VALU_DEP_2)
	v_mov_b32_e32 v115, v123
	scratch_store_b64 off, v[114:115], off offset:416
.LBB54_1060:
	s_wait_xcnt 0x0
	s_or_b32 exec_lo, exec_lo, s0
	scratch_load_b64 v[114:115], off, off offset:424
	v_cmp_gt_u32_e64 s0, 53, v0
	s_wait_loadcnt 0x0
	ds_store_b64 v1, v[114:115]
	s_wait_storecnt_dscnt 0x0
	s_barrier_signal -1
	s_barrier_wait -1
	s_wait_xcnt 0x0
	s_and_saveexec_b32 s2, s0
	s_cbranch_execz .LBB54_1070
; %bb.1061:
	v_cmp_ne_u32_e32 vcc_lo, 1, v116
	s_cbranch_vccnz .LBB54_1063
; %bb.1062:
	scratch_load_b64 v[114:115], v37, off
	ds_load_b64 v[118:119], v1
	s_wait_loadcnt_dscnt 0x0
	v_pk_mul_f32 v[120:121], v[118:119], v[114:115] op_sel:[1,1] op_sel_hi:[0,1]
	s_delay_alu instid0(VALU_DEP_1) | instskip(SKIP_1) | instid1(VALU_DEP_2)
	v_pk_fma_f32 v[122:123], v[118:119], v[114:115], v[120:121] op_sel_hi:[1,0,1]
	v_pk_fma_f32 v[114:115], v[118:119], v[114:115], v[120:121] neg_lo:[0,0,1] neg_hi:[0,0,1]
	v_mov_b32_e32 v115, v123
	s_cbranch_execz .LBB54_1064
	s_branch .LBB54_1065
.LBB54_1063:
                                        ; implicit-def: $vgpr114_vgpr115
.LBB54_1064:
	ds_load_b64 v[114:115], v1
.LBB54_1065:
	s_mov_b32 s3, exec_lo
	v_cmpx_ne_u32_e32 52, v0
	s_cbranch_execz .LBB54_1069
; %bb.1066:
	v_add_nc_u32_e32 v117, 0x1c8, v36
	v_add3_u32 v118, 0, v36, 8
	v_mov_b32_e32 v119, v0
	s_mov_b32 s4, 0
.LBB54_1067:                            ; =>This Inner Loop Header: Depth=1
	scratch_load_b64 v[120:121], v118, off
	ds_load_b64 v[122:123], v117
	s_wait_xcnt 0x0
	v_dual_add_nc_u32 v117, 8, v117 :: v_dual_add_nc_u32 v118, 8, v118
	s_wait_loadcnt_dscnt 0x0
	v_pk_mul_f32 v[124:125], v[122:123], v[120:121] op_sel:[1,1] op_sel_hi:[0,1]
	s_delay_alu instid0(VALU_DEP_1) | instskip(SKIP_2) | instid1(VALU_DEP_3)
	v_pk_fma_f32 v[126:127], v[122:123], v[120:121], v[124:125] op_sel_hi:[1,0,1]
	v_add_nc_u32_e32 v119, 1, v119
	v_pk_fma_f32 v[120:121], v[122:123], v[120:121], v[124:125] neg_lo:[0,0,1] neg_hi:[0,0,1]
	v_mov_b32_e32 v121, v127
	s_delay_alu instid0(VALU_DEP_3) | instskip(NEXT) | instid1(VALU_DEP_2)
	v_cmp_lt_u32_e32 vcc_lo, 51, v119
	v_pk_add_f32 v[114:115], v[114:115], v[120:121]
	s_or_b32 s4, vcc_lo, s4
	s_delay_alu instid0(SALU_CYCLE_1)
	s_and_not1_b32 exec_lo, exec_lo, s4
	s_cbranch_execnz .LBB54_1067
; %bb.1068:
	s_or_b32 exec_lo, exec_lo, s4
.LBB54_1069:
	s_delay_alu instid0(SALU_CYCLE_1) | instskip(SKIP_4) | instid1(VALU_DEP_1)
	s_or_b32 exec_lo, exec_lo, s3
	v_mov_b32_e32 v117, 0
	ds_load_b64 v[118:119], v117 offset:424
	s_wait_dscnt 0x0
	v_pk_mul_f32 v[120:121], v[114:115], v[118:119] op_sel:[1,1] op_sel_hi:[0,1]
	v_pk_fma_f32 v[122:123], v[114:115], v[118:119], v[120:121] op_sel_hi:[1,0,1]
	v_pk_fma_f32 v[114:115], v[114:115], v[118:119], v[120:121] neg_lo:[0,0,1] neg_hi:[0,0,1]
	s_delay_alu instid0(VALU_DEP_2)
	v_mov_b32_e32 v115, v123
	scratch_store_b64 off, v[114:115], off offset:424
.LBB54_1070:
	s_wait_xcnt 0x0
	s_or_b32 exec_lo, exec_lo, s2
	scratch_load_b64 v[114:115], off, off offset:432
	s_mov_b32 s2, exec_lo
                                        ; implicit-def: $vgpr150
                                        ; implicit-def: $sgpr4
	s_wait_loadcnt 0x0
	ds_store_b64 v1, v[114:115]
	s_wait_storecnt_dscnt 0x0
	s_barrier_signal -1
	s_barrier_wait -1
	s_wait_xcnt 0x0
	v_cmpx_ne_u32_e32 54, v0
	s_cbranch_execz .LBB54_1080
; %bb.1071:
	v_cmp_ne_u32_e32 vcc_lo, 1, v116
	s_cbranch_vccnz .LBB54_1073
; %bb.1072:
	scratch_load_b64 v[116:117], v37, off
	ds_load_b64 v[118:119], v1
	s_wait_loadcnt_dscnt 0x0
	v_dual_mul_f32 v37, v119, v117 :: v_dual_mul_f32 v115, v118, v117
	s_delay_alu instid0(VALU_DEP_1)
	v_dual_fma_f32 v114, v118, v116, -v37 :: v_dual_fmac_f32 v115, v119, v116
	s_cbranch_execz .LBB54_1074
	s_branch .LBB54_1075
.LBB54_1073:
                                        ; implicit-def: $vgpr115
.LBB54_1074:
	ds_load_b64 v[114:115], v1
.LBB54_1075:
	s_and_saveexec_b32 s3, s0
	s_cbranch_execz .LBB54_1079
; %bb.1076:
	v_add_nc_u32_e32 v1, 0x1c8, v36
	v_add3_u32 v36, 0, v36, 8
	s_mov_b32 s0, 0
.LBB54_1077:                            ; =>This Inner Loop Header: Depth=1
	scratch_load_b64 v[116:117], v36, off
	ds_load_b64 v[118:119], v1
	v_dual_add_nc_u32 v0, 1, v0 :: v_dual_add_nc_u32 v1, 8, v1
	s_wait_xcnt 0x0
	v_add_nc_u32_e32 v36, 8, v36
	s_delay_alu instid0(VALU_DEP_2) | instskip(SKIP_3) | instid1(VALU_DEP_1)
	v_cmp_lt_u32_e32 vcc_lo, 52, v0
	s_or_b32 s0, vcc_lo, s0
	s_wait_loadcnt_dscnt 0x0
	v_dual_mul_f32 v37, v119, v117 :: v_dual_mul_f32 v117, v118, v117
	v_fmac_f32_e32 v117, v119, v116
	s_delay_alu instid0(VALU_DEP_1) | instskip(NEXT) | instid1(VALU_DEP_1)
	v_dual_fma_f32 v37, v118, v116, -v37 :: v_dual_add_f32 v115, v115, v117
	v_add_f32_e32 v114, v114, v37
	s_and_not1_b32 exec_lo, exec_lo, s0
	s_cbranch_execnz .LBB54_1077
; %bb.1078:
	s_or_b32 exec_lo, exec_lo, s0
.LBB54_1079:
	s_delay_alu instid0(SALU_CYCLE_1)
	s_or_b32 exec_lo, exec_lo, s3
	v_mov_b32_e32 v0, 0
	s_movk_i32 s4, 0x1b4
	s_or_b32 s1, s1, exec_lo
	ds_load_b64 v[0:1], v0 offset:432
	s_wait_dscnt 0x0
	v_dual_mul_f32 v36, v115, v1 :: v_dual_mul_f32 v150, v114, v1
	s_delay_alu instid0(VALU_DEP_1)
	v_dual_fma_f32 v1, v114, v0, -v36 :: v_dual_fmac_f32 v150, v115, v0
	scratch_store_b32 off, v1, off offset:432
.LBB54_1080:
	s_wait_xcnt 0x0
	s_or_b32 exec_lo, exec_lo, s2
.LBB54_1081:
	v_lshl_add_u64 v[148:149], v[6:7], 3, s[6:7]
	v_lshl_add_u64 v[146:147], v[8:9], 3, s[6:7]
	;; [unrolled: 1-line block ×53, first 2 shown]
	s_and_saveexec_b32 s0, s1
	s_cbranch_execz .LBB54_1083
; %bb.1082:
	scratch_store_b32 off, v150, s4
.LBB54_1083:
	s_wait_xcnt 0x0
	s_or_b32 exec_lo, exec_lo, s0
	s_clause 0x9
	scratch_load_b128 v[74:77], off, off
	scratch_load_b128 v[78:81], off, off offset:16
	scratch_load_b128 v[82:85], off, off offset:32
	;; [unrolled: 1-line block ×9, first 2 shown]
	s_wait_loadcnt 0x9
	s_clause 0x1
	global_store_b64 v[2:3], v[74:75], off
	global_store_b64 v[4:5], v[76:77], off
	s_clause 0x1
	scratch_load_b128 v[2:5], off, off offset:128
	scratch_load_b128 v[74:77], off, off offset:144
	s_wait_loadcnt 0xa
	s_clause 0x1
	global_store_b64 v[148:149], v[78:79], off
	global_store_b64 v[146:147], v[80:81], off
	scratch_load_b128 v[78:81], off, off offset:160
	s_wait_loadcnt 0xa
	s_clause 0x1
	global_store_b64 v[144:145], v[82:83], off
	global_store_b64 v[142:143], v[84:85], off
	s_wait_loadcnt 0x9
	s_clause 0x1
	global_store_b64 v[140:141], v[86:87], off
	global_store_b64 v[138:139], v[88:89], off
	;; [unrolled: 4-line block ×6, first 2 shown]
	s_clause 0x9
	scratch_load_b128 v[82:85], off, off offset:192
	scratch_load_b128 v[86:89], off, off offset:224
	;; [unrolled: 1-line block ×10, first 2 shown]
	s_wait_loadcnt 0xc
	s_clause 0x1
	global_store_b64 v[120:121], v[2:3], off
	global_store_b64 v[118:119], v[4:5], off
	s_wait_loadcnt 0xb
	s_clause 0x1
	global_store_b64 v[116:117], v[74:75], off
	global_store_b64 v[114:115], v[76:77], off
	s_clause 0x4
	scratch_load_b128 v[120:123], off, off offset:368
	scratch_load_b128 v[2:5], off, off offset:384
	;; [unrolled: 1-line block ×4, first 2 shown]
	scratch_load_b64 v[114:115], off, off offset:432
	s_wait_loadcnt 0xf
	s_clause 0x3
	global_store_b64 v[0:1], v[78:79], off
	global_store_b64 v[6:7], v[80:81], off
	;; [unrolled: 1-line block ×4, first 2 shown]
	s_wait_loadcnt 0xe
	s_clause 0x3
	global_store_b64 v[12:13], v[82:83], off
	global_store_b64 v[14:15], v[84:85], off
	;; [unrolled: 1-line block ×4, first 2 shown]
	s_wait_loadcnt 0xd
	s_clause 0x1
	global_store_b64 v[20:21], v[86:87], off
	global_store_b64 v[22:23], v[88:89], off
	s_wait_loadcnt 0xc
	s_clause 0x1
	global_store_b64 v[24:25], v[136:137], off
	global_store_b64 v[26:27], v[138:139], off
	;; [unrolled: 4-line block ×13, first 2 shown]
	s_wait_loadcnt 0x0
	global_store_b64 v[72:73], v[114:115], off
.LBB54_1084:
	s_sendmsg sendmsg(MSG_DEALLOC_VGPRS)
	s_endpgm
	.section	.rodata,"a",@progbits
	.p2align	6, 0x0
	.amdhsa_kernel _ZN9rocsolver6v33100L18trti2_kernel_smallILi55E19rocblas_complex_numIfEPS3_EEv13rocblas_fill_17rocblas_diagonal_T1_iil
		.amdhsa_group_segment_fixed_size 888
		.amdhsa_private_segment_fixed_size 448
		.amdhsa_kernarg_size 32
		.amdhsa_user_sgpr_count 2
		.amdhsa_user_sgpr_dispatch_ptr 0
		.amdhsa_user_sgpr_queue_ptr 0
		.amdhsa_user_sgpr_kernarg_segment_ptr 1
		.amdhsa_user_sgpr_dispatch_id 0
		.amdhsa_user_sgpr_kernarg_preload_length 0
		.amdhsa_user_sgpr_kernarg_preload_offset 0
		.amdhsa_user_sgpr_private_segment_size 0
		.amdhsa_wavefront_size32 1
		.amdhsa_uses_dynamic_stack 0
		.amdhsa_enable_private_segment 1
		.amdhsa_system_sgpr_workgroup_id_x 1
		.amdhsa_system_sgpr_workgroup_id_y 0
		.amdhsa_system_sgpr_workgroup_id_z 0
		.amdhsa_system_sgpr_workgroup_info 0
		.amdhsa_system_vgpr_workitem_id 0
		.amdhsa_next_free_vgpr 166
		.amdhsa_next_free_sgpr 35
		.amdhsa_named_barrier_count 0
		.amdhsa_reserve_vcc 1
		.amdhsa_float_round_mode_32 0
		.amdhsa_float_round_mode_16_64 0
		.amdhsa_float_denorm_mode_32 3
		.amdhsa_float_denorm_mode_16_64 3
		.amdhsa_fp16_overflow 0
		.amdhsa_memory_ordered 1
		.amdhsa_forward_progress 1
		.amdhsa_inst_pref_size 255
		.amdhsa_round_robin_scheduling 0
		.amdhsa_exception_fp_ieee_invalid_op 0
		.amdhsa_exception_fp_denorm_src 0
		.amdhsa_exception_fp_ieee_div_zero 0
		.amdhsa_exception_fp_ieee_overflow 0
		.amdhsa_exception_fp_ieee_underflow 0
		.amdhsa_exception_fp_ieee_inexact 0
		.amdhsa_exception_int_div_zero 0
	.end_amdhsa_kernel
	.section	.text._ZN9rocsolver6v33100L18trti2_kernel_smallILi55E19rocblas_complex_numIfEPS3_EEv13rocblas_fill_17rocblas_diagonal_T1_iil,"axG",@progbits,_ZN9rocsolver6v33100L18trti2_kernel_smallILi55E19rocblas_complex_numIfEPS3_EEv13rocblas_fill_17rocblas_diagonal_T1_iil,comdat
.Lfunc_end54:
	.size	_ZN9rocsolver6v33100L18trti2_kernel_smallILi55E19rocblas_complex_numIfEPS3_EEv13rocblas_fill_17rocblas_diagonal_T1_iil, .Lfunc_end54-_ZN9rocsolver6v33100L18trti2_kernel_smallILi55E19rocblas_complex_numIfEPS3_EEv13rocblas_fill_17rocblas_diagonal_T1_iil
                                        ; -- End function
	.set _ZN9rocsolver6v33100L18trti2_kernel_smallILi55E19rocblas_complex_numIfEPS3_EEv13rocblas_fill_17rocblas_diagonal_T1_iil.num_vgpr, 166
	.set _ZN9rocsolver6v33100L18trti2_kernel_smallILi55E19rocblas_complex_numIfEPS3_EEv13rocblas_fill_17rocblas_diagonal_T1_iil.num_agpr, 0
	.set _ZN9rocsolver6v33100L18trti2_kernel_smallILi55E19rocblas_complex_numIfEPS3_EEv13rocblas_fill_17rocblas_diagonal_T1_iil.numbered_sgpr, 35
	.set _ZN9rocsolver6v33100L18trti2_kernel_smallILi55E19rocblas_complex_numIfEPS3_EEv13rocblas_fill_17rocblas_diagonal_T1_iil.num_named_barrier, 0
	.set _ZN9rocsolver6v33100L18trti2_kernel_smallILi55E19rocblas_complex_numIfEPS3_EEv13rocblas_fill_17rocblas_diagonal_T1_iil.private_seg_size, 448
	.set _ZN9rocsolver6v33100L18trti2_kernel_smallILi55E19rocblas_complex_numIfEPS3_EEv13rocblas_fill_17rocblas_diagonal_T1_iil.uses_vcc, 1
	.set _ZN9rocsolver6v33100L18trti2_kernel_smallILi55E19rocblas_complex_numIfEPS3_EEv13rocblas_fill_17rocblas_diagonal_T1_iil.uses_flat_scratch, 1
	.set _ZN9rocsolver6v33100L18trti2_kernel_smallILi55E19rocblas_complex_numIfEPS3_EEv13rocblas_fill_17rocblas_diagonal_T1_iil.has_dyn_sized_stack, 0
	.set _ZN9rocsolver6v33100L18trti2_kernel_smallILi55E19rocblas_complex_numIfEPS3_EEv13rocblas_fill_17rocblas_diagonal_T1_iil.has_recursion, 0
	.set _ZN9rocsolver6v33100L18trti2_kernel_smallILi55E19rocblas_complex_numIfEPS3_EEv13rocblas_fill_17rocblas_diagonal_T1_iil.has_indirect_call, 0
	.section	.AMDGPU.csdata,"",@progbits
; Kernel info:
; codeLenInByte = 41704
; TotalNumSgprs: 37
; NumVgprs: 166
; ScratchSize: 448
; MemoryBound: 0
; FloatMode: 240
; IeeeMode: 1
; LDSByteSize: 888 bytes/workgroup (compile time only)
; SGPRBlocks: 0
; VGPRBlocks: 10
; NumSGPRsForWavesPerEU: 37
; NumVGPRsForWavesPerEU: 166
; NamedBarCnt: 0
; Occupancy: 5
; WaveLimiterHint : 0
; COMPUTE_PGM_RSRC2:SCRATCH_EN: 1
; COMPUTE_PGM_RSRC2:USER_SGPR: 2
; COMPUTE_PGM_RSRC2:TRAP_HANDLER: 0
; COMPUTE_PGM_RSRC2:TGID_X_EN: 1
; COMPUTE_PGM_RSRC2:TGID_Y_EN: 0
; COMPUTE_PGM_RSRC2:TGID_Z_EN: 0
; COMPUTE_PGM_RSRC2:TIDIG_COMP_CNT: 0
	.section	.text._ZN9rocsolver6v33100L18trti2_kernel_smallILi56E19rocblas_complex_numIfEPS3_EEv13rocblas_fill_17rocblas_diagonal_T1_iil,"axG",@progbits,_ZN9rocsolver6v33100L18trti2_kernel_smallILi56E19rocblas_complex_numIfEPS3_EEv13rocblas_fill_17rocblas_diagonal_T1_iil,comdat
	.globl	_ZN9rocsolver6v33100L18trti2_kernel_smallILi56E19rocblas_complex_numIfEPS3_EEv13rocblas_fill_17rocblas_diagonal_T1_iil ; -- Begin function _ZN9rocsolver6v33100L18trti2_kernel_smallILi56E19rocblas_complex_numIfEPS3_EEv13rocblas_fill_17rocblas_diagonal_T1_iil
	.p2align	8
	.type	_ZN9rocsolver6v33100L18trti2_kernel_smallILi56E19rocblas_complex_numIfEPS3_EEv13rocblas_fill_17rocblas_diagonal_T1_iil,@function
_ZN9rocsolver6v33100L18trti2_kernel_smallILi56E19rocblas_complex_numIfEPS3_EEv13rocblas_fill_17rocblas_diagonal_T1_iil: ; @_ZN9rocsolver6v33100L18trti2_kernel_smallILi56E19rocblas_complex_numIfEPS3_EEv13rocblas_fill_17rocblas_diagonal_T1_iil
; %bb.0:
	s_mov_b32 s2, exec_lo
	v_cmpx_gt_u32_e32 56, v0
	s_cbranch_execz .LBB55_1104
; %bb.1:
	s_load_b256 s[4:11], s[0:1], 0x0
	s_wait_xcnt 0x0
	s_bfe_u32 s0, ttmp6, 0x4000c
	s_and_b32 s1, ttmp6, 15
	s_add_co_i32 s0, s0, 1
	s_getreg_b32 s2, hwreg(HW_REG_IB_STS2, 6, 4)
	s_mul_i32 s0, ttmp9, s0
	v_mov_b32_e32 v45, 0
	s_add_co_i32 s0, s1, s0
	v_lshlrev_b32_e32 v44, 3, v0
	s_wait_kmcnt 0x0
	v_add3_u32 v4, s9, s9, v0
	s_ashr_i32 s1, s8, 31
	s_cmp_eq_u32 s2, 0
	s_cselect_b32 s2, ttmp9, s0
	s_delay_alu instid0(VALU_DEP_1)
	v_add_nc_u32_e32 v6, s9, v4
	s_ashr_i32 s3, s2, 31
	s_mov_b32 s0, s8
	s_mul_u64 s[2:3], s[10:11], s[2:3]
	s_lshl_b64 s[0:1], s[0:1], 3
	v_add_nc_u32_e32 v10, s9, v6
	s_lshl_b64 s[2:3], s[2:3], 3
	s_delay_alu instid0(SALU_CYCLE_1) | instskip(NEXT) | instid1(VALU_DEP_1)
	s_add_nc_u64 s[2:3], s[6:7], s[2:3]
	v_add_nc_u32_e32 v12, s9, v10
	s_add_nc_u64 s[6:7], s[2:3], s[0:1]
	s_mov_b32 s0, s9
	s_ashr_i32 s1, s9, 31
	s_cmp_lg_u32 s5, 0x84
	v_add_nc_u32_e32 v14, s9, v12
	s_clause 0x1
	global_load_b64 v[84:85], v10, s[6:7] scale_offset
	global_load_b64 v[86:87], v12, s[6:7] scale_offset
	s_cselect_b32 s3, -1, 0
	v_add_nc_u64_e32 v[2:3], s[6:7], v[44:45]
	s_and_b32 vcc_lo, exec_lo, s3
	v_add_nc_u32_e32 v16, s9, v14
	s_delay_alu instid0(VALU_DEP_1) | instskip(NEXT) | instid1(VALU_DEP_3)
	v_add_nc_u32_e32 v18, s9, v16
	v_lshl_add_u64 v[8:9], s[0:1], 3, v[2:3]
	s_mov_b32 s0, -1
	s_clause 0x3
	global_load_b64 v[88:89], v0, s[6:7] scale_offset
	global_load_b64 v[90:91], v[8:9], off
	global_load_b64 v[92:93], v4, s[6:7] scale_offset
	global_load_b64 v[94:95], v6, s[6:7] scale_offset
	v_add_nc_u32_e32 v20, s9, v18
	s_delay_alu instid0(VALU_DEP_1) | instskip(SKIP_4) | instid1(VALU_DEP_1)
	v_add_nc_u32_e32 v22, s9, v20
	s_clause 0x1
	global_load_b64 v[96:97], v14, s[6:7] scale_offset
	global_load_b64 v[98:99], v16, s[6:7] scale_offset
	v_add_nc_u32_e32 v24, s9, v22
	v_add_nc_u32_e32 v26, s9, v24
	s_delay_alu instid0(VALU_DEP_1) | instskip(NEXT) | instid1(VALU_DEP_1)
	v_add_nc_u32_e32 v28, s9, v26
	v_add_nc_u32_e32 v30, s9, v28
	s_clause 0x3
	global_load_b64 v[100:101], v18, s[6:7] scale_offset
	global_load_b64 v[102:103], v20, s[6:7] scale_offset
	;; [unrolled: 1-line block ×4, first 2 shown]
	v_add_nc_u32_e32 v32, s9, v30
	s_delay_alu instid0(VALU_DEP_1)
	v_add_nc_u32_e32 v34, s9, v32
	s_clause 0x3
	global_load_b64 v[108:109], v26, s[6:7] scale_offset
	global_load_b64 v[110:111], v28, s[6:7] scale_offset
	;; [unrolled: 1-line block ×4, first 2 shown]
	v_add_nc_u32_e32 v36, s9, v34
	s_delay_alu instid0(VALU_DEP_1) | instskip(NEXT) | instid1(VALU_DEP_1)
	v_add_nc_u32_e32 v38, s9, v36
	v_add_nc_u32_e32 v40, s9, v38
	s_delay_alu instid0(VALU_DEP_1) | instskip(NEXT) | instid1(VALU_DEP_1)
	v_add_nc_u32_e32 v42, s9, v40
	;; [unrolled: 3-line block ×3, first 2 shown]
	v_add_nc_u32_e32 v50, s9, v48
	s_clause 0x5
	global_load_b64 v[116:117], v34, s[6:7] scale_offset
	global_load_b64 v[118:119], v36, s[6:7] scale_offset
	;; [unrolled: 1-line block ×6, first 2 shown]
	v_add_nc_u32_e32 v52, s9, v50
	s_delay_alu instid0(VALU_DEP_1) | instskip(SKIP_4) | instid1(VALU_DEP_1)
	v_add_nc_u32_e32 v54, s9, v52
	s_clause 0x1
	global_load_b64 v[128:129], v48, s[6:7] scale_offset
	global_load_b64 v[130:131], v50, s[6:7] scale_offset
	v_add_nc_u32_e32 v56, s9, v54
	v_add_nc_u32_e32 v58, s9, v56
	s_clause 0x1
	global_load_b64 v[132:133], v52, s[6:7] scale_offset
	global_load_b64 v[134:135], v54, s[6:7] scale_offset
	v_add_nc_u32_e32 v60, s9, v58
	s_delay_alu instid0(VALU_DEP_1) | instskip(SKIP_4) | instid1(VALU_DEP_1)
	v_add_nc_u32_e32 v62, s9, v60
	s_clause 0x1
	global_load_b64 v[136:137], v56, s[6:7] scale_offset
	global_load_b64 v[138:139], v58, s[6:7] scale_offset
	v_add_nc_u32_e32 v64, s9, v62
	v_add_nc_u32_e32 v66, s9, v64
	s_delay_alu instid0(VALU_DEP_1) | instskip(NEXT) | instid1(VALU_DEP_1)
	v_add_nc_u32_e32 v68, s9, v66
	v_add_nc_u32_e32 v70, s9, v68
	s_delay_alu instid0(VALU_DEP_1) | instskip(NEXT) | instid1(VALU_DEP_1)
	;; [unrolled: 3-line block ×4, first 2 shown]
	v_add_nc_u32_e32 v80, s9, v78
	v_add_nc_u32_e32 v82, s9, v80
	s_wait_loadcnt 0x1a
	scratch_store_b128 off, v[84:87], off offset:32
	s_wait_xcnt 0x0
	v_add_nc_u32_e32 v84, s9, v82
	s_wait_loadcnt 0x18
	scratch_store_b128 off, v[88:91], off
	s_wait_loadcnt 0x16
	scratch_store_b128 off, v[92:95], off offset:16
	v_add_nc_u32_e32 v86, s9, v84
	s_clause 0x3
	global_load_b64 v[140:141], v60, s[6:7] scale_offset
	global_load_b64 v[142:143], v62, s[6:7] scale_offset
	;; [unrolled: 1-line block ×4, first 2 shown]
	s_wait_loadcnt 0x18
	scratch_store_b128 off, v[96:99], off offset:48
	s_wait_loadcnt 0x16
	scratch_store_b128 off, v[100:103], off offset:64
	s_wait_xcnt 0x7
	v_add_nc_u32_e32 v88, s9, v86
	s_clause 0x3
	global_load_b64 v[148:149], v68, s[6:7] scale_offset
	global_load_b64 v[150:151], v70, s[6:7] scale_offset
	;; [unrolled: 1-line block ×4, first 2 shown]
	s_wait_loadcnt 0x18
	scratch_store_b128 off, v[104:107], off offset:80
	s_wait_loadcnt 0x16
	scratch_store_b128 off, v[108:111], off offset:96
	;; [unrolled: 2-line block ×3, first 2 shown]
	v_add_nc_u32_e32 v90, s9, v88
	s_clause 0x3
	global_load_b64 v[156:157], v76, s[6:7] scale_offset
	global_load_b64 v[158:159], v78, s[6:7] scale_offset
	;; [unrolled: 1-line block ×4, first 2 shown]
	s_wait_loadcnt 0x16
	scratch_store_b128 off, v[116:119], off offset:128
	s_wait_loadcnt 0x14
	scratch_store_b128 off, v[120:123], off offset:144
	s_wait_xcnt 0x13
	v_add_nc_u32_e32 v92, s9, v90
	s_delay_alu instid0(VALU_DEP_1)
	v_add_nc_u32_e32 v94, s9, v92
	s_clause 0x3
	global_load_b64 v[116:117], v84, s[6:7] scale_offset
	global_load_b64 v[118:119], v86, s[6:7] scale_offset
	;; [unrolled: 1-line block ×4, first 2 shown]
	s_wait_loadcnt 0x16
	scratch_store_b128 off, v[124:127], off offset:160
	s_wait_loadcnt 0x14
	scratch_store_b128 off, v[128:131], off offset:176
	v_add_nc_u32_e32 v96, s9, v94
	s_delay_alu instid0(VALU_DEP_1) | instskip(SKIP_3) | instid1(VALU_DEP_1)
	v_add_nc_u32_e32 v98, s9, v96
	s_wait_loadcnt 0x12
	scratch_store_b128 off, v[132:135], off offset:192
	v_add_nc_u32_e32 v100, s9, v98
	v_add_nc_u32_e32 v102, s9, v100
	s_wait_loadcnt 0x10
	scratch_store_b128 off, v[136:139], off offset:208
	v_add_nc_u32_e32 v104, s9, v102
	s_delay_alu instid0(VALU_DEP_1) | instskip(NEXT) | instid1(VALU_DEP_1)
	v_add_nc_u32_e32 v106, s9, v104
	v_add_nc_u32_e32 v108, s9, v106
	s_delay_alu instid0(VALU_DEP_1) | instskip(NEXT) | instid1(VALU_DEP_1)
	v_add_nc_u32_e32 v110, s9, v108
	v_add_nc_u32_e32 v112, s9, v110
	s_delay_alu instid0(VALU_DEP_1)
	v_add_nc_u32_e32 v114, s9, v112
	s_wait_loadcnt 0xe
	scratch_store_b128 off, v[140:143], off offset:224
	s_wait_loadcnt 0xc
	scratch_store_b128 off, v[144:147], off offset:240
	;; [unrolled: 2-line block ×3, first 2 shown]
	s_clause 0x3
	global_load_b64 v[124:125], v92, s[6:7] scale_offset
	global_load_b64 v[126:127], v94, s[6:7] scale_offset
	;; [unrolled: 1-line block ×4, first 2 shown]
	s_wait_loadcnt 0xc
	scratch_store_b128 off, v[152:155], off offset:272
	s_wait_loadcnt 0xa
	scratch_store_b128 off, v[156:159], off offset:288
	;; [unrolled: 2-line block ×3, first 2 shown]
	s_clause 0x3
	global_load_b64 v[132:133], v100, s[6:7] scale_offset
	global_load_b64 v[134:135], v102, s[6:7] scale_offset
	;; [unrolled: 1-line block ×4, first 2 shown]
	s_wait_loadcnt 0xa
	scratch_store_b128 off, v[116:119], off offset:320
	s_wait_loadcnt 0x8
	scratch_store_b128 off, v[120:123], off offset:336
	s_clause 0x3
	global_load_b64 v[116:117], v108, s[6:7] scale_offset
	global_load_b64 v[118:119], v110, s[6:7] scale_offset
	;; [unrolled: 1-line block ×4, first 2 shown]
	s_wait_loadcnt 0xa
	scratch_store_b128 off, v[124:127], off offset:352
	s_wait_loadcnt 0x8
	scratch_store_b128 off, v[128:131], off offset:368
	;; [unrolled: 2-line block ×6, first 2 shown]
	s_cbranch_vccz .LBB55_7
; %bb.2:
	scratch_load_b64 v[116:117], v0, off scale_offset
                                        ; implicit-def: $vgpr121
                                        ; implicit-def: $vgpr118
	s_wait_loadcnt 0x0
	v_cmp_ngt_f32_e64 s0, |v116|, |v117|
	s_wait_xcnt 0x0
	s_and_saveexec_b32 s1, s0
	s_delay_alu instid0(SALU_CYCLE_1)
	s_xor_b32 s0, exec_lo, s1
	s_cbranch_execz .LBB55_4
; %bb.3:
	v_div_scale_f32 v1, null, v117, v117, v116
	v_div_scale_f32 v11, vcc_lo, v116, v117, v116
	s_delay_alu instid0(VALU_DEP_2) | instskip(SKIP_1) | instid1(TRANS32_DEP_1)
	v_rcp_f32_e32 v5, v1
	v_nop
	v_fma_f32 v7, -v1, v5, 1.0
	s_delay_alu instid0(VALU_DEP_1) | instskip(NEXT) | instid1(VALU_DEP_1)
	v_fmac_f32_e32 v5, v7, v5
	v_mul_f32_e32 v7, v11, v5
	s_delay_alu instid0(VALU_DEP_1) | instskip(NEXT) | instid1(VALU_DEP_1)
	v_fma_f32 v13, -v1, v7, v11
	v_fmac_f32_e32 v7, v13, v5
	s_delay_alu instid0(VALU_DEP_1) | instskip(NEXT) | instid1(VALU_DEP_1)
	v_fma_f32 v1, -v1, v7, v11
	v_div_fmas_f32 v1, v1, v5, v7
	s_delay_alu instid0(VALU_DEP_1) | instskip(NEXT) | instid1(VALU_DEP_1)
	v_div_fixup_f32 v1, v1, v117, v116
	v_fmac_f32_e32 v117, v116, v1
	s_delay_alu instid0(VALU_DEP_1) | instskip(NEXT) | instid1(VALU_DEP_1)
	v_div_scale_f32 v5, null, v117, v117, -1.0
	v_rcp_f32_e32 v7, v5
	v_nop
	s_delay_alu instid0(TRANS32_DEP_1) | instskip(NEXT) | instid1(VALU_DEP_1)
	v_fma_f32 v11, -v5, v7, 1.0
	v_fmac_f32_e32 v7, v11, v7
	v_div_scale_f32 v11, vcc_lo, -1.0, v117, -1.0
	s_delay_alu instid0(VALU_DEP_1) | instskip(NEXT) | instid1(VALU_DEP_1)
	v_mul_f32_e32 v13, v11, v7
	v_fma_f32 v15, -v5, v13, v11
	s_delay_alu instid0(VALU_DEP_1) | instskip(NEXT) | instid1(VALU_DEP_1)
	v_fmac_f32_e32 v13, v15, v7
	v_fma_f32 v5, -v5, v13, v11
	s_delay_alu instid0(VALU_DEP_1) | instskip(NEXT) | instid1(VALU_DEP_1)
	v_div_fmas_f32 v5, v5, v7, v13
	v_div_fixup_f32 v121, v5, v117, -1.0
                                        ; implicit-def: $vgpr116_vgpr117
	s_delay_alu instid0(VALU_DEP_1) | instskip(NEXT) | instid1(VALU_DEP_1)
	v_mul_f32_e32 v118, v1, v121
	v_xor_b32_e32 v120, 0x80000000, v118
.LBB55_4:
	s_or_saveexec_b32 s0, s0
	v_lshl_add_u32 v1, v0, 3, 0
	s_xor_b32 exec_lo, exec_lo, s0
	s_cbranch_execz .LBB55_6
; %bb.5:
	v_div_scale_f32 v5, null, v116, v116, v117
	v_div_scale_f32 v13, vcc_lo, v117, v116, v117
	s_delay_alu instid0(VALU_DEP_2) | instskip(SKIP_1) | instid1(TRANS32_DEP_1)
	v_rcp_f32_e32 v7, v5
	v_nop
	v_fma_f32 v11, -v5, v7, 1.0
	s_delay_alu instid0(VALU_DEP_1) | instskip(NEXT) | instid1(VALU_DEP_1)
	v_fmac_f32_e32 v7, v11, v7
	v_mul_f32_e32 v11, v13, v7
	s_delay_alu instid0(VALU_DEP_1) | instskip(NEXT) | instid1(VALU_DEP_1)
	v_fma_f32 v15, -v5, v11, v13
	v_fmac_f32_e32 v11, v15, v7
	s_delay_alu instid0(VALU_DEP_1) | instskip(NEXT) | instid1(VALU_DEP_1)
	v_fma_f32 v5, -v5, v11, v13
	v_div_fmas_f32 v5, v5, v7, v11
	s_delay_alu instid0(VALU_DEP_1) | instskip(NEXT) | instid1(VALU_DEP_1)
	v_div_fixup_f32 v5, v5, v116, v117
	v_fmac_f32_e32 v116, v117, v5
	s_delay_alu instid0(VALU_DEP_1) | instskip(SKIP_1) | instid1(VALU_DEP_2)
	v_div_scale_f32 v7, null, v116, v116, 1.0
	v_div_scale_f32 v15, vcc_lo, 1.0, v116, 1.0
	v_rcp_f32_e32 v11, v7
	v_nop
	s_delay_alu instid0(TRANS32_DEP_1) | instskip(NEXT) | instid1(VALU_DEP_1)
	v_fma_f32 v13, -v7, v11, 1.0
	v_fmac_f32_e32 v11, v13, v11
	s_delay_alu instid0(VALU_DEP_1) | instskip(NEXT) | instid1(VALU_DEP_1)
	v_mul_f32_e32 v13, v15, v11
	v_fma_f32 v17, -v7, v13, v15
	s_delay_alu instid0(VALU_DEP_1) | instskip(NEXT) | instid1(VALU_DEP_1)
	v_fmac_f32_e32 v13, v17, v11
	v_fma_f32 v7, -v7, v13, v15
	s_delay_alu instid0(VALU_DEP_1) | instskip(NEXT) | instid1(VALU_DEP_1)
	v_div_fmas_f32 v7, v7, v11, v13
	v_div_fixup_f32 v120, v7, v116, 1.0
	s_delay_alu instid0(VALU_DEP_1)
	v_xor_b32_e32 v118, 0x80000000, v120
	v_mul_f32_e64 v121, v5, -v120
.LBB55_6:
	s_or_b32 exec_lo, exec_lo, s0
	s_delay_alu instid0(VALU_DEP_1)
	v_xor_b32_e32 v119, 0x80000000, v121
	s_mov_b32 s0, 0
	scratch_store_b64 v1, v[120:121], off
	ds_store_b64 v44, v[118:119]
.LBB55_7:
	s_and_b32 vcc_lo, exec_lo, s0
	s_cbranch_vccz .LBB55_9
; %bb.8:
	s_mov_b64 s[0:1], 0xbf800000
	s_wait_xcnt 0x1
	v_mov_b64_e32 v[116:117], s[0:1]
	ds_store_b64 v44, v[116:117]
.LBB55_9:
	v_dual_ashrrev_i32 v5, 31, v4 :: v_dual_ashrrev_i32 v7, 31, v6
	v_dual_ashrrev_i32 v11, 31, v10 :: v_dual_ashrrev_i32 v13, 31, v12
	;; [unrolled: 1-line block ×26, first 2 shown]
	v_dual_ashrrev_i32 v111, 31, v110 :: v_dual_mov_b32 v45, v44
	v_ashrrev_i32_e32 v115, 31, v114
	s_wait_xcnt 0x0
	v_add_nc_u32_e32 v1, 0x1c0, v44
	s_cmp_eq_u32 s4, 0x79
	s_cbranch_scc1 .LBB55_13
; %bb.10:
	scratch_load_b64 v[116:117], off, off offset:432
	v_cmp_eq_u32_e64 s0, 55, v0
	s_movk_i32 s1, 0x50
	s_movk_i32 s10, 0x60
	s_movk_i32 s11, 0x70
	s_movk_i32 s12, 0x80
	s_movk_i32 s13, 0x90
	s_movk_i32 s14, 0xa0
	s_movk_i32 s15, 0xb0
	s_movk_i32 s16, 0xc0
	s_movk_i32 s17, 0xd0
	s_movk_i32 s18, 0xe0
	s_movk_i32 s19, 0xf0
	s_movk_i32 s20, 0x100
	s_movk_i32 s21, 0x110
	s_movk_i32 s22, 0x120
	s_movk_i32 s23, 0x130
	s_movk_i32 s24, 0x140
	s_movk_i32 s25, 0x150
	s_movk_i32 s26, 0x160
	s_movk_i32 s27, 0x170
	s_movk_i32 s28, 0x180
	s_movk_i32 s29, 0x190
	s_movk_i32 s30, 0x1a0
	s_wait_loadcnt 0x0
	ds_store_b64 v1, v[116:117]
	s_wait_storecnt_dscnt 0x0
	s_barrier_signal -1
	s_barrier_wait -1
	s_wait_xcnt 0x0
	s_and_saveexec_b32 s2, s0
	s_cbranch_execz .LBB55_17
; %bb.11:
	s_and_b32 vcc_lo, exec_lo, s3
	s_cbranch_vccz .LBB55_14
; %bb.12:
	scratch_load_b64 v[116:117], v45, off
	ds_load_b64 v[118:119], v1
	s_wait_loadcnt_dscnt 0x0
	v_pk_mul_f32 v[120:121], v[118:119], v[116:117] op_sel:[1,1] op_sel_hi:[0,1]
	v_pk_mul_f32 v[122:123], v[118:119], v[116:117] op_sel_hi:[1,0]
	s_delay_alu instid0(VALU_DEP_2) | instskip(NEXT) | instid1(VALU_DEP_2)
	v_pk_fma_f32 v[116:117], v[118:119], v[116:117], v[120:121] op_sel_hi:[1,0,1]
	v_sub_f32_e32 v116, v122, v120
	s_cbranch_execz .LBB55_15
	s_branch .LBB55_16
.LBB55_13:
	s_mov_b32 s1, 0
                                        ; implicit-def: $vgpr156
                                        ; implicit-def: $sgpr4
	s_cbranch_execnz .LBB55_556
	s_branch .LBB55_1101
.LBB55_14:
                                        ; implicit-def: $vgpr117
.LBB55_15:
	ds_load_b64 v[116:117], v1
.LBB55_16:
	s_wait_dscnt 0x0
	v_dual_mov_b32 v118, 0 :: v_dual_mov_b32 v120, v117
	v_mov_b32_e32 v121, v116
	ds_load_b64 v[118:119], v118 offset:432
	s_wait_dscnt 0x0
	v_pk_mul_f32 v[120:121], v[120:121], v[118:119] op_sel:[0,1]
	s_delay_alu instid0(VALU_DEP_1) | instskip(SKIP_1) | instid1(VALU_DEP_2)
	v_pk_fma_f32 v[122:123], v[116:117], v[118:119], v[120:121] op_sel_hi:[1,0,1]
	v_pk_fma_f32 v[116:117], v[116:117], v[118:119], v[120:121] neg_lo:[0,0,1] neg_hi:[0,0,1]
	v_mov_b32_e32 v117, v123
	scratch_store_b64 off, v[116:117], off offset:432
.LBB55_17:
	s_wait_xcnt 0x0
	s_or_b32 exec_lo, exec_lo, s2
	scratch_load_b64 v[116:117], off, off offset:424
	s_mov_b32 s9, s1
	v_cmp_lt_u32_e64 s1, 53, v0
	s_mov_b32 s4, 16
	s_mov_b32 s5, 32
	;; [unrolled: 1-line block ×4, first 2 shown]
	s_wait_loadcnt 0x0
	ds_store_b64 v1, v[116:117]
	s_wait_storecnt_dscnt 0x0
	s_barrier_signal -1
	s_barrier_wait -1
	s_wait_xcnt 0x0
	s_and_saveexec_b32 s31, s1
	s_cbranch_execz .LBB55_25
; %bb.18:
	s_and_not1_b32 vcc_lo, exec_lo, s3
	s_cbranch_vccnz .LBB55_20
; %bb.19:
	scratch_load_b64 v[116:117], v45, off
	ds_load_b64 v[118:119], v1
	s_wait_loadcnt_dscnt 0x0
	v_pk_mul_f32 v[120:121], v[118:119], v[116:117] op_sel:[1,1] op_sel_hi:[0,1]
	s_delay_alu instid0(VALU_DEP_1) | instskip(SKIP_1) | instid1(VALU_DEP_2)
	v_pk_fma_f32 v[122:123], v[118:119], v[116:117], v[120:121] op_sel_hi:[1,0,1]
	v_pk_fma_f32 v[116:117], v[118:119], v[116:117], v[120:121] neg_lo:[0,0,1] neg_hi:[0,0,1]
	v_mov_b32_e32 v117, v123
	s_cbranch_execz .LBB55_21
	s_branch .LBB55_22
.LBB55_20:
                                        ; implicit-def: $vgpr116_vgpr117
.LBB55_21:
	ds_load_b64 v[116:117], v1
.LBB55_22:
	s_and_saveexec_b32 s33, s0
	s_cbranch_execz .LBB55_24
; %bb.23:
	scratch_load_b64 v[118:119], off, off offset:432
	v_mov_b32_e32 v120, 0
	ds_load_b64 v[120:121], v120 offset:880
	s_wait_loadcnt_dscnt 0x0
	v_pk_mul_f32 v[122:123], v[120:121], v[118:119] op_sel:[1,1] op_sel_hi:[0,1]
	s_delay_alu instid0(VALU_DEP_1) | instskip(SKIP_1) | instid1(VALU_DEP_2)
	v_pk_fma_f32 v[124:125], v[120:121], v[118:119], v[122:123] op_sel_hi:[1,0,1]
	v_pk_fma_f32 v[118:119], v[120:121], v[118:119], v[122:123] neg_lo:[0,0,1] neg_hi:[0,0,1]
	v_mov_b32_e32 v119, v125
	s_delay_alu instid0(VALU_DEP_1)
	v_pk_add_f32 v[116:117], v[116:117], v[118:119]
.LBB55_24:
	s_or_b32 exec_lo, exec_lo, s33
	v_mov_b32_e32 v118, 0
	ds_load_b64 v[118:119], v118 offset:424
	s_wait_dscnt 0x0
	v_pk_mul_f32 v[120:121], v[116:117], v[118:119] op_sel:[1,1] op_sel_hi:[0,1]
	s_delay_alu instid0(VALU_DEP_1) | instskip(SKIP_1) | instid1(VALU_DEP_2)
	v_pk_fma_f32 v[122:123], v[116:117], v[118:119], v[120:121] op_sel_hi:[1,0,1]
	v_pk_fma_f32 v[116:117], v[116:117], v[118:119], v[120:121] neg_lo:[0,0,1] neg_hi:[0,0,1]
	v_mov_b32_e32 v117, v123
	scratch_store_b64 off, v[116:117], off offset:424
.LBB55_25:
	s_wait_xcnt 0x0
	s_or_b32 exec_lo, exec_lo, s31
	scratch_load_b64 v[116:117], off, off offset:416
	v_cmp_lt_u32_e64 s0, 52, v0
	s_wait_loadcnt 0x0
	ds_store_b64 v1, v[116:117]
	s_wait_storecnt_dscnt 0x0
	s_barrier_signal -1
	s_barrier_wait -1
	s_wait_xcnt 0x0
	s_and_saveexec_b32 s31, s0
	s_cbranch_execz .LBB55_35
; %bb.26:
	s_and_not1_b32 vcc_lo, exec_lo, s3
	s_cbranch_vccnz .LBB55_28
; %bb.27:
	scratch_load_b64 v[116:117], v45, off
	ds_load_b64 v[118:119], v1
	s_wait_loadcnt_dscnt 0x0
	v_pk_mul_f32 v[120:121], v[118:119], v[116:117] op_sel:[1,1] op_sel_hi:[0,1]
	s_delay_alu instid0(VALU_DEP_1) | instskip(SKIP_1) | instid1(VALU_DEP_2)
	v_pk_fma_f32 v[122:123], v[118:119], v[116:117], v[120:121] op_sel_hi:[1,0,1]
	v_pk_fma_f32 v[116:117], v[118:119], v[116:117], v[120:121] neg_lo:[0,0,1] neg_hi:[0,0,1]
	v_mov_b32_e32 v117, v123
	s_cbranch_execz .LBB55_29
	s_branch .LBB55_30
.LBB55_28:
                                        ; implicit-def: $vgpr116_vgpr117
.LBB55_29:
	ds_load_b64 v[116:117], v1
.LBB55_30:
	s_and_saveexec_b32 s33, s1
	s_cbranch_execz .LBB55_34
; %bb.31:
	v_subrev_nc_u32_e32 v118, 53, v0
	s_movk_i32 s1, 0x1a8
	s_movk_i32 s35, 0x368
	s_mov_b32 s34, 0
.LBB55_32:                              ; =>This Inner Loop Header: Depth=1
	scratch_load_b64 v[120:121], off, s1
	v_dual_mov_b32 v119, s35 :: v_dual_add_nc_u32 v118, -1, v118
	s_add_co_i32 s35, s35, 8
	s_wait_xcnt 0x0
	s_add_co_i32 s1, s1, 8
	ds_load_b64 v[122:123], v119
	v_cmp_eq_u32_e32 vcc_lo, 0, v118
	s_or_b32 s34, vcc_lo, s34
	s_wait_loadcnt_dscnt 0x0
	v_pk_mul_f32 v[124:125], v[122:123], v[120:121] op_sel:[1,1] op_sel_hi:[0,1]
	s_delay_alu instid0(VALU_DEP_1) | instskip(SKIP_1) | instid1(VALU_DEP_2)
	v_pk_fma_f32 v[126:127], v[122:123], v[120:121], v[124:125] op_sel_hi:[1,0,1]
	v_pk_fma_f32 v[120:121], v[122:123], v[120:121], v[124:125] neg_lo:[0,0,1] neg_hi:[0,0,1]
	v_mov_b32_e32 v121, v127
	s_delay_alu instid0(VALU_DEP_1)
	v_pk_add_f32 v[116:117], v[116:117], v[120:121]
	s_and_not1_b32 exec_lo, exec_lo, s34
	s_cbranch_execnz .LBB55_32
; %bb.33:
	s_or_b32 exec_lo, exec_lo, s34
.LBB55_34:
	s_delay_alu instid0(SALU_CYCLE_1) | instskip(SKIP_4) | instid1(VALU_DEP_1)
	s_or_b32 exec_lo, exec_lo, s33
	v_mov_b32_e32 v118, 0
	ds_load_b64 v[118:119], v118 offset:416
	s_wait_dscnt 0x0
	v_pk_mul_f32 v[120:121], v[116:117], v[118:119] op_sel:[1,1] op_sel_hi:[0,1]
	v_pk_fma_f32 v[122:123], v[116:117], v[118:119], v[120:121] op_sel_hi:[1,0,1]
	v_pk_fma_f32 v[116:117], v[116:117], v[118:119], v[120:121] neg_lo:[0,0,1] neg_hi:[0,0,1]
	s_delay_alu instid0(VALU_DEP_2)
	v_mov_b32_e32 v117, v123
	scratch_store_b64 off, v[116:117], off offset:416
.LBB55_35:
	s_wait_xcnt 0x0
	s_or_b32 exec_lo, exec_lo, s31
	scratch_load_b64 v[116:117], off, off offset:408
	v_cmp_lt_u32_e64 s1, 51, v0
	s_wait_loadcnt 0x0
	ds_store_b64 v1, v[116:117]
	s_wait_storecnt_dscnt 0x0
	s_barrier_signal -1
	s_barrier_wait -1
	s_wait_xcnt 0x0
	s_and_saveexec_b32 s31, s1
	s_cbranch_execz .LBB55_45
; %bb.36:
	s_and_not1_b32 vcc_lo, exec_lo, s3
	s_cbranch_vccnz .LBB55_38
; %bb.37:
	scratch_load_b64 v[116:117], v45, off
	ds_load_b64 v[118:119], v1
	s_wait_loadcnt_dscnt 0x0
	v_pk_mul_f32 v[120:121], v[118:119], v[116:117] op_sel:[1,1] op_sel_hi:[0,1]
	s_delay_alu instid0(VALU_DEP_1) | instskip(SKIP_1) | instid1(VALU_DEP_2)
	v_pk_fma_f32 v[122:123], v[118:119], v[116:117], v[120:121] op_sel_hi:[1,0,1]
	v_pk_fma_f32 v[116:117], v[118:119], v[116:117], v[120:121] neg_lo:[0,0,1] neg_hi:[0,0,1]
	v_mov_b32_e32 v117, v123
	s_cbranch_execz .LBB55_39
	s_branch .LBB55_40
.LBB55_38:
                                        ; implicit-def: $vgpr116_vgpr117
.LBB55_39:
	ds_load_b64 v[116:117], v1
.LBB55_40:
	s_and_saveexec_b32 s33, s0
	s_cbranch_execz .LBB55_44
; %bb.41:
	v_subrev_nc_u32_e32 v118, 52, v0
	s_movk_i32 s34, 0x360
	s_mov_b32 s0, 0
.LBB55_42:                              ; =>This Inner Loop Header: Depth=1
	scratch_load_b64 v[120:121], off, s30
	v_dual_mov_b32 v119, s34 :: v_dual_add_nc_u32 v118, -1, v118
	s_add_co_i32 s34, s34, 8
	s_wait_xcnt 0x0
	s_add_co_i32 s30, s30, 8
	ds_load_b64 v[122:123], v119
	v_cmp_eq_u32_e32 vcc_lo, 0, v118
	s_or_b32 s0, vcc_lo, s0
	s_wait_loadcnt_dscnt 0x0
	v_pk_mul_f32 v[124:125], v[122:123], v[120:121] op_sel:[1,1] op_sel_hi:[0,1]
	s_delay_alu instid0(VALU_DEP_1) | instskip(SKIP_1) | instid1(VALU_DEP_2)
	v_pk_fma_f32 v[126:127], v[122:123], v[120:121], v[124:125] op_sel_hi:[1,0,1]
	v_pk_fma_f32 v[120:121], v[122:123], v[120:121], v[124:125] neg_lo:[0,0,1] neg_hi:[0,0,1]
	v_mov_b32_e32 v121, v127
	s_delay_alu instid0(VALU_DEP_1)
	v_pk_add_f32 v[116:117], v[116:117], v[120:121]
	s_and_not1_b32 exec_lo, exec_lo, s0
	s_cbranch_execnz .LBB55_42
; %bb.43:
	s_or_b32 exec_lo, exec_lo, s0
.LBB55_44:
	s_delay_alu instid0(SALU_CYCLE_1) | instskip(SKIP_4) | instid1(VALU_DEP_1)
	s_or_b32 exec_lo, exec_lo, s33
	v_mov_b32_e32 v118, 0
	ds_load_b64 v[118:119], v118 offset:408
	s_wait_dscnt 0x0
	v_pk_mul_f32 v[120:121], v[116:117], v[118:119] op_sel:[1,1] op_sel_hi:[0,1]
	v_pk_fma_f32 v[122:123], v[116:117], v[118:119], v[120:121] op_sel_hi:[1,0,1]
	v_pk_fma_f32 v[116:117], v[116:117], v[118:119], v[120:121] neg_lo:[0,0,1] neg_hi:[0,0,1]
	s_delay_alu instid0(VALU_DEP_2)
	v_mov_b32_e32 v117, v123
	scratch_store_b64 off, v[116:117], off offset:408
.LBB55_45:
	s_wait_xcnt 0x0
	s_or_b32 exec_lo, exec_lo, s31
	scratch_load_b64 v[116:117], off, off offset:400
	v_cmp_lt_u32_e64 s0, 50, v0
	s_wait_loadcnt 0x0
	ds_store_b64 v1, v[116:117]
	s_wait_storecnt_dscnt 0x0
	s_barrier_signal -1
	s_barrier_wait -1
	s_wait_xcnt 0x0
	s_and_saveexec_b32 s30, s0
	s_cbranch_execz .LBB55_55
; %bb.46:
	s_and_not1_b32 vcc_lo, exec_lo, s3
	s_cbranch_vccnz .LBB55_48
; %bb.47:
	scratch_load_b64 v[116:117], v45, off
	ds_load_b64 v[118:119], v1
	s_wait_loadcnt_dscnt 0x0
	v_pk_mul_f32 v[120:121], v[118:119], v[116:117] op_sel:[1,1] op_sel_hi:[0,1]
	s_delay_alu instid0(VALU_DEP_1) | instskip(SKIP_1) | instid1(VALU_DEP_2)
	v_pk_fma_f32 v[122:123], v[118:119], v[116:117], v[120:121] op_sel_hi:[1,0,1]
	v_pk_fma_f32 v[116:117], v[118:119], v[116:117], v[120:121] neg_lo:[0,0,1] neg_hi:[0,0,1]
	v_mov_b32_e32 v117, v123
	s_cbranch_execz .LBB55_49
	s_branch .LBB55_50
.LBB55_48:
                                        ; implicit-def: $vgpr116_vgpr117
.LBB55_49:
	ds_load_b64 v[116:117], v1
.LBB55_50:
	s_and_saveexec_b32 s31, s1
	s_cbranch_execz .LBB55_54
; %bb.51:
	v_subrev_nc_u32_e32 v118, 51, v0
	s_movk_i32 s1, 0x198
	s_movk_i32 s34, 0x358
	s_mov_b32 s33, 0
.LBB55_52:                              ; =>This Inner Loop Header: Depth=1
	scratch_load_b64 v[120:121], off, s1
	v_dual_mov_b32 v119, s34 :: v_dual_add_nc_u32 v118, -1, v118
	s_add_co_i32 s34, s34, 8
	s_wait_xcnt 0x0
	s_add_co_i32 s1, s1, 8
	ds_load_b64 v[122:123], v119
	v_cmp_eq_u32_e32 vcc_lo, 0, v118
	s_or_b32 s33, vcc_lo, s33
	s_wait_loadcnt_dscnt 0x0
	v_pk_mul_f32 v[124:125], v[122:123], v[120:121] op_sel:[1,1] op_sel_hi:[0,1]
	s_delay_alu instid0(VALU_DEP_1) | instskip(SKIP_1) | instid1(VALU_DEP_2)
	v_pk_fma_f32 v[126:127], v[122:123], v[120:121], v[124:125] op_sel_hi:[1,0,1]
	v_pk_fma_f32 v[120:121], v[122:123], v[120:121], v[124:125] neg_lo:[0,0,1] neg_hi:[0,0,1]
	v_mov_b32_e32 v121, v127
	s_delay_alu instid0(VALU_DEP_1)
	v_pk_add_f32 v[116:117], v[116:117], v[120:121]
	s_and_not1_b32 exec_lo, exec_lo, s33
	s_cbranch_execnz .LBB55_52
; %bb.53:
	s_or_b32 exec_lo, exec_lo, s33
.LBB55_54:
	s_delay_alu instid0(SALU_CYCLE_1) | instskip(SKIP_4) | instid1(VALU_DEP_1)
	s_or_b32 exec_lo, exec_lo, s31
	v_mov_b32_e32 v118, 0
	ds_load_b64 v[118:119], v118 offset:400
	s_wait_dscnt 0x0
	v_pk_mul_f32 v[120:121], v[116:117], v[118:119] op_sel:[1,1] op_sel_hi:[0,1]
	v_pk_fma_f32 v[122:123], v[116:117], v[118:119], v[120:121] op_sel_hi:[1,0,1]
	v_pk_fma_f32 v[116:117], v[116:117], v[118:119], v[120:121] neg_lo:[0,0,1] neg_hi:[0,0,1]
	s_delay_alu instid0(VALU_DEP_2)
	v_mov_b32_e32 v117, v123
	scratch_store_b64 off, v[116:117], off offset:400
.LBB55_55:
	s_wait_xcnt 0x0
	s_or_b32 exec_lo, exec_lo, s30
	scratch_load_b64 v[116:117], off, off offset:392
	v_cmp_lt_u32_e64 s1, 49, v0
	s_wait_loadcnt 0x0
	ds_store_b64 v1, v[116:117]
	s_wait_storecnt_dscnt 0x0
	s_barrier_signal -1
	s_barrier_wait -1
	s_wait_xcnt 0x0
	s_and_saveexec_b32 s30, s1
	s_cbranch_execz .LBB55_65
; %bb.56:
	s_and_not1_b32 vcc_lo, exec_lo, s3
	s_cbranch_vccnz .LBB55_58
; %bb.57:
	scratch_load_b64 v[116:117], v45, off
	ds_load_b64 v[118:119], v1
	s_wait_loadcnt_dscnt 0x0
	v_pk_mul_f32 v[120:121], v[118:119], v[116:117] op_sel:[1,1] op_sel_hi:[0,1]
	s_delay_alu instid0(VALU_DEP_1) | instskip(SKIP_1) | instid1(VALU_DEP_2)
	v_pk_fma_f32 v[122:123], v[118:119], v[116:117], v[120:121] op_sel_hi:[1,0,1]
	v_pk_fma_f32 v[116:117], v[118:119], v[116:117], v[120:121] neg_lo:[0,0,1] neg_hi:[0,0,1]
	v_mov_b32_e32 v117, v123
	s_cbranch_execz .LBB55_59
	s_branch .LBB55_60
.LBB55_58:
                                        ; implicit-def: $vgpr116_vgpr117
.LBB55_59:
	ds_load_b64 v[116:117], v1
.LBB55_60:
	s_and_saveexec_b32 s31, s0
	s_cbranch_execz .LBB55_64
; %bb.61:
	v_subrev_nc_u32_e32 v118, 50, v0
	s_movk_i32 s33, 0x350
	s_mov_b32 s0, 0
.LBB55_62:                              ; =>This Inner Loop Header: Depth=1
	scratch_load_b64 v[120:121], off, s29
	v_dual_mov_b32 v119, s33 :: v_dual_add_nc_u32 v118, -1, v118
	s_add_co_i32 s33, s33, 8
	s_wait_xcnt 0x0
	s_add_co_i32 s29, s29, 8
	ds_load_b64 v[122:123], v119
	v_cmp_eq_u32_e32 vcc_lo, 0, v118
	s_or_b32 s0, vcc_lo, s0
	s_wait_loadcnt_dscnt 0x0
	v_pk_mul_f32 v[124:125], v[122:123], v[120:121] op_sel:[1,1] op_sel_hi:[0,1]
	s_delay_alu instid0(VALU_DEP_1) | instskip(SKIP_1) | instid1(VALU_DEP_2)
	v_pk_fma_f32 v[126:127], v[122:123], v[120:121], v[124:125] op_sel_hi:[1,0,1]
	v_pk_fma_f32 v[120:121], v[122:123], v[120:121], v[124:125] neg_lo:[0,0,1] neg_hi:[0,0,1]
	v_mov_b32_e32 v121, v127
	s_delay_alu instid0(VALU_DEP_1)
	v_pk_add_f32 v[116:117], v[116:117], v[120:121]
	s_and_not1_b32 exec_lo, exec_lo, s0
	s_cbranch_execnz .LBB55_62
; %bb.63:
	s_or_b32 exec_lo, exec_lo, s0
.LBB55_64:
	s_delay_alu instid0(SALU_CYCLE_1) | instskip(SKIP_4) | instid1(VALU_DEP_1)
	s_or_b32 exec_lo, exec_lo, s31
	v_mov_b32_e32 v118, 0
	ds_load_b64 v[118:119], v118 offset:392
	s_wait_dscnt 0x0
	v_pk_mul_f32 v[120:121], v[116:117], v[118:119] op_sel:[1,1] op_sel_hi:[0,1]
	v_pk_fma_f32 v[122:123], v[116:117], v[118:119], v[120:121] op_sel_hi:[1,0,1]
	v_pk_fma_f32 v[116:117], v[116:117], v[118:119], v[120:121] neg_lo:[0,0,1] neg_hi:[0,0,1]
	s_delay_alu instid0(VALU_DEP_2)
	v_mov_b32_e32 v117, v123
	scratch_store_b64 off, v[116:117], off offset:392
.LBB55_65:
	s_wait_xcnt 0x0
	s_or_b32 exec_lo, exec_lo, s30
	scratch_load_b64 v[116:117], off, off offset:384
	v_cmp_lt_u32_e64 s0, 48, v0
	s_wait_loadcnt 0x0
	ds_store_b64 v1, v[116:117]
	s_wait_storecnt_dscnt 0x0
	s_barrier_signal -1
	s_barrier_wait -1
	s_wait_xcnt 0x0
	s_and_saveexec_b32 s29, s0
	s_cbranch_execz .LBB55_75
; %bb.66:
	s_and_not1_b32 vcc_lo, exec_lo, s3
	s_cbranch_vccnz .LBB55_68
; %bb.67:
	scratch_load_b64 v[116:117], v45, off
	ds_load_b64 v[118:119], v1
	s_wait_loadcnt_dscnt 0x0
	v_pk_mul_f32 v[120:121], v[118:119], v[116:117] op_sel:[1,1] op_sel_hi:[0,1]
	s_delay_alu instid0(VALU_DEP_1) | instskip(SKIP_1) | instid1(VALU_DEP_2)
	v_pk_fma_f32 v[122:123], v[118:119], v[116:117], v[120:121] op_sel_hi:[1,0,1]
	v_pk_fma_f32 v[116:117], v[118:119], v[116:117], v[120:121] neg_lo:[0,0,1] neg_hi:[0,0,1]
	v_mov_b32_e32 v117, v123
	s_cbranch_execz .LBB55_69
	s_branch .LBB55_70
.LBB55_68:
                                        ; implicit-def: $vgpr116_vgpr117
.LBB55_69:
	ds_load_b64 v[116:117], v1
.LBB55_70:
	s_and_saveexec_b32 s30, s1
	s_cbranch_execz .LBB55_74
; %bb.71:
	v_subrev_nc_u32_e32 v118, 49, v0
	s_movk_i32 s1, 0x188
	s_movk_i32 s33, 0x348
	s_mov_b32 s31, 0
.LBB55_72:                              ; =>This Inner Loop Header: Depth=1
	scratch_load_b64 v[120:121], off, s1
	v_dual_mov_b32 v119, s33 :: v_dual_add_nc_u32 v118, -1, v118
	s_add_co_i32 s33, s33, 8
	s_wait_xcnt 0x0
	s_add_co_i32 s1, s1, 8
	ds_load_b64 v[122:123], v119
	v_cmp_eq_u32_e32 vcc_lo, 0, v118
	s_or_b32 s31, vcc_lo, s31
	s_wait_loadcnt_dscnt 0x0
	v_pk_mul_f32 v[124:125], v[122:123], v[120:121] op_sel:[1,1] op_sel_hi:[0,1]
	s_delay_alu instid0(VALU_DEP_1) | instskip(SKIP_1) | instid1(VALU_DEP_2)
	v_pk_fma_f32 v[126:127], v[122:123], v[120:121], v[124:125] op_sel_hi:[1,0,1]
	v_pk_fma_f32 v[120:121], v[122:123], v[120:121], v[124:125] neg_lo:[0,0,1] neg_hi:[0,0,1]
	v_mov_b32_e32 v121, v127
	s_delay_alu instid0(VALU_DEP_1)
	v_pk_add_f32 v[116:117], v[116:117], v[120:121]
	s_and_not1_b32 exec_lo, exec_lo, s31
	s_cbranch_execnz .LBB55_72
; %bb.73:
	s_or_b32 exec_lo, exec_lo, s31
.LBB55_74:
	s_delay_alu instid0(SALU_CYCLE_1) | instskip(SKIP_4) | instid1(VALU_DEP_1)
	s_or_b32 exec_lo, exec_lo, s30
	v_mov_b32_e32 v118, 0
	ds_load_b64 v[118:119], v118 offset:384
	s_wait_dscnt 0x0
	v_pk_mul_f32 v[120:121], v[116:117], v[118:119] op_sel:[1,1] op_sel_hi:[0,1]
	v_pk_fma_f32 v[122:123], v[116:117], v[118:119], v[120:121] op_sel_hi:[1,0,1]
	v_pk_fma_f32 v[116:117], v[116:117], v[118:119], v[120:121] neg_lo:[0,0,1] neg_hi:[0,0,1]
	s_delay_alu instid0(VALU_DEP_2)
	v_mov_b32_e32 v117, v123
	scratch_store_b64 off, v[116:117], off offset:384
.LBB55_75:
	s_wait_xcnt 0x0
	s_or_b32 exec_lo, exec_lo, s29
	scratch_load_b64 v[116:117], off, off offset:376
	v_cmp_lt_u32_e64 s1, 47, v0
	s_wait_loadcnt 0x0
	ds_store_b64 v1, v[116:117]
	s_wait_storecnt_dscnt 0x0
	s_barrier_signal -1
	s_barrier_wait -1
	s_wait_xcnt 0x0
	s_and_saveexec_b32 s29, s1
	s_cbranch_execz .LBB55_85
; %bb.76:
	s_and_not1_b32 vcc_lo, exec_lo, s3
	s_cbranch_vccnz .LBB55_78
; %bb.77:
	scratch_load_b64 v[116:117], v45, off
	ds_load_b64 v[118:119], v1
	s_wait_loadcnt_dscnt 0x0
	v_pk_mul_f32 v[120:121], v[118:119], v[116:117] op_sel:[1,1] op_sel_hi:[0,1]
	s_delay_alu instid0(VALU_DEP_1) | instskip(SKIP_1) | instid1(VALU_DEP_2)
	v_pk_fma_f32 v[122:123], v[118:119], v[116:117], v[120:121] op_sel_hi:[1,0,1]
	v_pk_fma_f32 v[116:117], v[118:119], v[116:117], v[120:121] neg_lo:[0,0,1] neg_hi:[0,0,1]
	v_mov_b32_e32 v117, v123
	s_cbranch_execz .LBB55_79
	s_branch .LBB55_80
.LBB55_78:
                                        ; implicit-def: $vgpr116_vgpr117
.LBB55_79:
	ds_load_b64 v[116:117], v1
.LBB55_80:
	s_and_saveexec_b32 s30, s0
	s_cbranch_execz .LBB55_84
; %bb.81:
	v_subrev_nc_u32_e32 v118, 48, v0
	s_movk_i32 s31, 0x340
	s_mov_b32 s0, 0
.LBB55_82:                              ; =>This Inner Loop Header: Depth=1
	scratch_load_b64 v[120:121], off, s28
	v_dual_mov_b32 v119, s31 :: v_dual_add_nc_u32 v118, -1, v118
	s_add_co_i32 s31, s31, 8
	s_wait_xcnt 0x0
	s_add_co_i32 s28, s28, 8
	ds_load_b64 v[122:123], v119
	v_cmp_eq_u32_e32 vcc_lo, 0, v118
	s_or_b32 s0, vcc_lo, s0
	s_wait_loadcnt_dscnt 0x0
	v_pk_mul_f32 v[124:125], v[122:123], v[120:121] op_sel:[1,1] op_sel_hi:[0,1]
	s_delay_alu instid0(VALU_DEP_1) | instskip(SKIP_1) | instid1(VALU_DEP_2)
	v_pk_fma_f32 v[126:127], v[122:123], v[120:121], v[124:125] op_sel_hi:[1,0,1]
	v_pk_fma_f32 v[120:121], v[122:123], v[120:121], v[124:125] neg_lo:[0,0,1] neg_hi:[0,0,1]
	v_mov_b32_e32 v121, v127
	s_delay_alu instid0(VALU_DEP_1)
	v_pk_add_f32 v[116:117], v[116:117], v[120:121]
	s_and_not1_b32 exec_lo, exec_lo, s0
	s_cbranch_execnz .LBB55_82
; %bb.83:
	s_or_b32 exec_lo, exec_lo, s0
.LBB55_84:
	s_delay_alu instid0(SALU_CYCLE_1) | instskip(SKIP_4) | instid1(VALU_DEP_1)
	s_or_b32 exec_lo, exec_lo, s30
	v_mov_b32_e32 v118, 0
	ds_load_b64 v[118:119], v118 offset:376
	s_wait_dscnt 0x0
	v_pk_mul_f32 v[120:121], v[116:117], v[118:119] op_sel:[1,1] op_sel_hi:[0,1]
	v_pk_fma_f32 v[122:123], v[116:117], v[118:119], v[120:121] op_sel_hi:[1,0,1]
	v_pk_fma_f32 v[116:117], v[116:117], v[118:119], v[120:121] neg_lo:[0,0,1] neg_hi:[0,0,1]
	s_delay_alu instid0(VALU_DEP_2)
	v_mov_b32_e32 v117, v123
	scratch_store_b64 off, v[116:117], off offset:376
.LBB55_85:
	s_wait_xcnt 0x0
	s_or_b32 exec_lo, exec_lo, s29
	scratch_load_b64 v[116:117], off, off offset:368
	v_cmp_lt_u32_e64 s0, 46, v0
	s_wait_loadcnt 0x0
	ds_store_b64 v1, v[116:117]
	s_wait_storecnt_dscnt 0x0
	s_barrier_signal -1
	s_barrier_wait -1
	s_wait_xcnt 0x0
	s_and_saveexec_b32 s28, s0
	s_cbranch_execz .LBB55_95
; %bb.86:
	s_and_not1_b32 vcc_lo, exec_lo, s3
	s_cbranch_vccnz .LBB55_88
; %bb.87:
	scratch_load_b64 v[116:117], v45, off
	ds_load_b64 v[118:119], v1
	s_wait_loadcnt_dscnt 0x0
	v_pk_mul_f32 v[120:121], v[118:119], v[116:117] op_sel:[1,1] op_sel_hi:[0,1]
	s_delay_alu instid0(VALU_DEP_1) | instskip(SKIP_1) | instid1(VALU_DEP_2)
	v_pk_fma_f32 v[122:123], v[118:119], v[116:117], v[120:121] op_sel_hi:[1,0,1]
	v_pk_fma_f32 v[116:117], v[118:119], v[116:117], v[120:121] neg_lo:[0,0,1] neg_hi:[0,0,1]
	v_mov_b32_e32 v117, v123
	s_cbranch_execz .LBB55_89
	s_branch .LBB55_90
.LBB55_88:
                                        ; implicit-def: $vgpr116_vgpr117
.LBB55_89:
	ds_load_b64 v[116:117], v1
.LBB55_90:
	s_and_saveexec_b32 s29, s1
	s_cbranch_execz .LBB55_94
; %bb.91:
	v_subrev_nc_u32_e32 v118, 47, v0
	s_movk_i32 s1, 0x178
	s_movk_i32 s31, 0x338
	s_mov_b32 s30, 0
.LBB55_92:                              ; =>This Inner Loop Header: Depth=1
	scratch_load_b64 v[120:121], off, s1
	v_dual_mov_b32 v119, s31 :: v_dual_add_nc_u32 v118, -1, v118
	s_add_co_i32 s31, s31, 8
	s_wait_xcnt 0x0
	s_add_co_i32 s1, s1, 8
	ds_load_b64 v[122:123], v119
	v_cmp_eq_u32_e32 vcc_lo, 0, v118
	s_or_b32 s30, vcc_lo, s30
	s_wait_loadcnt_dscnt 0x0
	v_pk_mul_f32 v[124:125], v[122:123], v[120:121] op_sel:[1,1] op_sel_hi:[0,1]
	s_delay_alu instid0(VALU_DEP_1) | instskip(SKIP_1) | instid1(VALU_DEP_2)
	v_pk_fma_f32 v[126:127], v[122:123], v[120:121], v[124:125] op_sel_hi:[1,0,1]
	v_pk_fma_f32 v[120:121], v[122:123], v[120:121], v[124:125] neg_lo:[0,0,1] neg_hi:[0,0,1]
	v_mov_b32_e32 v121, v127
	s_delay_alu instid0(VALU_DEP_1)
	v_pk_add_f32 v[116:117], v[116:117], v[120:121]
	s_and_not1_b32 exec_lo, exec_lo, s30
	s_cbranch_execnz .LBB55_92
; %bb.93:
	s_or_b32 exec_lo, exec_lo, s30
.LBB55_94:
	s_delay_alu instid0(SALU_CYCLE_1) | instskip(SKIP_4) | instid1(VALU_DEP_1)
	s_or_b32 exec_lo, exec_lo, s29
	v_mov_b32_e32 v118, 0
	ds_load_b64 v[118:119], v118 offset:368
	s_wait_dscnt 0x0
	v_pk_mul_f32 v[120:121], v[116:117], v[118:119] op_sel:[1,1] op_sel_hi:[0,1]
	v_pk_fma_f32 v[122:123], v[116:117], v[118:119], v[120:121] op_sel_hi:[1,0,1]
	v_pk_fma_f32 v[116:117], v[116:117], v[118:119], v[120:121] neg_lo:[0,0,1] neg_hi:[0,0,1]
	s_delay_alu instid0(VALU_DEP_2)
	v_mov_b32_e32 v117, v123
	scratch_store_b64 off, v[116:117], off offset:368
.LBB55_95:
	s_wait_xcnt 0x0
	s_or_b32 exec_lo, exec_lo, s28
	scratch_load_b64 v[116:117], off, off offset:360
	v_cmp_lt_u32_e64 s1, 45, v0
	s_wait_loadcnt 0x0
	ds_store_b64 v1, v[116:117]
	s_wait_storecnt_dscnt 0x0
	s_barrier_signal -1
	s_barrier_wait -1
	s_wait_xcnt 0x0
	s_and_saveexec_b32 s28, s1
	s_cbranch_execz .LBB55_105
; %bb.96:
	s_and_not1_b32 vcc_lo, exec_lo, s3
	s_cbranch_vccnz .LBB55_98
; %bb.97:
	scratch_load_b64 v[116:117], v45, off
	ds_load_b64 v[118:119], v1
	s_wait_loadcnt_dscnt 0x0
	v_pk_mul_f32 v[120:121], v[118:119], v[116:117] op_sel:[1,1] op_sel_hi:[0,1]
	s_delay_alu instid0(VALU_DEP_1) | instskip(SKIP_1) | instid1(VALU_DEP_2)
	v_pk_fma_f32 v[122:123], v[118:119], v[116:117], v[120:121] op_sel_hi:[1,0,1]
	v_pk_fma_f32 v[116:117], v[118:119], v[116:117], v[120:121] neg_lo:[0,0,1] neg_hi:[0,0,1]
	v_mov_b32_e32 v117, v123
	s_cbranch_execz .LBB55_99
	s_branch .LBB55_100
.LBB55_98:
                                        ; implicit-def: $vgpr116_vgpr117
.LBB55_99:
	ds_load_b64 v[116:117], v1
.LBB55_100:
	s_and_saveexec_b32 s29, s0
	s_cbranch_execz .LBB55_104
; %bb.101:
	v_subrev_nc_u32_e32 v118, 46, v0
	s_movk_i32 s30, 0x330
	s_mov_b32 s0, 0
.LBB55_102:                             ; =>This Inner Loop Header: Depth=1
	scratch_load_b64 v[120:121], off, s27
	v_dual_mov_b32 v119, s30 :: v_dual_add_nc_u32 v118, -1, v118
	s_add_co_i32 s30, s30, 8
	s_wait_xcnt 0x0
	s_add_co_i32 s27, s27, 8
	ds_load_b64 v[122:123], v119
	v_cmp_eq_u32_e32 vcc_lo, 0, v118
	s_or_b32 s0, vcc_lo, s0
	s_wait_loadcnt_dscnt 0x0
	v_pk_mul_f32 v[124:125], v[122:123], v[120:121] op_sel:[1,1] op_sel_hi:[0,1]
	s_delay_alu instid0(VALU_DEP_1) | instskip(SKIP_1) | instid1(VALU_DEP_2)
	v_pk_fma_f32 v[126:127], v[122:123], v[120:121], v[124:125] op_sel_hi:[1,0,1]
	v_pk_fma_f32 v[120:121], v[122:123], v[120:121], v[124:125] neg_lo:[0,0,1] neg_hi:[0,0,1]
	v_mov_b32_e32 v121, v127
	s_delay_alu instid0(VALU_DEP_1)
	v_pk_add_f32 v[116:117], v[116:117], v[120:121]
	s_and_not1_b32 exec_lo, exec_lo, s0
	s_cbranch_execnz .LBB55_102
; %bb.103:
	s_or_b32 exec_lo, exec_lo, s0
.LBB55_104:
	s_delay_alu instid0(SALU_CYCLE_1) | instskip(SKIP_4) | instid1(VALU_DEP_1)
	s_or_b32 exec_lo, exec_lo, s29
	v_mov_b32_e32 v118, 0
	ds_load_b64 v[118:119], v118 offset:360
	s_wait_dscnt 0x0
	v_pk_mul_f32 v[120:121], v[116:117], v[118:119] op_sel:[1,1] op_sel_hi:[0,1]
	v_pk_fma_f32 v[122:123], v[116:117], v[118:119], v[120:121] op_sel_hi:[1,0,1]
	v_pk_fma_f32 v[116:117], v[116:117], v[118:119], v[120:121] neg_lo:[0,0,1] neg_hi:[0,0,1]
	s_delay_alu instid0(VALU_DEP_2)
	v_mov_b32_e32 v117, v123
	scratch_store_b64 off, v[116:117], off offset:360
.LBB55_105:
	s_wait_xcnt 0x0
	s_or_b32 exec_lo, exec_lo, s28
	scratch_load_b64 v[116:117], off, off offset:352
	v_cmp_lt_u32_e64 s0, 44, v0
	s_wait_loadcnt 0x0
	ds_store_b64 v1, v[116:117]
	s_wait_storecnt_dscnt 0x0
	s_barrier_signal -1
	s_barrier_wait -1
	s_wait_xcnt 0x0
	s_and_saveexec_b32 s27, s0
	s_cbranch_execz .LBB55_115
; %bb.106:
	s_and_not1_b32 vcc_lo, exec_lo, s3
	s_cbranch_vccnz .LBB55_108
; %bb.107:
	scratch_load_b64 v[116:117], v45, off
	ds_load_b64 v[118:119], v1
	s_wait_loadcnt_dscnt 0x0
	v_pk_mul_f32 v[120:121], v[118:119], v[116:117] op_sel:[1,1] op_sel_hi:[0,1]
	s_delay_alu instid0(VALU_DEP_1) | instskip(SKIP_1) | instid1(VALU_DEP_2)
	v_pk_fma_f32 v[122:123], v[118:119], v[116:117], v[120:121] op_sel_hi:[1,0,1]
	v_pk_fma_f32 v[116:117], v[118:119], v[116:117], v[120:121] neg_lo:[0,0,1] neg_hi:[0,0,1]
	v_mov_b32_e32 v117, v123
	s_cbranch_execz .LBB55_109
	s_branch .LBB55_110
.LBB55_108:
                                        ; implicit-def: $vgpr116_vgpr117
.LBB55_109:
	ds_load_b64 v[116:117], v1
.LBB55_110:
	s_and_saveexec_b32 s28, s1
	s_cbranch_execz .LBB55_114
; %bb.111:
	v_subrev_nc_u32_e32 v118, 45, v0
	s_movk_i32 s1, 0x168
	s_movk_i32 s30, 0x328
	s_mov_b32 s29, 0
.LBB55_112:                             ; =>This Inner Loop Header: Depth=1
	scratch_load_b64 v[120:121], off, s1
	v_dual_mov_b32 v119, s30 :: v_dual_add_nc_u32 v118, -1, v118
	s_add_co_i32 s30, s30, 8
	s_wait_xcnt 0x0
	s_add_co_i32 s1, s1, 8
	ds_load_b64 v[122:123], v119
	v_cmp_eq_u32_e32 vcc_lo, 0, v118
	s_or_b32 s29, vcc_lo, s29
	s_wait_loadcnt_dscnt 0x0
	v_pk_mul_f32 v[124:125], v[122:123], v[120:121] op_sel:[1,1] op_sel_hi:[0,1]
	s_delay_alu instid0(VALU_DEP_1) | instskip(SKIP_1) | instid1(VALU_DEP_2)
	v_pk_fma_f32 v[126:127], v[122:123], v[120:121], v[124:125] op_sel_hi:[1,0,1]
	v_pk_fma_f32 v[120:121], v[122:123], v[120:121], v[124:125] neg_lo:[0,0,1] neg_hi:[0,0,1]
	v_mov_b32_e32 v121, v127
	s_delay_alu instid0(VALU_DEP_1)
	v_pk_add_f32 v[116:117], v[116:117], v[120:121]
	s_and_not1_b32 exec_lo, exec_lo, s29
	s_cbranch_execnz .LBB55_112
; %bb.113:
	s_or_b32 exec_lo, exec_lo, s29
.LBB55_114:
	s_delay_alu instid0(SALU_CYCLE_1) | instskip(SKIP_4) | instid1(VALU_DEP_1)
	s_or_b32 exec_lo, exec_lo, s28
	v_mov_b32_e32 v118, 0
	ds_load_b64 v[118:119], v118 offset:352
	s_wait_dscnt 0x0
	v_pk_mul_f32 v[120:121], v[116:117], v[118:119] op_sel:[1,1] op_sel_hi:[0,1]
	v_pk_fma_f32 v[122:123], v[116:117], v[118:119], v[120:121] op_sel_hi:[1,0,1]
	v_pk_fma_f32 v[116:117], v[116:117], v[118:119], v[120:121] neg_lo:[0,0,1] neg_hi:[0,0,1]
	s_delay_alu instid0(VALU_DEP_2)
	v_mov_b32_e32 v117, v123
	scratch_store_b64 off, v[116:117], off offset:352
.LBB55_115:
	s_wait_xcnt 0x0
	s_or_b32 exec_lo, exec_lo, s27
	scratch_load_b64 v[116:117], off, off offset:344
	v_cmp_lt_u32_e64 s1, 43, v0
	s_wait_loadcnt 0x0
	ds_store_b64 v1, v[116:117]
	s_wait_storecnt_dscnt 0x0
	s_barrier_signal -1
	s_barrier_wait -1
	s_wait_xcnt 0x0
	s_and_saveexec_b32 s27, s1
	s_cbranch_execz .LBB55_125
; %bb.116:
	s_and_not1_b32 vcc_lo, exec_lo, s3
	s_cbranch_vccnz .LBB55_118
; %bb.117:
	scratch_load_b64 v[116:117], v45, off
	ds_load_b64 v[118:119], v1
	s_wait_loadcnt_dscnt 0x0
	v_pk_mul_f32 v[120:121], v[118:119], v[116:117] op_sel:[1,1] op_sel_hi:[0,1]
	s_delay_alu instid0(VALU_DEP_1) | instskip(SKIP_1) | instid1(VALU_DEP_2)
	v_pk_fma_f32 v[122:123], v[118:119], v[116:117], v[120:121] op_sel_hi:[1,0,1]
	v_pk_fma_f32 v[116:117], v[118:119], v[116:117], v[120:121] neg_lo:[0,0,1] neg_hi:[0,0,1]
	v_mov_b32_e32 v117, v123
	s_cbranch_execz .LBB55_119
	s_branch .LBB55_120
.LBB55_118:
                                        ; implicit-def: $vgpr116_vgpr117
.LBB55_119:
	ds_load_b64 v[116:117], v1
.LBB55_120:
	s_and_saveexec_b32 s28, s0
	s_cbranch_execz .LBB55_124
; %bb.121:
	v_subrev_nc_u32_e32 v118, 44, v0
	s_movk_i32 s29, 0x320
	s_mov_b32 s0, 0
.LBB55_122:                             ; =>This Inner Loop Header: Depth=1
	scratch_load_b64 v[120:121], off, s26
	v_dual_mov_b32 v119, s29 :: v_dual_add_nc_u32 v118, -1, v118
	s_add_co_i32 s29, s29, 8
	s_wait_xcnt 0x0
	s_add_co_i32 s26, s26, 8
	ds_load_b64 v[122:123], v119
	v_cmp_eq_u32_e32 vcc_lo, 0, v118
	s_or_b32 s0, vcc_lo, s0
	s_wait_loadcnt_dscnt 0x0
	v_pk_mul_f32 v[124:125], v[122:123], v[120:121] op_sel:[1,1] op_sel_hi:[0,1]
	s_delay_alu instid0(VALU_DEP_1) | instskip(SKIP_1) | instid1(VALU_DEP_2)
	v_pk_fma_f32 v[126:127], v[122:123], v[120:121], v[124:125] op_sel_hi:[1,0,1]
	v_pk_fma_f32 v[120:121], v[122:123], v[120:121], v[124:125] neg_lo:[0,0,1] neg_hi:[0,0,1]
	v_mov_b32_e32 v121, v127
	s_delay_alu instid0(VALU_DEP_1)
	v_pk_add_f32 v[116:117], v[116:117], v[120:121]
	s_and_not1_b32 exec_lo, exec_lo, s0
	s_cbranch_execnz .LBB55_122
; %bb.123:
	s_or_b32 exec_lo, exec_lo, s0
.LBB55_124:
	s_delay_alu instid0(SALU_CYCLE_1) | instskip(SKIP_4) | instid1(VALU_DEP_1)
	s_or_b32 exec_lo, exec_lo, s28
	v_mov_b32_e32 v118, 0
	ds_load_b64 v[118:119], v118 offset:344
	s_wait_dscnt 0x0
	v_pk_mul_f32 v[120:121], v[116:117], v[118:119] op_sel:[1,1] op_sel_hi:[0,1]
	v_pk_fma_f32 v[122:123], v[116:117], v[118:119], v[120:121] op_sel_hi:[1,0,1]
	v_pk_fma_f32 v[116:117], v[116:117], v[118:119], v[120:121] neg_lo:[0,0,1] neg_hi:[0,0,1]
	s_delay_alu instid0(VALU_DEP_2)
	v_mov_b32_e32 v117, v123
	scratch_store_b64 off, v[116:117], off offset:344
.LBB55_125:
	s_wait_xcnt 0x0
	s_or_b32 exec_lo, exec_lo, s27
	scratch_load_b64 v[116:117], off, off offset:336
	v_cmp_lt_u32_e64 s0, 42, v0
	s_wait_loadcnt 0x0
	ds_store_b64 v1, v[116:117]
	s_wait_storecnt_dscnt 0x0
	s_barrier_signal -1
	s_barrier_wait -1
	s_wait_xcnt 0x0
	s_and_saveexec_b32 s26, s0
	s_cbranch_execz .LBB55_135
; %bb.126:
	s_and_not1_b32 vcc_lo, exec_lo, s3
	s_cbranch_vccnz .LBB55_128
; %bb.127:
	scratch_load_b64 v[116:117], v45, off
	ds_load_b64 v[118:119], v1
	s_wait_loadcnt_dscnt 0x0
	v_pk_mul_f32 v[120:121], v[118:119], v[116:117] op_sel:[1,1] op_sel_hi:[0,1]
	s_delay_alu instid0(VALU_DEP_1) | instskip(SKIP_1) | instid1(VALU_DEP_2)
	v_pk_fma_f32 v[122:123], v[118:119], v[116:117], v[120:121] op_sel_hi:[1,0,1]
	v_pk_fma_f32 v[116:117], v[118:119], v[116:117], v[120:121] neg_lo:[0,0,1] neg_hi:[0,0,1]
	v_mov_b32_e32 v117, v123
	s_cbranch_execz .LBB55_129
	s_branch .LBB55_130
.LBB55_128:
                                        ; implicit-def: $vgpr116_vgpr117
.LBB55_129:
	ds_load_b64 v[116:117], v1
.LBB55_130:
	s_and_saveexec_b32 s27, s1
	s_cbranch_execz .LBB55_134
; %bb.131:
	v_subrev_nc_u32_e32 v118, 43, v0
	s_movk_i32 s1, 0x158
	s_movk_i32 s29, 0x318
	s_mov_b32 s28, 0
.LBB55_132:                             ; =>This Inner Loop Header: Depth=1
	scratch_load_b64 v[120:121], off, s1
	v_dual_mov_b32 v119, s29 :: v_dual_add_nc_u32 v118, -1, v118
	s_add_co_i32 s29, s29, 8
	s_wait_xcnt 0x0
	s_add_co_i32 s1, s1, 8
	ds_load_b64 v[122:123], v119
	v_cmp_eq_u32_e32 vcc_lo, 0, v118
	s_or_b32 s28, vcc_lo, s28
	s_wait_loadcnt_dscnt 0x0
	v_pk_mul_f32 v[124:125], v[122:123], v[120:121] op_sel:[1,1] op_sel_hi:[0,1]
	s_delay_alu instid0(VALU_DEP_1) | instskip(SKIP_1) | instid1(VALU_DEP_2)
	v_pk_fma_f32 v[126:127], v[122:123], v[120:121], v[124:125] op_sel_hi:[1,0,1]
	v_pk_fma_f32 v[120:121], v[122:123], v[120:121], v[124:125] neg_lo:[0,0,1] neg_hi:[0,0,1]
	v_mov_b32_e32 v121, v127
	s_delay_alu instid0(VALU_DEP_1)
	v_pk_add_f32 v[116:117], v[116:117], v[120:121]
	s_and_not1_b32 exec_lo, exec_lo, s28
	s_cbranch_execnz .LBB55_132
; %bb.133:
	s_or_b32 exec_lo, exec_lo, s28
.LBB55_134:
	s_delay_alu instid0(SALU_CYCLE_1) | instskip(SKIP_4) | instid1(VALU_DEP_1)
	s_or_b32 exec_lo, exec_lo, s27
	v_mov_b32_e32 v118, 0
	ds_load_b64 v[118:119], v118 offset:336
	s_wait_dscnt 0x0
	v_pk_mul_f32 v[120:121], v[116:117], v[118:119] op_sel:[1,1] op_sel_hi:[0,1]
	v_pk_fma_f32 v[122:123], v[116:117], v[118:119], v[120:121] op_sel_hi:[1,0,1]
	v_pk_fma_f32 v[116:117], v[116:117], v[118:119], v[120:121] neg_lo:[0,0,1] neg_hi:[0,0,1]
	s_delay_alu instid0(VALU_DEP_2)
	v_mov_b32_e32 v117, v123
	scratch_store_b64 off, v[116:117], off offset:336
.LBB55_135:
	s_wait_xcnt 0x0
	s_or_b32 exec_lo, exec_lo, s26
	scratch_load_b64 v[116:117], off, off offset:328
	v_cmp_lt_u32_e64 s1, 41, v0
	s_wait_loadcnt 0x0
	ds_store_b64 v1, v[116:117]
	s_wait_storecnt_dscnt 0x0
	s_barrier_signal -1
	s_barrier_wait -1
	s_wait_xcnt 0x0
	s_and_saveexec_b32 s26, s1
	s_cbranch_execz .LBB55_145
; %bb.136:
	s_and_not1_b32 vcc_lo, exec_lo, s3
	s_cbranch_vccnz .LBB55_138
; %bb.137:
	scratch_load_b64 v[116:117], v45, off
	ds_load_b64 v[118:119], v1
	s_wait_loadcnt_dscnt 0x0
	v_pk_mul_f32 v[120:121], v[118:119], v[116:117] op_sel:[1,1] op_sel_hi:[0,1]
	s_delay_alu instid0(VALU_DEP_1) | instskip(SKIP_1) | instid1(VALU_DEP_2)
	v_pk_fma_f32 v[122:123], v[118:119], v[116:117], v[120:121] op_sel_hi:[1,0,1]
	v_pk_fma_f32 v[116:117], v[118:119], v[116:117], v[120:121] neg_lo:[0,0,1] neg_hi:[0,0,1]
	v_mov_b32_e32 v117, v123
	s_cbranch_execz .LBB55_139
	s_branch .LBB55_140
.LBB55_138:
                                        ; implicit-def: $vgpr116_vgpr117
.LBB55_139:
	ds_load_b64 v[116:117], v1
.LBB55_140:
	s_and_saveexec_b32 s27, s0
	s_cbranch_execz .LBB55_144
; %bb.141:
	v_subrev_nc_u32_e32 v118, 42, v0
	s_movk_i32 s28, 0x310
	s_mov_b32 s0, 0
.LBB55_142:                             ; =>This Inner Loop Header: Depth=1
	scratch_load_b64 v[120:121], off, s25
	v_dual_mov_b32 v119, s28 :: v_dual_add_nc_u32 v118, -1, v118
	s_add_co_i32 s28, s28, 8
	s_wait_xcnt 0x0
	s_add_co_i32 s25, s25, 8
	ds_load_b64 v[122:123], v119
	v_cmp_eq_u32_e32 vcc_lo, 0, v118
	s_or_b32 s0, vcc_lo, s0
	s_wait_loadcnt_dscnt 0x0
	v_pk_mul_f32 v[124:125], v[122:123], v[120:121] op_sel:[1,1] op_sel_hi:[0,1]
	s_delay_alu instid0(VALU_DEP_1) | instskip(SKIP_1) | instid1(VALU_DEP_2)
	v_pk_fma_f32 v[126:127], v[122:123], v[120:121], v[124:125] op_sel_hi:[1,0,1]
	v_pk_fma_f32 v[120:121], v[122:123], v[120:121], v[124:125] neg_lo:[0,0,1] neg_hi:[0,0,1]
	v_mov_b32_e32 v121, v127
	s_delay_alu instid0(VALU_DEP_1)
	v_pk_add_f32 v[116:117], v[116:117], v[120:121]
	s_and_not1_b32 exec_lo, exec_lo, s0
	s_cbranch_execnz .LBB55_142
; %bb.143:
	s_or_b32 exec_lo, exec_lo, s0
.LBB55_144:
	s_delay_alu instid0(SALU_CYCLE_1) | instskip(SKIP_4) | instid1(VALU_DEP_1)
	s_or_b32 exec_lo, exec_lo, s27
	v_mov_b32_e32 v118, 0
	ds_load_b64 v[118:119], v118 offset:328
	s_wait_dscnt 0x0
	v_pk_mul_f32 v[120:121], v[116:117], v[118:119] op_sel:[1,1] op_sel_hi:[0,1]
	v_pk_fma_f32 v[122:123], v[116:117], v[118:119], v[120:121] op_sel_hi:[1,0,1]
	v_pk_fma_f32 v[116:117], v[116:117], v[118:119], v[120:121] neg_lo:[0,0,1] neg_hi:[0,0,1]
	s_delay_alu instid0(VALU_DEP_2)
	v_mov_b32_e32 v117, v123
	scratch_store_b64 off, v[116:117], off offset:328
.LBB55_145:
	s_wait_xcnt 0x0
	s_or_b32 exec_lo, exec_lo, s26
	scratch_load_b64 v[116:117], off, off offset:320
	v_cmp_lt_u32_e64 s0, 40, v0
	s_wait_loadcnt 0x0
	ds_store_b64 v1, v[116:117]
	s_wait_storecnt_dscnt 0x0
	s_barrier_signal -1
	s_barrier_wait -1
	s_wait_xcnt 0x0
	s_and_saveexec_b32 s25, s0
	s_cbranch_execz .LBB55_155
; %bb.146:
	s_and_not1_b32 vcc_lo, exec_lo, s3
	s_cbranch_vccnz .LBB55_148
; %bb.147:
	scratch_load_b64 v[116:117], v45, off
	ds_load_b64 v[118:119], v1
	s_wait_loadcnt_dscnt 0x0
	v_pk_mul_f32 v[120:121], v[118:119], v[116:117] op_sel:[1,1] op_sel_hi:[0,1]
	s_delay_alu instid0(VALU_DEP_1) | instskip(SKIP_1) | instid1(VALU_DEP_2)
	v_pk_fma_f32 v[122:123], v[118:119], v[116:117], v[120:121] op_sel_hi:[1,0,1]
	v_pk_fma_f32 v[116:117], v[118:119], v[116:117], v[120:121] neg_lo:[0,0,1] neg_hi:[0,0,1]
	v_mov_b32_e32 v117, v123
	s_cbranch_execz .LBB55_149
	s_branch .LBB55_150
.LBB55_148:
                                        ; implicit-def: $vgpr116_vgpr117
.LBB55_149:
	ds_load_b64 v[116:117], v1
.LBB55_150:
	s_and_saveexec_b32 s26, s1
	s_cbranch_execz .LBB55_154
; %bb.151:
	v_subrev_nc_u32_e32 v118, 41, v0
	s_movk_i32 s1, 0x148
	s_movk_i32 s28, 0x308
	s_mov_b32 s27, 0
.LBB55_152:                             ; =>This Inner Loop Header: Depth=1
	scratch_load_b64 v[120:121], off, s1
	v_dual_mov_b32 v119, s28 :: v_dual_add_nc_u32 v118, -1, v118
	s_add_co_i32 s28, s28, 8
	s_wait_xcnt 0x0
	s_add_co_i32 s1, s1, 8
	ds_load_b64 v[122:123], v119
	v_cmp_eq_u32_e32 vcc_lo, 0, v118
	s_or_b32 s27, vcc_lo, s27
	s_wait_loadcnt_dscnt 0x0
	v_pk_mul_f32 v[124:125], v[122:123], v[120:121] op_sel:[1,1] op_sel_hi:[0,1]
	s_delay_alu instid0(VALU_DEP_1) | instskip(SKIP_1) | instid1(VALU_DEP_2)
	v_pk_fma_f32 v[126:127], v[122:123], v[120:121], v[124:125] op_sel_hi:[1,0,1]
	v_pk_fma_f32 v[120:121], v[122:123], v[120:121], v[124:125] neg_lo:[0,0,1] neg_hi:[0,0,1]
	v_mov_b32_e32 v121, v127
	s_delay_alu instid0(VALU_DEP_1)
	v_pk_add_f32 v[116:117], v[116:117], v[120:121]
	s_and_not1_b32 exec_lo, exec_lo, s27
	s_cbranch_execnz .LBB55_152
; %bb.153:
	s_or_b32 exec_lo, exec_lo, s27
.LBB55_154:
	s_delay_alu instid0(SALU_CYCLE_1) | instskip(SKIP_4) | instid1(VALU_DEP_1)
	s_or_b32 exec_lo, exec_lo, s26
	v_mov_b32_e32 v118, 0
	ds_load_b64 v[118:119], v118 offset:320
	s_wait_dscnt 0x0
	v_pk_mul_f32 v[120:121], v[116:117], v[118:119] op_sel:[1,1] op_sel_hi:[0,1]
	v_pk_fma_f32 v[122:123], v[116:117], v[118:119], v[120:121] op_sel_hi:[1,0,1]
	v_pk_fma_f32 v[116:117], v[116:117], v[118:119], v[120:121] neg_lo:[0,0,1] neg_hi:[0,0,1]
	s_delay_alu instid0(VALU_DEP_2)
	v_mov_b32_e32 v117, v123
	scratch_store_b64 off, v[116:117], off offset:320
.LBB55_155:
	s_wait_xcnt 0x0
	s_or_b32 exec_lo, exec_lo, s25
	scratch_load_b64 v[116:117], off, off offset:312
	v_cmp_lt_u32_e64 s1, 39, v0
	s_wait_loadcnt 0x0
	ds_store_b64 v1, v[116:117]
	s_wait_storecnt_dscnt 0x0
	s_barrier_signal -1
	s_barrier_wait -1
	s_wait_xcnt 0x0
	s_and_saveexec_b32 s25, s1
	s_cbranch_execz .LBB55_165
; %bb.156:
	s_and_not1_b32 vcc_lo, exec_lo, s3
	s_cbranch_vccnz .LBB55_158
; %bb.157:
	scratch_load_b64 v[116:117], v45, off
	ds_load_b64 v[118:119], v1
	s_wait_loadcnt_dscnt 0x0
	v_pk_mul_f32 v[120:121], v[118:119], v[116:117] op_sel:[1,1] op_sel_hi:[0,1]
	s_delay_alu instid0(VALU_DEP_1) | instskip(SKIP_1) | instid1(VALU_DEP_2)
	v_pk_fma_f32 v[122:123], v[118:119], v[116:117], v[120:121] op_sel_hi:[1,0,1]
	v_pk_fma_f32 v[116:117], v[118:119], v[116:117], v[120:121] neg_lo:[0,0,1] neg_hi:[0,0,1]
	v_mov_b32_e32 v117, v123
	s_cbranch_execz .LBB55_159
	s_branch .LBB55_160
.LBB55_158:
                                        ; implicit-def: $vgpr116_vgpr117
.LBB55_159:
	ds_load_b64 v[116:117], v1
.LBB55_160:
	s_and_saveexec_b32 s26, s0
	s_cbranch_execz .LBB55_164
; %bb.161:
	v_subrev_nc_u32_e32 v118, 40, v0
	s_movk_i32 s27, 0x300
	s_mov_b32 s0, 0
.LBB55_162:                             ; =>This Inner Loop Header: Depth=1
	scratch_load_b64 v[120:121], off, s24
	v_dual_mov_b32 v119, s27 :: v_dual_add_nc_u32 v118, -1, v118
	s_add_co_i32 s27, s27, 8
	s_wait_xcnt 0x0
	s_add_co_i32 s24, s24, 8
	ds_load_b64 v[122:123], v119
	v_cmp_eq_u32_e32 vcc_lo, 0, v118
	s_or_b32 s0, vcc_lo, s0
	s_wait_loadcnt_dscnt 0x0
	v_pk_mul_f32 v[124:125], v[122:123], v[120:121] op_sel:[1,1] op_sel_hi:[0,1]
	s_delay_alu instid0(VALU_DEP_1) | instskip(SKIP_1) | instid1(VALU_DEP_2)
	v_pk_fma_f32 v[126:127], v[122:123], v[120:121], v[124:125] op_sel_hi:[1,0,1]
	v_pk_fma_f32 v[120:121], v[122:123], v[120:121], v[124:125] neg_lo:[0,0,1] neg_hi:[0,0,1]
	v_mov_b32_e32 v121, v127
	s_delay_alu instid0(VALU_DEP_1)
	v_pk_add_f32 v[116:117], v[116:117], v[120:121]
	s_and_not1_b32 exec_lo, exec_lo, s0
	s_cbranch_execnz .LBB55_162
; %bb.163:
	s_or_b32 exec_lo, exec_lo, s0
.LBB55_164:
	s_delay_alu instid0(SALU_CYCLE_1) | instskip(SKIP_4) | instid1(VALU_DEP_1)
	s_or_b32 exec_lo, exec_lo, s26
	v_mov_b32_e32 v118, 0
	ds_load_b64 v[118:119], v118 offset:312
	s_wait_dscnt 0x0
	v_pk_mul_f32 v[120:121], v[116:117], v[118:119] op_sel:[1,1] op_sel_hi:[0,1]
	v_pk_fma_f32 v[122:123], v[116:117], v[118:119], v[120:121] op_sel_hi:[1,0,1]
	v_pk_fma_f32 v[116:117], v[116:117], v[118:119], v[120:121] neg_lo:[0,0,1] neg_hi:[0,0,1]
	s_delay_alu instid0(VALU_DEP_2)
	v_mov_b32_e32 v117, v123
	scratch_store_b64 off, v[116:117], off offset:312
.LBB55_165:
	s_wait_xcnt 0x0
	s_or_b32 exec_lo, exec_lo, s25
	scratch_load_b64 v[116:117], off, off offset:304
	v_cmp_lt_u32_e64 s0, 38, v0
	s_wait_loadcnt 0x0
	ds_store_b64 v1, v[116:117]
	s_wait_storecnt_dscnt 0x0
	s_barrier_signal -1
	s_barrier_wait -1
	s_wait_xcnt 0x0
	s_and_saveexec_b32 s24, s0
	s_cbranch_execz .LBB55_175
; %bb.166:
	s_and_not1_b32 vcc_lo, exec_lo, s3
	s_cbranch_vccnz .LBB55_168
; %bb.167:
	scratch_load_b64 v[116:117], v45, off
	ds_load_b64 v[118:119], v1
	s_wait_loadcnt_dscnt 0x0
	v_pk_mul_f32 v[120:121], v[118:119], v[116:117] op_sel:[1,1] op_sel_hi:[0,1]
	s_delay_alu instid0(VALU_DEP_1) | instskip(SKIP_1) | instid1(VALU_DEP_2)
	v_pk_fma_f32 v[122:123], v[118:119], v[116:117], v[120:121] op_sel_hi:[1,0,1]
	v_pk_fma_f32 v[116:117], v[118:119], v[116:117], v[120:121] neg_lo:[0,0,1] neg_hi:[0,0,1]
	v_mov_b32_e32 v117, v123
	s_cbranch_execz .LBB55_169
	s_branch .LBB55_170
.LBB55_168:
                                        ; implicit-def: $vgpr116_vgpr117
.LBB55_169:
	ds_load_b64 v[116:117], v1
.LBB55_170:
	s_and_saveexec_b32 s25, s1
	s_cbranch_execz .LBB55_174
; %bb.171:
	v_subrev_nc_u32_e32 v118, 39, v0
	s_movk_i32 s1, 0x138
	s_movk_i32 s27, 0x2f8
	s_mov_b32 s26, 0
.LBB55_172:                             ; =>This Inner Loop Header: Depth=1
	scratch_load_b64 v[120:121], off, s1
	v_dual_mov_b32 v119, s27 :: v_dual_add_nc_u32 v118, -1, v118
	s_add_co_i32 s27, s27, 8
	s_wait_xcnt 0x0
	s_add_co_i32 s1, s1, 8
	ds_load_b64 v[122:123], v119
	v_cmp_eq_u32_e32 vcc_lo, 0, v118
	s_or_b32 s26, vcc_lo, s26
	s_wait_loadcnt_dscnt 0x0
	v_pk_mul_f32 v[124:125], v[122:123], v[120:121] op_sel:[1,1] op_sel_hi:[0,1]
	s_delay_alu instid0(VALU_DEP_1) | instskip(SKIP_1) | instid1(VALU_DEP_2)
	v_pk_fma_f32 v[126:127], v[122:123], v[120:121], v[124:125] op_sel_hi:[1,0,1]
	v_pk_fma_f32 v[120:121], v[122:123], v[120:121], v[124:125] neg_lo:[0,0,1] neg_hi:[0,0,1]
	v_mov_b32_e32 v121, v127
	s_delay_alu instid0(VALU_DEP_1)
	v_pk_add_f32 v[116:117], v[116:117], v[120:121]
	s_and_not1_b32 exec_lo, exec_lo, s26
	s_cbranch_execnz .LBB55_172
; %bb.173:
	s_or_b32 exec_lo, exec_lo, s26
.LBB55_174:
	s_delay_alu instid0(SALU_CYCLE_1) | instskip(SKIP_4) | instid1(VALU_DEP_1)
	s_or_b32 exec_lo, exec_lo, s25
	v_mov_b32_e32 v118, 0
	ds_load_b64 v[118:119], v118 offset:304
	s_wait_dscnt 0x0
	v_pk_mul_f32 v[120:121], v[116:117], v[118:119] op_sel:[1,1] op_sel_hi:[0,1]
	v_pk_fma_f32 v[122:123], v[116:117], v[118:119], v[120:121] op_sel_hi:[1,0,1]
	v_pk_fma_f32 v[116:117], v[116:117], v[118:119], v[120:121] neg_lo:[0,0,1] neg_hi:[0,0,1]
	s_delay_alu instid0(VALU_DEP_2)
	v_mov_b32_e32 v117, v123
	scratch_store_b64 off, v[116:117], off offset:304
.LBB55_175:
	s_wait_xcnt 0x0
	s_or_b32 exec_lo, exec_lo, s24
	scratch_load_b64 v[116:117], off, off offset:296
	v_cmp_lt_u32_e64 s1, 37, v0
	s_wait_loadcnt 0x0
	ds_store_b64 v1, v[116:117]
	s_wait_storecnt_dscnt 0x0
	s_barrier_signal -1
	s_barrier_wait -1
	s_wait_xcnt 0x0
	s_and_saveexec_b32 s24, s1
	s_cbranch_execz .LBB55_185
; %bb.176:
	s_and_not1_b32 vcc_lo, exec_lo, s3
	s_cbranch_vccnz .LBB55_178
; %bb.177:
	scratch_load_b64 v[116:117], v45, off
	ds_load_b64 v[118:119], v1
	s_wait_loadcnt_dscnt 0x0
	v_pk_mul_f32 v[120:121], v[118:119], v[116:117] op_sel:[1,1] op_sel_hi:[0,1]
	s_delay_alu instid0(VALU_DEP_1) | instskip(SKIP_1) | instid1(VALU_DEP_2)
	v_pk_fma_f32 v[122:123], v[118:119], v[116:117], v[120:121] op_sel_hi:[1,0,1]
	v_pk_fma_f32 v[116:117], v[118:119], v[116:117], v[120:121] neg_lo:[0,0,1] neg_hi:[0,0,1]
	v_mov_b32_e32 v117, v123
	s_cbranch_execz .LBB55_179
	s_branch .LBB55_180
.LBB55_178:
                                        ; implicit-def: $vgpr116_vgpr117
.LBB55_179:
	ds_load_b64 v[116:117], v1
.LBB55_180:
	s_and_saveexec_b32 s25, s0
	s_cbranch_execz .LBB55_184
; %bb.181:
	v_subrev_nc_u32_e32 v118, 38, v0
	s_movk_i32 s26, 0x2f0
	s_mov_b32 s0, 0
.LBB55_182:                             ; =>This Inner Loop Header: Depth=1
	scratch_load_b64 v[120:121], off, s23
	v_dual_mov_b32 v119, s26 :: v_dual_add_nc_u32 v118, -1, v118
	s_add_co_i32 s26, s26, 8
	s_wait_xcnt 0x0
	s_add_co_i32 s23, s23, 8
	ds_load_b64 v[122:123], v119
	v_cmp_eq_u32_e32 vcc_lo, 0, v118
	s_or_b32 s0, vcc_lo, s0
	s_wait_loadcnt_dscnt 0x0
	v_pk_mul_f32 v[124:125], v[122:123], v[120:121] op_sel:[1,1] op_sel_hi:[0,1]
	s_delay_alu instid0(VALU_DEP_1) | instskip(SKIP_1) | instid1(VALU_DEP_2)
	v_pk_fma_f32 v[126:127], v[122:123], v[120:121], v[124:125] op_sel_hi:[1,0,1]
	v_pk_fma_f32 v[120:121], v[122:123], v[120:121], v[124:125] neg_lo:[0,0,1] neg_hi:[0,0,1]
	v_mov_b32_e32 v121, v127
	s_delay_alu instid0(VALU_DEP_1)
	v_pk_add_f32 v[116:117], v[116:117], v[120:121]
	s_and_not1_b32 exec_lo, exec_lo, s0
	s_cbranch_execnz .LBB55_182
; %bb.183:
	s_or_b32 exec_lo, exec_lo, s0
.LBB55_184:
	s_delay_alu instid0(SALU_CYCLE_1) | instskip(SKIP_4) | instid1(VALU_DEP_1)
	s_or_b32 exec_lo, exec_lo, s25
	v_mov_b32_e32 v118, 0
	ds_load_b64 v[118:119], v118 offset:296
	s_wait_dscnt 0x0
	v_pk_mul_f32 v[120:121], v[116:117], v[118:119] op_sel:[1,1] op_sel_hi:[0,1]
	v_pk_fma_f32 v[122:123], v[116:117], v[118:119], v[120:121] op_sel_hi:[1,0,1]
	v_pk_fma_f32 v[116:117], v[116:117], v[118:119], v[120:121] neg_lo:[0,0,1] neg_hi:[0,0,1]
	s_delay_alu instid0(VALU_DEP_2)
	v_mov_b32_e32 v117, v123
	scratch_store_b64 off, v[116:117], off offset:296
.LBB55_185:
	s_wait_xcnt 0x0
	s_or_b32 exec_lo, exec_lo, s24
	scratch_load_b64 v[116:117], off, off offset:288
	v_cmp_lt_u32_e64 s0, 36, v0
	s_wait_loadcnt 0x0
	ds_store_b64 v1, v[116:117]
	s_wait_storecnt_dscnt 0x0
	s_barrier_signal -1
	s_barrier_wait -1
	s_wait_xcnt 0x0
	s_and_saveexec_b32 s23, s0
	s_cbranch_execz .LBB55_195
; %bb.186:
	s_and_not1_b32 vcc_lo, exec_lo, s3
	s_cbranch_vccnz .LBB55_188
; %bb.187:
	scratch_load_b64 v[116:117], v45, off
	ds_load_b64 v[118:119], v1
	s_wait_loadcnt_dscnt 0x0
	v_pk_mul_f32 v[120:121], v[118:119], v[116:117] op_sel:[1,1] op_sel_hi:[0,1]
	s_delay_alu instid0(VALU_DEP_1) | instskip(SKIP_1) | instid1(VALU_DEP_2)
	v_pk_fma_f32 v[122:123], v[118:119], v[116:117], v[120:121] op_sel_hi:[1,0,1]
	v_pk_fma_f32 v[116:117], v[118:119], v[116:117], v[120:121] neg_lo:[0,0,1] neg_hi:[0,0,1]
	v_mov_b32_e32 v117, v123
	s_cbranch_execz .LBB55_189
	s_branch .LBB55_190
.LBB55_188:
                                        ; implicit-def: $vgpr116_vgpr117
.LBB55_189:
	ds_load_b64 v[116:117], v1
.LBB55_190:
	s_and_saveexec_b32 s24, s1
	s_cbranch_execz .LBB55_194
; %bb.191:
	v_subrev_nc_u32_e32 v118, 37, v0
	s_movk_i32 s1, 0x128
	s_movk_i32 s26, 0x2e8
	s_mov_b32 s25, 0
.LBB55_192:                             ; =>This Inner Loop Header: Depth=1
	scratch_load_b64 v[120:121], off, s1
	v_dual_mov_b32 v119, s26 :: v_dual_add_nc_u32 v118, -1, v118
	s_add_co_i32 s26, s26, 8
	s_wait_xcnt 0x0
	s_add_co_i32 s1, s1, 8
	ds_load_b64 v[122:123], v119
	v_cmp_eq_u32_e32 vcc_lo, 0, v118
	s_or_b32 s25, vcc_lo, s25
	s_wait_loadcnt_dscnt 0x0
	v_pk_mul_f32 v[124:125], v[122:123], v[120:121] op_sel:[1,1] op_sel_hi:[0,1]
	s_delay_alu instid0(VALU_DEP_1) | instskip(SKIP_1) | instid1(VALU_DEP_2)
	v_pk_fma_f32 v[126:127], v[122:123], v[120:121], v[124:125] op_sel_hi:[1,0,1]
	v_pk_fma_f32 v[120:121], v[122:123], v[120:121], v[124:125] neg_lo:[0,0,1] neg_hi:[0,0,1]
	v_mov_b32_e32 v121, v127
	s_delay_alu instid0(VALU_DEP_1)
	v_pk_add_f32 v[116:117], v[116:117], v[120:121]
	s_and_not1_b32 exec_lo, exec_lo, s25
	s_cbranch_execnz .LBB55_192
; %bb.193:
	s_or_b32 exec_lo, exec_lo, s25
.LBB55_194:
	s_delay_alu instid0(SALU_CYCLE_1) | instskip(SKIP_4) | instid1(VALU_DEP_1)
	s_or_b32 exec_lo, exec_lo, s24
	v_mov_b32_e32 v118, 0
	ds_load_b64 v[118:119], v118 offset:288
	s_wait_dscnt 0x0
	v_pk_mul_f32 v[120:121], v[116:117], v[118:119] op_sel:[1,1] op_sel_hi:[0,1]
	v_pk_fma_f32 v[122:123], v[116:117], v[118:119], v[120:121] op_sel_hi:[1,0,1]
	v_pk_fma_f32 v[116:117], v[116:117], v[118:119], v[120:121] neg_lo:[0,0,1] neg_hi:[0,0,1]
	s_delay_alu instid0(VALU_DEP_2)
	v_mov_b32_e32 v117, v123
	scratch_store_b64 off, v[116:117], off offset:288
.LBB55_195:
	s_wait_xcnt 0x0
	s_or_b32 exec_lo, exec_lo, s23
	scratch_load_b64 v[116:117], off, off offset:280
	v_cmp_lt_u32_e64 s1, 35, v0
	s_wait_loadcnt 0x0
	ds_store_b64 v1, v[116:117]
	s_wait_storecnt_dscnt 0x0
	s_barrier_signal -1
	s_barrier_wait -1
	s_wait_xcnt 0x0
	s_and_saveexec_b32 s23, s1
	s_cbranch_execz .LBB55_205
; %bb.196:
	s_and_not1_b32 vcc_lo, exec_lo, s3
	s_cbranch_vccnz .LBB55_198
; %bb.197:
	scratch_load_b64 v[116:117], v45, off
	ds_load_b64 v[118:119], v1
	s_wait_loadcnt_dscnt 0x0
	v_pk_mul_f32 v[120:121], v[118:119], v[116:117] op_sel:[1,1] op_sel_hi:[0,1]
	s_delay_alu instid0(VALU_DEP_1) | instskip(SKIP_1) | instid1(VALU_DEP_2)
	v_pk_fma_f32 v[122:123], v[118:119], v[116:117], v[120:121] op_sel_hi:[1,0,1]
	v_pk_fma_f32 v[116:117], v[118:119], v[116:117], v[120:121] neg_lo:[0,0,1] neg_hi:[0,0,1]
	v_mov_b32_e32 v117, v123
	s_cbranch_execz .LBB55_199
	s_branch .LBB55_200
.LBB55_198:
                                        ; implicit-def: $vgpr116_vgpr117
.LBB55_199:
	ds_load_b64 v[116:117], v1
.LBB55_200:
	s_and_saveexec_b32 s24, s0
	s_cbranch_execz .LBB55_204
; %bb.201:
	v_subrev_nc_u32_e32 v118, 36, v0
	s_movk_i32 s25, 0x2e0
	s_mov_b32 s0, 0
.LBB55_202:                             ; =>This Inner Loop Header: Depth=1
	scratch_load_b64 v[120:121], off, s22
	v_dual_mov_b32 v119, s25 :: v_dual_add_nc_u32 v118, -1, v118
	s_add_co_i32 s25, s25, 8
	s_wait_xcnt 0x0
	s_add_co_i32 s22, s22, 8
	ds_load_b64 v[122:123], v119
	v_cmp_eq_u32_e32 vcc_lo, 0, v118
	s_or_b32 s0, vcc_lo, s0
	s_wait_loadcnt_dscnt 0x0
	v_pk_mul_f32 v[124:125], v[122:123], v[120:121] op_sel:[1,1] op_sel_hi:[0,1]
	s_delay_alu instid0(VALU_DEP_1) | instskip(SKIP_1) | instid1(VALU_DEP_2)
	v_pk_fma_f32 v[126:127], v[122:123], v[120:121], v[124:125] op_sel_hi:[1,0,1]
	v_pk_fma_f32 v[120:121], v[122:123], v[120:121], v[124:125] neg_lo:[0,0,1] neg_hi:[0,0,1]
	v_mov_b32_e32 v121, v127
	s_delay_alu instid0(VALU_DEP_1)
	v_pk_add_f32 v[116:117], v[116:117], v[120:121]
	s_and_not1_b32 exec_lo, exec_lo, s0
	s_cbranch_execnz .LBB55_202
; %bb.203:
	s_or_b32 exec_lo, exec_lo, s0
.LBB55_204:
	s_delay_alu instid0(SALU_CYCLE_1) | instskip(SKIP_4) | instid1(VALU_DEP_1)
	s_or_b32 exec_lo, exec_lo, s24
	v_mov_b32_e32 v118, 0
	ds_load_b64 v[118:119], v118 offset:280
	s_wait_dscnt 0x0
	v_pk_mul_f32 v[120:121], v[116:117], v[118:119] op_sel:[1,1] op_sel_hi:[0,1]
	v_pk_fma_f32 v[122:123], v[116:117], v[118:119], v[120:121] op_sel_hi:[1,0,1]
	v_pk_fma_f32 v[116:117], v[116:117], v[118:119], v[120:121] neg_lo:[0,0,1] neg_hi:[0,0,1]
	s_delay_alu instid0(VALU_DEP_2)
	v_mov_b32_e32 v117, v123
	scratch_store_b64 off, v[116:117], off offset:280
.LBB55_205:
	s_wait_xcnt 0x0
	s_or_b32 exec_lo, exec_lo, s23
	scratch_load_b64 v[116:117], off, off offset:272
	v_cmp_lt_u32_e64 s0, 34, v0
	s_wait_loadcnt 0x0
	ds_store_b64 v1, v[116:117]
	s_wait_storecnt_dscnt 0x0
	s_barrier_signal -1
	s_barrier_wait -1
	s_wait_xcnt 0x0
	s_and_saveexec_b32 s22, s0
	s_cbranch_execz .LBB55_215
; %bb.206:
	s_and_not1_b32 vcc_lo, exec_lo, s3
	s_cbranch_vccnz .LBB55_208
; %bb.207:
	scratch_load_b64 v[116:117], v45, off
	ds_load_b64 v[118:119], v1
	s_wait_loadcnt_dscnt 0x0
	v_pk_mul_f32 v[120:121], v[118:119], v[116:117] op_sel:[1,1] op_sel_hi:[0,1]
	s_delay_alu instid0(VALU_DEP_1) | instskip(SKIP_1) | instid1(VALU_DEP_2)
	v_pk_fma_f32 v[122:123], v[118:119], v[116:117], v[120:121] op_sel_hi:[1,0,1]
	v_pk_fma_f32 v[116:117], v[118:119], v[116:117], v[120:121] neg_lo:[0,0,1] neg_hi:[0,0,1]
	v_mov_b32_e32 v117, v123
	s_cbranch_execz .LBB55_209
	s_branch .LBB55_210
.LBB55_208:
                                        ; implicit-def: $vgpr116_vgpr117
.LBB55_209:
	ds_load_b64 v[116:117], v1
.LBB55_210:
	s_and_saveexec_b32 s23, s1
	s_cbranch_execz .LBB55_214
; %bb.211:
	v_subrev_nc_u32_e32 v118, 35, v0
	s_movk_i32 s1, 0x118
	s_movk_i32 s25, 0x2d8
	s_mov_b32 s24, 0
.LBB55_212:                             ; =>This Inner Loop Header: Depth=1
	scratch_load_b64 v[120:121], off, s1
	v_dual_mov_b32 v119, s25 :: v_dual_add_nc_u32 v118, -1, v118
	s_add_co_i32 s25, s25, 8
	s_wait_xcnt 0x0
	s_add_co_i32 s1, s1, 8
	ds_load_b64 v[122:123], v119
	v_cmp_eq_u32_e32 vcc_lo, 0, v118
	s_or_b32 s24, vcc_lo, s24
	s_wait_loadcnt_dscnt 0x0
	v_pk_mul_f32 v[124:125], v[122:123], v[120:121] op_sel:[1,1] op_sel_hi:[0,1]
	s_delay_alu instid0(VALU_DEP_1) | instskip(SKIP_1) | instid1(VALU_DEP_2)
	v_pk_fma_f32 v[126:127], v[122:123], v[120:121], v[124:125] op_sel_hi:[1,0,1]
	v_pk_fma_f32 v[120:121], v[122:123], v[120:121], v[124:125] neg_lo:[0,0,1] neg_hi:[0,0,1]
	v_mov_b32_e32 v121, v127
	s_delay_alu instid0(VALU_DEP_1)
	v_pk_add_f32 v[116:117], v[116:117], v[120:121]
	s_and_not1_b32 exec_lo, exec_lo, s24
	s_cbranch_execnz .LBB55_212
; %bb.213:
	s_or_b32 exec_lo, exec_lo, s24
.LBB55_214:
	s_delay_alu instid0(SALU_CYCLE_1) | instskip(SKIP_4) | instid1(VALU_DEP_1)
	s_or_b32 exec_lo, exec_lo, s23
	v_mov_b32_e32 v118, 0
	ds_load_b64 v[118:119], v118 offset:272
	s_wait_dscnt 0x0
	v_pk_mul_f32 v[120:121], v[116:117], v[118:119] op_sel:[1,1] op_sel_hi:[0,1]
	v_pk_fma_f32 v[122:123], v[116:117], v[118:119], v[120:121] op_sel_hi:[1,0,1]
	v_pk_fma_f32 v[116:117], v[116:117], v[118:119], v[120:121] neg_lo:[0,0,1] neg_hi:[0,0,1]
	s_delay_alu instid0(VALU_DEP_2)
	v_mov_b32_e32 v117, v123
	scratch_store_b64 off, v[116:117], off offset:272
.LBB55_215:
	s_wait_xcnt 0x0
	s_or_b32 exec_lo, exec_lo, s22
	scratch_load_b64 v[116:117], off, off offset:264
	v_cmp_lt_u32_e64 s1, 33, v0
	s_wait_loadcnt 0x0
	ds_store_b64 v1, v[116:117]
	s_wait_storecnt_dscnt 0x0
	s_barrier_signal -1
	s_barrier_wait -1
	s_wait_xcnt 0x0
	s_and_saveexec_b32 s22, s1
	s_cbranch_execz .LBB55_225
; %bb.216:
	s_and_not1_b32 vcc_lo, exec_lo, s3
	s_cbranch_vccnz .LBB55_218
; %bb.217:
	scratch_load_b64 v[116:117], v45, off
	ds_load_b64 v[118:119], v1
	s_wait_loadcnt_dscnt 0x0
	v_pk_mul_f32 v[120:121], v[118:119], v[116:117] op_sel:[1,1] op_sel_hi:[0,1]
	s_delay_alu instid0(VALU_DEP_1) | instskip(SKIP_1) | instid1(VALU_DEP_2)
	v_pk_fma_f32 v[122:123], v[118:119], v[116:117], v[120:121] op_sel_hi:[1,0,1]
	v_pk_fma_f32 v[116:117], v[118:119], v[116:117], v[120:121] neg_lo:[0,0,1] neg_hi:[0,0,1]
	v_mov_b32_e32 v117, v123
	s_cbranch_execz .LBB55_219
	s_branch .LBB55_220
.LBB55_218:
                                        ; implicit-def: $vgpr116_vgpr117
.LBB55_219:
	ds_load_b64 v[116:117], v1
.LBB55_220:
	s_and_saveexec_b32 s23, s0
	s_cbranch_execz .LBB55_224
; %bb.221:
	v_subrev_nc_u32_e32 v118, 34, v0
	s_movk_i32 s24, 0x2d0
	s_mov_b32 s0, 0
.LBB55_222:                             ; =>This Inner Loop Header: Depth=1
	scratch_load_b64 v[120:121], off, s21
	v_dual_mov_b32 v119, s24 :: v_dual_add_nc_u32 v118, -1, v118
	s_add_co_i32 s24, s24, 8
	s_wait_xcnt 0x0
	s_add_co_i32 s21, s21, 8
	ds_load_b64 v[122:123], v119
	v_cmp_eq_u32_e32 vcc_lo, 0, v118
	s_or_b32 s0, vcc_lo, s0
	s_wait_loadcnt_dscnt 0x0
	v_pk_mul_f32 v[124:125], v[122:123], v[120:121] op_sel:[1,1] op_sel_hi:[0,1]
	s_delay_alu instid0(VALU_DEP_1) | instskip(SKIP_1) | instid1(VALU_DEP_2)
	v_pk_fma_f32 v[126:127], v[122:123], v[120:121], v[124:125] op_sel_hi:[1,0,1]
	v_pk_fma_f32 v[120:121], v[122:123], v[120:121], v[124:125] neg_lo:[0,0,1] neg_hi:[0,0,1]
	v_mov_b32_e32 v121, v127
	s_delay_alu instid0(VALU_DEP_1)
	v_pk_add_f32 v[116:117], v[116:117], v[120:121]
	s_and_not1_b32 exec_lo, exec_lo, s0
	s_cbranch_execnz .LBB55_222
; %bb.223:
	s_or_b32 exec_lo, exec_lo, s0
.LBB55_224:
	s_delay_alu instid0(SALU_CYCLE_1) | instskip(SKIP_4) | instid1(VALU_DEP_1)
	s_or_b32 exec_lo, exec_lo, s23
	v_mov_b32_e32 v118, 0
	ds_load_b64 v[118:119], v118 offset:264
	s_wait_dscnt 0x0
	v_pk_mul_f32 v[120:121], v[116:117], v[118:119] op_sel:[1,1] op_sel_hi:[0,1]
	v_pk_fma_f32 v[122:123], v[116:117], v[118:119], v[120:121] op_sel_hi:[1,0,1]
	v_pk_fma_f32 v[116:117], v[116:117], v[118:119], v[120:121] neg_lo:[0,0,1] neg_hi:[0,0,1]
	s_delay_alu instid0(VALU_DEP_2)
	v_mov_b32_e32 v117, v123
	scratch_store_b64 off, v[116:117], off offset:264
.LBB55_225:
	s_wait_xcnt 0x0
	s_or_b32 exec_lo, exec_lo, s22
	scratch_load_b64 v[116:117], off, off offset:256
	v_cmp_lt_u32_e64 s0, 32, v0
	s_wait_loadcnt 0x0
	ds_store_b64 v1, v[116:117]
	s_wait_storecnt_dscnt 0x0
	s_barrier_signal -1
	s_barrier_wait -1
	s_wait_xcnt 0x0
	s_and_saveexec_b32 s21, s0
	s_cbranch_execz .LBB55_235
; %bb.226:
	s_and_not1_b32 vcc_lo, exec_lo, s3
	s_cbranch_vccnz .LBB55_228
; %bb.227:
	scratch_load_b64 v[116:117], v45, off
	ds_load_b64 v[118:119], v1
	s_wait_loadcnt_dscnt 0x0
	v_pk_mul_f32 v[120:121], v[118:119], v[116:117] op_sel:[1,1] op_sel_hi:[0,1]
	s_delay_alu instid0(VALU_DEP_1) | instskip(SKIP_1) | instid1(VALU_DEP_2)
	v_pk_fma_f32 v[122:123], v[118:119], v[116:117], v[120:121] op_sel_hi:[1,0,1]
	v_pk_fma_f32 v[116:117], v[118:119], v[116:117], v[120:121] neg_lo:[0,0,1] neg_hi:[0,0,1]
	v_mov_b32_e32 v117, v123
	s_cbranch_execz .LBB55_229
	s_branch .LBB55_230
.LBB55_228:
                                        ; implicit-def: $vgpr116_vgpr117
.LBB55_229:
	ds_load_b64 v[116:117], v1
.LBB55_230:
	s_and_saveexec_b32 s22, s1
	s_cbranch_execz .LBB55_234
; %bb.231:
	v_subrev_nc_u32_e32 v118, 33, v0
	s_movk_i32 s1, 0x108
	s_movk_i32 s24, 0x2c8
	s_mov_b32 s23, 0
.LBB55_232:                             ; =>This Inner Loop Header: Depth=1
	scratch_load_b64 v[120:121], off, s1
	v_dual_mov_b32 v119, s24 :: v_dual_add_nc_u32 v118, -1, v118
	s_add_co_i32 s24, s24, 8
	s_wait_xcnt 0x0
	s_add_co_i32 s1, s1, 8
	ds_load_b64 v[122:123], v119
	v_cmp_eq_u32_e32 vcc_lo, 0, v118
	s_or_b32 s23, vcc_lo, s23
	s_wait_loadcnt_dscnt 0x0
	v_pk_mul_f32 v[124:125], v[122:123], v[120:121] op_sel:[1,1] op_sel_hi:[0,1]
	s_delay_alu instid0(VALU_DEP_1) | instskip(SKIP_1) | instid1(VALU_DEP_2)
	v_pk_fma_f32 v[126:127], v[122:123], v[120:121], v[124:125] op_sel_hi:[1,0,1]
	v_pk_fma_f32 v[120:121], v[122:123], v[120:121], v[124:125] neg_lo:[0,0,1] neg_hi:[0,0,1]
	v_mov_b32_e32 v121, v127
	s_delay_alu instid0(VALU_DEP_1)
	v_pk_add_f32 v[116:117], v[116:117], v[120:121]
	s_and_not1_b32 exec_lo, exec_lo, s23
	s_cbranch_execnz .LBB55_232
; %bb.233:
	s_or_b32 exec_lo, exec_lo, s23
.LBB55_234:
	s_delay_alu instid0(SALU_CYCLE_1) | instskip(SKIP_4) | instid1(VALU_DEP_1)
	s_or_b32 exec_lo, exec_lo, s22
	v_mov_b32_e32 v118, 0
	ds_load_b64 v[118:119], v118 offset:256
	s_wait_dscnt 0x0
	v_pk_mul_f32 v[120:121], v[116:117], v[118:119] op_sel:[1,1] op_sel_hi:[0,1]
	v_pk_fma_f32 v[122:123], v[116:117], v[118:119], v[120:121] op_sel_hi:[1,0,1]
	v_pk_fma_f32 v[116:117], v[116:117], v[118:119], v[120:121] neg_lo:[0,0,1] neg_hi:[0,0,1]
	s_delay_alu instid0(VALU_DEP_2)
	v_mov_b32_e32 v117, v123
	scratch_store_b64 off, v[116:117], off offset:256
.LBB55_235:
	s_wait_xcnt 0x0
	s_or_b32 exec_lo, exec_lo, s21
	scratch_load_b64 v[116:117], off, off offset:248
	v_cmp_lt_u32_e64 s1, 31, v0
	s_wait_loadcnt 0x0
	ds_store_b64 v1, v[116:117]
	s_wait_storecnt_dscnt 0x0
	s_barrier_signal -1
	s_barrier_wait -1
	s_wait_xcnt 0x0
	s_and_saveexec_b32 s21, s1
	s_cbranch_execz .LBB55_245
; %bb.236:
	s_and_not1_b32 vcc_lo, exec_lo, s3
	s_cbranch_vccnz .LBB55_238
; %bb.237:
	scratch_load_b64 v[116:117], v45, off
	ds_load_b64 v[118:119], v1
	s_wait_loadcnt_dscnt 0x0
	v_pk_mul_f32 v[120:121], v[118:119], v[116:117] op_sel:[1,1] op_sel_hi:[0,1]
	s_delay_alu instid0(VALU_DEP_1) | instskip(SKIP_1) | instid1(VALU_DEP_2)
	v_pk_fma_f32 v[122:123], v[118:119], v[116:117], v[120:121] op_sel_hi:[1,0,1]
	v_pk_fma_f32 v[116:117], v[118:119], v[116:117], v[120:121] neg_lo:[0,0,1] neg_hi:[0,0,1]
	v_mov_b32_e32 v117, v123
	s_cbranch_execz .LBB55_239
	s_branch .LBB55_240
.LBB55_238:
                                        ; implicit-def: $vgpr116_vgpr117
.LBB55_239:
	ds_load_b64 v[116:117], v1
.LBB55_240:
	s_and_saveexec_b32 s22, s0
	s_cbranch_execz .LBB55_244
; %bb.241:
	v_subrev_nc_u32_e32 v118, 32, v0
	s_movk_i32 s23, 0x2c0
	s_mov_b32 s0, 0
.LBB55_242:                             ; =>This Inner Loop Header: Depth=1
	scratch_load_b64 v[120:121], off, s20
	v_dual_mov_b32 v119, s23 :: v_dual_add_nc_u32 v118, -1, v118
	s_add_co_i32 s23, s23, 8
	s_wait_xcnt 0x0
	s_add_co_i32 s20, s20, 8
	ds_load_b64 v[122:123], v119
	v_cmp_eq_u32_e32 vcc_lo, 0, v118
	s_or_b32 s0, vcc_lo, s0
	s_wait_loadcnt_dscnt 0x0
	v_pk_mul_f32 v[124:125], v[122:123], v[120:121] op_sel:[1,1] op_sel_hi:[0,1]
	s_delay_alu instid0(VALU_DEP_1) | instskip(SKIP_1) | instid1(VALU_DEP_2)
	v_pk_fma_f32 v[126:127], v[122:123], v[120:121], v[124:125] op_sel_hi:[1,0,1]
	v_pk_fma_f32 v[120:121], v[122:123], v[120:121], v[124:125] neg_lo:[0,0,1] neg_hi:[0,0,1]
	v_mov_b32_e32 v121, v127
	s_delay_alu instid0(VALU_DEP_1)
	v_pk_add_f32 v[116:117], v[116:117], v[120:121]
	s_and_not1_b32 exec_lo, exec_lo, s0
	s_cbranch_execnz .LBB55_242
; %bb.243:
	s_or_b32 exec_lo, exec_lo, s0
.LBB55_244:
	s_delay_alu instid0(SALU_CYCLE_1) | instskip(SKIP_4) | instid1(VALU_DEP_1)
	s_or_b32 exec_lo, exec_lo, s22
	v_mov_b32_e32 v118, 0
	ds_load_b64 v[118:119], v118 offset:248
	s_wait_dscnt 0x0
	v_pk_mul_f32 v[120:121], v[116:117], v[118:119] op_sel:[1,1] op_sel_hi:[0,1]
	v_pk_fma_f32 v[122:123], v[116:117], v[118:119], v[120:121] op_sel_hi:[1,0,1]
	v_pk_fma_f32 v[116:117], v[116:117], v[118:119], v[120:121] neg_lo:[0,0,1] neg_hi:[0,0,1]
	s_delay_alu instid0(VALU_DEP_2)
	v_mov_b32_e32 v117, v123
	scratch_store_b64 off, v[116:117], off offset:248
.LBB55_245:
	s_wait_xcnt 0x0
	s_or_b32 exec_lo, exec_lo, s21
	scratch_load_b64 v[116:117], off, off offset:240
	v_cmp_lt_u32_e64 s0, 30, v0
	s_wait_loadcnt 0x0
	ds_store_b64 v1, v[116:117]
	s_wait_storecnt_dscnt 0x0
	s_barrier_signal -1
	s_barrier_wait -1
	s_wait_xcnt 0x0
	s_and_saveexec_b32 s20, s0
	s_cbranch_execz .LBB55_255
; %bb.246:
	s_and_not1_b32 vcc_lo, exec_lo, s3
	s_cbranch_vccnz .LBB55_248
; %bb.247:
	scratch_load_b64 v[116:117], v45, off
	ds_load_b64 v[118:119], v1
	s_wait_loadcnt_dscnt 0x0
	v_pk_mul_f32 v[120:121], v[118:119], v[116:117] op_sel:[1,1] op_sel_hi:[0,1]
	s_delay_alu instid0(VALU_DEP_1) | instskip(SKIP_1) | instid1(VALU_DEP_2)
	v_pk_fma_f32 v[122:123], v[118:119], v[116:117], v[120:121] op_sel_hi:[1,0,1]
	v_pk_fma_f32 v[116:117], v[118:119], v[116:117], v[120:121] neg_lo:[0,0,1] neg_hi:[0,0,1]
	v_mov_b32_e32 v117, v123
	s_cbranch_execz .LBB55_249
	s_branch .LBB55_250
.LBB55_248:
                                        ; implicit-def: $vgpr116_vgpr117
.LBB55_249:
	ds_load_b64 v[116:117], v1
.LBB55_250:
	s_and_saveexec_b32 s21, s1
	s_cbranch_execz .LBB55_254
; %bb.251:
	v_subrev_nc_u32_e32 v118, 31, v0
	s_movk_i32 s1, 0xf8
	s_movk_i32 s23, 0x2b8
	s_mov_b32 s22, 0
.LBB55_252:                             ; =>This Inner Loop Header: Depth=1
	scratch_load_b64 v[120:121], off, s1
	v_dual_mov_b32 v119, s23 :: v_dual_add_nc_u32 v118, -1, v118
	s_add_co_i32 s23, s23, 8
	s_wait_xcnt 0x0
	s_add_co_i32 s1, s1, 8
	ds_load_b64 v[122:123], v119
	v_cmp_eq_u32_e32 vcc_lo, 0, v118
	s_or_b32 s22, vcc_lo, s22
	s_wait_loadcnt_dscnt 0x0
	v_pk_mul_f32 v[124:125], v[122:123], v[120:121] op_sel:[1,1] op_sel_hi:[0,1]
	s_delay_alu instid0(VALU_DEP_1) | instskip(SKIP_1) | instid1(VALU_DEP_2)
	v_pk_fma_f32 v[126:127], v[122:123], v[120:121], v[124:125] op_sel_hi:[1,0,1]
	v_pk_fma_f32 v[120:121], v[122:123], v[120:121], v[124:125] neg_lo:[0,0,1] neg_hi:[0,0,1]
	v_mov_b32_e32 v121, v127
	s_delay_alu instid0(VALU_DEP_1)
	v_pk_add_f32 v[116:117], v[116:117], v[120:121]
	s_and_not1_b32 exec_lo, exec_lo, s22
	s_cbranch_execnz .LBB55_252
; %bb.253:
	s_or_b32 exec_lo, exec_lo, s22
.LBB55_254:
	s_delay_alu instid0(SALU_CYCLE_1) | instskip(SKIP_4) | instid1(VALU_DEP_1)
	s_or_b32 exec_lo, exec_lo, s21
	v_mov_b32_e32 v118, 0
	ds_load_b64 v[118:119], v118 offset:240
	s_wait_dscnt 0x0
	v_pk_mul_f32 v[120:121], v[116:117], v[118:119] op_sel:[1,1] op_sel_hi:[0,1]
	v_pk_fma_f32 v[122:123], v[116:117], v[118:119], v[120:121] op_sel_hi:[1,0,1]
	v_pk_fma_f32 v[116:117], v[116:117], v[118:119], v[120:121] neg_lo:[0,0,1] neg_hi:[0,0,1]
	s_delay_alu instid0(VALU_DEP_2)
	v_mov_b32_e32 v117, v123
	scratch_store_b64 off, v[116:117], off offset:240
.LBB55_255:
	s_wait_xcnt 0x0
	s_or_b32 exec_lo, exec_lo, s20
	scratch_load_b64 v[116:117], off, off offset:232
	v_cmp_lt_u32_e64 s1, 29, v0
	s_wait_loadcnt 0x0
	ds_store_b64 v1, v[116:117]
	s_wait_storecnt_dscnt 0x0
	s_barrier_signal -1
	s_barrier_wait -1
	s_wait_xcnt 0x0
	s_and_saveexec_b32 s20, s1
	s_cbranch_execz .LBB55_265
; %bb.256:
	s_and_not1_b32 vcc_lo, exec_lo, s3
	s_cbranch_vccnz .LBB55_258
; %bb.257:
	scratch_load_b64 v[116:117], v45, off
	ds_load_b64 v[118:119], v1
	s_wait_loadcnt_dscnt 0x0
	v_pk_mul_f32 v[120:121], v[118:119], v[116:117] op_sel:[1,1] op_sel_hi:[0,1]
	s_delay_alu instid0(VALU_DEP_1) | instskip(SKIP_1) | instid1(VALU_DEP_2)
	v_pk_fma_f32 v[122:123], v[118:119], v[116:117], v[120:121] op_sel_hi:[1,0,1]
	v_pk_fma_f32 v[116:117], v[118:119], v[116:117], v[120:121] neg_lo:[0,0,1] neg_hi:[0,0,1]
	v_mov_b32_e32 v117, v123
	s_cbranch_execz .LBB55_259
	s_branch .LBB55_260
.LBB55_258:
                                        ; implicit-def: $vgpr116_vgpr117
.LBB55_259:
	ds_load_b64 v[116:117], v1
.LBB55_260:
	s_and_saveexec_b32 s21, s0
	s_cbranch_execz .LBB55_264
; %bb.261:
	v_subrev_nc_u32_e32 v118, 30, v0
	s_movk_i32 s22, 0x2b0
	s_mov_b32 s0, 0
.LBB55_262:                             ; =>This Inner Loop Header: Depth=1
	scratch_load_b64 v[120:121], off, s19
	v_dual_mov_b32 v119, s22 :: v_dual_add_nc_u32 v118, -1, v118
	s_add_co_i32 s22, s22, 8
	s_wait_xcnt 0x0
	s_add_co_i32 s19, s19, 8
	ds_load_b64 v[122:123], v119
	v_cmp_eq_u32_e32 vcc_lo, 0, v118
	s_or_b32 s0, vcc_lo, s0
	s_wait_loadcnt_dscnt 0x0
	v_pk_mul_f32 v[124:125], v[122:123], v[120:121] op_sel:[1,1] op_sel_hi:[0,1]
	s_delay_alu instid0(VALU_DEP_1) | instskip(SKIP_1) | instid1(VALU_DEP_2)
	v_pk_fma_f32 v[126:127], v[122:123], v[120:121], v[124:125] op_sel_hi:[1,0,1]
	v_pk_fma_f32 v[120:121], v[122:123], v[120:121], v[124:125] neg_lo:[0,0,1] neg_hi:[0,0,1]
	v_mov_b32_e32 v121, v127
	s_delay_alu instid0(VALU_DEP_1)
	v_pk_add_f32 v[116:117], v[116:117], v[120:121]
	s_and_not1_b32 exec_lo, exec_lo, s0
	s_cbranch_execnz .LBB55_262
; %bb.263:
	s_or_b32 exec_lo, exec_lo, s0
.LBB55_264:
	s_delay_alu instid0(SALU_CYCLE_1) | instskip(SKIP_4) | instid1(VALU_DEP_1)
	s_or_b32 exec_lo, exec_lo, s21
	v_mov_b32_e32 v118, 0
	ds_load_b64 v[118:119], v118 offset:232
	s_wait_dscnt 0x0
	v_pk_mul_f32 v[120:121], v[116:117], v[118:119] op_sel:[1,1] op_sel_hi:[0,1]
	v_pk_fma_f32 v[122:123], v[116:117], v[118:119], v[120:121] op_sel_hi:[1,0,1]
	v_pk_fma_f32 v[116:117], v[116:117], v[118:119], v[120:121] neg_lo:[0,0,1] neg_hi:[0,0,1]
	s_delay_alu instid0(VALU_DEP_2)
	v_mov_b32_e32 v117, v123
	scratch_store_b64 off, v[116:117], off offset:232
.LBB55_265:
	s_wait_xcnt 0x0
	s_or_b32 exec_lo, exec_lo, s20
	scratch_load_b64 v[116:117], off, off offset:224
	v_cmp_lt_u32_e64 s0, 28, v0
	s_wait_loadcnt 0x0
	ds_store_b64 v1, v[116:117]
	s_wait_storecnt_dscnt 0x0
	s_barrier_signal -1
	s_barrier_wait -1
	s_wait_xcnt 0x0
	s_and_saveexec_b32 s19, s0
	s_cbranch_execz .LBB55_275
; %bb.266:
	s_and_not1_b32 vcc_lo, exec_lo, s3
	s_cbranch_vccnz .LBB55_268
; %bb.267:
	scratch_load_b64 v[116:117], v45, off
	ds_load_b64 v[118:119], v1
	s_wait_loadcnt_dscnt 0x0
	v_pk_mul_f32 v[120:121], v[118:119], v[116:117] op_sel:[1,1] op_sel_hi:[0,1]
	s_delay_alu instid0(VALU_DEP_1) | instskip(SKIP_1) | instid1(VALU_DEP_2)
	v_pk_fma_f32 v[122:123], v[118:119], v[116:117], v[120:121] op_sel_hi:[1,0,1]
	v_pk_fma_f32 v[116:117], v[118:119], v[116:117], v[120:121] neg_lo:[0,0,1] neg_hi:[0,0,1]
	v_mov_b32_e32 v117, v123
	s_cbranch_execz .LBB55_269
	s_branch .LBB55_270
.LBB55_268:
                                        ; implicit-def: $vgpr116_vgpr117
.LBB55_269:
	ds_load_b64 v[116:117], v1
.LBB55_270:
	s_and_saveexec_b32 s20, s1
	s_cbranch_execz .LBB55_274
; %bb.271:
	v_subrev_nc_u32_e32 v118, 29, v0
	s_movk_i32 s1, 0xe8
	s_movk_i32 s22, 0x2a8
	s_mov_b32 s21, 0
.LBB55_272:                             ; =>This Inner Loop Header: Depth=1
	scratch_load_b64 v[120:121], off, s1
	v_dual_mov_b32 v119, s22 :: v_dual_add_nc_u32 v118, -1, v118
	s_add_co_i32 s22, s22, 8
	s_wait_xcnt 0x0
	s_add_co_i32 s1, s1, 8
	ds_load_b64 v[122:123], v119
	v_cmp_eq_u32_e32 vcc_lo, 0, v118
	s_or_b32 s21, vcc_lo, s21
	s_wait_loadcnt_dscnt 0x0
	v_pk_mul_f32 v[124:125], v[122:123], v[120:121] op_sel:[1,1] op_sel_hi:[0,1]
	s_delay_alu instid0(VALU_DEP_1) | instskip(SKIP_1) | instid1(VALU_DEP_2)
	v_pk_fma_f32 v[126:127], v[122:123], v[120:121], v[124:125] op_sel_hi:[1,0,1]
	v_pk_fma_f32 v[120:121], v[122:123], v[120:121], v[124:125] neg_lo:[0,0,1] neg_hi:[0,0,1]
	v_mov_b32_e32 v121, v127
	s_delay_alu instid0(VALU_DEP_1)
	v_pk_add_f32 v[116:117], v[116:117], v[120:121]
	s_and_not1_b32 exec_lo, exec_lo, s21
	s_cbranch_execnz .LBB55_272
; %bb.273:
	s_or_b32 exec_lo, exec_lo, s21
.LBB55_274:
	s_delay_alu instid0(SALU_CYCLE_1) | instskip(SKIP_4) | instid1(VALU_DEP_1)
	s_or_b32 exec_lo, exec_lo, s20
	v_mov_b32_e32 v118, 0
	ds_load_b64 v[118:119], v118 offset:224
	s_wait_dscnt 0x0
	v_pk_mul_f32 v[120:121], v[116:117], v[118:119] op_sel:[1,1] op_sel_hi:[0,1]
	v_pk_fma_f32 v[122:123], v[116:117], v[118:119], v[120:121] op_sel_hi:[1,0,1]
	v_pk_fma_f32 v[116:117], v[116:117], v[118:119], v[120:121] neg_lo:[0,0,1] neg_hi:[0,0,1]
	s_delay_alu instid0(VALU_DEP_2)
	v_mov_b32_e32 v117, v123
	scratch_store_b64 off, v[116:117], off offset:224
.LBB55_275:
	s_wait_xcnt 0x0
	s_or_b32 exec_lo, exec_lo, s19
	scratch_load_b64 v[116:117], off, off offset:216
	v_cmp_lt_u32_e64 s1, 27, v0
	s_wait_loadcnt 0x0
	ds_store_b64 v1, v[116:117]
	s_wait_storecnt_dscnt 0x0
	s_barrier_signal -1
	s_barrier_wait -1
	s_wait_xcnt 0x0
	s_and_saveexec_b32 s19, s1
	s_cbranch_execz .LBB55_285
; %bb.276:
	s_and_not1_b32 vcc_lo, exec_lo, s3
	s_cbranch_vccnz .LBB55_278
; %bb.277:
	scratch_load_b64 v[116:117], v45, off
	ds_load_b64 v[118:119], v1
	s_wait_loadcnt_dscnt 0x0
	v_pk_mul_f32 v[120:121], v[118:119], v[116:117] op_sel:[1,1] op_sel_hi:[0,1]
	s_delay_alu instid0(VALU_DEP_1) | instskip(SKIP_1) | instid1(VALU_DEP_2)
	v_pk_fma_f32 v[122:123], v[118:119], v[116:117], v[120:121] op_sel_hi:[1,0,1]
	v_pk_fma_f32 v[116:117], v[118:119], v[116:117], v[120:121] neg_lo:[0,0,1] neg_hi:[0,0,1]
	v_mov_b32_e32 v117, v123
	s_cbranch_execz .LBB55_279
	s_branch .LBB55_280
.LBB55_278:
                                        ; implicit-def: $vgpr116_vgpr117
.LBB55_279:
	ds_load_b64 v[116:117], v1
.LBB55_280:
	s_and_saveexec_b32 s20, s0
	s_cbranch_execz .LBB55_284
; %bb.281:
	v_subrev_nc_u32_e32 v118, 28, v0
	s_movk_i32 s21, 0x2a0
	s_mov_b32 s0, 0
.LBB55_282:                             ; =>This Inner Loop Header: Depth=1
	scratch_load_b64 v[120:121], off, s18
	v_dual_mov_b32 v119, s21 :: v_dual_add_nc_u32 v118, -1, v118
	s_add_co_i32 s21, s21, 8
	s_wait_xcnt 0x0
	s_add_co_i32 s18, s18, 8
	ds_load_b64 v[122:123], v119
	v_cmp_eq_u32_e32 vcc_lo, 0, v118
	s_or_b32 s0, vcc_lo, s0
	s_wait_loadcnt_dscnt 0x0
	v_pk_mul_f32 v[124:125], v[122:123], v[120:121] op_sel:[1,1] op_sel_hi:[0,1]
	s_delay_alu instid0(VALU_DEP_1) | instskip(SKIP_1) | instid1(VALU_DEP_2)
	v_pk_fma_f32 v[126:127], v[122:123], v[120:121], v[124:125] op_sel_hi:[1,0,1]
	v_pk_fma_f32 v[120:121], v[122:123], v[120:121], v[124:125] neg_lo:[0,0,1] neg_hi:[0,0,1]
	v_mov_b32_e32 v121, v127
	s_delay_alu instid0(VALU_DEP_1)
	v_pk_add_f32 v[116:117], v[116:117], v[120:121]
	s_and_not1_b32 exec_lo, exec_lo, s0
	s_cbranch_execnz .LBB55_282
; %bb.283:
	s_or_b32 exec_lo, exec_lo, s0
.LBB55_284:
	s_delay_alu instid0(SALU_CYCLE_1) | instskip(SKIP_4) | instid1(VALU_DEP_1)
	s_or_b32 exec_lo, exec_lo, s20
	v_mov_b32_e32 v118, 0
	ds_load_b64 v[118:119], v118 offset:216
	s_wait_dscnt 0x0
	v_pk_mul_f32 v[120:121], v[116:117], v[118:119] op_sel:[1,1] op_sel_hi:[0,1]
	v_pk_fma_f32 v[122:123], v[116:117], v[118:119], v[120:121] op_sel_hi:[1,0,1]
	v_pk_fma_f32 v[116:117], v[116:117], v[118:119], v[120:121] neg_lo:[0,0,1] neg_hi:[0,0,1]
	s_delay_alu instid0(VALU_DEP_2)
	v_mov_b32_e32 v117, v123
	scratch_store_b64 off, v[116:117], off offset:216
.LBB55_285:
	s_wait_xcnt 0x0
	s_or_b32 exec_lo, exec_lo, s19
	scratch_load_b64 v[116:117], off, off offset:208
	v_cmp_lt_u32_e64 s0, 26, v0
	s_wait_loadcnt 0x0
	ds_store_b64 v1, v[116:117]
	s_wait_storecnt_dscnt 0x0
	s_barrier_signal -1
	s_barrier_wait -1
	s_wait_xcnt 0x0
	s_and_saveexec_b32 s18, s0
	s_cbranch_execz .LBB55_295
; %bb.286:
	s_and_not1_b32 vcc_lo, exec_lo, s3
	s_cbranch_vccnz .LBB55_288
; %bb.287:
	scratch_load_b64 v[116:117], v45, off
	ds_load_b64 v[118:119], v1
	s_wait_loadcnt_dscnt 0x0
	v_pk_mul_f32 v[120:121], v[118:119], v[116:117] op_sel:[1,1] op_sel_hi:[0,1]
	s_delay_alu instid0(VALU_DEP_1) | instskip(SKIP_1) | instid1(VALU_DEP_2)
	v_pk_fma_f32 v[122:123], v[118:119], v[116:117], v[120:121] op_sel_hi:[1,0,1]
	v_pk_fma_f32 v[116:117], v[118:119], v[116:117], v[120:121] neg_lo:[0,0,1] neg_hi:[0,0,1]
	v_mov_b32_e32 v117, v123
	s_cbranch_execz .LBB55_289
	s_branch .LBB55_290
.LBB55_288:
                                        ; implicit-def: $vgpr116_vgpr117
.LBB55_289:
	ds_load_b64 v[116:117], v1
.LBB55_290:
	s_and_saveexec_b32 s19, s1
	s_cbranch_execz .LBB55_294
; %bb.291:
	v_subrev_nc_u32_e32 v118, 27, v0
	s_movk_i32 s1, 0xd8
	s_movk_i32 s21, 0x298
	s_mov_b32 s20, 0
.LBB55_292:                             ; =>This Inner Loop Header: Depth=1
	scratch_load_b64 v[120:121], off, s1
	v_dual_mov_b32 v119, s21 :: v_dual_add_nc_u32 v118, -1, v118
	s_add_co_i32 s21, s21, 8
	s_wait_xcnt 0x0
	s_add_co_i32 s1, s1, 8
	ds_load_b64 v[122:123], v119
	v_cmp_eq_u32_e32 vcc_lo, 0, v118
	s_or_b32 s20, vcc_lo, s20
	s_wait_loadcnt_dscnt 0x0
	v_pk_mul_f32 v[124:125], v[122:123], v[120:121] op_sel:[1,1] op_sel_hi:[0,1]
	s_delay_alu instid0(VALU_DEP_1) | instskip(SKIP_1) | instid1(VALU_DEP_2)
	v_pk_fma_f32 v[126:127], v[122:123], v[120:121], v[124:125] op_sel_hi:[1,0,1]
	v_pk_fma_f32 v[120:121], v[122:123], v[120:121], v[124:125] neg_lo:[0,0,1] neg_hi:[0,0,1]
	v_mov_b32_e32 v121, v127
	s_delay_alu instid0(VALU_DEP_1)
	v_pk_add_f32 v[116:117], v[116:117], v[120:121]
	s_and_not1_b32 exec_lo, exec_lo, s20
	s_cbranch_execnz .LBB55_292
; %bb.293:
	s_or_b32 exec_lo, exec_lo, s20
.LBB55_294:
	s_delay_alu instid0(SALU_CYCLE_1) | instskip(SKIP_4) | instid1(VALU_DEP_1)
	s_or_b32 exec_lo, exec_lo, s19
	v_mov_b32_e32 v118, 0
	ds_load_b64 v[118:119], v118 offset:208
	s_wait_dscnt 0x0
	v_pk_mul_f32 v[120:121], v[116:117], v[118:119] op_sel:[1,1] op_sel_hi:[0,1]
	v_pk_fma_f32 v[122:123], v[116:117], v[118:119], v[120:121] op_sel_hi:[1,0,1]
	v_pk_fma_f32 v[116:117], v[116:117], v[118:119], v[120:121] neg_lo:[0,0,1] neg_hi:[0,0,1]
	s_delay_alu instid0(VALU_DEP_2)
	v_mov_b32_e32 v117, v123
	scratch_store_b64 off, v[116:117], off offset:208
.LBB55_295:
	s_wait_xcnt 0x0
	s_or_b32 exec_lo, exec_lo, s18
	scratch_load_b64 v[116:117], off, off offset:200
	v_cmp_lt_u32_e64 s1, 25, v0
	s_wait_loadcnt 0x0
	ds_store_b64 v1, v[116:117]
	s_wait_storecnt_dscnt 0x0
	s_barrier_signal -1
	s_barrier_wait -1
	s_wait_xcnt 0x0
	s_and_saveexec_b32 s18, s1
	s_cbranch_execz .LBB55_305
; %bb.296:
	s_and_not1_b32 vcc_lo, exec_lo, s3
	s_cbranch_vccnz .LBB55_298
; %bb.297:
	scratch_load_b64 v[116:117], v45, off
	ds_load_b64 v[118:119], v1
	s_wait_loadcnt_dscnt 0x0
	v_pk_mul_f32 v[120:121], v[118:119], v[116:117] op_sel:[1,1] op_sel_hi:[0,1]
	s_delay_alu instid0(VALU_DEP_1) | instskip(SKIP_1) | instid1(VALU_DEP_2)
	v_pk_fma_f32 v[122:123], v[118:119], v[116:117], v[120:121] op_sel_hi:[1,0,1]
	v_pk_fma_f32 v[116:117], v[118:119], v[116:117], v[120:121] neg_lo:[0,0,1] neg_hi:[0,0,1]
	v_mov_b32_e32 v117, v123
	s_cbranch_execz .LBB55_299
	s_branch .LBB55_300
.LBB55_298:
                                        ; implicit-def: $vgpr116_vgpr117
.LBB55_299:
	ds_load_b64 v[116:117], v1
.LBB55_300:
	s_and_saveexec_b32 s19, s0
	s_cbranch_execz .LBB55_304
; %bb.301:
	v_subrev_nc_u32_e32 v118, 26, v0
	s_movk_i32 s20, 0x290
	s_mov_b32 s0, 0
.LBB55_302:                             ; =>This Inner Loop Header: Depth=1
	scratch_load_b64 v[120:121], off, s17
	v_dual_mov_b32 v119, s20 :: v_dual_add_nc_u32 v118, -1, v118
	s_add_co_i32 s20, s20, 8
	s_wait_xcnt 0x0
	s_add_co_i32 s17, s17, 8
	ds_load_b64 v[122:123], v119
	v_cmp_eq_u32_e32 vcc_lo, 0, v118
	s_or_b32 s0, vcc_lo, s0
	s_wait_loadcnt_dscnt 0x0
	v_pk_mul_f32 v[124:125], v[122:123], v[120:121] op_sel:[1,1] op_sel_hi:[0,1]
	s_delay_alu instid0(VALU_DEP_1) | instskip(SKIP_1) | instid1(VALU_DEP_2)
	v_pk_fma_f32 v[126:127], v[122:123], v[120:121], v[124:125] op_sel_hi:[1,0,1]
	v_pk_fma_f32 v[120:121], v[122:123], v[120:121], v[124:125] neg_lo:[0,0,1] neg_hi:[0,0,1]
	v_mov_b32_e32 v121, v127
	s_delay_alu instid0(VALU_DEP_1)
	v_pk_add_f32 v[116:117], v[116:117], v[120:121]
	s_and_not1_b32 exec_lo, exec_lo, s0
	s_cbranch_execnz .LBB55_302
; %bb.303:
	s_or_b32 exec_lo, exec_lo, s0
.LBB55_304:
	s_delay_alu instid0(SALU_CYCLE_1) | instskip(SKIP_4) | instid1(VALU_DEP_1)
	s_or_b32 exec_lo, exec_lo, s19
	v_mov_b32_e32 v118, 0
	ds_load_b64 v[118:119], v118 offset:200
	s_wait_dscnt 0x0
	v_pk_mul_f32 v[120:121], v[116:117], v[118:119] op_sel:[1,1] op_sel_hi:[0,1]
	v_pk_fma_f32 v[122:123], v[116:117], v[118:119], v[120:121] op_sel_hi:[1,0,1]
	v_pk_fma_f32 v[116:117], v[116:117], v[118:119], v[120:121] neg_lo:[0,0,1] neg_hi:[0,0,1]
	s_delay_alu instid0(VALU_DEP_2)
	v_mov_b32_e32 v117, v123
	scratch_store_b64 off, v[116:117], off offset:200
.LBB55_305:
	s_wait_xcnt 0x0
	s_or_b32 exec_lo, exec_lo, s18
	scratch_load_b64 v[116:117], off, off offset:192
	v_cmp_lt_u32_e64 s0, 24, v0
	s_wait_loadcnt 0x0
	ds_store_b64 v1, v[116:117]
	s_wait_storecnt_dscnt 0x0
	s_barrier_signal -1
	s_barrier_wait -1
	s_wait_xcnt 0x0
	s_and_saveexec_b32 s17, s0
	s_cbranch_execz .LBB55_315
; %bb.306:
	s_and_not1_b32 vcc_lo, exec_lo, s3
	s_cbranch_vccnz .LBB55_308
; %bb.307:
	scratch_load_b64 v[116:117], v45, off
	ds_load_b64 v[118:119], v1
	s_wait_loadcnt_dscnt 0x0
	v_pk_mul_f32 v[120:121], v[118:119], v[116:117] op_sel:[1,1] op_sel_hi:[0,1]
	s_delay_alu instid0(VALU_DEP_1) | instskip(SKIP_1) | instid1(VALU_DEP_2)
	v_pk_fma_f32 v[122:123], v[118:119], v[116:117], v[120:121] op_sel_hi:[1,0,1]
	v_pk_fma_f32 v[116:117], v[118:119], v[116:117], v[120:121] neg_lo:[0,0,1] neg_hi:[0,0,1]
	v_mov_b32_e32 v117, v123
	s_cbranch_execz .LBB55_309
	s_branch .LBB55_310
.LBB55_308:
                                        ; implicit-def: $vgpr116_vgpr117
.LBB55_309:
	ds_load_b64 v[116:117], v1
.LBB55_310:
	s_and_saveexec_b32 s18, s1
	s_cbranch_execz .LBB55_314
; %bb.311:
	v_subrev_nc_u32_e32 v118, 25, v0
	s_movk_i32 s1, 0xc8
	s_movk_i32 s20, 0x288
	s_mov_b32 s19, 0
.LBB55_312:                             ; =>This Inner Loop Header: Depth=1
	scratch_load_b64 v[120:121], off, s1
	v_dual_mov_b32 v119, s20 :: v_dual_add_nc_u32 v118, -1, v118
	s_add_co_i32 s20, s20, 8
	s_wait_xcnt 0x0
	s_add_co_i32 s1, s1, 8
	ds_load_b64 v[122:123], v119
	v_cmp_eq_u32_e32 vcc_lo, 0, v118
	s_or_b32 s19, vcc_lo, s19
	s_wait_loadcnt_dscnt 0x0
	v_pk_mul_f32 v[124:125], v[122:123], v[120:121] op_sel:[1,1] op_sel_hi:[0,1]
	s_delay_alu instid0(VALU_DEP_1) | instskip(SKIP_1) | instid1(VALU_DEP_2)
	v_pk_fma_f32 v[126:127], v[122:123], v[120:121], v[124:125] op_sel_hi:[1,0,1]
	v_pk_fma_f32 v[120:121], v[122:123], v[120:121], v[124:125] neg_lo:[0,0,1] neg_hi:[0,0,1]
	v_mov_b32_e32 v121, v127
	s_delay_alu instid0(VALU_DEP_1)
	v_pk_add_f32 v[116:117], v[116:117], v[120:121]
	s_and_not1_b32 exec_lo, exec_lo, s19
	s_cbranch_execnz .LBB55_312
; %bb.313:
	s_or_b32 exec_lo, exec_lo, s19
.LBB55_314:
	s_delay_alu instid0(SALU_CYCLE_1) | instskip(SKIP_4) | instid1(VALU_DEP_1)
	s_or_b32 exec_lo, exec_lo, s18
	v_mov_b32_e32 v118, 0
	ds_load_b64 v[118:119], v118 offset:192
	s_wait_dscnt 0x0
	v_pk_mul_f32 v[120:121], v[116:117], v[118:119] op_sel:[1,1] op_sel_hi:[0,1]
	v_pk_fma_f32 v[122:123], v[116:117], v[118:119], v[120:121] op_sel_hi:[1,0,1]
	v_pk_fma_f32 v[116:117], v[116:117], v[118:119], v[120:121] neg_lo:[0,0,1] neg_hi:[0,0,1]
	s_delay_alu instid0(VALU_DEP_2)
	v_mov_b32_e32 v117, v123
	scratch_store_b64 off, v[116:117], off offset:192
.LBB55_315:
	s_wait_xcnt 0x0
	s_or_b32 exec_lo, exec_lo, s17
	scratch_load_b64 v[116:117], off, off offset:184
	v_cmp_lt_u32_e64 s1, 23, v0
	s_wait_loadcnt 0x0
	ds_store_b64 v1, v[116:117]
	s_wait_storecnt_dscnt 0x0
	s_barrier_signal -1
	s_barrier_wait -1
	s_wait_xcnt 0x0
	s_and_saveexec_b32 s17, s1
	s_cbranch_execz .LBB55_325
; %bb.316:
	s_and_not1_b32 vcc_lo, exec_lo, s3
	s_cbranch_vccnz .LBB55_318
; %bb.317:
	scratch_load_b64 v[116:117], v45, off
	ds_load_b64 v[118:119], v1
	s_wait_loadcnt_dscnt 0x0
	v_pk_mul_f32 v[120:121], v[118:119], v[116:117] op_sel:[1,1] op_sel_hi:[0,1]
	s_delay_alu instid0(VALU_DEP_1) | instskip(SKIP_1) | instid1(VALU_DEP_2)
	v_pk_fma_f32 v[122:123], v[118:119], v[116:117], v[120:121] op_sel_hi:[1,0,1]
	v_pk_fma_f32 v[116:117], v[118:119], v[116:117], v[120:121] neg_lo:[0,0,1] neg_hi:[0,0,1]
	v_mov_b32_e32 v117, v123
	s_cbranch_execz .LBB55_319
	s_branch .LBB55_320
.LBB55_318:
                                        ; implicit-def: $vgpr116_vgpr117
.LBB55_319:
	ds_load_b64 v[116:117], v1
.LBB55_320:
	s_and_saveexec_b32 s18, s0
	s_cbranch_execz .LBB55_324
; %bb.321:
	v_subrev_nc_u32_e32 v118, 24, v0
	s_movk_i32 s19, 0x280
	s_mov_b32 s0, 0
.LBB55_322:                             ; =>This Inner Loop Header: Depth=1
	scratch_load_b64 v[120:121], off, s16
	v_dual_mov_b32 v119, s19 :: v_dual_add_nc_u32 v118, -1, v118
	s_add_co_i32 s19, s19, 8
	s_wait_xcnt 0x0
	s_add_co_i32 s16, s16, 8
	ds_load_b64 v[122:123], v119
	v_cmp_eq_u32_e32 vcc_lo, 0, v118
	s_or_b32 s0, vcc_lo, s0
	s_wait_loadcnt_dscnt 0x0
	v_pk_mul_f32 v[124:125], v[122:123], v[120:121] op_sel:[1,1] op_sel_hi:[0,1]
	s_delay_alu instid0(VALU_DEP_1) | instskip(SKIP_1) | instid1(VALU_DEP_2)
	v_pk_fma_f32 v[126:127], v[122:123], v[120:121], v[124:125] op_sel_hi:[1,0,1]
	v_pk_fma_f32 v[120:121], v[122:123], v[120:121], v[124:125] neg_lo:[0,0,1] neg_hi:[0,0,1]
	v_mov_b32_e32 v121, v127
	s_delay_alu instid0(VALU_DEP_1)
	v_pk_add_f32 v[116:117], v[116:117], v[120:121]
	s_and_not1_b32 exec_lo, exec_lo, s0
	s_cbranch_execnz .LBB55_322
; %bb.323:
	s_or_b32 exec_lo, exec_lo, s0
.LBB55_324:
	s_delay_alu instid0(SALU_CYCLE_1) | instskip(SKIP_4) | instid1(VALU_DEP_1)
	s_or_b32 exec_lo, exec_lo, s18
	v_mov_b32_e32 v118, 0
	ds_load_b64 v[118:119], v118 offset:184
	s_wait_dscnt 0x0
	v_pk_mul_f32 v[120:121], v[116:117], v[118:119] op_sel:[1,1] op_sel_hi:[0,1]
	v_pk_fma_f32 v[122:123], v[116:117], v[118:119], v[120:121] op_sel_hi:[1,0,1]
	v_pk_fma_f32 v[116:117], v[116:117], v[118:119], v[120:121] neg_lo:[0,0,1] neg_hi:[0,0,1]
	s_delay_alu instid0(VALU_DEP_2)
	v_mov_b32_e32 v117, v123
	scratch_store_b64 off, v[116:117], off offset:184
.LBB55_325:
	s_wait_xcnt 0x0
	s_or_b32 exec_lo, exec_lo, s17
	scratch_load_b64 v[116:117], off, off offset:176
	v_cmp_lt_u32_e64 s0, 22, v0
	s_wait_loadcnt 0x0
	ds_store_b64 v1, v[116:117]
	s_wait_storecnt_dscnt 0x0
	s_barrier_signal -1
	s_barrier_wait -1
	s_wait_xcnt 0x0
	s_and_saveexec_b32 s16, s0
	s_cbranch_execz .LBB55_335
; %bb.326:
	s_and_not1_b32 vcc_lo, exec_lo, s3
	s_cbranch_vccnz .LBB55_328
; %bb.327:
	scratch_load_b64 v[116:117], v45, off
	ds_load_b64 v[118:119], v1
	s_wait_loadcnt_dscnt 0x0
	v_pk_mul_f32 v[120:121], v[118:119], v[116:117] op_sel:[1,1] op_sel_hi:[0,1]
	s_delay_alu instid0(VALU_DEP_1) | instskip(SKIP_1) | instid1(VALU_DEP_2)
	v_pk_fma_f32 v[122:123], v[118:119], v[116:117], v[120:121] op_sel_hi:[1,0,1]
	v_pk_fma_f32 v[116:117], v[118:119], v[116:117], v[120:121] neg_lo:[0,0,1] neg_hi:[0,0,1]
	v_mov_b32_e32 v117, v123
	s_cbranch_execz .LBB55_329
	s_branch .LBB55_330
.LBB55_328:
                                        ; implicit-def: $vgpr116_vgpr117
.LBB55_329:
	ds_load_b64 v[116:117], v1
.LBB55_330:
	s_and_saveexec_b32 s17, s1
	s_cbranch_execz .LBB55_334
; %bb.331:
	v_subrev_nc_u32_e32 v118, 23, v0
	s_movk_i32 s1, 0xb8
	s_movk_i32 s19, 0x278
	s_mov_b32 s18, 0
.LBB55_332:                             ; =>This Inner Loop Header: Depth=1
	scratch_load_b64 v[120:121], off, s1
	v_dual_mov_b32 v119, s19 :: v_dual_add_nc_u32 v118, -1, v118
	s_add_co_i32 s19, s19, 8
	s_wait_xcnt 0x0
	s_add_co_i32 s1, s1, 8
	ds_load_b64 v[122:123], v119
	v_cmp_eq_u32_e32 vcc_lo, 0, v118
	s_or_b32 s18, vcc_lo, s18
	s_wait_loadcnt_dscnt 0x0
	v_pk_mul_f32 v[124:125], v[122:123], v[120:121] op_sel:[1,1] op_sel_hi:[0,1]
	s_delay_alu instid0(VALU_DEP_1) | instskip(SKIP_1) | instid1(VALU_DEP_2)
	v_pk_fma_f32 v[126:127], v[122:123], v[120:121], v[124:125] op_sel_hi:[1,0,1]
	v_pk_fma_f32 v[120:121], v[122:123], v[120:121], v[124:125] neg_lo:[0,0,1] neg_hi:[0,0,1]
	v_mov_b32_e32 v121, v127
	s_delay_alu instid0(VALU_DEP_1)
	v_pk_add_f32 v[116:117], v[116:117], v[120:121]
	s_and_not1_b32 exec_lo, exec_lo, s18
	s_cbranch_execnz .LBB55_332
; %bb.333:
	s_or_b32 exec_lo, exec_lo, s18
.LBB55_334:
	s_delay_alu instid0(SALU_CYCLE_1) | instskip(SKIP_4) | instid1(VALU_DEP_1)
	s_or_b32 exec_lo, exec_lo, s17
	v_mov_b32_e32 v118, 0
	ds_load_b64 v[118:119], v118 offset:176
	s_wait_dscnt 0x0
	v_pk_mul_f32 v[120:121], v[116:117], v[118:119] op_sel:[1,1] op_sel_hi:[0,1]
	v_pk_fma_f32 v[122:123], v[116:117], v[118:119], v[120:121] op_sel_hi:[1,0,1]
	v_pk_fma_f32 v[116:117], v[116:117], v[118:119], v[120:121] neg_lo:[0,0,1] neg_hi:[0,0,1]
	s_delay_alu instid0(VALU_DEP_2)
	v_mov_b32_e32 v117, v123
	scratch_store_b64 off, v[116:117], off offset:176
.LBB55_335:
	s_wait_xcnt 0x0
	s_or_b32 exec_lo, exec_lo, s16
	scratch_load_b64 v[116:117], off, off offset:168
	v_cmp_lt_u32_e64 s1, 21, v0
	s_wait_loadcnt 0x0
	ds_store_b64 v1, v[116:117]
	s_wait_storecnt_dscnt 0x0
	s_barrier_signal -1
	s_barrier_wait -1
	s_wait_xcnt 0x0
	s_and_saveexec_b32 s16, s1
	s_cbranch_execz .LBB55_345
; %bb.336:
	s_and_not1_b32 vcc_lo, exec_lo, s3
	s_cbranch_vccnz .LBB55_338
; %bb.337:
	scratch_load_b64 v[116:117], v45, off
	ds_load_b64 v[118:119], v1
	s_wait_loadcnt_dscnt 0x0
	v_pk_mul_f32 v[120:121], v[118:119], v[116:117] op_sel:[1,1] op_sel_hi:[0,1]
	s_delay_alu instid0(VALU_DEP_1) | instskip(SKIP_1) | instid1(VALU_DEP_2)
	v_pk_fma_f32 v[122:123], v[118:119], v[116:117], v[120:121] op_sel_hi:[1,0,1]
	v_pk_fma_f32 v[116:117], v[118:119], v[116:117], v[120:121] neg_lo:[0,0,1] neg_hi:[0,0,1]
	v_mov_b32_e32 v117, v123
	s_cbranch_execz .LBB55_339
	s_branch .LBB55_340
.LBB55_338:
                                        ; implicit-def: $vgpr116_vgpr117
.LBB55_339:
	ds_load_b64 v[116:117], v1
.LBB55_340:
	s_and_saveexec_b32 s17, s0
	s_cbranch_execz .LBB55_344
; %bb.341:
	v_subrev_nc_u32_e32 v118, 22, v0
	s_movk_i32 s18, 0x270
	s_mov_b32 s0, 0
.LBB55_342:                             ; =>This Inner Loop Header: Depth=1
	scratch_load_b64 v[120:121], off, s15
	v_dual_mov_b32 v119, s18 :: v_dual_add_nc_u32 v118, -1, v118
	s_add_co_i32 s18, s18, 8
	s_wait_xcnt 0x0
	s_add_co_i32 s15, s15, 8
	ds_load_b64 v[122:123], v119
	v_cmp_eq_u32_e32 vcc_lo, 0, v118
	s_or_b32 s0, vcc_lo, s0
	s_wait_loadcnt_dscnt 0x0
	v_pk_mul_f32 v[124:125], v[122:123], v[120:121] op_sel:[1,1] op_sel_hi:[0,1]
	s_delay_alu instid0(VALU_DEP_1) | instskip(SKIP_1) | instid1(VALU_DEP_2)
	v_pk_fma_f32 v[126:127], v[122:123], v[120:121], v[124:125] op_sel_hi:[1,0,1]
	v_pk_fma_f32 v[120:121], v[122:123], v[120:121], v[124:125] neg_lo:[0,0,1] neg_hi:[0,0,1]
	v_mov_b32_e32 v121, v127
	s_delay_alu instid0(VALU_DEP_1)
	v_pk_add_f32 v[116:117], v[116:117], v[120:121]
	s_and_not1_b32 exec_lo, exec_lo, s0
	s_cbranch_execnz .LBB55_342
; %bb.343:
	s_or_b32 exec_lo, exec_lo, s0
.LBB55_344:
	s_delay_alu instid0(SALU_CYCLE_1) | instskip(SKIP_4) | instid1(VALU_DEP_1)
	s_or_b32 exec_lo, exec_lo, s17
	v_mov_b32_e32 v118, 0
	ds_load_b64 v[118:119], v118 offset:168
	s_wait_dscnt 0x0
	v_pk_mul_f32 v[120:121], v[116:117], v[118:119] op_sel:[1,1] op_sel_hi:[0,1]
	v_pk_fma_f32 v[122:123], v[116:117], v[118:119], v[120:121] op_sel_hi:[1,0,1]
	v_pk_fma_f32 v[116:117], v[116:117], v[118:119], v[120:121] neg_lo:[0,0,1] neg_hi:[0,0,1]
	s_delay_alu instid0(VALU_DEP_2)
	v_mov_b32_e32 v117, v123
	scratch_store_b64 off, v[116:117], off offset:168
.LBB55_345:
	s_wait_xcnt 0x0
	s_or_b32 exec_lo, exec_lo, s16
	scratch_load_b64 v[116:117], off, off offset:160
	v_cmp_lt_u32_e64 s0, 20, v0
	s_wait_loadcnt 0x0
	ds_store_b64 v1, v[116:117]
	s_wait_storecnt_dscnt 0x0
	s_barrier_signal -1
	s_barrier_wait -1
	s_wait_xcnt 0x0
	s_and_saveexec_b32 s15, s0
	s_cbranch_execz .LBB55_355
; %bb.346:
	s_and_not1_b32 vcc_lo, exec_lo, s3
	s_cbranch_vccnz .LBB55_348
; %bb.347:
	scratch_load_b64 v[116:117], v45, off
	ds_load_b64 v[118:119], v1
	s_wait_loadcnt_dscnt 0x0
	v_pk_mul_f32 v[120:121], v[118:119], v[116:117] op_sel:[1,1] op_sel_hi:[0,1]
	s_delay_alu instid0(VALU_DEP_1) | instskip(SKIP_1) | instid1(VALU_DEP_2)
	v_pk_fma_f32 v[122:123], v[118:119], v[116:117], v[120:121] op_sel_hi:[1,0,1]
	v_pk_fma_f32 v[116:117], v[118:119], v[116:117], v[120:121] neg_lo:[0,0,1] neg_hi:[0,0,1]
	v_mov_b32_e32 v117, v123
	s_cbranch_execz .LBB55_349
	s_branch .LBB55_350
.LBB55_348:
                                        ; implicit-def: $vgpr116_vgpr117
.LBB55_349:
	ds_load_b64 v[116:117], v1
.LBB55_350:
	s_and_saveexec_b32 s16, s1
	s_cbranch_execz .LBB55_354
; %bb.351:
	v_subrev_nc_u32_e32 v118, 21, v0
	s_movk_i32 s1, 0xa8
	s_movk_i32 s18, 0x268
	s_mov_b32 s17, 0
.LBB55_352:                             ; =>This Inner Loop Header: Depth=1
	scratch_load_b64 v[120:121], off, s1
	v_dual_mov_b32 v119, s18 :: v_dual_add_nc_u32 v118, -1, v118
	s_add_co_i32 s18, s18, 8
	s_wait_xcnt 0x0
	s_add_co_i32 s1, s1, 8
	ds_load_b64 v[122:123], v119
	v_cmp_eq_u32_e32 vcc_lo, 0, v118
	s_or_b32 s17, vcc_lo, s17
	s_wait_loadcnt_dscnt 0x0
	v_pk_mul_f32 v[124:125], v[122:123], v[120:121] op_sel:[1,1] op_sel_hi:[0,1]
	s_delay_alu instid0(VALU_DEP_1) | instskip(SKIP_1) | instid1(VALU_DEP_2)
	v_pk_fma_f32 v[126:127], v[122:123], v[120:121], v[124:125] op_sel_hi:[1,0,1]
	v_pk_fma_f32 v[120:121], v[122:123], v[120:121], v[124:125] neg_lo:[0,0,1] neg_hi:[0,0,1]
	v_mov_b32_e32 v121, v127
	s_delay_alu instid0(VALU_DEP_1)
	v_pk_add_f32 v[116:117], v[116:117], v[120:121]
	s_and_not1_b32 exec_lo, exec_lo, s17
	s_cbranch_execnz .LBB55_352
; %bb.353:
	s_or_b32 exec_lo, exec_lo, s17
.LBB55_354:
	s_delay_alu instid0(SALU_CYCLE_1) | instskip(SKIP_4) | instid1(VALU_DEP_1)
	s_or_b32 exec_lo, exec_lo, s16
	v_mov_b32_e32 v118, 0
	ds_load_b64 v[118:119], v118 offset:160
	s_wait_dscnt 0x0
	v_pk_mul_f32 v[120:121], v[116:117], v[118:119] op_sel:[1,1] op_sel_hi:[0,1]
	v_pk_fma_f32 v[122:123], v[116:117], v[118:119], v[120:121] op_sel_hi:[1,0,1]
	v_pk_fma_f32 v[116:117], v[116:117], v[118:119], v[120:121] neg_lo:[0,0,1] neg_hi:[0,0,1]
	s_delay_alu instid0(VALU_DEP_2)
	v_mov_b32_e32 v117, v123
	scratch_store_b64 off, v[116:117], off offset:160
.LBB55_355:
	s_wait_xcnt 0x0
	s_or_b32 exec_lo, exec_lo, s15
	scratch_load_b64 v[116:117], off, off offset:152
	v_cmp_lt_u32_e64 s1, 19, v0
	s_wait_loadcnt 0x0
	ds_store_b64 v1, v[116:117]
	s_wait_storecnt_dscnt 0x0
	s_barrier_signal -1
	s_barrier_wait -1
	s_wait_xcnt 0x0
	s_and_saveexec_b32 s15, s1
	s_cbranch_execz .LBB55_365
; %bb.356:
	s_and_not1_b32 vcc_lo, exec_lo, s3
	s_cbranch_vccnz .LBB55_358
; %bb.357:
	scratch_load_b64 v[116:117], v45, off
	ds_load_b64 v[118:119], v1
	s_wait_loadcnt_dscnt 0x0
	v_pk_mul_f32 v[120:121], v[118:119], v[116:117] op_sel:[1,1] op_sel_hi:[0,1]
	s_delay_alu instid0(VALU_DEP_1) | instskip(SKIP_1) | instid1(VALU_DEP_2)
	v_pk_fma_f32 v[122:123], v[118:119], v[116:117], v[120:121] op_sel_hi:[1,0,1]
	v_pk_fma_f32 v[116:117], v[118:119], v[116:117], v[120:121] neg_lo:[0,0,1] neg_hi:[0,0,1]
	v_mov_b32_e32 v117, v123
	s_cbranch_execz .LBB55_359
	s_branch .LBB55_360
.LBB55_358:
                                        ; implicit-def: $vgpr116_vgpr117
.LBB55_359:
	ds_load_b64 v[116:117], v1
.LBB55_360:
	s_and_saveexec_b32 s16, s0
	s_cbranch_execz .LBB55_364
; %bb.361:
	v_subrev_nc_u32_e32 v118, 20, v0
	s_movk_i32 s17, 0x260
	s_mov_b32 s0, 0
.LBB55_362:                             ; =>This Inner Loop Header: Depth=1
	scratch_load_b64 v[120:121], off, s14
	v_dual_mov_b32 v119, s17 :: v_dual_add_nc_u32 v118, -1, v118
	s_add_co_i32 s17, s17, 8
	s_wait_xcnt 0x0
	s_add_co_i32 s14, s14, 8
	ds_load_b64 v[122:123], v119
	v_cmp_eq_u32_e32 vcc_lo, 0, v118
	s_or_b32 s0, vcc_lo, s0
	s_wait_loadcnt_dscnt 0x0
	v_pk_mul_f32 v[124:125], v[122:123], v[120:121] op_sel:[1,1] op_sel_hi:[0,1]
	s_delay_alu instid0(VALU_DEP_1) | instskip(SKIP_1) | instid1(VALU_DEP_2)
	v_pk_fma_f32 v[126:127], v[122:123], v[120:121], v[124:125] op_sel_hi:[1,0,1]
	v_pk_fma_f32 v[120:121], v[122:123], v[120:121], v[124:125] neg_lo:[0,0,1] neg_hi:[0,0,1]
	v_mov_b32_e32 v121, v127
	s_delay_alu instid0(VALU_DEP_1)
	v_pk_add_f32 v[116:117], v[116:117], v[120:121]
	s_and_not1_b32 exec_lo, exec_lo, s0
	s_cbranch_execnz .LBB55_362
; %bb.363:
	s_or_b32 exec_lo, exec_lo, s0
.LBB55_364:
	s_delay_alu instid0(SALU_CYCLE_1) | instskip(SKIP_4) | instid1(VALU_DEP_1)
	s_or_b32 exec_lo, exec_lo, s16
	v_mov_b32_e32 v118, 0
	ds_load_b64 v[118:119], v118 offset:152
	s_wait_dscnt 0x0
	v_pk_mul_f32 v[120:121], v[116:117], v[118:119] op_sel:[1,1] op_sel_hi:[0,1]
	v_pk_fma_f32 v[122:123], v[116:117], v[118:119], v[120:121] op_sel_hi:[1,0,1]
	v_pk_fma_f32 v[116:117], v[116:117], v[118:119], v[120:121] neg_lo:[0,0,1] neg_hi:[0,0,1]
	s_delay_alu instid0(VALU_DEP_2)
	v_mov_b32_e32 v117, v123
	scratch_store_b64 off, v[116:117], off offset:152
.LBB55_365:
	s_wait_xcnt 0x0
	s_or_b32 exec_lo, exec_lo, s15
	scratch_load_b64 v[116:117], off, off offset:144
	v_cmp_lt_u32_e64 s0, 18, v0
	s_wait_loadcnt 0x0
	ds_store_b64 v1, v[116:117]
	s_wait_storecnt_dscnt 0x0
	s_barrier_signal -1
	s_barrier_wait -1
	s_wait_xcnt 0x0
	s_and_saveexec_b32 s14, s0
	s_cbranch_execz .LBB55_375
; %bb.366:
	s_and_not1_b32 vcc_lo, exec_lo, s3
	s_cbranch_vccnz .LBB55_368
; %bb.367:
	scratch_load_b64 v[116:117], v45, off
	ds_load_b64 v[118:119], v1
	s_wait_loadcnt_dscnt 0x0
	v_pk_mul_f32 v[120:121], v[118:119], v[116:117] op_sel:[1,1] op_sel_hi:[0,1]
	s_delay_alu instid0(VALU_DEP_1) | instskip(SKIP_1) | instid1(VALU_DEP_2)
	v_pk_fma_f32 v[122:123], v[118:119], v[116:117], v[120:121] op_sel_hi:[1,0,1]
	v_pk_fma_f32 v[116:117], v[118:119], v[116:117], v[120:121] neg_lo:[0,0,1] neg_hi:[0,0,1]
	v_mov_b32_e32 v117, v123
	s_cbranch_execz .LBB55_369
	s_branch .LBB55_370
.LBB55_368:
                                        ; implicit-def: $vgpr116_vgpr117
.LBB55_369:
	ds_load_b64 v[116:117], v1
.LBB55_370:
	s_and_saveexec_b32 s15, s1
	s_cbranch_execz .LBB55_374
; %bb.371:
	v_subrev_nc_u32_e32 v118, 19, v0
	s_movk_i32 s1, 0x98
	s_movk_i32 s17, 0x258
	s_mov_b32 s16, 0
.LBB55_372:                             ; =>This Inner Loop Header: Depth=1
	scratch_load_b64 v[120:121], off, s1
	v_dual_mov_b32 v119, s17 :: v_dual_add_nc_u32 v118, -1, v118
	s_add_co_i32 s17, s17, 8
	s_wait_xcnt 0x0
	s_add_co_i32 s1, s1, 8
	ds_load_b64 v[122:123], v119
	v_cmp_eq_u32_e32 vcc_lo, 0, v118
	s_or_b32 s16, vcc_lo, s16
	s_wait_loadcnt_dscnt 0x0
	v_pk_mul_f32 v[124:125], v[122:123], v[120:121] op_sel:[1,1] op_sel_hi:[0,1]
	s_delay_alu instid0(VALU_DEP_1) | instskip(SKIP_1) | instid1(VALU_DEP_2)
	v_pk_fma_f32 v[126:127], v[122:123], v[120:121], v[124:125] op_sel_hi:[1,0,1]
	v_pk_fma_f32 v[120:121], v[122:123], v[120:121], v[124:125] neg_lo:[0,0,1] neg_hi:[0,0,1]
	v_mov_b32_e32 v121, v127
	s_delay_alu instid0(VALU_DEP_1)
	v_pk_add_f32 v[116:117], v[116:117], v[120:121]
	s_and_not1_b32 exec_lo, exec_lo, s16
	s_cbranch_execnz .LBB55_372
; %bb.373:
	s_or_b32 exec_lo, exec_lo, s16
.LBB55_374:
	s_delay_alu instid0(SALU_CYCLE_1) | instskip(SKIP_4) | instid1(VALU_DEP_1)
	s_or_b32 exec_lo, exec_lo, s15
	v_mov_b32_e32 v118, 0
	ds_load_b64 v[118:119], v118 offset:144
	s_wait_dscnt 0x0
	v_pk_mul_f32 v[120:121], v[116:117], v[118:119] op_sel:[1,1] op_sel_hi:[0,1]
	v_pk_fma_f32 v[122:123], v[116:117], v[118:119], v[120:121] op_sel_hi:[1,0,1]
	v_pk_fma_f32 v[116:117], v[116:117], v[118:119], v[120:121] neg_lo:[0,0,1] neg_hi:[0,0,1]
	s_delay_alu instid0(VALU_DEP_2)
	v_mov_b32_e32 v117, v123
	scratch_store_b64 off, v[116:117], off offset:144
.LBB55_375:
	s_wait_xcnt 0x0
	s_or_b32 exec_lo, exec_lo, s14
	scratch_load_b64 v[116:117], off, off offset:136
	v_cmp_lt_u32_e64 s1, 17, v0
	s_wait_loadcnt 0x0
	ds_store_b64 v1, v[116:117]
	s_wait_storecnt_dscnt 0x0
	s_barrier_signal -1
	s_barrier_wait -1
	s_wait_xcnt 0x0
	s_and_saveexec_b32 s14, s1
	s_cbranch_execz .LBB55_385
; %bb.376:
	s_and_not1_b32 vcc_lo, exec_lo, s3
	s_cbranch_vccnz .LBB55_378
; %bb.377:
	scratch_load_b64 v[116:117], v45, off
	ds_load_b64 v[118:119], v1
	s_wait_loadcnt_dscnt 0x0
	v_pk_mul_f32 v[120:121], v[118:119], v[116:117] op_sel:[1,1] op_sel_hi:[0,1]
	s_delay_alu instid0(VALU_DEP_1) | instskip(SKIP_1) | instid1(VALU_DEP_2)
	v_pk_fma_f32 v[122:123], v[118:119], v[116:117], v[120:121] op_sel_hi:[1,0,1]
	v_pk_fma_f32 v[116:117], v[118:119], v[116:117], v[120:121] neg_lo:[0,0,1] neg_hi:[0,0,1]
	v_mov_b32_e32 v117, v123
	s_cbranch_execz .LBB55_379
	s_branch .LBB55_380
.LBB55_378:
                                        ; implicit-def: $vgpr116_vgpr117
.LBB55_379:
	ds_load_b64 v[116:117], v1
.LBB55_380:
	s_and_saveexec_b32 s15, s0
	s_cbranch_execz .LBB55_384
; %bb.381:
	v_subrev_nc_u32_e32 v118, 18, v0
	s_movk_i32 s16, 0x250
	s_mov_b32 s0, 0
.LBB55_382:                             ; =>This Inner Loop Header: Depth=1
	scratch_load_b64 v[120:121], off, s13
	v_dual_mov_b32 v119, s16 :: v_dual_add_nc_u32 v118, -1, v118
	s_add_co_i32 s16, s16, 8
	s_wait_xcnt 0x0
	s_add_co_i32 s13, s13, 8
	ds_load_b64 v[122:123], v119
	v_cmp_eq_u32_e32 vcc_lo, 0, v118
	s_or_b32 s0, vcc_lo, s0
	s_wait_loadcnt_dscnt 0x0
	v_pk_mul_f32 v[124:125], v[122:123], v[120:121] op_sel:[1,1] op_sel_hi:[0,1]
	s_delay_alu instid0(VALU_DEP_1) | instskip(SKIP_1) | instid1(VALU_DEP_2)
	v_pk_fma_f32 v[126:127], v[122:123], v[120:121], v[124:125] op_sel_hi:[1,0,1]
	v_pk_fma_f32 v[120:121], v[122:123], v[120:121], v[124:125] neg_lo:[0,0,1] neg_hi:[0,0,1]
	v_mov_b32_e32 v121, v127
	s_delay_alu instid0(VALU_DEP_1)
	v_pk_add_f32 v[116:117], v[116:117], v[120:121]
	s_and_not1_b32 exec_lo, exec_lo, s0
	s_cbranch_execnz .LBB55_382
; %bb.383:
	s_or_b32 exec_lo, exec_lo, s0
.LBB55_384:
	s_delay_alu instid0(SALU_CYCLE_1) | instskip(SKIP_4) | instid1(VALU_DEP_1)
	s_or_b32 exec_lo, exec_lo, s15
	v_mov_b32_e32 v118, 0
	ds_load_b64 v[118:119], v118 offset:136
	s_wait_dscnt 0x0
	v_pk_mul_f32 v[120:121], v[116:117], v[118:119] op_sel:[1,1] op_sel_hi:[0,1]
	v_pk_fma_f32 v[122:123], v[116:117], v[118:119], v[120:121] op_sel_hi:[1,0,1]
	v_pk_fma_f32 v[116:117], v[116:117], v[118:119], v[120:121] neg_lo:[0,0,1] neg_hi:[0,0,1]
	s_delay_alu instid0(VALU_DEP_2)
	v_mov_b32_e32 v117, v123
	scratch_store_b64 off, v[116:117], off offset:136
.LBB55_385:
	s_wait_xcnt 0x0
	s_or_b32 exec_lo, exec_lo, s14
	scratch_load_b64 v[116:117], off, off offset:128
	v_cmp_lt_u32_e64 s0, 16, v0
	s_wait_loadcnt 0x0
	ds_store_b64 v1, v[116:117]
	s_wait_storecnt_dscnt 0x0
	s_barrier_signal -1
	s_barrier_wait -1
	s_wait_xcnt 0x0
	s_and_saveexec_b32 s13, s0
	s_cbranch_execz .LBB55_395
; %bb.386:
	s_and_not1_b32 vcc_lo, exec_lo, s3
	s_cbranch_vccnz .LBB55_388
; %bb.387:
	scratch_load_b64 v[116:117], v45, off
	ds_load_b64 v[118:119], v1
	s_wait_loadcnt_dscnt 0x0
	v_pk_mul_f32 v[120:121], v[118:119], v[116:117] op_sel:[1,1] op_sel_hi:[0,1]
	s_delay_alu instid0(VALU_DEP_1) | instskip(SKIP_1) | instid1(VALU_DEP_2)
	v_pk_fma_f32 v[122:123], v[118:119], v[116:117], v[120:121] op_sel_hi:[1,0,1]
	v_pk_fma_f32 v[116:117], v[118:119], v[116:117], v[120:121] neg_lo:[0,0,1] neg_hi:[0,0,1]
	v_mov_b32_e32 v117, v123
	s_cbranch_execz .LBB55_389
	s_branch .LBB55_390
.LBB55_388:
                                        ; implicit-def: $vgpr116_vgpr117
.LBB55_389:
	ds_load_b64 v[116:117], v1
.LBB55_390:
	s_and_saveexec_b32 s14, s1
	s_cbranch_execz .LBB55_394
; %bb.391:
	v_subrev_nc_u32_e32 v118, 17, v0
	s_movk_i32 s1, 0x88
	s_movk_i32 s16, 0x248
	s_mov_b32 s15, 0
.LBB55_392:                             ; =>This Inner Loop Header: Depth=1
	scratch_load_b64 v[120:121], off, s1
	v_dual_mov_b32 v119, s16 :: v_dual_add_nc_u32 v118, -1, v118
	s_add_co_i32 s16, s16, 8
	s_wait_xcnt 0x0
	s_add_co_i32 s1, s1, 8
	ds_load_b64 v[122:123], v119
	v_cmp_eq_u32_e32 vcc_lo, 0, v118
	s_or_b32 s15, vcc_lo, s15
	s_wait_loadcnt_dscnt 0x0
	v_pk_mul_f32 v[124:125], v[122:123], v[120:121] op_sel:[1,1] op_sel_hi:[0,1]
	s_delay_alu instid0(VALU_DEP_1) | instskip(SKIP_1) | instid1(VALU_DEP_2)
	v_pk_fma_f32 v[126:127], v[122:123], v[120:121], v[124:125] op_sel_hi:[1,0,1]
	v_pk_fma_f32 v[120:121], v[122:123], v[120:121], v[124:125] neg_lo:[0,0,1] neg_hi:[0,0,1]
	v_mov_b32_e32 v121, v127
	s_delay_alu instid0(VALU_DEP_1)
	v_pk_add_f32 v[116:117], v[116:117], v[120:121]
	s_and_not1_b32 exec_lo, exec_lo, s15
	s_cbranch_execnz .LBB55_392
; %bb.393:
	s_or_b32 exec_lo, exec_lo, s15
.LBB55_394:
	s_delay_alu instid0(SALU_CYCLE_1) | instskip(SKIP_4) | instid1(VALU_DEP_1)
	s_or_b32 exec_lo, exec_lo, s14
	v_mov_b32_e32 v118, 0
	ds_load_b64 v[118:119], v118 offset:128
	s_wait_dscnt 0x0
	v_pk_mul_f32 v[120:121], v[116:117], v[118:119] op_sel:[1,1] op_sel_hi:[0,1]
	v_pk_fma_f32 v[122:123], v[116:117], v[118:119], v[120:121] op_sel_hi:[1,0,1]
	v_pk_fma_f32 v[116:117], v[116:117], v[118:119], v[120:121] neg_lo:[0,0,1] neg_hi:[0,0,1]
	s_delay_alu instid0(VALU_DEP_2)
	v_mov_b32_e32 v117, v123
	scratch_store_b64 off, v[116:117], off offset:128
.LBB55_395:
	s_wait_xcnt 0x0
	s_or_b32 exec_lo, exec_lo, s13
	scratch_load_b64 v[116:117], off, off offset:120
	v_cmp_lt_u32_e64 s1, 15, v0
	s_wait_loadcnt 0x0
	ds_store_b64 v1, v[116:117]
	s_wait_storecnt_dscnt 0x0
	s_barrier_signal -1
	s_barrier_wait -1
	s_wait_xcnt 0x0
	s_and_saveexec_b32 s13, s1
	s_cbranch_execz .LBB55_405
; %bb.396:
	s_and_not1_b32 vcc_lo, exec_lo, s3
	s_cbranch_vccnz .LBB55_398
; %bb.397:
	scratch_load_b64 v[116:117], v45, off
	ds_load_b64 v[118:119], v1
	s_wait_loadcnt_dscnt 0x0
	v_pk_mul_f32 v[120:121], v[118:119], v[116:117] op_sel:[1,1] op_sel_hi:[0,1]
	s_delay_alu instid0(VALU_DEP_1) | instskip(SKIP_1) | instid1(VALU_DEP_2)
	v_pk_fma_f32 v[122:123], v[118:119], v[116:117], v[120:121] op_sel_hi:[1,0,1]
	v_pk_fma_f32 v[116:117], v[118:119], v[116:117], v[120:121] neg_lo:[0,0,1] neg_hi:[0,0,1]
	v_mov_b32_e32 v117, v123
	s_cbranch_execz .LBB55_399
	s_branch .LBB55_400
.LBB55_398:
                                        ; implicit-def: $vgpr116_vgpr117
.LBB55_399:
	ds_load_b64 v[116:117], v1
.LBB55_400:
	s_and_saveexec_b32 s14, s0
	s_cbranch_execz .LBB55_404
; %bb.401:
	v_add_nc_u32_e32 v118, -16, v0
	s_movk_i32 s15, 0x240
	s_mov_b32 s0, 0
.LBB55_402:                             ; =>This Inner Loop Header: Depth=1
	scratch_load_b64 v[120:121], off, s12
	v_dual_mov_b32 v119, s15 :: v_dual_add_nc_u32 v118, -1, v118
	s_add_co_i32 s15, s15, 8
	s_wait_xcnt 0x0
	s_add_co_i32 s12, s12, 8
	ds_load_b64 v[122:123], v119
	v_cmp_eq_u32_e32 vcc_lo, 0, v118
	s_or_b32 s0, vcc_lo, s0
	s_wait_loadcnt_dscnt 0x0
	v_pk_mul_f32 v[124:125], v[122:123], v[120:121] op_sel:[1,1] op_sel_hi:[0,1]
	s_delay_alu instid0(VALU_DEP_1) | instskip(SKIP_1) | instid1(VALU_DEP_2)
	v_pk_fma_f32 v[126:127], v[122:123], v[120:121], v[124:125] op_sel_hi:[1,0,1]
	v_pk_fma_f32 v[120:121], v[122:123], v[120:121], v[124:125] neg_lo:[0,0,1] neg_hi:[0,0,1]
	v_mov_b32_e32 v121, v127
	s_delay_alu instid0(VALU_DEP_1)
	v_pk_add_f32 v[116:117], v[116:117], v[120:121]
	s_and_not1_b32 exec_lo, exec_lo, s0
	s_cbranch_execnz .LBB55_402
; %bb.403:
	s_or_b32 exec_lo, exec_lo, s0
.LBB55_404:
	s_delay_alu instid0(SALU_CYCLE_1) | instskip(SKIP_4) | instid1(VALU_DEP_1)
	s_or_b32 exec_lo, exec_lo, s14
	v_mov_b32_e32 v118, 0
	ds_load_b64 v[118:119], v118 offset:120
	s_wait_dscnt 0x0
	v_pk_mul_f32 v[120:121], v[116:117], v[118:119] op_sel:[1,1] op_sel_hi:[0,1]
	v_pk_fma_f32 v[122:123], v[116:117], v[118:119], v[120:121] op_sel_hi:[1,0,1]
	v_pk_fma_f32 v[116:117], v[116:117], v[118:119], v[120:121] neg_lo:[0,0,1] neg_hi:[0,0,1]
	s_delay_alu instid0(VALU_DEP_2)
	v_mov_b32_e32 v117, v123
	scratch_store_b64 off, v[116:117], off offset:120
.LBB55_405:
	s_wait_xcnt 0x0
	s_or_b32 exec_lo, exec_lo, s13
	scratch_load_b64 v[116:117], off, off offset:112
	v_cmp_lt_u32_e64 s0, 14, v0
	s_wait_loadcnt 0x0
	ds_store_b64 v1, v[116:117]
	s_wait_storecnt_dscnt 0x0
	s_barrier_signal -1
	s_barrier_wait -1
	s_wait_xcnt 0x0
	s_and_saveexec_b32 s12, s0
	s_cbranch_execz .LBB55_415
; %bb.406:
	s_and_not1_b32 vcc_lo, exec_lo, s3
	s_cbranch_vccnz .LBB55_408
; %bb.407:
	scratch_load_b64 v[116:117], v45, off
	ds_load_b64 v[118:119], v1
	s_wait_loadcnt_dscnt 0x0
	v_pk_mul_f32 v[120:121], v[118:119], v[116:117] op_sel:[1,1] op_sel_hi:[0,1]
	s_delay_alu instid0(VALU_DEP_1) | instskip(SKIP_1) | instid1(VALU_DEP_2)
	v_pk_fma_f32 v[122:123], v[118:119], v[116:117], v[120:121] op_sel_hi:[1,0,1]
	v_pk_fma_f32 v[116:117], v[118:119], v[116:117], v[120:121] neg_lo:[0,0,1] neg_hi:[0,0,1]
	v_mov_b32_e32 v117, v123
	s_cbranch_execz .LBB55_409
	s_branch .LBB55_410
.LBB55_408:
                                        ; implicit-def: $vgpr116_vgpr117
.LBB55_409:
	ds_load_b64 v[116:117], v1
.LBB55_410:
	s_and_saveexec_b32 s13, s1
	s_cbranch_execz .LBB55_414
; %bb.411:
	v_add_nc_u32_e32 v118, -15, v0
	s_movk_i32 s1, 0x78
	s_movk_i32 s15, 0x238
	s_mov_b32 s14, 0
.LBB55_412:                             ; =>This Inner Loop Header: Depth=1
	scratch_load_b64 v[120:121], off, s1
	v_dual_mov_b32 v119, s15 :: v_dual_add_nc_u32 v118, -1, v118
	s_add_co_i32 s15, s15, 8
	s_wait_xcnt 0x0
	s_add_co_i32 s1, s1, 8
	ds_load_b64 v[122:123], v119
	v_cmp_eq_u32_e32 vcc_lo, 0, v118
	s_or_b32 s14, vcc_lo, s14
	s_wait_loadcnt_dscnt 0x0
	v_pk_mul_f32 v[124:125], v[122:123], v[120:121] op_sel:[1,1] op_sel_hi:[0,1]
	s_delay_alu instid0(VALU_DEP_1) | instskip(SKIP_1) | instid1(VALU_DEP_2)
	v_pk_fma_f32 v[126:127], v[122:123], v[120:121], v[124:125] op_sel_hi:[1,0,1]
	v_pk_fma_f32 v[120:121], v[122:123], v[120:121], v[124:125] neg_lo:[0,0,1] neg_hi:[0,0,1]
	v_mov_b32_e32 v121, v127
	s_delay_alu instid0(VALU_DEP_1)
	v_pk_add_f32 v[116:117], v[116:117], v[120:121]
	s_and_not1_b32 exec_lo, exec_lo, s14
	s_cbranch_execnz .LBB55_412
; %bb.413:
	s_or_b32 exec_lo, exec_lo, s14
.LBB55_414:
	s_delay_alu instid0(SALU_CYCLE_1) | instskip(SKIP_4) | instid1(VALU_DEP_1)
	s_or_b32 exec_lo, exec_lo, s13
	v_mov_b32_e32 v118, 0
	ds_load_b64 v[118:119], v118 offset:112
	s_wait_dscnt 0x0
	v_pk_mul_f32 v[120:121], v[116:117], v[118:119] op_sel:[1,1] op_sel_hi:[0,1]
	v_pk_fma_f32 v[122:123], v[116:117], v[118:119], v[120:121] op_sel_hi:[1,0,1]
	v_pk_fma_f32 v[116:117], v[116:117], v[118:119], v[120:121] neg_lo:[0,0,1] neg_hi:[0,0,1]
	s_delay_alu instid0(VALU_DEP_2)
	v_mov_b32_e32 v117, v123
	scratch_store_b64 off, v[116:117], off offset:112
.LBB55_415:
	s_wait_xcnt 0x0
	s_or_b32 exec_lo, exec_lo, s12
	scratch_load_b64 v[116:117], off, off offset:104
	v_cmp_lt_u32_e64 s1, 13, v0
	s_wait_loadcnt 0x0
	ds_store_b64 v1, v[116:117]
	s_wait_storecnt_dscnt 0x0
	s_barrier_signal -1
	s_barrier_wait -1
	s_wait_xcnt 0x0
	s_and_saveexec_b32 s12, s1
	s_cbranch_execz .LBB55_425
; %bb.416:
	s_and_not1_b32 vcc_lo, exec_lo, s3
	s_cbranch_vccnz .LBB55_418
; %bb.417:
	scratch_load_b64 v[116:117], v45, off
	ds_load_b64 v[118:119], v1
	s_wait_loadcnt_dscnt 0x0
	v_pk_mul_f32 v[120:121], v[118:119], v[116:117] op_sel:[1,1] op_sel_hi:[0,1]
	s_delay_alu instid0(VALU_DEP_1) | instskip(SKIP_1) | instid1(VALU_DEP_2)
	v_pk_fma_f32 v[122:123], v[118:119], v[116:117], v[120:121] op_sel_hi:[1,0,1]
	v_pk_fma_f32 v[116:117], v[118:119], v[116:117], v[120:121] neg_lo:[0,0,1] neg_hi:[0,0,1]
	v_mov_b32_e32 v117, v123
	s_cbranch_execz .LBB55_419
	s_branch .LBB55_420
.LBB55_418:
                                        ; implicit-def: $vgpr116_vgpr117
.LBB55_419:
	ds_load_b64 v[116:117], v1
.LBB55_420:
	s_and_saveexec_b32 s13, s0
	s_cbranch_execz .LBB55_424
; %bb.421:
	v_add_nc_u32_e32 v118, -14, v0
	s_movk_i32 s14, 0x230
	s_mov_b32 s0, 0
.LBB55_422:                             ; =>This Inner Loop Header: Depth=1
	scratch_load_b64 v[120:121], off, s11
	v_dual_mov_b32 v119, s14 :: v_dual_add_nc_u32 v118, -1, v118
	s_add_co_i32 s14, s14, 8
	s_wait_xcnt 0x0
	s_add_co_i32 s11, s11, 8
	ds_load_b64 v[122:123], v119
	v_cmp_eq_u32_e32 vcc_lo, 0, v118
	s_or_b32 s0, vcc_lo, s0
	s_wait_loadcnt_dscnt 0x0
	v_pk_mul_f32 v[124:125], v[122:123], v[120:121] op_sel:[1,1] op_sel_hi:[0,1]
	s_delay_alu instid0(VALU_DEP_1) | instskip(SKIP_1) | instid1(VALU_DEP_2)
	v_pk_fma_f32 v[126:127], v[122:123], v[120:121], v[124:125] op_sel_hi:[1,0,1]
	v_pk_fma_f32 v[120:121], v[122:123], v[120:121], v[124:125] neg_lo:[0,0,1] neg_hi:[0,0,1]
	v_mov_b32_e32 v121, v127
	s_delay_alu instid0(VALU_DEP_1)
	v_pk_add_f32 v[116:117], v[116:117], v[120:121]
	s_and_not1_b32 exec_lo, exec_lo, s0
	s_cbranch_execnz .LBB55_422
; %bb.423:
	s_or_b32 exec_lo, exec_lo, s0
.LBB55_424:
	s_delay_alu instid0(SALU_CYCLE_1) | instskip(SKIP_4) | instid1(VALU_DEP_1)
	s_or_b32 exec_lo, exec_lo, s13
	v_mov_b32_e32 v118, 0
	ds_load_b64 v[118:119], v118 offset:104
	s_wait_dscnt 0x0
	v_pk_mul_f32 v[120:121], v[116:117], v[118:119] op_sel:[1,1] op_sel_hi:[0,1]
	v_pk_fma_f32 v[122:123], v[116:117], v[118:119], v[120:121] op_sel_hi:[1,0,1]
	v_pk_fma_f32 v[116:117], v[116:117], v[118:119], v[120:121] neg_lo:[0,0,1] neg_hi:[0,0,1]
	s_delay_alu instid0(VALU_DEP_2)
	v_mov_b32_e32 v117, v123
	scratch_store_b64 off, v[116:117], off offset:104
.LBB55_425:
	s_wait_xcnt 0x0
	s_or_b32 exec_lo, exec_lo, s12
	scratch_load_b64 v[116:117], off, off offset:96
	v_cmp_lt_u32_e64 s0, 12, v0
	s_wait_loadcnt 0x0
	ds_store_b64 v1, v[116:117]
	s_wait_storecnt_dscnt 0x0
	s_barrier_signal -1
	s_barrier_wait -1
	s_wait_xcnt 0x0
	s_and_saveexec_b32 s11, s0
	s_cbranch_execz .LBB55_435
; %bb.426:
	s_and_not1_b32 vcc_lo, exec_lo, s3
	s_cbranch_vccnz .LBB55_428
; %bb.427:
	scratch_load_b64 v[116:117], v45, off
	ds_load_b64 v[118:119], v1
	s_wait_loadcnt_dscnt 0x0
	v_pk_mul_f32 v[120:121], v[118:119], v[116:117] op_sel:[1,1] op_sel_hi:[0,1]
	s_delay_alu instid0(VALU_DEP_1) | instskip(SKIP_1) | instid1(VALU_DEP_2)
	v_pk_fma_f32 v[122:123], v[118:119], v[116:117], v[120:121] op_sel_hi:[1,0,1]
	v_pk_fma_f32 v[116:117], v[118:119], v[116:117], v[120:121] neg_lo:[0,0,1] neg_hi:[0,0,1]
	v_mov_b32_e32 v117, v123
	s_cbranch_execz .LBB55_429
	s_branch .LBB55_430
.LBB55_428:
                                        ; implicit-def: $vgpr116_vgpr117
.LBB55_429:
	ds_load_b64 v[116:117], v1
.LBB55_430:
	s_and_saveexec_b32 s12, s1
	s_cbranch_execz .LBB55_434
; %bb.431:
	v_add_nc_u32_e32 v118, -13, v0
	s_movk_i32 s1, 0x68
	s_movk_i32 s14, 0x228
	s_mov_b32 s13, 0
.LBB55_432:                             ; =>This Inner Loop Header: Depth=1
	scratch_load_b64 v[120:121], off, s1
	v_dual_mov_b32 v119, s14 :: v_dual_add_nc_u32 v118, -1, v118
	s_add_co_i32 s14, s14, 8
	s_wait_xcnt 0x0
	s_add_co_i32 s1, s1, 8
	ds_load_b64 v[122:123], v119
	v_cmp_eq_u32_e32 vcc_lo, 0, v118
	s_or_b32 s13, vcc_lo, s13
	s_wait_loadcnt_dscnt 0x0
	v_pk_mul_f32 v[124:125], v[122:123], v[120:121] op_sel:[1,1] op_sel_hi:[0,1]
	s_delay_alu instid0(VALU_DEP_1) | instskip(SKIP_1) | instid1(VALU_DEP_2)
	v_pk_fma_f32 v[126:127], v[122:123], v[120:121], v[124:125] op_sel_hi:[1,0,1]
	v_pk_fma_f32 v[120:121], v[122:123], v[120:121], v[124:125] neg_lo:[0,0,1] neg_hi:[0,0,1]
	v_mov_b32_e32 v121, v127
	s_delay_alu instid0(VALU_DEP_1)
	v_pk_add_f32 v[116:117], v[116:117], v[120:121]
	s_and_not1_b32 exec_lo, exec_lo, s13
	s_cbranch_execnz .LBB55_432
; %bb.433:
	s_or_b32 exec_lo, exec_lo, s13
.LBB55_434:
	s_delay_alu instid0(SALU_CYCLE_1) | instskip(SKIP_4) | instid1(VALU_DEP_1)
	s_or_b32 exec_lo, exec_lo, s12
	v_mov_b32_e32 v118, 0
	ds_load_b64 v[118:119], v118 offset:96
	s_wait_dscnt 0x0
	v_pk_mul_f32 v[120:121], v[116:117], v[118:119] op_sel:[1,1] op_sel_hi:[0,1]
	v_pk_fma_f32 v[122:123], v[116:117], v[118:119], v[120:121] op_sel_hi:[1,0,1]
	v_pk_fma_f32 v[116:117], v[116:117], v[118:119], v[120:121] neg_lo:[0,0,1] neg_hi:[0,0,1]
	s_delay_alu instid0(VALU_DEP_2)
	v_mov_b32_e32 v117, v123
	scratch_store_b64 off, v[116:117], off offset:96
.LBB55_435:
	s_wait_xcnt 0x0
	s_or_b32 exec_lo, exec_lo, s11
	scratch_load_b64 v[116:117], off, off offset:88
	v_cmp_lt_u32_e64 s1, 11, v0
	s_wait_loadcnt 0x0
	ds_store_b64 v1, v[116:117]
	s_wait_storecnt_dscnt 0x0
	s_barrier_signal -1
	s_barrier_wait -1
	s_wait_xcnt 0x0
	s_and_saveexec_b32 s11, s1
	s_cbranch_execz .LBB55_445
; %bb.436:
	s_and_not1_b32 vcc_lo, exec_lo, s3
	s_cbranch_vccnz .LBB55_438
; %bb.437:
	scratch_load_b64 v[116:117], v45, off
	ds_load_b64 v[118:119], v1
	s_wait_loadcnt_dscnt 0x0
	v_pk_mul_f32 v[120:121], v[118:119], v[116:117] op_sel:[1,1] op_sel_hi:[0,1]
	s_delay_alu instid0(VALU_DEP_1) | instskip(SKIP_1) | instid1(VALU_DEP_2)
	v_pk_fma_f32 v[122:123], v[118:119], v[116:117], v[120:121] op_sel_hi:[1,0,1]
	v_pk_fma_f32 v[116:117], v[118:119], v[116:117], v[120:121] neg_lo:[0,0,1] neg_hi:[0,0,1]
	v_mov_b32_e32 v117, v123
	s_cbranch_execz .LBB55_439
	s_branch .LBB55_440
.LBB55_438:
                                        ; implicit-def: $vgpr116_vgpr117
.LBB55_439:
	ds_load_b64 v[116:117], v1
.LBB55_440:
	s_and_saveexec_b32 s12, s0
	s_cbranch_execz .LBB55_444
; %bb.441:
	v_add_nc_u32_e32 v118, -12, v0
	s_movk_i32 s13, 0x220
	s_mov_b32 s0, 0
.LBB55_442:                             ; =>This Inner Loop Header: Depth=1
	scratch_load_b64 v[120:121], off, s10
	v_dual_mov_b32 v119, s13 :: v_dual_add_nc_u32 v118, -1, v118
	s_add_co_i32 s13, s13, 8
	s_wait_xcnt 0x0
	s_add_co_i32 s10, s10, 8
	ds_load_b64 v[122:123], v119
	v_cmp_eq_u32_e32 vcc_lo, 0, v118
	s_or_b32 s0, vcc_lo, s0
	s_wait_loadcnt_dscnt 0x0
	v_pk_mul_f32 v[124:125], v[122:123], v[120:121] op_sel:[1,1] op_sel_hi:[0,1]
	s_delay_alu instid0(VALU_DEP_1) | instskip(SKIP_1) | instid1(VALU_DEP_2)
	v_pk_fma_f32 v[126:127], v[122:123], v[120:121], v[124:125] op_sel_hi:[1,0,1]
	v_pk_fma_f32 v[120:121], v[122:123], v[120:121], v[124:125] neg_lo:[0,0,1] neg_hi:[0,0,1]
	v_mov_b32_e32 v121, v127
	s_delay_alu instid0(VALU_DEP_1)
	v_pk_add_f32 v[116:117], v[116:117], v[120:121]
	s_and_not1_b32 exec_lo, exec_lo, s0
	s_cbranch_execnz .LBB55_442
; %bb.443:
	s_or_b32 exec_lo, exec_lo, s0
.LBB55_444:
	s_delay_alu instid0(SALU_CYCLE_1) | instskip(SKIP_4) | instid1(VALU_DEP_1)
	s_or_b32 exec_lo, exec_lo, s12
	v_mov_b32_e32 v118, 0
	ds_load_b64 v[118:119], v118 offset:88
	s_wait_dscnt 0x0
	v_pk_mul_f32 v[120:121], v[116:117], v[118:119] op_sel:[1,1] op_sel_hi:[0,1]
	v_pk_fma_f32 v[122:123], v[116:117], v[118:119], v[120:121] op_sel_hi:[1,0,1]
	v_pk_fma_f32 v[116:117], v[116:117], v[118:119], v[120:121] neg_lo:[0,0,1] neg_hi:[0,0,1]
	s_delay_alu instid0(VALU_DEP_2)
	v_mov_b32_e32 v117, v123
	scratch_store_b64 off, v[116:117], off offset:88
.LBB55_445:
	s_wait_xcnt 0x0
	s_or_b32 exec_lo, exec_lo, s11
	scratch_load_b64 v[116:117], off, off offset:80
	v_cmp_lt_u32_e64 s0, 10, v0
	s_wait_loadcnt 0x0
	ds_store_b64 v1, v[116:117]
	s_wait_storecnt_dscnt 0x0
	s_barrier_signal -1
	s_barrier_wait -1
	s_wait_xcnt 0x0
	s_and_saveexec_b32 s10, s0
	s_cbranch_execz .LBB55_455
; %bb.446:
	s_and_not1_b32 vcc_lo, exec_lo, s3
	s_cbranch_vccnz .LBB55_448
; %bb.447:
	scratch_load_b64 v[116:117], v45, off
	ds_load_b64 v[118:119], v1
	s_wait_loadcnt_dscnt 0x0
	v_pk_mul_f32 v[120:121], v[118:119], v[116:117] op_sel:[1,1] op_sel_hi:[0,1]
	s_delay_alu instid0(VALU_DEP_1) | instskip(SKIP_1) | instid1(VALU_DEP_2)
	v_pk_fma_f32 v[122:123], v[118:119], v[116:117], v[120:121] op_sel_hi:[1,0,1]
	v_pk_fma_f32 v[116:117], v[118:119], v[116:117], v[120:121] neg_lo:[0,0,1] neg_hi:[0,0,1]
	v_mov_b32_e32 v117, v123
	s_cbranch_execz .LBB55_449
	s_branch .LBB55_450
.LBB55_448:
                                        ; implicit-def: $vgpr116_vgpr117
.LBB55_449:
	ds_load_b64 v[116:117], v1
.LBB55_450:
	s_and_saveexec_b32 s11, s1
	s_cbranch_execz .LBB55_454
; %bb.451:
	v_add_nc_u32_e32 v118, -11, v0
	s_movk_i32 s1, 0x58
	s_movk_i32 s13, 0x218
	s_mov_b32 s12, 0
.LBB55_452:                             ; =>This Inner Loop Header: Depth=1
	scratch_load_b64 v[120:121], off, s1
	v_dual_mov_b32 v119, s13 :: v_dual_add_nc_u32 v118, -1, v118
	s_add_co_i32 s13, s13, 8
	s_wait_xcnt 0x0
	s_add_co_i32 s1, s1, 8
	ds_load_b64 v[122:123], v119
	v_cmp_eq_u32_e32 vcc_lo, 0, v118
	s_or_b32 s12, vcc_lo, s12
	s_wait_loadcnt_dscnt 0x0
	v_pk_mul_f32 v[124:125], v[122:123], v[120:121] op_sel:[1,1] op_sel_hi:[0,1]
	s_delay_alu instid0(VALU_DEP_1) | instskip(SKIP_1) | instid1(VALU_DEP_2)
	v_pk_fma_f32 v[126:127], v[122:123], v[120:121], v[124:125] op_sel_hi:[1,0,1]
	v_pk_fma_f32 v[120:121], v[122:123], v[120:121], v[124:125] neg_lo:[0,0,1] neg_hi:[0,0,1]
	v_mov_b32_e32 v121, v127
	s_delay_alu instid0(VALU_DEP_1)
	v_pk_add_f32 v[116:117], v[116:117], v[120:121]
	s_and_not1_b32 exec_lo, exec_lo, s12
	s_cbranch_execnz .LBB55_452
; %bb.453:
	s_or_b32 exec_lo, exec_lo, s12
.LBB55_454:
	s_delay_alu instid0(SALU_CYCLE_1) | instskip(SKIP_4) | instid1(VALU_DEP_1)
	s_or_b32 exec_lo, exec_lo, s11
	v_mov_b32_e32 v118, 0
	ds_load_b64 v[118:119], v118 offset:80
	s_wait_dscnt 0x0
	v_pk_mul_f32 v[120:121], v[116:117], v[118:119] op_sel:[1,1] op_sel_hi:[0,1]
	v_pk_fma_f32 v[122:123], v[116:117], v[118:119], v[120:121] op_sel_hi:[1,0,1]
	v_pk_fma_f32 v[116:117], v[116:117], v[118:119], v[120:121] neg_lo:[0,0,1] neg_hi:[0,0,1]
	s_delay_alu instid0(VALU_DEP_2)
	v_mov_b32_e32 v117, v123
	scratch_store_b64 off, v[116:117], off offset:80
.LBB55_455:
	s_wait_xcnt 0x0
	s_or_b32 exec_lo, exec_lo, s10
	scratch_load_b64 v[116:117], off, off offset:72
	v_cmp_lt_u32_e64 s1, 9, v0
	s_wait_loadcnt 0x0
	ds_store_b64 v1, v[116:117]
	s_wait_storecnt_dscnt 0x0
	s_barrier_signal -1
	s_barrier_wait -1
	s_wait_xcnt 0x0
	s_and_saveexec_b32 s10, s1
	s_cbranch_execz .LBB55_465
; %bb.456:
	s_and_not1_b32 vcc_lo, exec_lo, s3
	s_cbranch_vccnz .LBB55_458
; %bb.457:
	scratch_load_b64 v[116:117], v45, off
	ds_load_b64 v[118:119], v1
	s_wait_loadcnt_dscnt 0x0
	v_pk_mul_f32 v[120:121], v[118:119], v[116:117] op_sel:[1,1] op_sel_hi:[0,1]
	s_delay_alu instid0(VALU_DEP_1) | instskip(SKIP_1) | instid1(VALU_DEP_2)
	v_pk_fma_f32 v[122:123], v[118:119], v[116:117], v[120:121] op_sel_hi:[1,0,1]
	v_pk_fma_f32 v[116:117], v[118:119], v[116:117], v[120:121] neg_lo:[0,0,1] neg_hi:[0,0,1]
	v_mov_b32_e32 v117, v123
	s_cbranch_execz .LBB55_459
	s_branch .LBB55_460
.LBB55_458:
                                        ; implicit-def: $vgpr116_vgpr117
.LBB55_459:
	ds_load_b64 v[116:117], v1
.LBB55_460:
	s_and_saveexec_b32 s11, s0
	s_cbranch_execz .LBB55_464
; %bb.461:
	v_add_nc_u32_e32 v118, -10, v0
	s_movk_i32 s12, 0x210
	s_mov_b32 s0, 0
.LBB55_462:                             ; =>This Inner Loop Header: Depth=1
	scratch_load_b64 v[120:121], off, s9
	v_dual_mov_b32 v119, s12 :: v_dual_add_nc_u32 v118, -1, v118
	s_add_co_i32 s12, s12, 8
	s_wait_xcnt 0x0
	s_add_co_i32 s9, s9, 8
	ds_load_b64 v[122:123], v119
	v_cmp_eq_u32_e32 vcc_lo, 0, v118
	s_or_b32 s0, vcc_lo, s0
	s_wait_loadcnt_dscnt 0x0
	v_pk_mul_f32 v[124:125], v[122:123], v[120:121] op_sel:[1,1] op_sel_hi:[0,1]
	s_delay_alu instid0(VALU_DEP_1) | instskip(SKIP_1) | instid1(VALU_DEP_2)
	v_pk_fma_f32 v[126:127], v[122:123], v[120:121], v[124:125] op_sel_hi:[1,0,1]
	v_pk_fma_f32 v[120:121], v[122:123], v[120:121], v[124:125] neg_lo:[0,0,1] neg_hi:[0,0,1]
	v_mov_b32_e32 v121, v127
	s_delay_alu instid0(VALU_DEP_1)
	v_pk_add_f32 v[116:117], v[116:117], v[120:121]
	s_and_not1_b32 exec_lo, exec_lo, s0
	s_cbranch_execnz .LBB55_462
; %bb.463:
	s_or_b32 exec_lo, exec_lo, s0
.LBB55_464:
	s_delay_alu instid0(SALU_CYCLE_1) | instskip(SKIP_4) | instid1(VALU_DEP_1)
	s_or_b32 exec_lo, exec_lo, s11
	v_mov_b32_e32 v118, 0
	ds_load_b64 v[118:119], v118 offset:72
	s_wait_dscnt 0x0
	v_pk_mul_f32 v[120:121], v[116:117], v[118:119] op_sel:[1,1] op_sel_hi:[0,1]
	v_pk_fma_f32 v[122:123], v[116:117], v[118:119], v[120:121] op_sel_hi:[1,0,1]
	v_pk_fma_f32 v[116:117], v[116:117], v[118:119], v[120:121] neg_lo:[0,0,1] neg_hi:[0,0,1]
	s_delay_alu instid0(VALU_DEP_2)
	v_mov_b32_e32 v117, v123
	scratch_store_b64 off, v[116:117], off offset:72
.LBB55_465:
	s_wait_xcnt 0x0
	s_or_b32 exec_lo, exec_lo, s10
	scratch_load_b64 v[116:117], off, off offset:64
	v_cmp_lt_u32_e64 s0, 8, v0
	s_wait_loadcnt 0x0
	ds_store_b64 v1, v[116:117]
	s_wait_storecnt_dscnt 0x0
	s_barrier_signal -1
	s_barrier_wait -1
	s_wait_xcnt 0x0
	s_and_saveexec_b32 s9, s0
	s_cbranch_execz .LBB55_475
; %bb.466:
	s_and_not1_b32 vcc_lo, exec_lo, s3
	s_cbranch_vccnz .LBB55_468
; %bb.467:
	scratch_load_b64 v[116:117], v45, off
	ds_load_b64 v[118:119], v1
	s_wait_loadcnt_dscnt 0x0
	v_pk_mul_f32 v[120:121], v[118:119], v[116:117] op_sel:[1,1] op_sel_hi:[0,1]
	s_delay_alu instid0(VALU_DEP_1) | instskip(SKIP_1) | instid1(VALU_DEP_2)
	v_pk_fma_f32 v[122:123], v[118:119], v[116:117], v[120:121] op_sel_hi:[1,0,1]
	v_pk_fma_f32 v[116:117], v[118:119], v[116:117], v[120:121] neg_lo:[0,0,1] neg_hi:[0,0,1]
	v_mov_b32_e32 v117, v123
	s_cbranch_execz .LBB55_469
	s_branch .LBB55_470
.LBB55_468:
                                        ; implicit-def: $vgpr116_vgpr117
.LBB55_469:
	ds_load_b64 v[116:117], v1
.LBB55_470:
	s_and_saveexec_b32 s10, s1
	s_cbranch_execz .LBB55_474
; %bb.471:
	v_add_nc_u32_e32 v118, -9, v0
	s_movk_i32 s1, 0x48
	s_movk_i32 s12, 0x208
	s_mov_b32 s11, 0
.LBB55_472:                             ; =>This Inner Loop Header: Depth=1
	scratch_load_b64 v[120:121], off, s1
	v_dual_mov_b32 v119, s12 :: v_dual_add_nc_u32 v118, -1, v118
	s_add_co_i32 s12, s12, 8
	s_wait_xcnt 0x0
	s_add_co_i32 s1, s1, 8
	ds_load_b64 v[122:123], v119
	v_cmp_eq_u32_e32 vcc_lo, 0, v118
	s_or_b32 s11, vcc_lo, s11
	s_wait_loadcnt_dscnt 0x0
	v_pk_mul_f32 v[124:125], v[122:123], v[120:121] op_sel:[1,1] op_sel_hi:[0,1]
	s_delay_alu instid0(VALU_DEP_1) | instskip(SKIP_1) | instid1(VALU_DEP_2)
	v_pk_fma_f32 v[126:127], v[122:123], v[120:121], v[124:125] op_sel_hi:[1,0,1]
	v_pk_fma_f32 v[120:121], v[122:123], v[120:121], v[124:125] neg_lo:[0,0,1] neg_hi:[0,0,1]
	v_mov_b32_e32 v121, v127
	s_delay_alu instid0(VALU_DEP_1)
	v_pk_add_f32 v[116:117], v[116:117], v[120:121]
	s_and_not1_b32 exec_lo, exec_lo, s11
	s_cbranch_execnz .LBB55_472
; %bb.473:
	s_or_b32 exec_lo, exec_lo, s11
.LBB55_474:
	s_delay_alu instid0(SALU_CYCLE_1) | instskip(SKIP_4) | instid1(VALU_DEP_1)
	s_or_b32 exec_lo, exec_lo, s10
	v_mov_b32_e32 v118, 0
	ds_load_b64 v[118:119], v118 offset:64
	s_wait_dscnt 0x0
	v_pk_mul_f32 v[120:121], v[116:117], v[118:119] op_sel:[1,1] op_sel_hi:[0,1]
	v_pk_fma_f32 v[122:123], v[116:117], v[118:119], v[120:121] op_sel_hi:[1,0,1]
	v_pk_fma_f32 v[116:117], v[116:117], v[118:119], v[120:121] neg_lo:[0,0,1] neg_hi:[0,0,1]
	s_delay_alu instid0(VALU_DEP_2)
	v_mov_b32_e32 v117, v123
	scratch_store_b64 off, v[116:117], off offset:64
.LBB55_475:
	s_wait_xcnt 0x0
	s_or_b32 exec_lo, exec_lo, s9
	scratch_load_b64 v[116:117], off, off offset:56
	v_cmp_lt_u32_e64 s1, 7, v0
	s_wait_loadcnt 0x0
	ds_store_b64 v1, v[116:117]
	s_wait_storecnt_dscnt 0x0
	s_barrier_signal -1
	s_barrier_wait -1
	s_wait_xcnt 0x0
	s_and_saveexec_b32 s9, s1
	s_cbranch_execz .LBB55_485
; %bb.476:
	s_and_not1_b32 vcc_lo, exec_lo, s3
	s_cbranch_vccnz .LBB55_478
; %bb.477:
	scratch_load_b64 v[116:117], v45, off
	ds_load_b64 v[118:119], v1
	s_wait_loadcnt_dscnt 0x0
	v_pk_mul_f32 v[120:121], v[118:119], v[116:117] op_sel:[1,1] op_sel_hi:[0,1]
	s_delay_alu instid0(VALU_DEP_1) | instskip(SKIP_1) | instid1(VALU_DEP_2)
	v_pk_fma_f32 v[122:123], v[118:119], v[116:117], v[120:121] op_sel_hi:[1,0,1]
	v_pk_fma_f32 v[116:117], v[118:119], v[116:117], v[120:121] neg_lo:[0,0,1] neg_hi:[0,0,1]
	v_mov_b32_e32 v117, v123
	s_cbranch_execz .LBB55_479
	s_branch .LBB55_480
.LBB55_478:
                                        ; implicit-def: $vgpr116_vgpr117
.LBB55_479:
	ds_load_b64 v[116:117], v1
.LBB55_480:
	s_and_saveexec_b32 s10, s0
	s_cbranch_execz .LBB55_484
; %bb.481:
	v_add_nc_u32_e32 v118, -8, v0
	s_movk_i32 s11, 0x200
	s_mov_b32 s0, 0
.LBB55_482:                             ; =>This Inner Loop Header: Depth=1
	scratch_load_b64 v[120:121], off, s8
	v_dual_mov_b32 v119, s11 :: v_dual_add_nc_u32 v118, -1, v118
	s_add_co_i32 s11, s11, 8
	s_wait_xcnt 0x0
	s_add_co_i32 s8, s8, 8
	ds_load_b64 v[122:123], v119
	v_cmp_eq_u32_e32 vcc_lo, 0, v118
	s_or_b32 s0, vcc_lo, s0
	s_wait_loadcnt_dscnt 0x0
	v_pk_mul_f32 v[124:125], v[122:123], v[120:121] op_sel:[1,1] op_sel_hi:[0,1]
	s_delay_alu instid0(VALU_DEP_1) | instskip(SKIP_1) | instid1(VALU_DEP_2)
	v_pk_fma_f32 v[126:127], v[122:123], v[120:121], v[124:125] op_sel_hi:[1,0,1]
	v_pk_fma_f32 v[120:121], v[122:123], v[120:121], v[124:125] neg_lo:[0,0,1] neg_hi:[0,0,1]
	v_mov_b32_e32 v121, v127
	s_delay_alu instid0(VALU_DEP_1)
	v_pk_add_f32 v[116:117], v[116:117], v[120:121]
	s_and_not1_b32 exec_lo, exec_lo, s0
	s_cbranch_execnz .LBB55_482
; %bb.483:
	s_or_b32 exec_lo, exec_lo, s0
.LBB55_484:
	s_delay_alu instid0(SALU_CYCLE_1) | instskip(SKIP_4) | instid1(VALU_DEP_1)
	s_or_b32 exec_lo, exec_lo, s10
	v_mov_b32_e32 v118, 0
	ds_load_b64 v[118:119], v118 offset:56
	s_wait_dscnt 0x0
	v_pk_mul_f32 v[120:121], v[116:117], v[118:119] op_sel:[1,1] op_sel_hi:[0,1]
	v_pk_fma_f32 v[122:123], v[116:117], v[118:119], v[120:121] op_sel_hi:[1,0,1]
	v_pk_fma_f32 v[116:117], v[116:117], v[118:119], v[120:121] neg_lo:[0,0,1] neg_hi:[0,0,1]
	s_delay_alu instid0(VALU_DEP_2)
	v_mov_b32_e32 v117, v123
	scratch_store_b64 off, v[116:117], off offset:56
.LBB55_485:
	s_wait_xcnt 0x0
	s_or_b32 exec_lo, exec_lo, s9
	scratch_load_b64 v[116:117], off, off offset:48
	v_cmp_lt_u32_e64 s0, 6, v0
	s_wait_loadcnt 0x0
	ds_store_b64 v1, v[116:117]
	s_wait_storecnt_dscnt 0x0
	s_barrier_signal -1
	s_barrier_wait -1
	s_wait_xcnt 0x0
	s_and_saveexec_b32 s8, s0
	s_cbranch_execz .LBB55_495
; %bb.486:
	s_and_not1_b32 vcc_lo, exec_lo, s3
	s_cbranch_vccnz .LBB55_488
; %bb.487:
	scratch_load_b64 v[116:117], v45, off
	ds_load_b64 v[118:119], v1
	s_wait_loadcnt_dscnt 0x0
	v_pk_mul_f32 v[120:121], v[118:119], v[116:117] op_sel:[1,1] op_sel_hi:[0,1]
	s_delay_alu instid0(VALU_DEP_1) | instskip(SKIP_1) | instid1(VALU_DEP_2)
	v_pk_fma_f32 v[122:123], v[118:119], v[116:117], v[120:121] op_sel_hi:[1,0,1]
	v_pk_fma_f32 v[116:117], v[118:119], v[116:117], v[120:121] neg_lo:[0,0,1] neg_hi:[0,0,1]
	v_mov_b32_e32 v117, v123
	s_cbranch_execz .LBB55_489
	s_branch .LBB55_490
.LBB55_488:
                                        ; implicit-def: $vgpr116_vgpr117
.LBB55_489:
	ds_load_b64 v[116:117], v1
.LBB55_490:
	s_and_saveexec_b32 s9, s1
	s_cbranch_execz .LBB55_494
; %bb.491:
	v_add_nc_u32_e32 v118, -7, v0
	s_mov_b32 s1, 56
	s_movk_i32 s11, 0x1f8
	s_mov_b32 s10, 0
.LBB55_492:                             ; =>This Inner Loop Header: Depth=1
	scratch_load_b64 v[120:121], off, s1
	v_dual_mov_b32 v119, s11 :: v_dual_add_nc_u32 v118, -1, v118
	s_add_co_i32 s11, s11, 8
	s_wait_xcnt 0x0
	s_add_co_i32 s1, s1, 8
	ds_load_b64 v[122:123], v119
	v_cmp_eq_u32_e32 vcc_lo, 0, v118
	s_or_b32 s10, vcc_lo, s10
	s_wait_loadcnt_dscnt 0x0
	v_pk_mul_f32 v[124:125], v[122:123], v[120:121] op_sel:[1,1] op_sel_hi:[0,1]
	s_delay_alu instid0(VALU_DEP_1) | instskip(SKIP_1) | instid1(VALU_DEP_2)
	v_pk_fma_f32 v[126:127], v[122:123], v[120:121], v[124:125] op_sel_hi:[1,0,1]
	v_pk_fma_f32 v[120:121], v[122:123], v[120:121], v[124:125] neg_lo:[0,0,1] neg_hi:[0,0,1]
	v_mov_b32_e32 v121, v127
	s_delay_alu instid0(VALU_DEP_1)
	v_pk_add_f32 v[116:117], v[116:117], v[120:121]
	s_and_not1_b32 exec_lo, exec_lo, s10
	s_cbranch_execnz .LBB55_492
; %bb.493:
	s_or_b32 exec_lo, exec_lo, s10
.LBB55_494:
	s_delay_alu instid0(SALU_CYCLE_1) | instskip(SKIP_4) | instid1(VALU_DEP_1)
	s_or_b32 exec_lo, exec_lo, s9
	v_mov_b32_e32 v118, 0
	ds_load_b64 v[118:119], v118 offset:48
	s_wait_dscnt 0x0
	v_pk_mul_f32 v[120:121], v[116:117], v[118:119] op_sel:[1,1] op_sel_hi:[0,1]
	v_pk_fma_f32 v[122:123], v[116:117], v[118:119], v[120:121] op_sel_hi:[1,0,1]
	v_pk_fma_f32 v[116:117], v[116:117], v[118:119], v[120:121] neg_lo:[0,0,1] neg_hi:[0,0,1]
	s_delay_alu instid0(VALU_DEP_2)
	v_mov_b32_e32 v117, v123
	scratch_store_b64 off, v[116:117], off offset:48
.LBB55_495:
	s_wait_xcnt 0x0
	s_or_b32 exec_lo, exec_lo, s8
	scratch_load_b64 v[116:117], off, off offset:40
	v_cmp_lt_u32_e64 s1, 5, v0
	s_wait_loadcnt 0x0
	ds_store_b64 v1, v[116:117]
	s_wait_storecnt_dscnt 0x0
	s_barrier_signal -1
	s_barrier_wait -1
	s_wait_xcnt 0x0
	s_and_saveexec_b32 s8, s1
	s_cbranch_execz .LBB55_505
; %bb.496:
	s_and_not1_b32 vcc_lo, exec_lo, s3
	s_cbranch_vccnz .LBB55_498
; %bb.497:
	scratch_load_b64 v[116:117], v45, off
	ds_load_b64 v[118:119], v1
	s_wait_loadcnt_dscnt 0x0
	v_pk_mul_f32 v[120:121], v[118:119], v[116:117] op_sel:[1,1] op_sel_hi:[0,1]
	s_delay_alu instid0(VALU_DEP_1) | instskip(SKIP_1) | instid1(VALU_DEP_2)
	v_pk_fma_f32 v[122:123], v[118:119], v[116:117], v[120:121] op_sel_hi:[1,0,1]
	v_pk_fma_f32 v[116:117], v[118:119], v[116:117], v[120:121] neg_lo:[0,0,1] neg_hi:[0,0,1]
	v_mov_b32_e32 v117, v123
	s_cbranch_execz .LBB55_499
	s_branch .LBB55_500
.LBB55_498:
                                        ; implicit-def: $vgpr116_vgpr117
.LBB55_499:
	ds_load_b64 v[116:117], v1
.LBB55_500:
	s_and_saveexec_b32 s9, s0
	s_cbranch_execz .LBB55_504
; %bb.501:
	v_add_nc_u32_e32 v118, -6, v0
	s_movk_i32 s10, 0x1f0
	s_mov_b32 s0, 0
.LBB55_502:                             ; =>This Inner Loop Header: Depth=1
	scratch_load_b64 v[120:121], off, s2
	v_dual_mov_b32 v119, s10 :: v_dual_add_nc_u32 v118, -1, v118
	s_add_co_i32 s10, s10, 8
	s_wait_xcnt 0x0
	s_add_co_i32 s2, s2, 8
	ds_load_b64 v[122:123], v119
	v_cmp_eq_u32_e32 vcc_lo, 0, v118
	s_or_b32 s0, vcc_lo, s0
	s_wait_loadcnt_dscnt 0x0
	v_pk_mul_f32 v[124:125], v[122:123], v[120:121] op_sel:[1,1] op_sel_hi:[0,1]
	s_delay_alu instid0(VALU_DEP_1) | instskip(SKIP_1) | instid1(VALU_DEP_2)
	v_pk_fma_f32 v[126:127], v[122:123], v[120:121], v[124:125] op_sel_hi:[1,0,1]
	v_pk_fma_f32 v[120:121], v[122:123], v[120:121], v[124:125] neg_lo:[0,0,1] neg_hi:[0,0,1]
	v_mov_b32_e32 v121, v127
	s_delay_alu instid0(VALU_DEP_1)
	v_pk_add_f32 v[116:117], v[116:117], v[120:121]
	s_and_not1_b32 exec_lo, exec_lo, s0
	s_cbranch_execnz .LBB55_502
; %bb.503:
	s_or_b32 exec_lo, exec_lo, s0
.LBB55_504:
	s_delay_alu instid0(SALU_CYCLE_1) | instskip(SKIP_4) | instid1(VALU_DEP_1)
	s_or_b32 exec_lo, exec_lo, s9
	v_mov_b32_e32 v118, 0
	ds_load_b64 v[118:119], v118 offset:40
	s_wait_dscnt 0x0
	v_pk_mul_f32 v[120:121], v[116:117], v[118:119] op_sel:[1,1] op_sel_hi:[0,1]
	v_pk_fma_f32 v[122:123], v[116:117], v[118:119], v[120:121] op_sel_hi:[1,0,1]
	v_pk_fma_f32 v[116:117], v[116:117], v[118:119], v[120:121] neg_lo:[0,0,1] neg_hi:[0,0,1]
	s_delay_alu instid0(VALU_DEP_2)
	v_mov_b32_e32 v117, v123
	scratch_store_b64 off, v[116:117], off offset:40
.LBB55_505:
	s_wait_xcnt 0x0
	s_or_b32 exec_lo, exec_lo, s8
	scratch_load_b64 v[116:117], off, off offset:32
	v_cmp_lt_u32_e64 s0, 4, v0
	s_wait_loadcnt 0x0
	ds_store_b64 v1, v[116:117]
	s_wait_storecnt_dscnt 0x0
	s_barrier_signal -1
	s_barrier_wait -1
	s_wait_xcnt 0x0
	s_and_saveexec_b32 s2, s0
	s_cbranch_execz .LBB55_515
; %bb.506:
	s_and_not1_b32 vcc_lo, exec_lo, s3
	s_cbranch_vccnz .LBB55_508
; %bb.507:
	scratch_load_b64 v[116:117], v45, off
	ds_load_b64 v[118:119], v1
	s_wait_loadcnt_dscnt 0x0
	v_pk_mul_f32 v[120:121], v[118:119], v[116:117] op_sel:[1,1] op_sel_hi:[0,1]
	s_delay_alu instid0(VALU_DEP_1) | instskip(SKIP_1) | instid1(VALU_DEP_2)
	v_pk_fma_f32 v[122:123], v[118:119], v[116:117], v[120:121] op_sel_hi:[1,0,1]
	v_pk_fma_f32 v[116:117], v[118:119], v[116:117], v[120:121] neg_lo:[0,0,1] neg_hi:[0,0,1]
	v_mov_b32_e32 v117, v123
	s_cbranch_execz .LBB55_509
	s_branch .LBB55_510
.LBB55_508:
                                        ; implicit-def: $vgpr116_vgpr117
.LBB55_509:
	ds_load_b64 v[116:117], v1
.LBB55_510:
	s_and_saveexec_b32 s8, s1
	s_cbranch_execz .LBB55_514
; %bb.511:
	v_add_nc_u32_e32 v118, -5, v0
	s_mov_b32 s1, 40
	s_movk_i32 s10, 0x1e8
	s_mov_b32 s9, 0
.LBB55_512:                             ; =>This Inner Loop Header: Depth=1
	scratch_load_b64 v[120:121], off, s1
	v_dual_mov_b32 v119, s10 :: v_dual_add_nc_u32 v118, -1, v118
	s_add_co_i32 s10, s10, 8
	s_wait_xcnt 0x0
	s_add_co_i32 s1, s1, 8
	ds_load_b64 v[122:123], v119
	v_cmp_eq_u32_e32 vcc_lo, 0, v118
	s_or_b32 s9, vcc_lo, s9
	s_wait_loadcnt_dscnt 0x0
	v_pk_mul_f32 v[124:125], v[122:123], v[120:121] op_sel:[1,1] op_sel_hi:[0,1]
	s_delay_alu instid0(VALU_DEP_1) | instskip(SKIP_1) | instid1(VALU_DEP_2)
	v_pk_fma_f32 v[126:127], v[122:123], v[120:121], v[124:125] op_sel_hi:[1,0,1]
	v_pk_fma_f32 v[120:121], v[122:123], v[120:121], v[124:125] neg_lo:[0,0,1] neg_hi:[0,0,1]
	v_mov_b32_e32 v121, v127
	s_delay_alu instid0(VALU_DEP_1)
	v_pk_add_f32 v[116:117], v[116:117], v[120:121]
	s_and_not1_b32 exec_lo, exec_lo, s9
	s_cbranch_execnz .LBB55_512
; %bb.513:
	s_or_b32 exec_lo, exec_lo, s9
.LBB55_514:
	s_delay_alu instid0(SALU_CYCLE_1) | instskip(SKIP_4) | instid1(VALU_DEP_1)
	s_or_b32 exec_lo, exec_lo, s8
	v_mov_b32_e32 v118, 0
	ds_load_b64 v[118:119], v118 offset:32
	s_wait_dscnt 0x0
	v_pk_mul_f32 v[120:121], v[116:117], v[118:119] op_sel:[1,1] op_sel_hi:[0,1]
	v_pk_fma_f32 v[122:123], v[116:117], v[118:119], v[120:121] op_sel_hi:[1,0,1]
	v_pk_fma_f32 v[116:117], v[116:117], v[118:119], v[120:121] neg_lo:[0,0,1] neg_hi:[0,0,1]
	s_delay_alu instid0(VALU_DEP_2)
	v_mov_b32_e32 v117, v123
	scratch_store_b64 off, v[116:117], off offset:32
.LBB55_515:
	s_wait_xcnt 0x0
	s_or_b32 exec_lo, exec_lo, s2
	scratch_load_b64 v[116:117], off, off offset:24
	v_cmp_lt_u32_e64 s2, 3, v0
	s_wait_loadcnt 0x0
	ds_store_b64 v1, v[116:117]
	s_wait_storecnt_dscnt 0x0
	s_barrier_signal -1
	s_barrier_wait -1
	s_wait_xcnt 0x0
	s_and_saveexec_b32 s1, s2
	s_cbranch_execz .LBB55_525
; %bb.516:
	s_and_not1_b32 vcc_lo, exec_lo, s3
	s_cbranch_vccnz .LBB55_518
; %bb.517:
	scratch_load_b64 v[116:117], v45, off
	ds_load_b64 v[118:119], v1
	s_wait_loadcnt_dscnt 0x0
	v_pk_mul_f32 v[120:121], v[118:119], v[116:117] op_sel:[1,1] op_sel_hi:[0,1]
	s_delay_alu instid0(VALU_DEP_1) | instskip(SKIP_1) | instid1(VALU_DEP_2)
	v_pk_fma_f32 v[122:123], v[118:119], v[116:117], v[120:121] op_sel_hi:[1,0,1]
	v_pk_fma_f32 v[116:117], v[118:119], v[116:117], v[120:121] neg_lo:[0,0,1] neg_hi:[0,0,1]
	v_mov_b32_e32 v117, v123
	s_cbranch_execz .LBB55_519
	s_branch .LBB55_520
.LBB55_518:
                                        ; implicit-def: $vgpr116_vgpr117
.LBB55_519:
	ds_load_b64 v[116:117], v1
.LBB55_520:
	s_and_saveexec_b32 s8, s0
	s_cbranch_execz .LBB55_524
; %bb.521:
	v_add_nc_u32_e32 v118, -4, v0
	s_movk_i32 s9, 0x1e0
	s_mov_b32 s0, 0
.LBB55_522:                             ; =>This Inner Loop Header: Depth=1
	scratch_load_b64 v[120:121], off, s5
	v_dual_mov_b32 v119, s9 :: v_dual_add_nc_u32 v118, -1, v118
	s_add_co_i32 s9, s9, 8
	s_wait_xcnt 0x0
	s_add_co_i32 s5, s5, 8
	ds_load_b64 v[122:123], v119
	v_cmp_eq_u32_e32 vcc_lo, 0, v118
	s_or_b32 s0, vcc_lo, s0
	s_wait_loadcnt_dscnt 0x0
	v_pk_mul_f32 v[124:125], v[122:123], v[120:121] op_sel:[1,1] op_sel_hi:[0,1]
	s_delay_alu instid0(VALU_DEP_1) | instskip(SKIP_1) | instid1(VALU_DEP_2)
	v_pk_fma_f32 v[126:127], v[122:123], v[120:121], v[124:125] op_sel_hi:[1,0,1]
	v_pk_fma_f32 v[120:121], v[122:123], v[120:121], v[124:125] neg_lo:[0,0,1] neg_hi:[0,0,1]
	v_mov_b32_e32 v121, v127
	s_delay_alu instid0(VALU_DEP_1)
	v_pk_add_f32 v[116:117], v[116:117], v[120:121]
	s_and_not1_b32 exec_lo, exec_lo, s0
	s_cbranch_execnz .LBB55_522
; %bb.523:
	s_or_b32 exec_lo, exec_lo, s0
.LBB55_524:
	s_delay_alu instid0(SALU_CYCLE_1) | instskip(SKIP_4) | instid1(VALU_DEP_1)
	s_or_b32 exec_lo, exec_lo, s8
	v_mov_b32_e32 v118, 0
	ds_load_b64 v[118:119], v118 offset:24
	s_wait_dscnt 0x0
	v_pk_mul_f32 v[120:121], v[116:117], v[118:119] op_sel:[1,1] op_sel_hi:[0,1]
	v_pk_fma_f32 v[122:123], v[116:117], v[118:119], v[120:121] op_sel_hi:[1,0,1]
	v_pk_fma_f32 v[116:117], v[116:117], v[118:119], v[120:121] neg_lo:[0,0,1] neg_hi:[0,0,1]
	s_delay_alu instid0(VALU_DEP_2)
	v_mov_b32_e32 v117, v123
	scratch_store_b64 off, v[116:117], off offset:24
.LBB55_525:
	s_wait_xcnt 0x0
	s_or_b32 exec_lo, exec_lo, s1
	scratch_load_b64 v[116:117], off, off offset:16
	v_cmp_lt_u32_e64 s1, 2, v0
	s_wait_loadcnt 0x0
	ds_store_b64 v1, v[116:117]
	s_wait_storecnt_dscnt 0x0
	s_barrier_signal -1
	s_barrier_wait -1
	s_wait_xcnt 0x0
	s_and_saveexec_b32 s0, s1
	s_cbranch_execz .LBB55_535
; %bb.526:
	s_and_not1_b32 vcc_lo, exec_lo, s3
	s_cbranch_vccnz .LBB55_528
; %bb.527:
	scratch_load_b64 v[116:117], v45, off
	ds_load_b64 v[118:119], v1
	s_wait_loadcnt_dscnt 0x0
	v_pk_mul_f32 v[120:121], v[118:119], v[116:117] op_sel:[1,1] op_sel_hi:[0,1]
	s_delay_alu instid0(VALU_DEP_1) | instskip(SKIP_1) | instid1(VALU_DEP_2)
	v_pk_fma_f32 v[122:123], v[118:119], v[116:117], v[120:121] op_sel_hi:[1,0,1]
	v_pk_fma_f32 v[116:117], v[118:119], v[116:117], v[120:121] neg_lo:[0,0,1] neg_hi:[0,0,1]
	v_mov_b32_e32 v117, v123
	s_cbranch_execz .LBB55_529
	s_branch .LBB55_530
.LBB55_528:
                                        ; implicit-def: $vgpr116_vgpr117
.LBB55_529:
	ds_load_b64 v[116:117], v1
.LBB55_530:
	s_and_saveexec_b32 s5, s2
	s_cbranch_execz .LBB55_534
; %bb.531:
	v_add_nc_u32_e32 v118, -3, v0
	s_mov_b32 s2, 24
	s_movk_i32 s9, 0x1d8
	s_mov_b32 s8, 0
.LBB55_532:                             ; =>This Inner Loop Header: Depth=1
	scratch_load_b64 v[120:121], off, s2
	v_dual_mov_b32 v119, s9 :: v_dual_add_nc_u32 v118, -1, v118
	s_add_co_i32 s9, s9, 8
	s_wait_xcnt 0x0
	s_add_co_i32 s2, s2, 8
	ds_load_b64 v[122:123], v119
	v_cmp_eq_u32_e32 vcc_lo, 0, v118
	s_or_b32 s8, vcc_lo, s8
	s_wait_loadcnt_dscnt 0x0
	v_pk_mul_f32 v[124:125], v[122:123], v[120:121] op_sel:[1,1] op_sel_hi:[0,1]
	s_delay_alu instid0(VALU_DEP_1) | instskip(SKIP_1) | instid1(VALU_DEP_2)
	v_pk_fma_f32 v[126:127], v[122:123], v[120:121], v[124:125] op_sel_hi:[1,0,1]
	v_pk_fma_f32 v[120:121], v[122:123], v[120:121], v[124:125] neg_lo:[0,0,1] neg_hi:[0,0,1]
	v_mov_b32_e32 v121, v127
	s_delay_alu instid0(VALU_DEP_1)
	v_pk_add_f32 v[116:117], v[116:117], v[120:121]
	s_and_not1_b32 exec_lo, exec_lo, s8
	s_cbranch_execnz .LBB55_532
; %bb.533:
	s_or_b32 exec_lo, exec_lo, s8
.LBB55_534:
	s_delay_alu instid0(SALU_CYCLE_1) | instskip(SKIP_4) | instid1(VALU_DEP_1)
	s_or_b32 exec_lo, exec_lo, s5
	v_mov_b32_e32 v118, 0
	ds_load_b64 v[118:119], v118 offset:16
	s_wait_dscnt 0x0
	v_pk_mul_f32 v[120:121], v[116:117], v[118:119] op_sel:[1,1] op_sel_hi:[0,1]
	v_pk_fma_f32 v[122:123], v[116:117], v[118:119], v[120:121] op_sel_hi:[1,0,1]
	v_pk_fma_f32 v[116:117], v[116:117], v[118:119], v[120:121] neg_lo:[0,0,1] neg_hi:[0,0,1]
	s_delay_alu instid0(VALU_DEP_2)
	v_mov_b32_e32 v117, v123
	scratch_store_b64 off, v[116:117], off offset:16
.LBB55_535:
	s_wait_xcnt 0x0
	s_or_b32 exec_lo, exec_lo, s0
	scratch_load_b64 v[116:117], off, off offset:8
	v_cmp_lt_u32_e64 s0, 1, v0
	s_wait_loadcnt 0x0
	ds_store_b64 v1, v[116:117]
	s_wait_storecnt_dscnt 0x0
	s_barrier_signal -1
	s_barrier_wait -1
	s_wait_xcnt 0x0
	s_and_saveexec_b32 s2, s0
	s_cbranch_execz .LBB55_545
; %bb.536:
	s_and_not1_b32 vcc_lo, exec_lo, s3
	s_cbranch_vccnz .LBB55_538
; %bb.537:
	scratch_load_b64 v[116:117], v45, off
	ds_load_b64 v[118:119], v1
	s_wait_loadcnt_dscnt 0x0
	v_pk_mul_f32 v[120:121], v[118:119], v[116:117] op_sel:[1,1] op_sel_hi:[0,1]
	s_delay_alu instid0(VALU_DEP_1) | instskip(SKIP_1) | instid1(VALU_DEP_2)
	v_pk_fma_f32 v[122:123], v[118:119], v[116:117], v[120:121] op_sel_hi:[1,0,1]
	v_pk_fma_f32 v[116:117], v[118:119], v[116:117], v[120:121] neg_lo:[0,0,1] neg_hi:[0,0,1]
	v_mov_b32_e32 v117, v123
	s_cbranch_execz .LBB55_539
	s_branch .LBB55_540
.LBB55_538:
                                        ; implicit-def: $vgpr116_vgpr117
.LBB55_539:
	ds_load_b64 v[116:117], v1
.LBB55_540:
	s_and_saveexec_b32 s5, s1
	s_cbranch_execz .LBB55_544
; %bb.541:
	v_add_nc_u32_e32 v118, -2, v0
	s_movk_i32 s8, 0x1d0
	s_mov_b32 s1, 0
.LBB55_542:                             ; =>This Inner Loop Header: Depth=1
	scratch_load_b64 v[120:121], off, s4
	v_dual_mov_b32 v119, s8 :: v_dual_add_nc_u32 v118, -1, v118
	s_add_co_i32 s8, s8, 8
	s_wait_xcnt 0x0
	s_add_co_i32 s4, s4, 8
	ds_load_b64 v[122:123], v119
	v_cmp_eq_u32_e32 vcc_lo, 0, v118
	s_or_b32 s1, vcc_lo, s1
	s_wait_loadcnt_dscnt 0x0
	v_pk_mul_f32 v[124:125], v[122:123], v[120:121] op_sel:[1,1] op_sel_hi:[0,1]
	s_delay_alu instid0(VALU_DEP_1) | instskip(SKIP_1) | instid1(VALU_DEP_2)
	v_pk_fma_f32 v[126:127], v[122:123], v[120:121], v[124:125] op_sel_hi:[1,0,1]
	v_pk_fma_f32 v[120:121], v[122:123], v[120:121], v[124:125] neg_lo:[0,0,1] neg_hi:[0,0,1]
	v_mov_b32_e32 v121, v127
	s_delay_alu instid0(VALU_DEP_1)
	v_pk_add_f32 v[116:117], v[116:117], v[120:121]
	s_and_not1_b32 exec_lo, exec_lo, s1
	s_cbranch_execnz .LBB55_542
; %bb.543:
	s_or_b32 exec_lo, exec_lo, s1
.LBB55_544:
	s_delay_alu instid0(SALU_CYCLE_1) | instskip(SKIP_4) | instid1(VALU_DEP_1)
	s_or_b32 exec_lo, exec_lo, s5
	v_mov_b32_e32 v118, 0
	ds_load_b64 v[118:119], v118 offset:8
	s_wait_dscnt 0x0
	v_pk_mul_f32 v[120:121], v[116:117], v[118:119] op_sel:[1,1] op_sel_hi:[0,1]
	v_pk_fma_f32 v[122:123], v[116:117], v[118:119], v[120:121] op_sel_hi:[1,0,1]
	v_pk_fma_f32 v[116:117], v[116:117], v[118:119], v[120:121] neg_lo:[0,0,1] neg_hi:[0,0,1]
	s_delay_alu instid0(VALU_DEP_2)
	v_mov_b32_e32 v117, v123
	scratch_store_b64 off, v[116:117], off offset:8
.LBB55_545:
	s_wait_xcnt 0x0
	s_or_b32 exec_lo, exec_lo, s2
	scratch_load_b64 v[116:117], off, off
	s_mov_b32 s2, 0
	s_mov_b32 s1, 0
	s_mov_b32 s5, exec_lo
                                        ; implicit-def: $vgpr156
                                        ; implicit-def: $sgpr4
	s_wait_loadcnt 0x0
	ds_store_b64 v1, v[116:117]
	s_wait_storecnt_dscnt 0x0
	s_barrier_signal -1
	s_barrier_wait -1
	s_wait_xcnt 0x0
	v_cmpx_ne_u32_e32 0, v0
	s_cbranch_execz .LBB55_555
; %bb.546:
	s_and_not1_b32 vcc_lo, exec_lo, s3
	s_cbranch_vccnz .LBB55_548
; %bb.547:
	scratch_load_b64 v[118:119], v45, off
	ds_load_b64 v[120:121], v1
	s_wait_loadcnt_dscnt 0x0
	v_dual_mul_f32 v116, v121, v119 :: v_dual_mul_f32 v117, v120, v119
	s_delay_alu instid0(VALU_DEP_1)
	v_dual_fma_f32 v116, v120, v118, -v116 :: v_dual_fmac_f32 v117, v121, v118
	s_and_not1_b32 vcc_lo, exec_lo, s1
	s_cbranch_vccz .LBB55_549
	s_branch .LBB55_550
.LBB55_548:
                                        ; implicit-def: $vgpr116
.LBB55_549:
	ds_load_b64 v[116:117], v1
.LBB55_550:
	s_and_saveexec_b32 s1, s0
	s_cbranch_execz .LBB55_554
; %bb.551:
	v_add_nc_u32_e32 v118, -1, v0
	s_or_b32 s0, 0, 8
	s_movk_i32 s8, 0x1c8
	s_mov_b32 s4, 0
.LBB55_552:                             ; =>This Inner Loop Header: Depth=1
	scratch_load_b64 v[120:121], off, s0
	v_mov_b32_e32 v119, s8
	s_add_co_i32 s8, s8, 8
	s_wait_xcnt 0x0
	s_add_co_i32 s0, s0, 8
	v_add_nc_u32_e32 v118, -1, v118
	ds_load_b64 v[122:123], v119
	v_cmp_eq_u32_e32 vcc_lo, 0, v118
	s_or_b32 s4, vcc_lo, s4
	s_wait_loadcnt_dscnt 0x0
	v_dual_mul_f32 v119, v123, v121 :: v_dual_mul_f32 v121, v122, v121
	s_delay_alu instid0(VALU_DEP_1) | instskip(NEXT) | instid1(VALU_DEP_1)
	v_dual_fma_f32 v119, v122, v120, -v119 :: v_dual_fmac_f32 v121, v123, v120
	v_dual_add_f32 v116, v116, v119 :: v_dual_add_f32 v117, v117, v121
	s_and_not1_b32 exec_lo, exec_lo, s4
	s_cbranch_execnz .LBB55_552
; %bb.553:
	s_or_b32 exec_lo, exec_lo, s4
.LBB55_554:
	s_delay_alu instid0(SALU_CYCLE_1)
	s_or_b32 exec_lo, exec_lo, s1
	v_mov_b32_e32 v118, 0
	s_mov_b32 s1, exec_lo
	s_or_b32 s4, 0, 4
	ds_load_b64 v[118:119], v118
	s_wait_dscnt 0x0
	v_dual_mul_f32 v120, v117, v119 :: v_dual_mul_f32 v156, v116, v119
	s_delay_alu instid0(VALU_DEP_1) | instskip(NEXT) | instid1(VALU_DEP_2)
	v_fma_f32 v116, v116, v118, -v120
	v_fmac_f32_e32 v156, v117, v118
	scratch_store_b32 off, v116, off
.LBB55_555:
	s_wait_xcnt 0x0
	s_or_b32 exec_lo, exec_lo, s5
	s_delay_alu instid0(SALU_CYCLE_1)
	s_and_b32 vcc_lo, exec_lo, s2
	s_cbranch_vccz .LBB55_1101
.LBB55_556:
	scratch_load_b64 v[116:117], off, off offset:8
	v_cmp_eq_u32_e64 s0, 0, v0
	s_wait_loadcnt 0x0
	ds_store_b64 v1, v[116:117]
	s_wait_storecnt_dscnt 0x0
	s_barrier_signal -1
	s_barrier_wait -1
	s_wait_xcnt 0x0
	s_and_saveexec_b32 s2, s0
	s_cbranch_execz .LBB55_562
; %bb.557:
	s_and_b32 vcc_lo, exec_lo, s3
	s_cbranch_vccz .LBB55_559
; %bb.558:
	scratch_load_b64 v[116:117], v45, off
	ds_load_b64 v[118:119], v1
	s_wait_loadcnt_dscnt 0x0
	v_pk_mul_f32 v[120:121], v[118:119], v[116:117] op_sel:[1,1] op_sel_hi:[0,1]
	v_pk_mul_f32 v[122:123], v[118:119], v[116:117] op_sel_hi:[1,0]
	s_delay_alu instid0(VALU_DEP_2) | instskip(NEXT) | instid1(VALU_DEP_2)
	v_pk_fma_f32 v[116:117], v[118:119], v[116:117], v[120:121] op_sel_hi:[1,0,1]
	v_sub_f32_e32 v116, v122, v120
	s_cbranch_execz .LBB55_560
	s_branch .LBB55_561
.LBB55_559:
                                        ; implicit-def: $vgpr117
.LBB55_560:
	ds_load_b64 v[116:117], v1
.LBB55_561:
	s_wait_dscnt 0x0
	v_dual_mov_b32 v118, 0 :: v_dual_mov_b32 v120, v117
	v_mov_b32_e32 v121, v116
	ds_load_b64 v[118:119], v118 offset:8
	s_wait_dscnt 0x0
	v_pk_mul_f32 v[120:121], v[120:121], v[118:119] op_sel:[0,1]
	s_delay_alu instid0(VALU_DEP_1) | instskip(SKIP_1) | instid1(VALU_DEP_2)
	v_pk_fma_f32 v[122:123], v[116:117], v[118:119], v[120:121] op_sel_hi:[1,0,1]
	v_pk_fma_f32 v[116:117], v[116:117], v[118:119], v[120:121] neg_lo:[0,0,1] neg_hi:[0,0,1]
	v_mov_b32_e32 v117, v123
	scratch_store_b64 off, v[116:117], off offset:8
.LBB55_562:
	s_wait_xcnt 0x0
	s_or_b32 exec_lo, exec_lo, s2
	scratch_load_b64 v[116:117], off, off offset:16
	v_cndmask_b32_e64 v118, 0, 1, s3
	s_mov_b32 s2, exec_lo
	s_wait_loadcnt 0x0
	ds_store_b64 v1, v[116:117]
	s_wait_storecnt_dscnt 0x0
	s_barrier_signal -1
	s_barrier_wait -1
	s_wait_xcnt 0x0
	v_cmpx_gt_u32_e32 2, v0
	s_cbranch_execz .LBB55_570
; %bb.563:
	s_and_not1_b32 vcc_lo, exec_lo, s3
	s_cbranch_vccnz .LBB55_565
; %bb.564:
	scratch_load_b64 v[116:117], v45, off
	ds_load_b64 v[120:121], v1
	s_wait_loadcnt_dscnt 0x0
	v_pk_mul_f32 v[122:123], v[120:121], v[116:117] op_sel:[1,1] op_sel_hi:[0,1]
	s_delay_alu instid0(VALU_DEP_1) | instskip(SKIP_1) | instid1(VALU_DEP_2)
	v_pk_fma_f32 v[124:125], v[120:121], v[116:117], v[122:123] op_sel_hi:[1,0,1]
	v_pk_fma_f32 v[116:117], v[120:121], v[116:117], v[122:123] neg_lo:[0,0,1] neg_hi:[0,0,1]
	v_mov_b32_e32 v117, v125
	s_cbranch_execz .LBB55_566
	s_branch .LBB55_567
.LBB55_565:
                                        ; implicit-def: $vgpr116_vgpr117
.LBB55_566:
	ds_load_b64 v[116:117], v1
.LBB55_567:
	s_and_saveexec_b32 s3, s0
	s_cbranch_execz .LBB55_569
; %bb.568:
	scratch_load_b64 v[120:121], off, off offset:8
	v_mov_b32_e32 v119, 0
	ds_load_b64 v[122:123], v119 offset:456
	s_wait_loadcnt_dscnt 0x0
	v_pk_mul_f32 v[124:125], v[122:123], v[120:121] op_sel:[1,1] op_sel_hi:[0,1]
	s_delay_alu instid0(VALU_DEP_1) | instskip(SKIP_1) | instid1(VALU_DEP_2)
	v_pk_fma_f32 v[126:127], v[122:123], v[120:121], v[124:125] op_sel_hi:[1,0,1]
	v_pk_fma_f32 v[120:121], v[122:123], v[120:121], v[124:125] neg_lo:[0,0,1] neg_hi:[0,0,1]
	v_mov_b32_e32 v121, v127
	s_delay_alu instid0(VALU_DEP_1)
	v_pk_add_f32 v[116:117], v[116:117], v[120:121]
.LBB55_569:
	s_or_b32 exec_lo, exec_lo, s3
	v_mov_b32_e32 v119, 0
	ds_load_b64 v[120:121], v119 offset:16
	s_wait_dscnt 0x0
	v_pk_mul_f32 v[122:123], v[116:117], v[120:121] op_sel:[1,1] op_sel_hi:[0,1]
	s_delay_alu instid0(VALU_DEP_1) | instskip(SKIP_1) | instid1(VALU_DEP_2)
	v_pk_fma_f32 v[124:125], v[116:117], v[120:121], v[122:123] op_sel_hi:[1,0,1]
	v_pk_fma_f32 v[116:117], v[116:117], v[120:121], v[122:123] neg_lo:[0,0,1] neg_hi:[0,0,1]
	v_mov_b32_e32 v117, v125
	scratch_store_b64 off, v[116:117], off offset:16
.LBB55_570:
	s_wait_xcnt 0x0
	s_or_b32 exec_lo, exec_lo, s2
	scratch_load_b64 v[116:117], off, off offset:24
	s_mov_b32 s2, exec_lo
	s_wait_loadcnt 0x0
	ds_store_b64 v1, v[116:117]
	s_wait_storecnt_dscnt 0x0
	s_barrier_signal -1
	s_barrier_wait -1
	s_wait_xcnt 0x0
	v_cmpx_gt_u32_e32 3, v0
	s_cbranch_execz .LBB55_580
; %bb.571:
	v_cmp_ne_u32_e32 vcc_lo, 1, v118
	s_cbranch_vccnz .LBB55_573
; %bb.572:
	scratch_load_b64 v[116:117], v45, off
	ds_load_b64 v[120:121], v1
	s_wait_loadcnt_dscnt 0x0
	v_pk_mul_f32 v[122:123], v[120:121], v[116:117] op_sel:[1,1] op_sel_hi:[0,1]
	s_delay_alu instid0(VALU_DEP_1) | instskip(SKIP_1) | instid1(VALU_DEP_2)
	v_pk_fma_f32 v[124:125], v[120:121], v[116:117], v[122:123] op_sel_hi:[1,0,1]
	v_pk_fma_f32 v[116:117], v[120:121], v[116:117], v[122:123] neg_lo:[0,0,1] neg_hi:[0,0,1]
	v_mov_b32_e32 v117, v125
	s_cbranch_execz .LBB55_574
	s_branch .LBB55_575
.LBB55_573:
                                        ; implicit-def: $vgpr116_vgpr117
.LBB55_574:
	ds_load_b64 v[116:117], v1
.LBB55_575:
	s_mov_b32 s3, exec_lo
	v_cmpx_ne_u32_e32 2, v0
	s_cbranch_execz .LBB55_579
; %bb.576:
	scratch_load_b64 v[120:121], v45, off offset:8
	ds_load_b64 v[122:123], v1 offset:8
	s_wait_loadcnt_dscnt 0x0
	v_pk_mul_f32 v[124:125], v[122:123], v[120:121] op_sel:[1,1] op_sel_hi:[0,1]
	s_delay_alu instid0(VALU_DEP_1) | instskip(SKIP_1) | instid1(VALU_DEP_2)
	v_pk_fma_f32 v[126:127], v[122:123], v[120:121], v[124:125] op_sel_hi:[1,0,1]
	v_pk_fma_f32 v[120:121], v[122:123], v[120:121], v[124:125] neg_lo:[0,0,1] neg_hi:[0,0,1]
	v_mov_b32_e32 v121, v127
	s_delay_alu instid0(VALU_DEP_1)
	v_pk_add_f32 v[116:117], v[116:117], v[120:121]
	s_and_saveexec_b32 s4, s0
	s_cbranch_execz .LBB55_578
; %bb.577:
	scratch_load_b64 v[120:121], off, off offset:16
	v_mov_b32_e32 v119, 0
	ds_load_b64 v[122:123], v119 offset:464
	s_wait_loadcnt_dscnt 0x0
	v_pk_mul_f32 v[124:125], v[122:123], v[120:121] op_sel:[1,1] op_sel_hi:[0,1]
	s_delay_alu instid0(VALU_DEP_1) | instskip(SKIP_1) | instid1(VALU_DEP_2)
	v_pk_fma_f32 v[126:127], v[122:123], v[120:121], v[124:125] op_sel_hi:[1,0,1]
	v_pk_fma_f32 v[120:121], v[122:123], v[120:121], v[124:125] neg_lo:[0,0,1] neg_hi:[0,0,1]
	v_mov_b32_e32 v121, v127
	s_delay_alu instid0(VALU_DEP_1)
	v_pk_add_f32 v[116:117], v[116:117], v[120:121]
.LBB55_578:
	s_or_b32 exec_lo, exec_lo, s4
.LBB55_579:
	s_delay_alu instid0(SALU_CYCLE_1) | instskip(SKIP_4) | instid1(VALU_DEP_1)
	s_or_b32 exec_lo, exec_lo, s3
	v_mov_b32_e32 v119, 0
	ds_load_b64 v[120:121], v119 offset:24
	s_wait_dscnt 0x0
	v_pk_mul_f32 v[122:123], v[116:117], v[120:121] op_sel:[1,1] op_sel_hi:[0,1]
	v_pk_fma_f32 v[124:125], v[116:117], v[120:121], v[122:123] op_sel_hi:[1,0,1]
	v_pk_fma_f32 v[116:117], v[116:117], v[120:121], v[122:123] neg_lo:[0,0,1] neg_hi:[0,0,1]
	s_delay_alu instid0(VALU_DEP_2)
	v_mov_b32_e32 v117, v125
	scratch_store_b64 off, v[116:117], off offset:24
.LBB55_580:
	s_wait_xcnt 0x0
	s_or_b32 exec_lo, exec_lo, s2
	scratch_load_b64 v[116:117], off, off offset:32
	s_mov_b32 s0, exec_lo
	s_wait_loadcnt 0x0
	ds_store_b64 v1, v[116:117]
	s_wait_storecnt_dscnt 0x0
	s_barrier_signal -1
	s_barrier_wait -1
	s_wait_xcnt 0x0
	v_cmpx_gt_u32_e32 4, v0
	s_cbranch_execz .LBB55_590
; %bb.581:
	v_cmp_ne_u32_e32 vcc_lo, 1, v118
	s_cbranch_vccnz .LBB55_583
; %bb.582:
	scratch_load_b64 v[116:117], v45, off
	ds_load_b64 v[120:121], v1
	s_wait_loadcnt_dscnt 0x0
	v_pk_mul_f32 v[122:123], v[120:121], v[116:117] op_sel:[1,1] op_sel_hi:[0,1]
	s_delay_alu instid0(VALU_DEP_1) | instskip(SKIP_1) | instid1(VALU_DEP_2)
	v_pk_fma_f32 v[124:125], v[120:121], v[116:117], v[122:123] op_sel_hi:[1,0,1]
	v_pk_fma_f32 v[116:117], v[120:121], v[116:117], v[122:123] neg_lo:[0,0,1] neg_hi:[0,0,1]
	v_mov_b32_e32 v117, v125
	s_cbranch_execz .LBB55_584
	s_branch .LBB55_585
.LBB55_583:
                                        ; implicit-def: $vgpr116_vgpr117
.LBB55_584:
	ds_load_b64 v[116:117], v1
.LBB55_585:
	s_mov_b32 s2, exec_lo
	v_cmpx_ne_u32_e32 3, v0
	s_cbranch_execz .LBB55_589
; %bb.586:
	v_add_nc_u32_e32 v119, 0x1c8, v44
	v_add3_u32 v120, 0, v44, 8
	v_mov_b32_e32 v121, v0
	s_mov_b32 s3, 0
.LBB55_587:                             ; =>This Inner Loop Header: Depth=1
	scratch_load_b64 v[122:123], v120, off
	ds_load_b64 v[124:125], v119
	s_wait_xcnt 0x0
	v_dual_add_nc_u32 v119, 8, v119 :: v_dual_add_nc_u32 v120, 8, v120
	s_wait_loadcnt_dscnt 0x0
	v_pk_mul_f32 v[126:127], v[124:125], v[122:123] op_sel:[1,1] op_sel_hi:[0,1]
	s_delay_alu instid0(VALU_DEP_1) | instskip(SKIP_2) | instid1(VALU_DEP_3)
	v_pk_fma_f32 v[128:129], v[124:125], v[122:123], v[126:127] op_sel_hi:[1,0,1]
	v_add_nc_u32_e32 v121, 1, v121
	v_pk_fma_f32 v[122:123], v[124:125], v[122:123], v[126:127] neg_lo:[0,0,1] neg_hi:[0,0,1]
	v_mov_b32_e32 v123, v129
	s_delay_alu instid0(VALU_DEP_3) | instskip(NEXT) | instid1(VALU_DEP_2)
	v_cmp_lt_u32_e32 vcc_lo, 2, v121
	v_pk_add_f32 v[116:117], v[116:117], v[122:123]
	s_or_b32 s3, vcc_lo, s3
	s_delay_alu instid0(SALU_CYCLE_1)
	s_and_not1_b32 exec_lo, exec_lo, s3
	s_cbranch_execnz .LBB55_587
; %bb.588:
	s_or_b32 exec_lo, exec_lo, s3
.LBB55_589:
	s_delay_alu instid0(SALU_CYCLE_1) | instskip(SKIP_4) | instid1(VALU_DEP_1)
	s_or_b32 exec_lo, exec_lo, s2
	v_mov_b32_e32 v119, 0
	ds_load_b64 v[120:121], v119 offset:32
	s_wait_dscnt 0x0
	v_pk_mul_f32 v[122:123], v[116:117], v[120:121] op_sel:[1,1] op_sel_hi:[0,1]
	v_pk_fma_f32 v[124:125], v[116:117], v[120:121], v[122:123] op_sel_hi:[1,0,1]
	v_pk_fma_f32 v[116:117], v[116:117], v[120:121], v[122:123] neg_lo:[0,0,1] neg_hi:[0,0,1]
	s_delay_alu instid0(VALU_DEP_2)
	v_mov_b32_e32 v117, v125
	scratch_store_b64 off, v[116:117], off offset:32
.LBB55_590:
	s_wait_xcnt 0x0
	s_or_b32 exec_lo, exec_lo, s0
	scratch_load_b64 v[116:117], off, off offset:40
	s_mov_b32 s0, exec_lo
	s_wait_loadcnt 0x0
	ds_store_b64 v1, v[116:117]
	s_wait_storecnt_dscnt 0x0
	s_barrier_signal -1
	s_barrier_wait -1
	s_wait_xcnt 0x0
	v_cmpx_gt_u32_e32 5, v0
	s_cbranch_execz .LBB55_600
; %bb.591:
	v_cmp_ne_u32_e32 vcc_lo, 1, v118
	s_cbranch_vccnz .LBB55_593
; %bb.592:
	scratch_load_b64 v[116:117], v45, off
	ds_load_b64 v[120:121], v1
	s_wait_loadcnt_dscnt 0x0
	v_pk_mul_f32 v[122:123], v[120:121], v[116:117] op_sel:[1,1] op_sel_hi:[0,1]
	s_delay_alu instid0(VALU_DEP_1) | instskip(SKIP_1) | instid1(VALU_DEP_2)
	v_pk_fma_f32 v[124:125], v[120:121], v[116:117], v[122:123] op_sel_hi:[1,0,1]
	v_pk_fma_f32 v[116:117], v[120:121], v[116:117], v[122:123] neg_lo:[0,0,1] neg_hi:[0,0,1]
	v_mov_b32_e32 v117, v125
	s_cbranch_execz .LBB55_594
	s_branch .LBB55_595
.LBB55_593:
                                        ; implicit-def: $vgpr116_vgpr117
.LBB55_594:
	ds_load_b64 v[116:117], v1
.LBB55_595:
	s_mov_b32 s2, exec_lo
	v_cmpx_ne_u32_e32 4, v0
	s_cbranch_execz .LBB55_599
; %bb.596:
	v_add_nc_u32_e32 v119, 0x1c8, v44
	v_add3_u32 v120, 0, v44, 8
	v_mov_b32_e32 v121, v0
	s_mov_b32 s3, 0
.LBB55_597:                             ; =>This Inner Loop Header: Depth=1
	scratch_load_b64 v[122:123], v120, off
	ds_load_b64 v[124:125], v119
	s_wait_xcnt 0x0
	v_dual_add_nc_u32 v119, 8, v119 :: v_dual_add_nc_u32 v120, 8, v120
	s_wait_loadcnt_dscnt 0x0
	v_pk_mul_f32 v[126:127], v[124:125], v[122:123] op_sel:[1,1] op_sel_hi:[0,1]
	s_delay_alu instid0(VALU_DEP_1) | instskip(SKIP_2) | instid1(VALU_DEP_3)
	v_pk_fma_f32 v[128:129], v[124:125], v[122:123], v[126:127] op_sel_hi:[1,0,1]
	v_add_nc_u32_e32 v121, 1, v121
	v_pk_fma_f32 v[122:123], v[124:125], v[122:123], v[126:127] neg_lo:[0,0,1] neg_hi:[0,0,1]
	v_mov_b32_e32 v123, v129
	s_delay_alu instid0(VALU_DEP_3) | instskip(NEXT) | instid1(VALU_DEP_2)
	v_cmp_lt_u32_e32 vcc_lo, 3, v121
	v_pk_add_f32 v[116:117], v[116:117], v[122:123]
	s_or_b32 s3, vcc_lo, s3
	s_delay_alu instid0(SALU_CYCLE_1)
	s_and_not1_b32 exec_lo, exec_lo, s3
	s_cbranch_execnz .LBB55_597
; %bb.598:
	s_or_b32 exec_lo, exec_lo, s3
.LBB55_599:
	s_delay_alu instid0(SALU_CYCLE_1) | instskip(SKIP_4) | instid1(VALU_DEP_1)
	s_or_b32 exec_lo, exec_lo, s2
	v_mov_b32_e32 v119, 0
	ds_load_b64 v[120:121], v119 offset:40
	s_wait_dscnt 0x0
	v_pk_mul_f32 v[122:123], v[116:117], v[120:121] op_sel:[1,1] op_sel_hi:[0,1]
	v_pk_fma_f32 v[124:125], v[116:117], v[120:121], v[122:123] op_sel_hi:[1,0,1]
	v_pk_fma_f32 v[116:117], v[116:117], v[120:121], v[122:123] neg_lo:[0,0,1] neg_hi:[0,0,1]
	s_delay_alu instid0(VALU_DEP_2)
	v_mov_b32_e32 v117, v125
	scratch_store_b64 off, v[116:117], off offset:40
.LBB55_600:
	s_wait_xcnt 0x0
	s_or_b32 exec_lo, exec_lo, s0
	scratch_load_b64 v[116:117], off, off offset:48
	s_mov_b32 s0, exec_lo
	s_wait_loadcnt 0x0
	ds_store_b64 v1, v[116:117]
	s_wait_storecnt_dscnt 0x0
	s_barrier_signal -1
	s_barrier_wait -1
	s_wait_xcnt 0x0
	v_cmpx_gt_u32_e32 6, v0
	s_cbranch_execz .LBB55_610
; %bb.601:
	v_cmp_ne_u32_e32 vcc_lo, 1, v118
	s_cbranch_vccnz .LBB55_603
; %bb.602:
	scratch_load_b64 v[116:117], v45, off
	ds_load_b64 v[120:121], v1
	s_wait_loadcnt_dscnt 0x0
	v_pk_mul_f32 v[122:123], v[120:121], v[116:117] op_sel:[1,1] op_sel_hi:[0,1]
	s_delay_alu instid0(VALU_DEP_1) | instskip(SKIP_1) | instid1(VALU_DEP_2)
	v_pk_fma_f32 v[124:125], v[120:121], v[116:117], v[122:123] op_sel_hi:[1,0,1]
	v_pk_fma_f32 v[116:117], v[120:121], v[116:117], v[122:123] neg_lo:[0,0,1] neg_hi:[0,0,1]
	v_mov_b32_e32 v117, v125
	s_cbranch_execz .LBB55_604
	s_branch .LBB55_605
.LBB55_603:
                                        ; implicit-def: $vgpr116_vgpr117
.LBB55_604:
	ds_load_b64 v[116:117], v1
.LBB55_605:
	s_mov_b32 s2, exec_lo
	v_cmpx_ne_u32_e32 5, v0
	s_cbranch_execz .LBB55_609
; %bb.606:
	v_add_nc_u32_e32 v119, 0x1c8, v44
	v_add3_u32 v120, 0, v44, 8
	v_mov_b32_e32 v121, v0
	s_mov_b32 s3, 0
.LBB55_607:                             ; =>This Inner Loop Header: Depth=1
	scratch_load_b64 v[122:123], v120, off
	ds_load_b64 v[124:125], v119
	s_wait_xcnt 0x0
	v_dual_add_nc_u32 v119, 8, v119 :: v_dual_add_nc_u32 v120, 8, v120
	s_wait_loadcnt_dscnt 0x0
	v_pk_mul_f32 v[126:127], v[124:125], v[122:123] op_sel:[1,1] op_sel_hi:[0,1]
	s_delay_alu instid0(VALU_DEP_1) | instskip(SKIP_2) | instid1(VALU_DEP_3)
	v_pk_fma_f32 v[128:129], v[124:125], v[122:123], v[126:127] op_sel_hi:[1,0,1]
	v_add_nc_u32_e32 v121, 1, v121
	v_pk_fma_f32 v[122:123], v[124:125], v[122:123], v[126:127] neg_lo:[0,0,1] neg_hi:[0,0,1]
	v_mov_b32_e32 v123, v129
	s_delay_alu instid0(VALU_DEP_3) | instskip(NEXT) | instid1(VALU_DEP_2)
	v_cmp_lt_u32_e32 vcc_lo, 4, v121
	v_pk_add_f32 v[116:117], v[116:117], v[122:123]
	s_or_b32 s3, vcc_lo, s3
	s_delay_alu instid0(SALU_CYCLE_1)
	s_and_not1_b32 exec_lo, exec_lo, s3
	s_cbranch_execnz .LBB55_607
; %bb.608:
	s_or_b32 exec_lo, exec_lo, s3
.LBB55_609:
	s_delay_alu instid0(SALU_CYCLE_1) | instskip(SKIP_4) | instid1(VALU_DEP_1)
	s_or_b32 exec_lo, exec_lo, s2
	v_mov_b32_e32 v119, 0
	ds_load_b64 v[120:121], v119 offset:48
	s_wait_dscnt 0x0
	v_pk_mul_f32 v[122:123], v[116:117], v[120:121] op_sel:[1,1] op_sel_hi:[0,1]
	v_pk_fma_f32 v[124:125], v[116:117], v[120:121], v[122:123] op_sel_hi:[1,0,1]
	v_pk_fma_f32 v[116:117], v[116:117], v[120:121], v[122:123] neg_lo:[0,0,1] neg_hi:[0,0,1]
	s_delay_alu instid0(VALU_DEP_2)
	v_mov_b32_e32 v117, v125
	scratch_store_b64 off, v[116:117], off offset:48
.LBB55_610:
	s_wait_xcnt 0x0
	s_or_b32 exec_lo, exec_lo, s0
	scratch_load_b64 v[116:117], off, off offset:56
	s_mov_b32 s0, exec_lo
	s_wait_loadcnt 0x0
	ds_store_b64 v1, v[116:117]
	s_wait_storecnt_dscnt 0x0
	s_barrier_signal -1
	s_barrier_wait -1
	s_wait_xcnt 0x0
	v_cmpx_gt_u32_e32 7, v0
	s_cbranch_execz .LBB55_620
; %bb.611:
	v_cmp_ne_u32_e32 vcc_lo, 1, v118
	s_cbranch_vccnz .LBB55_613
; %bb.612:
	scratch_load_b64 v[116:117], v45, off
	ds_load_b64 v[120:121], v1
	s_wait_loadcnt_dscnt 0x0
	v_pk_mul_f32 v[122:123], v[120:121], v[116:117] op_sel:[1,1] op_sel_hi:[0,1]
	s_delay_alu instid0(VALU_DEP_1) | instskip(SKIP_1) | instid1(VALU_DEP_2)
	v_pk_fma_f32 v[124:125], v[120:121], v[116:117], v[122:123] op_sel_hi:[1,0,1]
	v_pk_fma_f32 v[116:117], v[120:121], v[116:117], v[122:123] neg_lo:[0,0,1] neg_hi:[0,0,1]
	v_mov_b32_e32 v117, v125
	s_cbranch_execz .LBB55_614
	s_branch .LBB55_615
.LBB55_613:
                                        ; implicit-def: $vgpr116_vgpr117
.LBB55_614:
	ds_load_b64 v[116:117], v1
.LBB55_615:
	s_mov_b32 s2, exec_lo
	v_cmpx_ne_u32_e32 6, v0
	s_cbranch_execz .LBB55_619
; %bb.616:
	v_add_nc_u32_e32 v119, 0x1c8, v44
	v_add3_u32 v120, 0, v44, 8
	v_mov_b32_e32 v121, v0
	s_mov_b32 s3, 0
.LBB55_617:                             ; =>This Inner Loop Header: Depth=1
	scratch_load_b64 v[122:123], v120, off
	ds_load_b64 v[124:125], v119
	s_wait_xcnt 0x0
	v_dual_add_nc_u32 v119, 8, v119 :: v_dual_add_nc_u32 v120, 8, v120
	s_wait_loadcnt_dscnt 0x0
	v_pk_mul_f32 v[126:127], v[124:125], v[122:123] op_sel:[1,1] op_sel_hi:[0,1]
	s_delay_alu instid0(VALU_DEP_1) | instskip(SKIP_2) | instid1(VALU_DEP_3)
	v_pk_fma_f32 v[128:129], v[124:125], v[122:123], v[126:127] op_sel_hi:[1,0,1]
	v_add_nc_u32_e32 v121, 1, v121
	v_pk_fma_f32 v[122:123], v[124:125], v[122:123], v[126:127] neg_lo:[0,0,1] neg_hi:[0,0,1]
	v_mov_b32_e32 v123, v129
	s_delay_alu instid0(VALU_DEP_3) | instskip(NEXT) | instid1(VALU_DEP_2)
	v_cmp_lt_u32_e32 vcc_lo, 5, v121
	v_pk_add_f32 v[116:117], v[116:117], v[122:123]
	s_or_b32 s3, vcc_lo, s3
	s_delay_alu instid0(SALU_CYCLE_1)
	s_and_not1_b32 exec_lo, exec_lo, s3
	s_cbranch_execnz .LBB55_617
; %bb.618:
	s_or_b32 exec_lo, exec_lo, s3
.LBB55_619:
	s_delay_alu instid0(SALU_CYCLE_1) | instskip(SKIP_4) | instid1(VALU_DEP_1)
	s_or_b32 exec_lo, exec_lo, s2
	v_mov_b32_e32 v119, 0
	ds_load_b64 v[120:121], v119 offset:56
	s_wait_dscnt 0x0
	v_pk_mul_f32 v[122:123], v[116:117], v[120:121] op_sel:[1,1] op_sel_hi:[0,1]
	v_pk_fma_f32 v[124:125], v[116:117], v[120:121], v[122:123] op_sel_hi:[1,0,1]
	v_pk_fma_f32 v[116:117], v[116:117], v[120:121], v[122:123] neg_lo:[0,0,1] neg_hi:[0,0,1]
	s_delay_alu instid0(VALU_DEP_2)
	v_mov_b32_e32 v117, v125
	scratch_store_b64 off, v[116:117], off offset:56
.LBB55_620:
	s_wait_xcnt 0x0
	s_or_b32 exec_lo, exec_lo, s0
	scratch_load_b64 v[116:117], off, off offset:64
	s_mov_b32 s0, exec_lo
	s_wait_loadcnt 0x0
	ds_store_b64 v1, v[116:117]
	s_wait_storecnt_dscnt 0x0
	s_barrier_signal -1
	s_barrier_wait -1
	s_wait_xcnt 0x0
	v_cmpx_gt_u32_e32 8, v0
	s_cbranch_execz .LBB55_630
; %bb.621:
	v_cmp_ne_u32_e32 vcc_lo, 1, v118
	s_cbranch_vccnz .LBB55_623
; %bb.622:
	scratch_load_b64 v[116:117], v45, off
	ds_load_b64 v[120:121], v1
	s_wait_loadcnt_dscnt 0x0
	v_pk_mul_f32 v[122:123], v[120:121], v[116:117] op_sel:[1,1] op_sel_hi:[0,1]
	s_delay_alu instid0(VALU_DEP_1) | instskip(SKIP_1) | instid1(VALU_DEP_2)
	v_pk_fma_f32 v[124:125], v[120:121], v[116:117], v[122:123] op_sel_hi:[1,0,1]
	v_pk_fma_f32 v[116:117], v[120:121], v[116:117], v[122:123] neg_lo:[0,0,1] neg_hi:[0,0,1]
	v_mov_b32_e32 v117, v125
	s_cbranch_execz .LBB55_624
	s_branch .LBB55_625
.LBB55_623:
                                        ; implicit-def: $vgpr116_vgpr117
.LBB55_624:
	ds_load_b64 v[116:117], v1
.LBB55_625:
	s_mov_b32 s2, exec_lo
	v_cmpx_ne_u32_e32 7, v0
	s_cbranch_execz .LBB55_629
; %bb.626:
	v_add_nc_u32_e32 v119, 0x1c8, v44
	v_add3_u32 v120, 0, v44, 8
	v_mov_b32_e32 v121, v0
	s_mov_b32 s3, 0
.LBB55_627:                             ; =>This Inner Loop Header: Depth=1
	scratch_load_b64 v[122:123], v120, off
	ds_load_b64 v[124:125], v119
	s_wait_xcnt 0x0
	v_dual_add_nc_u32 v119, 8, v119 :: v_dual_add_nc_u32 v120, 8, v120
	s_wait_loadcnt_dscnt 0x0
	v_pk_mul_f32 v[126:127], v[124:125], v[122:123] op_sel:[1,1] op_sel_hi:[0,1]
	s_delay_alu instid0(VALU_DEP_1) | instskip(SKIP_2) | instid1(VALU_DEP_3)
	v_pk_fma_f32 v[128:129], v[124:125], v[122:123], v[126:127] op_sel_hi:[1,0,1]
	v_add_nc_u32_e32 v121, 1, v121
	v_pk_fma_f32 v[122:123], v[124:125], v[122:123], v[126:127] neg_lo:[0,0,1] neg_hi:[0,0,1]
	v_mov_b32_e32 v123, v129
	s_delay_alu instid0(VALU_DEP_3) | instskip(NEXT) | instid1(VALU_DEP_2)
	v_cmp_lt_u32_e32 vcc_lo, 6, v121
	v_pk_add_f32 v[116:117], v[116:117], v[122:123]
	s_or_b32 s3, vcc_lo, s3
	s_delay_alu instid0(SALU_CYCLE_1)
	s_and_not1_b32 exec_lo, exec_lo, s3
	s_cbranch_execnz .LBB55_627
; %bb.628:
	s_or_b32 exec_lo, exec_lo, s3
.LBB55_629:
	s_delay_alu instid0(SALU_CYCLE_1) | instskip(SKIP_4) | instid1(VALU_DEP_1)
	s_or_b32 exec_lo, exec_lo, s2
	v_mov_b32_e32 v119, 0
	ds_load_b64 v[120:121], v119 offset:64
	s_wait_dscnt 0x0
	v_pk_mul_f32 v[122:123], v[116:117], v[120:121] op_sel:[1,1] op_sel_hi:[0,1]
	v_pk_fma_f32 v[124:125], v[116:117], v[120:121], v[122:123] op_sel_hi:[1,0,1]
	v_pk_fma_f32 v[116:117], v[116:117], v[120:121], v[122:123] neg_lo:[0,0,1] neg_hi:[0,0,1]
	s_delay_alu instid0(VALU_DEP_2)
	v_mov_b32_e32 v117, v125
	scratch_store_b64 off, v[116:117], off offset:64
.LBB55_630:
	s_wait_xcnt 0x0
	s_or_b32 exec_lo, exec_lo, s0
	scratch_load_b64 v[116:117], off, off offset:72
	s_mov_b32 s0, exec_lo
	s_wait_loadcnt 0x0
	ds_store_b64 v1, v[116:117]
	s_wait_storecnt_dscnt 0x0
	s_barrier_signal -1
	s_barrier_wait -1
	s_wait_xcnt 0x0
	v_cmpx_gt_u32_e32 9, v0
	s_cbranch_execz .LBB55_640
; %bb.631:
	v_cmp_ne_u32_e32 vcc_lo, 1, v118
	s_cbranch_vccnz .LBB55_633
; %bb.632:
	scratch_load_b64 v[116:117], v45, off
	ds_load_b64 v[120:121], v1
	s_wait_loadcnt_dscnt 0x0
	v_pk_mul_f32 v[122:123], v[120:121], v[116:117] op_sel:[1,1] op_sel_hi:[0,1]
	s_delay_alu instid0(VALU_DEP_1) | instskip(SKIP_1) | instid1(VALU_DEP_2)
	v_pk_fma_f32 v[124:125], v[120:121], v[116:117], v[122:123] op_sel_hi:[1,0,1]
	v_pk_fma_f32 v[116:117], v[120:121], v[116:117], v[122:123] neg_lo:[0,0,1] neg_hi:[0,0,1]
	v_mov_b32_e32 v117, v125
	s_cbranch_execz .LBB55_634
	s_branch .LBB55_635
.LBB55_633:
                                        ; implicit-def: $vgpr116_vgpr117
.LBB55_634:
	ds_load_b64 v[116:117], v1
.LBB55_635:
	s_mov_b32 s2, exec_lo
	v_cmpx_ne_u32_e32 8, v0
	s_cbranch_execz .LBB55_639
; %bb.636:
	v_add_nc_u32_e32 v119, 0x1c8, v44
	v_add3_u32 v120, 0, v44, 8
	v_mov_b32_e32 v121, v0
	s_mov_b32 s3, 0
.LBB55_637:                             ; =>This Inner Loop Header: Depth=1
	scratch_load_b64 v[122:123], v120, off
	ds_load_b64 v[124:125], v119
	s_wait_xcnt 0x0
	v_dual_add_nc_u32 v119, 8, v119 :: v_dual_add_nc_u32 v120, 8, v120
	s_wait_loadcnt_dscnt 0x0
	v_pk_mul_f32 v[126:127], v[124:125], v[122:123] op_sel:[1,1] op_sel_hi:[0,1]
	s_delay_alu instid0(VALU_DEP_1) | instskip(SKIP_2) | instid1(VALU_DEP_3)
	v_pk_fma_f32 v[128:129], v[124:125], v[122:123], v[126:127] op_sel_hi:[1,0,1]
	v_add_nc_u32_e32 v121, 1, v121
	v_pk_fma_f32 v[122:123], v[124:125], v[122:123], v[126:127] neg_lo:[0,0,1] neg_hi:[0,0,1]
	v_mov_b32_e32 v123, v129
	s_delay_alu instid0(VALU_DEP_3) | instskip(NEXT) | instid1(VALU_DEP_2)
	v_cmp_lt_u32_e32 vcc_lo, 7, v121
	v_pk_add_f32 v[116:117], v[116:117], v[122:123]
	s_or_b32 s3, vcc_lo, s3
	s_delay_alu instid0(SALU_CYCLE_1)
	s_and_not1_b32 exec_lo, exec_lo, s3
	s_cbranch_execnz .LBB55_637
; %bb.638:
	s_or_b32 exec_lo, exec_lo, s3
.LBB55_639:
	s_delay_alu instid0(SALU_CYCLE_1) | instskip(SKIP_4) | instid1(VALU_DEP_1)
	s_or_b32 exec_lo, exec_lo, s2
	v_mov_b32_e32 v119, 0
	ds_load_b64 v[120:121], v119 offset:72
	s_wait_dscnt 0x0
	v_pk_mul_f32 v[122:123], v[116:117], v[120:121] op_sel:[1,1] op_sel_hi:[0,1]
	v_pk_fma_f32 v[124:125], v[116:117], v[120:121], v[122:123] op_sel_hi:[1,0,1]
	v_pk_fma_f32 v[116:117], v[116:117], v[120:121], v[122:123] neg_lo:[0,0,1] neg_hi:[0,0,1]
	s_delay_alu instid0(VALU_DEP_2)
	v_mov_b32_e32 v117, v125
	scratch_store_b64 off, v[116:117], off offset:72
.LBB55_640:
	s_wait_xcnt 0x0
	s_or_b32 exec_lo, exec_lo, s0
	scratch_load_b64 v[116:117], off, off offset:80
	s_mov_b32 s0, exec_lo
	s_wait_loadcnt 0x0
	ds_store_b64 v1, v[116:117]
	s_wait_storecnt_dscnt 0x0
	s_barrier_signal -1
	s_barrier_wait -1
	s_wait_xcnt 0x0
	v_cmpx_gt_u32_e32 10, v0
	s_cbranch_execz .LBB55_650
; %bb.641:
	v_cmp_ne_u32_e32 vcc_lo, 1, v118
	s_cbranch_vccnz .LBB55_643
; %bb.642:
	scratch_load_b64 v[116:117], v45, off
	ds_load_b64 v[120:121], v1
	s_wait_loadcnt_dscnt 0x0
	v_pk_mul_f32 v[122:123], v[120:121], v[116:117] op_sel:[1,1] op_sel_hi:[0,1]
	s_delay_alu instid0(VALU_DEP_1) | instskip(SKIP_1) | instid1(VALU_DEP_2)
	v_pk_fma_f32 v[124:125], v[120:121], v[116:117], v[122:123] op_sel_hi:[1,0,1]
	v_pk_fma_f32 v[116:117], v[120:121], v[116:117], v[122:123] neg_lo:[0,0,1] neg_hi:[0,0,1]
	v_mov_b32_e32 v117, v125
	s_cbranch_execz .LBB55_644
	s_branch .LBB55_645
.LBB55_643:
                                        ; implicit-def: $vgpr116_vgpr117
.LBB55_644:
	ds_load_b64 v[116:117], v1
.LBB55_645:
	s_mov_b32 s2, exec_lo
	v_cmpx_ne_u32_e32 9, v0
	s_cbranch_execz .LBB55_649
; %bb.646:
	v_add_nc_u32_e32 v119, 0x1c8, v44
	v_add3_u32 v120, 0, v44, 8
	v_mov_b32_e32 v121, v0
	s_mov_b32 s3, 0
.LBB55_647:                             ; =>This Inner Loop Header: Depth=1
	scratch_load_b64 v[122:123], v120, off
	ds_load_b64 v[124:125], v119
	s_wait_xcnt 0x0
	v_dual_add_nc_u32 v119, 8, v119 :: v_dual_add_nc_u32 v120, 8, v120
	s_wait_loadcnt_dscnt 0x0
	v_pk_mul_f32 v[126:127], v[124:125], v[122:123] op_sel:[1,1] op_sel_hi:[0,1]
	s_delay_alu instid0(VALU_DEP_1) | instskip(SKIP_2) | instid1(VALU_DEP_3)
	v_pk_fma_f32 v[128:129], v[124:125], v[122:123], v[126:127] op_sel_hi:[1,0,1]
	v_add_nc_u32_e32 v121, 1, v121
	v_pk_fma_f32 v[122:123], v[124:125], v[122:123], v[126:127] neg_lo:[0,0,1] neg_hi:[0,0,1]
	v_mov_b32_e32 v123, v129
	s_delay_alu instid0(VALU_DEP_3) | instskip(NEXT) | instid1(VALU_DEP_2)
	v_cmp_lt_u32_e32 vcc_lo, 8, v121
	v_pk_add_f32 v[116:117], v[116:117], v[122:123]
	s_or_b32 s3, vcc_lo, s3
	s_delay_alu instid0(SALU_CYCLE_1)
	s_and_not1_b32 exec_lo, exec_lo, s3
	s_cbranch_execnz .LBB55_647
; %bb.648:
	s_or_b32 exec_lo, exec_lo, s3
.LBB55_649:
	s_delay_alu instid0(SALU_CYCLE_1) | instskip(SKIP_4) | instid1(VALU_DEP_1)
	s_or_b32 exec_lo, exec_lo, s2
	v_mov_b32_e32 v119, 0
	ds_load_b64 v[120:121], v119 offset:80
	s_wait_dscnt 0x0
	v_pk_mul_f32 v[122:123], v[116:117], v[120:121] op_sel:[1,1] op_sel_hi:[0,1]
	v_pk_fma_f32 v[124:125], v[116:117], v[120:121], v[122:123] op_sel_hi:[1,0,1]
	v_pk_fma_f32 v[116:117], v[116:117], v[120:121], v[122:123] neg_lo:[0,0,1] neg_hi:[0,0,1]
	s_delay_alu instid0(VALU_DEP_2)
	v_mov_b32_e32 v117, v125
	scratch_store_b64 off, v[116:117], off offset:80
.LBB55_650:
	s_wait_xcnt 0x0
	s_or_b32 exec_lo, exec_lo, s0
	scratch_load_b64 v[116:117], off, off offset:88
	s_mov_b32 s0, exec_lo
	s_wait_loadcnt 0x0
	ds_store_b64 v1, v[116:117]
	s_wait_storecnt_dscnt 0x0
	s_barrier_signal -1
	s_barrier_wait -1
	s_wait_xcnt 0x0
	v_cmpx_gt_u32_e32 11, v0
	s_cbranch_execz .LBB55_660
; %bb.651:
	v_cmp_ne_u32_e32 vcc_lo, 1, v118
	s_cbranch_vccnz .LBB55_653
; %bb.652:
	scratch_load_b64 v[116:117], v45, off
	ds_load_b64 v[120:121], v1
	s_wait_loadcnt_dscnt 0x0
	v_pk_mul_f32 v[122:123], v[120:121], v[116:117] op_sel:[1,1] op_sel_hi:[0,1]
	s_delay_alu instid0(VALU_DEP_1) | instskip(SKIP_1) | instid1(VALU_DEP_2)
	v_pk_fma_f32 v[124:125], v[120:121], v[116:117], v[122:123] op_sel_hi:[1,0,1]
	v_pk_fma_f32 v[116:117], v[120:121], v[116:117], v[122:123] neg_lo:[0,0,1] neg_hi:[0,0,1]
	v_mov_b32_e32 v117, v125
	s_cbranch_execz .LBB55_654
	s_branch .LBB55_655
.LBB55_653:
                                        ; implicit-def: $vgpr116_vgpr117
.LBB55_654:
	ds_load_b64 v[116:117], v1
.LBB55_655:
	s_mov_b32 s2, exec_lo
	v_cmpx_ne_u32_e32 10, v0
	s_cbranch_execz .LBB55_659
; %bb.656:
	v_add_nc_u32_e32 v119, 0x1c8, v44
	v_add3_u32 v120, 0, v44, 8
	v_mov_b32_e32 v121, v0
	s_mov_b32 s3, 0
.LBB55_657:                             ; =>This Inner Loop Header: Depth=1
	scratch_load_b64 v[122:123], v120, off
	ds_load_b64 v[124:125], v119
	s_wait_xcnt 0x0
	v_dual_add_nc_u32 v119, 8, v119 :: v_dual_add_nc_u32 v120, 8, v120
	s_wait_loadcnt_dscnt 0x0
	v_pk_mul_f32 v[126:127], v[124:125], v[122:123] op_sel:[1,1] op_sel_hi:[0,1]
	s_delay_alu instid0(VALU_DEP_1) | instskip(SKIP_2) | instid1(VALU_DEP_3)
	v_pk_fma_f32 v[128:129], v[124:125], v[122:123], v[126:127] op_sel_hi:[1,0,1]
	v_add_nc_u32_e32 v121, 1, v121
	v_pk_fma_f32 v[122:123], v[124:125], v[122:123], v[126:127] neg_lo:[0,0,1] neg_hi:[0,0,1]
	v_mov_b32_e32 v123, v129
	s_delay_alu instid0(VALU_DEP_3) | instskip(NEXT) | instid1(VALU_DEP_2)
	v_cmp_lt_u32_e32 vcc_lo, 9, v121
	v_pk_add_f32 v[116:117], v[116:117], v[122:123]
	s_or_b32 s3, vcc_lo, s3
	s_delay_alu instid0(SALU_CYCLE_1)
	s_and_not1_b32 exec_lo, exec_lo, s3
	s_cbranch_execnz .LBB55_657
; %bb.658:
	s_or_b32 exec_lo, exec_lo, s3
.LBB55_659:
	s_delay_alu instid0(SALU_CYCLE_1) | instskip(SKIP_4) | instid1(VALU_DEP_1)
	s_or_b32 exec_lo, exec_lo, s2
	v_mov_b32_e32 v119, 0
	ds_load_b64 v[120:121], v119 offset:88
	s_wait_dscnt 0x0
	v_pk_mul_f32 v[122:123], v[116:117], v[120:121] op_sel:[1,1] op_sel_hi:[0,1]
	v_pk_fma_f32 v[124:125], v[116:117], v[120:121], v[122:123] op_sel_hi:[1,0,1]
	v_pk_fma_f32 v[116:117], v[116:117], v[120:121], v[122:123] neg_lo:[0,0,1] neg_hi:[0,0,1]
	s_delay_alu instid0(VALU_DEP_2)
	v_mov_b32_e32 v117, v125
	scratch_store_b64 off, v[116:117], off offset:88
.LBB55_660:
	s_wait_xcnt 0x0
	s_or_b32 exec_lo, exec_lo, s0
	scratch_load_b64 v[116:117], off, off offset:96
	s_mov_b32 s0, exec_lo
	s_wait_loadcnt 0x0
	ds_store_b64 v1, v[116:117]
	s_wait_storecnt_dscnt 0x0
	s_barrier_signal -1
	s_barrier_wait -1
	s_wait_xcnt 0x0
	v_cmpx_gt_u32_e32 12, v0
	s_cbranch_execz .LBB55_670
; %bb.661:
	v_cmp_ne_u32_e32 vcc_lo, 1, v118
	s_cbranch_vccnz .LBB55_663
; %bb.662:
	scratch_load_b64 v[116:117], v45, off
	ds_load_b64 v[120:121], v1
	s_wait_loadcnt_dscnt 0x0
	v_pk_mul_f32 v[122:123], v[120:121], v[116:117] op_sel:[1,1] op_sel_hi:[0,1]
	s_delay_alu instid0(VALU_DEP_1) | instskip(SKIP_1) | instid1(VALU_DEP_2)
	v_pk_fma_f32 v[124:125], v[120:121], v[116:117], v[122:123] op_sel_hi:[1,0,1]
	v_pk_fma_f32 v[116:117], v[120:121], v[116:117], v[122:123] neg_lo:[0,0,1] neg_hi:[0,0,1]
	v_mov_b32_e32 v117, v125
	s_cbranch_execz .LBB55_664
	s_branch .LBB55_665
.LBB55_663:
                                        ; implicit-def: $vgpr116_vgpr117
.LBB55_664:
	ds_load_b64 v[116:117], v1
.LBB55_665:
	s_mov_b32 s2, exec_lo
	v_cmpx_ne_u32_e32 11, v0
	s_cbranch_execz .LBB55_669
; %bb.666:
	v_add_nc_u32_e32 v119, 0x1c8, v44
	v_add3_u32 v120, 0, v44, 8
	v_mov_b32_e32 v121, v0
	s_mov_b32 s3, 0
.LBB55_667:                             ; =>This Inner Loop Header: Depth=1
	scratch_load_b64 v[122:123], v120, off
	ds_load_b64 v[124:125], v119
	s_wait_xcnt 0x0
	v_dual_add_nc_u32 v119, 8, v119 :: v_dual_add_nc_u32 v120, 8, v120
	s_wait_loadcnt_dscnt 0x0
	v_pk_mul_f32 v[126:127], v[124:125], v[122:123] op_sel:[1,1] op_sel_hi:[0,1]
	s_delay_alu instid0(VALU_DEP_1) | instskip(SKIP_2) | instid1(VALU_DEP_3)
	v_pk_fma_f32 v[128:129], v[124:125], v[122:123], v[126:127] op_sel_hi:[1,0,1]
	v_add_nc_u32_e32 v121, 1, v121
	v_pk_fma_f32 v[122:123], v[124:125], v[122:123], v[126:127] neg_lo:[0,0,1] neg_hi:[0,0,1]
	v_mov_b32_e32 v123, v129
	s_delay_alu instid0(VALU_DEP_3) | instskip(NEXT) | instid1(VALU_DEP_2)
	v_cmp_lt_u32_e32 vcc_lo, 10, v121
	v_pk_add_f32 v[116:117], v[116:117], v[122:123]
	s_or_b32 s3, vcc_lo, s3
	s_delay_alu instid0(SALU_CYCLE_1)
	s_and_not1_b32 exec_lo, exec_lo, s3
	s_cbranch_execnz .LBB55_667
; %bb.668:
	s_or_b32 exec_lo, exec_lo, s3
.LBB55_669:
	s_delay_alu instid0(SALU_CYCLE_1) | instskip(SKIP_4) | instid1(VALU_DEP_1)
	s_or_b32 exec_lo, exec_lo, s2
	v_mov_b32_e32 v119, 0
	ds_load_b64 v[120:121], v119 offset:96
	s_wait_dscnt 0x0
	v_pk_mul_f32 v[122:123], v[116:117], v[120:121] op_sel:[1,1] op_sel_hi:[0,1]
	v_pk_fma_f32 v[124:125], v[116:117], v[120:121], v[122:123] op_sel_hi:[1,0,1]
	v_pk_fma_f32 v[116:117], v[116:117], v[120:121], v[122:123] neg_lo:[0,0,1] neg_hi:[0,0,1]
	s_delay_alu instid0(VALU_DEP_2)
	v_mov_b32_e32 v117, v125
	scratch_store_b64 off, v[116:117], off offset:96
.LBB55_670:
	s_wait_xcnt 0x0
	s_or_b32 exec_lo, exec_lo, s0
	scratch_load_b64 v[116:117], off, off offset:104
	s_mov_b32 s0, exec_lo
	s_wait_loadcnt 0x0
	ds_store_b64 v1, v[116:117]
	s_wait_storecnt_dscnt 0x0
	s_barrier_signal -1
	s_barrier_wait -1
	s_wait_xcnt 0x0
	v_cmpx_gt_u32_e32 13, v0
	s_cbranch_execz .LBB55_680
; %bb.671:
	v_cmp_ne_u32_e32 vcc_lo, 1, v118
	s_cbranch_vccnz .LBB55_673
; %bb.672:
	scratch_load_b64 v[116:117], v45, off
	ds_load_b64 v[120:121], v1
	s_wait_loadcnt_dscnt 0x0
	v_pk_mul_f32 v[122:123], v[120:121], v[116:117] op_sel:[1,1] op_sel_hi:[0,1]
	s_delay_alu instid0(VALU_DEP_1) | instskip(SKIP_1) | instid1(VALU_DEP_2)
	v_pk_fma_f32 v[124:125], v[120:121], v[116:117], v[122:123] op_sel_hi:[1,0,1]
	v_pk_fma_f32 v[116:117], v[120:121], v[116:117], v[122:123] neg_lo:[0,0,1] neg_hi:[0,0,1]
	v_mov_b32_e32 v117, v125
	s_cbranch_execz .LBB55_674
	s_branch .LBB55_675
.LBB55_673:
                                        ; implicit-def: $vgpr116_vgpr117
.LBB55_674:
	ds_load_b64 v[116:117], v1
.LBB55_675:
	s_mov_b32 s2, exec_lo
	v_cmpx_ne_u32_e32 12, v0
	s_cbranch_execz .LBB55_679
; %bb.676:
	v_add_nc_u32_e32 v119, 0x1c8, v44
	v_add3_u32 v120, 0, v44, 8
	v_mov_b32_e32 v121, v0
	s_mov_b32 s3, 0
.LBB55_677:                             ; =>This Inner Loop Header: Depth=1
	scratch_load_b64 v[122:123], v120, off
	ds_load_b64 v[124:125], v119
	s_wait_xcnt 0x0
	v_dual_add_nc_u32 v119, 8, v119 :: v_dual_add_nc_u32 v120, 8, v120
	s_wait_loadcnt_dscnt 0x0
	v_pk_mul_f32 v[126:127], v[124:125], v[122:123] op_sel:[1,1] op_sel_hi:[0,1]
	s_delay_alu instid0(VALU_DEP_1) | instskip(SKIP_2) | instid1(VALU_DEP_3)
	v_pk_fma_f32 v[128:129], v[124:125], v[122:123], v[126:127] op_sel_hi:[1,0,1]
	v_add_nc_u32_e32 v121, 1, v121
	v_pk_fma_f32 v[122:123], v[124:125], v[122:123], v[126:127] neg_lo:[0,0,1] neg_hi:[0,0,1]
	v_mov_b32_e32 v123, v129
	s_delay_alu instid0(VALU_DEP_3) | instskip(NEXT) | instid1(VALU_DEP_2)
	v_cmp_lt_u32_e32 vcc_lo, 11, v121
	v_pk_add_f32 v[116:117], v[116:117], v[122:123]
	s_or_b32 s3, vcc_lo, s3
	s_delay_alu instid0(SALU_CYCLE_1)
	s_and_not1_b32 exec_lo, exec_lo, s3
	s_cbranch_execnz .LBB55_677
; %bb.678:
	s_or_b32 exec_lo, exec_lo, s3
.LBB55_679:
	s_delay_alu instid0(SALU_CYCLE_1) | instskip(SKIP_4) | instid1(VALU_DEP_1)
	s_or_b32 exec_lo, exec_lo, s2
	v_mov_b32_e32 v119, 0
	ds_load_b64 v[120:121], v119 offset:104
	s_wait_dscnt 0x0
	v_pk_mul_f32 v[122:123], v[116:117], v[120:121] op_sel:[1,1] op_sel_hi:[0,1]
	v_pk_fma_f32 v[124:125], v[116:117], v[120:121], v[122:123] op_sel_hi:[1,0,1]
	v_pk_fma_f32 v[116:117], v[116:117], v[120:121], v[122:123] neg_lo:[0,0,1] neg_hi:[0,0,1]
	s_delay_alu instid0(VALU_DEP_2)
	v_mov_b32_e32 v117, v125
	scratch_store_b64 off, v[116:117], off offset:104
.LBB55_680:
	s_wait_xcnt 0x0
	s_or_b32 exec_lo, exec_lo, s0
	scratch_load_b64 v[116:117], off, off offset:112
	s_mov_b32 s0, exec_lo
	s_wait_loadcnt 0x0
	ds_store_b64 v1, v[116:117]
	s_wait_storecnt_dscnt 0x0
	s_barrier_signal -1
	s_barrier_wait -1
	s_wait_xcnt 0x0
	v_cmpx_gt_u32_e32 14, v0
	s_cbranch_execz .LBB55_690
; %bb.681:
	v_cmp_ne_u32_e32 vcc_lo, 1, v118
	s_cbranch_vccnz .LBB55_683
; %bb.682:
	scratch_load_b64 v[116:117], v45, off
	ds_load_b64 v[120:121], v1
	s_wait_loadcnt_dscnt 0x0
	v_pk_mul_f32 v[122:123], v[120:121], v[116:117] op_sel:[1,1] op_sel_hi:[0,1]
	s_delay_alu instid0(VALU_DEP_1) | instskip(SKIP_1) | instid1(VALU_DEP_2)
	v_pk_fma_f32 v[124:125], v[120:121], v[116:117], v[122:123] op_sel_hi:[1,0,1]
	v_pk_fma_f32 v[116:117], v[120:121], v[116:117], v[122:123] neg_lo:[0,0,1] neg_hi:[0,0,1]
	v_mov_b32_e32 v117, v125
	s_cbranch_execz .LBB55_684
	s_branch .LBB55_685
.LBB55_683:
                                        ; implicit-def: $vgpr116_vgpr117
.LBB55_684:
	ds_load_b64 v[116:117], v1
.LBB55_685:
	s_mov_b32 s2, exec_lo
	v_cmpx_ne_u32_e32 13, v0
	s_cbranch_execz .LBB55_689
; %bb.686:
	v_add_nc_u32_e32 v119, 0x1c8, v44
	v_add3_u32 v120, 0, v44, 8
	v_mov_b32_e32 v121, v0
	s_mov_b32 s3, 0
.LBB55_687:                             ; =>This Inner Loop Header: Depth=1
	scratch_load_b64 v[122:123], v120, off
	ds_load_b64 v[124:125], v119
	s_wait_xcnt 0x0
	v_dual_add_nc_u32 v119, 8, v119 :: v_dual_add_nc_u32 v120, 8, v120
	s_wait_loadcnt_dscnt 0x0
	v_pk_mul_f32 v[126:127], v[124:125], v[122:123] op_sel:[1,1] op_sel_hi:[0,1]
	s_delay_alu instid0(VALU_DEP_1) | instskip(SKIP_2) | instid1(VALU_DEP_3)
	v_pk_fma_f32 v[128:129], v[124:125], v[122:123], v[126:127] op_sel_hi:[1,0,1]
	v_add_nc_u32_e32 v121, 1, v121
	v_pk_fma_f32 v[122:123], v[124:125], v[122:123], v[126:127] neg_lo:[0,0,1] neg_hi:[0,0,1]
	v_mov_b32_e32 v123, v129
	s_delay_alu instid0(VALU_DEP_3) | instskip(NEXT) | instid1(VALU_DEP_2)
	v_cmp_lt_u32_e32 vcc_lo, 12, v121
	v_pk_add_f32 v[116:117], v[116:117], v[122:123]
	s_or_b32 s3, vcc_lo, s3
	s_delay_alu instid0(SALU_CYCLE_1)
	s_and_not1_b32 exec_lo, exec_lo, s3
	s_cbranch_execnz .LBB55_687
; %bb.688:
	s_or_b32 exec_lo, exec_lo, s3
.LBB55_689:
	s_delay_alu instid0(SALU_CYCLE_1) | instskip(SKIP_4) | instid1(VALU_DEP_1)
	s_or_b32 exec_lo, exec_lo, s2
	v_mov_b32_e32 v119, 0
	ds_load_b64 v[120:121], v119 offset:112
	s_wait_dscnt 0x0
	v_pk_mul_f32 v[122:123], v[116:117], v[120:121] op_sel:[1,1] op_sel_hi:[0,1]
	v_pk_fma_f32 v[124:125], v[116:117], v[120:121], v[122:123] op_sel_hi:[1,0,1]
	v_pk_fma_f32 v[116:117], v[116:117], v[120:121], v[122:123] neg_lo:[0,0,1] neg_hi:[0,0,1]
	s_delay_alu instid0(VALU_DEP_2)
	v_mov_b32_e32 v117, v125
	scratch_store_b64 off, v[116:117], off offset:112
.LBB55_690:
	s_wait_xcnt 0x0
	s_or_b32 exec_lo, exec_lo, s0
	scratch_load_b64 v[116:117], off, off offset:120
	s_mov_b32 s0, exec_lo
	s_wait_loadcnt 0x0
	ds_store_b64 v1, v[116:117]
	s_wait_storecnt_dscnt 0x0
	s_barrier_signal -1
	s_barrier_wait -1
	s_wait_xcnt 0x0
	v_cmpx_gt_u32_e32 15, v0
	s_cbranch_execz .LBB55_700
; %bb.691:
	v_cmp_ne_u32_e32 vcc_lo, 1, v118
	s_cbranch_vccnz .LBB55_693
; %bb.692:
	scratch_load_b64 v[116:117], v45, off
	ds_load_b64 v[120:121], v1
	s_wait_loadcnt_dscnt 0x0
	v_pk_mul_f32 v[122:123], v[120:121], v[116:117] op_sel:[1,1] op_sel_hi:[0,1]
	s_delay_alu instid0(VALU_DEP_1) | instskip(SKIP_1) | instid1(VALU_DEP_2)
	v_pk_fma_f32 v[124:125], v[120:121], v[116:117], v[122:123] op_sel_hi:[1,0,1]
	v_pk_fma_f32 v[116:117], v[120:121], v[116:117], v[122:123] neg_lo:[0,0,1] neg_hi:[0,0,1]
	v_mov_b32_e32 v117, v125
	s_cbranch_execz .LBB55_694
	s_branch .LBB55_695
.LBB55_693:
                                        ; implicit-def: $vgpr116_vgpr117
.LBB55_694:
	ds_load_b64 v[116:117], v1
.LBB55_695:
	s_mov_b32 s2, exec_lo
	v_cmpx_ne_u32_e32 14, v0
	s_cbranch_execz .LBB55_699
; %bb.696:
	v_add_nc_u32_e32 v119, 0x1c8, v44
	v_add3_u32 v120, 0, v44, 8
	v_mov_b32_e32 v121, v0
	s_mov_b32 s3, 0
.LBB55_697:                             ; =>This Inner Loop Header: Depth=1
	scratch_load_b64 v[122:123], v120, off
	ds_load_b64 v[124:125], v119
	s_wait_xcnt 0x0
	v_dual_add_nc_u32 v119, 8, v119 :: v_dual_add_nc_u32 v120, 8, v120
	s_wait_loadcnt_dscnt 0x0
	v_pk_mul_f32 v[126:127], v[124:125], v[122:123] op_sel:[1,1] op_sel_hi:[0,1]
	s_delay_alu instid0(VALU_DEP_1) | instskip(SKIP_2) | instid1(VALU_DEP_3)
	v_pk_fma_f32 v[128:129], v[124:125], v[122:123], v[126:127] op_sel_hi:[1,0,1]
	v_add_nc_u32_e32 v121, 1, v121
	v_pk_fma_f32 v[122:123], v[124:125], v[122:123], v[126:127] neg_lo:[0,0,1] neg_hi:[0,0,1]
	v_mov_b32_e32 v123, v129
	s_delay_alu instid0(VALU_DEP_3) | instskip(NEXT) | instid1(VALU_DEP_2)
	v_cmp_lt_u32_e32 vcc_lo, 13, v121
	v_pk_add_f32 v[116:117], v[116:117], v[122:123]
	s_or_b32 s3, vcc_lo, s3
	s_delay_alu instid0(SALU_CYCLE_1)
	s_and_not1_b32 exec_lo, exec_lo, s3
	s_cbranch_execnz .LBB55_697
; %bb.698:
	s_or_b32 exec_lo, exec_lo, s3
.LBB55_699:
	s_delay_alu instid0(SALU_CYCLE_1) | instskip(SKIP_4) | instid1(VALU_DEP_1)
	s_or_b32 exec_lo, exec_lo, s2
	v_mov_b32_e32 v119, 0
	ds_load_b64 v[120:121], v119 offset:120
	s_wait_dscnt 0x0
	v_pk_mul_f32 v[122:123], v[116:117], v[120:121] op_sel:[1,1] op_sel_hi:[0,1]
	v_pk_fma_f32 v[124:125], v[116:117], v[120:121], v[122:123] op_sel_hi:[1,0,1]
	v_pk_fma_f32 v[116:117], v[116:117], v[120:121], v[122:123] neg_lo:[0,0,1] neg_hi:[0,0,1]
	s_delay_alu instid0(VALU_DEP_2)
	v_mov_b32_e32 v117, v125
	scratch_store_b64 off, v[116:117], off offset:120
.LBB55_700:
	s_wait_xcnt 0x0
	s_or_b32 exec_lo, exec_lo, s0
	scratch_load_b64 v[116:117], off, off offset:128
	s_mov_b32 s0, exec_lo
	s_wait_loadcnt 0x0
	ds_store_b64 v1, v[116:117]
	s_wait_storecnt_dscnt 0x0
	s_barrier_signal -1
	s_barrier_wait -1
	s_wait_xcnt 0x0
	v_cmpx_gt_u32_e32 16, v0
	s_cbranch_execz .LBB55_710
; %bb.701:
	v_cmp_ne_u32_e32 vcc_lo, 1, v118
	s_cbranch_vccnz .LBB55_703
; %bb.702:
	scratch_load_b64 v[116:117], v45, off
	ds_load_b64 v[120:121], v1
	s_wait_loadcnt_dscnt 0x0
	v_pk_mul_f32 v[122:123], v[120:121], v[116:117] op_sel:[1,1] op_sel_hi:[0,1]
	s_delay_alu instid0(VALU_DEP_1) | instskip(SKIP_1) | instid1(VALU_DEP_2)
	v_pk_fma_f32 v[124:125], v[120:121], v[116:117], v[122:123] op_sel_hi:[1,0,1]
	v_pk_fma_f32 v[116:117], v[120:121], v[116:117], v[122:123] neg_lo:[0,0,1] neg_hi:[0,0,1]
	v_mov_b32_e32 v117, v125
	s_cbranch_execz .LBB55_704
	s_branch .LBB55_705
.LBB55_703:
                                        ; implicit-def: $vgpr116_vgpr117
.LBB55_704:
	ds_load_b64 v[116:117], v1
.LBB55_705:
	s_mov_b32 s2, exec_lo
	v_cmpx_ne_u32_e32 15, v0
	s_cbranch_execz .LBB55_709
; %bb.706:
	v_add_nc_u32_e32 v119, 0x1c8, v44
	v_add3_u32 v120, 0, v44, 8
	v_mov_b32_e32 v121, v0
	s_mov_b32 s3, 0
.LBB55_707:                             ; =>This Inner Loop Header: Depth=1
	scratch_load_b64 v[122:123], v120, off
	ds_load_b64 v[124:125], v119
	s_wait_xcnt 0x0
	v_dual_add_nc_u32 v119, 8, v119 :: v_dual_add_nc_u32 v120, 8, v120
	s_wait_loadcnt_dscnt 0x0
	v_pk_mul_f32 v[126:127], v[124:125], v[122:123] op_sel:[1,1] op_sel_hi:[0,1]
	s_delay_alu instid0(VALU_DEP_1) | instskip(SKIP_2) | instid1(VALU_DEP_3)
	v_pk_fma_f32 v[128:129], v[124:125], v[122:123], v[126:127] op_sel_hi:[1,0,1]
	v_add_nc_u32_e32 v121, 1, v121
	v_pk_fma_f32 v[122:123], v[124:125], v[122:123], v[126:127] neg_lo:[0,0,1] neg_hi:[0,0,1]
	v_mov_b32_e32 v123, v129
	s_delay_alu instid0(VALU_DEP_3) | instskip(NEXT) | instid1(VALU_DEP_2)
	v_cmp_lt_u32_e32 vcc_lo, 14, v121
	v_pk_add_f32 v[116:117], v[116:117], v[122:123]
	s_or_b32 s3, vcc_lo, s3
	s_delay_alu instid0(SALU_CYCLE_1)
	s_and_not1_b32 exec_lo, exec_lo, s3
	s_cbranch_execnz .LBB55_707
; %bb.708:
	s_or_b32 exec_lo, exec_lo, s3
.LBB55_709:
	s_delay_alu instid0(SALU_CYCLE_1) | instskip(SKIP_4) | instid1(VALU_DEP_1)
	s_or_b32 exec_lo, exec_lo, s2
	v_mov_b32_e32 v119, 0
	ds_load_b64 v[120:121], v119 offset:128
	s_wait_dscnt 0x0
	v_pk_mul_f32 v[122:123], v[116:117], v[120:121] op_sel:[1,1] op_sel_hi:[0,1]
	v_pk_fma_f32 v[124:125], v[116:117], v[120:121], v[122:123] op_sel_hi:[1,0,1]
	v_pk_fma_f32 v[116:117], v[116:117], v[120:121], v[122:123] neg_lo:[0,0,1] neg_hi:[0,0,1]
	s_delay_alu instid0(VALU_DEP_2)
	v_mov_b32_e32 v117, v125
	scratch_store_b64 off, v[116:117], off offset:128
.LBB55_710:
	s_wait_xcnt 0x0
	s_or_b32 exec_lo, exec_lo, s0
	scratch_load_b64 v[116:117], off, off offset:136
	s_mov_b32 s0, exec_lo
	s_wait_loadcnt 0x0
	ds_store_b64 v1, v[116:117]
	s_wait_storecnt_dscnt 0x0
	s_barrier_signal -1
	s_barrier_wait -1
	s_wait_xcnt 0x0
	v_cmpx_gt_u32_e32 17, v0
	s_cbranch_execz .LBB55_720
; %bb.711:
	v_cmp_ne_u32_e32 vcc_lo, 1, v118
	s_cbranch_vccnz .LBB55_713
; %bb.712:
	scratch_load_b64 v[116:117], v45, off
	ds_load_b64 v[120:121], v1
	s_wait_loadcnt_dscnt 0x0
	v_pk_mul_f32 v[122:123], v[120:121], v[116:117] op_sel:[1,1] op_sel_hi:[0,1]
	s_delay_alu instid0(VALU_DEP_1) | instskip(SKIP_1) | instid1(VALU_DEP_2)
	v_pk_fma_f32 v[124:125], v[120:121], v[116:117], v[122:123] op_sel_hi:[1,0,1]
	v_pk_fma_f32 v[116:117], v[120:121], v[116:117], v[122:123] neg_lo:[0,0,1] neg_hi:[0,0,1]
	v_mov_b32_e32 v117, v125
	s_cbranch_execz .LBB55_714
	s_branch .LBB55_715
.LBB55_713:
                                        ; implicit-def: $vgpr116_vgpr117
.LBB55_714:
	ds_load_b64 v[116:117], v1
.LBB55_715:
	s_mov_b32 s2, exec_lo
	v_cmpx_ne_u32_e32 16, v0
	s_cbranch_execz .LBB55_719
; %bb.716:
	v_add_nc_u32_e32 v119, 0x1c8, v44
	v_add3_u32 v120, 0, v44, 8
	v_mov_b32_e32 v121, v0
	s_mov_b32 s3, 0
.LBB55_717:                             ; =>This Inner Loop Header: Depth=1
	scratch_load_b64 v[122:123], v120, off
	ds_load_b64 v[124:125], v119
	s_wait_xcnt 0x0
	v_dual_add_nc_u32 v119, 8, v119 :: v_dual_add_nc_u32 v120, 8, v120
	s_wait_loadcnt_dscnt 0x0
	v_pk_mul_f32 v[126:127], v[124:125], v[122:123] op_sel:[1,1] op_sel_hi:[0,1]
	s_delay_alu instid0(VALU_DEP_1) | instskip(SKIP_2) | instid1(VALU_DEP_3)
	v_pk_fma_f32 v[128:129], v[124:125], v[122:123], v[126:127] op_sel_hi:[1,0,1]
	v_add_nc_u32_e32 v121, 1, v121
	v_pk_fma_f32 v[122:123], v[124:125], v[122:123], v[126:127] neg_lo:[0,0,1] neg_hi:[0,0,1]
	v_mov_b32_e32 v123, v129
	s_delay_alu instid0(VALU_DEP_3) | instskip(NEXT) | instid1(VALU_DEP_2)
	v_cmp_lt_u32_e32 vcc_lo, 15, v121
	v_pk_add_f32 v[116:117], v[116:117], v[122:123]
	s_or_b32 s3, vcc_lo, s3
	s_delay_alu instid0(SALU_CYCLE_1)
	s_and_not1_b32 exec_lo, exec_lo, s3
	s_cbranch_execnz .LBB55_717
; %bb.718:
	s_or_b32 exec_lo, exec_lo, s3
.LBB55_719:
	s_delay_alu instid0(SALU_CYCLE_1) | instskip(SKIP_4) | instid1(VALU_DEP_1)
	s_or_b32 exec_lo, exec_lo, s2
	v_mov_b32_e32 v119, 0
	ds_load_b64 v[120:121], v119 offset:136
	s_wait_dscnt 0x0
	v_pk_mul_f32 v[122:123], v[116:117], v[120:121] op_sel:[1,1] op_sel_hi:[0,1]
	v_pk_fma_f32 v[124:125], v[116:117], v[120:121], v[122:123] op_sel_hi:[1,0,1]
	v_pk_fma_f32 v[116:117], v[116:117], v[120:121], v[122:123] neg_lo:[0,0,1] neg_hi:[0,0,1]
	s_delay_alu instid0(VALU_DEP_2)
	v_mov_b32_e32 v117, v125
	scratch_store_b64 off, v[116:117], off offset:136
.LBB55_720:
	s_wait_xcnt 0x0
	s_or_b32 exec_lo, exec_lo, s0
	scratch_load_b64 v[116:117], off, off offset:144
	s_mov_b32 s0, exec_lo
	s_wait_loadcnt 0x0
	ds_store_b64 v1, v[116:117]
	s_wait_storecnt_dscnt 0x0
	s_barrier_signal -1
	s_barrier_wait -1
	s_wait_xcnt 0x0
	v_cmpx_gt_u32_e32 18, v0
	s_cbranch_execz .LBB55_730
; %bb.721:
	v_cmp_ne_u32_e32 vcc_lo, 1, v118
	s_cbranch_vccnz .LBB55_723
; %bb.722:
	scratch_load_b64 v[116:117], v45, off
	ds_load_b64 v[120:121], v1
	s_wait_loadcnt_dscnt 0x0
	v_pk_mul_f32 v[122:123], v[120:121], v[116:117] op_sel:[1,1] op_sel_hi:[0,1]
	s_delay_alu instid0(VALU_DEP_1) | instskip(SKIP_1) | instid1(VALU_DEP_2)
	v_pk_fma_f32 v[124:125], v[120:121], v[116:117], v[122:123] op_sel_hi:[1,0,1]
	v_pk_fma_f32 v[116:117], v[120:121], v[116:117], v[122:123] neg_lo:[0,0,1] neg_hi:[0,0,1]
	v_mov_b32_e32 v117, v125
	s_cbranch_execz .LBB55_724
	s_branch .LBB55_725
.LBB55_723:
                                        ; implicit-def: $vgpr116_vgpr117
.LBB55_724:
	ds_load_b64 v[116:117], v1
.LBB55_725:
	s_mov_b32 s2, exec_lo
	v_cmpx_ne_u32_e32 17, v0
	s_cbranch_execz .LBB55_729
; %bb.726:
	v_add_nc_u32_e32 v119, 0x1c8, v44
	v_add3_u32 v120, 0, v44, 8
	v_mov_b32_e32 v121, v0
	s_mov_b32 s3, 0
.LBB55_727:                             ; =>This Inner Loop Header: Depth=1
	scratch_load_b64 v[122:123], v120, off
	ds_load_b64 v[124:125], v119
	s_wait_xcnt 0x0
	v_dual_add_nc_u32 v119, 8, v119 :: v_dual_add_nc_u32 v120, 8, v120
	s_wait_loadcnt_dscnt 0x0
	v_pk_mul_f32 v[126:127], v[124:125], v[122:123] op_sel:[1,1] op_sel_hi:[0,1]
	s_delay_alu instid0(VALU_DEP_1) | instskip(SKIP_2) | instid1(VALU_DEP_3)
	v_pk_fma_f32 v[128:129], v[124:125], v[122:123], v[126:127] op_sel_hi:[1,0,1]
	v_add_nc_u32_e32 v121, 1, v121
	v_pk_fma_f32 v[122:123], v[124:125], v[122:123], v[126:127] neg_lo:[0,0,1] neg_hi:[0,0,1]
	v_mov_b32_e32 v123, v129
	s_delay_alu instid0(VALU_DEP_3) | instskip(NEXT) | instid1(VALU_DEP_2)
	v_cmp_lt_u32_e32 vcc_lo, 16, v121
	v_pk_add_f32 v[116:117], v[116:117], v[122:123]
	s_or_b32 s3, vcc_lo, s3
	s_delay_alu instid0(SALU_CYCLE_1)
	s_and_not1_b32 exec_lo, exec_lo, s3
	s_cbranch_execnz .LBB55_727
; %bb.728:
	s_or_b32 exec_lo, exec_lo, s3
.LBB55_729:
	s_delay_alu instid0(SALU_CYCLE_1) | instskip(SKIP_4) | instid1(VALU_DEP_1)
	s_or_b32 exec_lo, exec_lo, s2
	v_mov_b32_e32 v119, 0
	ds_load_b64 v[120:121], v119 offset:144
	s_wait_dscnt 0x0
	v_pk_mul_f32 v[122:123], v[116:117], v[120:121] op_sel:[1,1] op_sel_hi:[0,1]
	v_pk_fma_f32 v[124:125], v[116:117], v[120:121], v[122:123] op_sel_hi:[1,0,1]
	v_pk_fma_f32 v[116:117], v[116:117], v[120:121], v[122:123] neg_lo:[0,0,1] neg_hi:[0,0,1]
	s_delay_alu instid0(VALU_DEP_2)
	v_mov_b32_e32 v117, v125
	scratch_store_b64 off, v[116:117], off offset:144
.LBB55_730:
	s_wait_xcnt 0x0
	s_or_b32 exec_lo, exec_lo, s0
	scratch_load_b64 v[116:117], off, off offset:152
	s_mov_b32 s0, exec_lo
	s_wait_loadcnt 0x0
	ds_store_b64 v1, v[116:117]
	s_wait_storecnt_dscnt 0x0
	s_barrier_signal -1
	s_barrier_wait -1
	s_wait_xcnt 0x0
	v_cmpx_gt_u32_e32 19, v0
	s_cbranch_execz .LBB55_740
; %bb.731:
	v_cmp_ne_u32_e32 vcc_lo, 1, v118
	s_cbranch_vccnz .LBB55_733
; %bb.732:
	scratch_load_b64 v[116:117], v45, off
	ds_load_b64 v[120:121], v1
	s_wait_loadcnt_dscnt 0x0
	v_pk_mul_f32 v[122:123], v[120:121], v[116:117] op_sel:[1,1] op_sel_hi:[0,1]
	s_delay_alu instid0(VALU_DEP_1) | instskip(SKIP_1) | instid1(VALU_DEP_2)
	v_pk_fma_f32 v[124:125], v[120:121], v[116:117], v[122:123] op_sel_hi:[1,0,1]
	v_pk_fma_f32 v[116:117], v[120:121], v[116:117], v[122:123] neg_lo:[0,0,1] neg_hi:[0,0,1]
	v_mov_b32_e32 v117, v125
	s_cbranch_execz .LBB55_734
	s_branch .LBB55_735
.LBB55_733:
                                        ; implicit-def: $vgpr116_vgpr117
.LBB55_734:
	ds_load_b64 v[116:117], v1
.LBB55_735:
	s_mov_b32 s2, exec_lo
	v_cmpx_ne_u32_e32 18, v0
	s_cbranch_execz .LBB55_739
; %bb.736:
	v_add_nc_u32_e32 v119, 0x1c8, v44
	v_add3_u32 v120, 0, v44, 8
	v_mov_b32_e32 v121, v0
	s_mov_b32 s3, 0
.LBB55_737:                             ; =>This Inner Loop Header: Depth=1
	scratch_load_b64 v[122:123], v120, off
	ds_load_b64 v[124:125], v119
	s_wait_xcnt 0x0
	v_dual_add_nc_u32 v119, 8, v119 :: v_dual_add_nc_u32 v120, 8, v120
	s_wait_loadcnt_dscnt 0x0
	v_pk_mul_f32 v[126:127], v[124:125], v[122:123] op_sel:[1,1] op_sel_hi:[0,1]
	s_delay_alu instid0(VALU_DEP_1) | instskip(SKIP_2) | instid1(VALU_DEP_3)
	v_pk_fma_f32 v[128:129], v[124:125], v[122:123], v[126:127] op_sel_hi:[1,0,1]
	v_add_nc_u32_e32 v121, 1, v121
	v_pk_fma_f32 v[122:123], v[124:125], v[122:123], v[126:127] neg_lo:[0,0,1] neg_hi:[0,0,1]
	v_mov_b32_e32 v123, v129
	s_delay_alu instid0(VALU_DEP_3) | instskip(NEXT) | instid1(VALU_DEP_2)
	v_cmp_lt_u32_e32 vcc_lo, 17, v121
	v_pk_add_f32 v[116:117], v[116:117], v[122:123]
	s_or_b32 s3, vcc_lo, s3
	s_delay_alu instid0(SALU_CYCLE_1)
	s_and_not1_b32 exec_lo, exec_lo, s3
	s_cbranch_execnz .LBB55_737
; %bb.738:
	s_or_b32 exec_lo, exec_lo, s3
.LBB55_739:
	s_delay_alu instid0(SALU_CYCLE_1) | instskip(SKIP_4) | instid1(VALU_DEP_1)
	s_or_b32 exec_lo, exec_lo, s2
	v_mov_b32_e32 v119, 0
	ds_load_b64 v[120:121], v119 offset:152
	s_wait_dscnt 0x0
	v_pk_mul_f32 v[122:123], v[116:117], v[120:121] op_sel:[1,1] op_sel_hi:[0,1]
	v_pk_fma_f32 v[124:125], v[116:117], v[120:121], v[122:123] op_sel_hi:[1,0,1]
	v_pk_fma_f32 v[116:117], v[116:117], v[120:121], v[122:123] neg_lo:[0,0,1] neg_hi:[0,0,1]
	s_delay_alu instid0(VALU_DEP_2)
	v_mov_b32_e32 v117, v125
	scratch_store_b64 off, v[116:117], off offset:152
.LBB55_740:
	s_wait_xcnt 0x0
	s_or_b32 exec_lo, exec_lo, s0
	scratch_load_b64 v[116:117], off, off offset:160
	s_mov_b32 s0, exec_lo
	s_wait_loadcnt 0x0
	ds_store_b64 v1, v[116:117]
	s_wait_storecnt_dscnt 0x0
	s_barrier_signal -1
	s_barrier_wait -1
	s_wait_xcnt 0x0
	v_cmpx_gt_u32_e32 20, v0
	s_cbranch_execz .LBB55_750
; %bb.741:
	v_cmp_ne_u32_e32 vcc_lo, 1, v118
	s_cbranch_vccnz .LBB55_743
; %bb.742:
	scratch_load_b64 v[116:117], v45, off
	ds_load_b64 v[120:121], v1
	s_wait_loadcnt_dscnt 0x0
	v_pk_mul_f32 v[122:123], v[120:121], v[116:117] op_sel:[1,1] op_sel_hi:[0,1]
	s_delay_alu instid0(VALU_DEP_1) | instskip(SKIP_1) | instid1(VALU_DEP_2)
	v_pk_fma_f32 v[124:125], v[120:121], v[116:117], v[122:123] op_sel_hi:[1,0,1]
	v_pk_fma_f32 v[116:117], v[120:121], v[116:117], v[122:123] neg_lo:[0,0,1] neg_hi:[0,0,1]
	v_mov_b32_e32 v117, v125
	s_cbranch_execz .LBB55_744
	s_branch .LBB55_745
.LBB55_743:
                                        ; implicit-def: $vgpr116_vgpr117
.LBB55_744:
	ds_load_b64 v[116:117], v1
.LBB55_745:
	s_mov_b32 s2, exec_lo
	v_cmpx_ne_u32_e32 19, v0
	s_cbranch_execz .LBB55_749
; %bb.746:
	v_add_nc_u32_e32 v119, 0x1c8, v44
	v_add3_u32 v120, 0, v44, 8
	v_mov_b32_e32 v121, v0
	s_mov_b32 s3, 0
.LBB55_747:                             ; =>This Inner Loop Header: Depth=1
	scratch_load_b64 v[122:123], v120, off
	ds_load_b64 v[124:125], v119
	s_wait_xcnt 0x0
	v_dual_add_nc_u32 v119, 8, v119 :: v_dual_add_nc_u32 v120, 8, v120
	s_wait_loadcnt_dscnt 0x0
	v_pk_mul_f32 v[126:127], v[124:125], v[122:123] op_sel:[1,1] op_sel_hi:[0,1]
	s_delay_alu instid0(VALU_DEP_1) | instskip(SKIP_2) | instid1(VALU_DEP_3)
	v_pk_fma_f32 v[128:129], v[124:125], v[122:123], v[126:127] op_sel_hi:[1,0,1]
	v_add_nc_u32_e32 v121, 1, v121
	v_pk_fma_f32 v[122:123], v[124:125], v[122:123], v[126:127] neg_lo:[0,0,1] neg_hi:[0,0,1]
	v_mov_b32_e32 v123, v129
	s_delay_alu instid0(VALU_DEP_3) | instskip(NEXT) | instid1(VALU_DEP_2)
	v_cmp_lt_u32_e32 vcc_lo, 18, v121
	v_pk_add_f32 v[116:117], v[116:117], v[122:123]
	s_or_b32 s3, vcc_lo, s3
	s_delay_alu instid0(SALU_CYCLE_1)
	s_and_not1_b32 exec_lo, exec_lo, s3
	s_cbranch_execnz .LBB55_747
; %bb.748:
	s_or_b32 exec_lo, exec_lo, s3
.LBB55_749:
	s_delay_alu instid0(SALU_CYCLE_1) | instskip(SKIP_4) | instid1(VALU_DEP_1)
	s_or_b32 exec_lo, exec_lo, s2
	v_mov_b32_e32 v119, 0
	ds_load_b64 v[120:121], v119 offset:160
	s_wait_dscnt 0x0
	v_pk_mul_f32 v[122:123], v[116:117], v[120:121] op_sel:[1,1] op_sel_hi:[0,1]
	v_pk_fma_f32 v[124:125], v[116:117], v[120:121], v[122:123] op_sel_hi:[1,0,1]
	v_pk_fma_f32 v[116:117], v[116:117], v[120:121], v[122:123] neg_lo:[0,0,1] neg_hi:[0,0,1]
	s_delay_alu instid0(VALU_DEP_2)
	v_mov_b32_e32 v117, v125
	scratch_store_b64 off, v[116:117], off offset:160
.LBB55_750:
	s_wait_xcnt 0x0
	s_or_b32 exec_lo, exec_lo, s0
	scratch_load_b64 v[116:117], off, off offset:168
	s_mov_b32 s0, exec_lo
	s_wait_loadcnt 0x0
	ds_store_b64 v1, v[116:117]
	s_wait_storecnt_dscnt 0x0
	s_barrier_signal -1
	s_barrier_wait -1
	s_wait_xcnt 0x0
	v_cmpx_gt_u32_e32 21, v0
	s_cbranch_execz .LBB55_760
; %bb.751:
	v_cmp_ne_u32_e32 vcc_lo, 1, v118
	s_cbranch_vccnz .LBB55_753
; %bb.752:
	scratch_load_b64 v[116:117], v45, off
	ds_load_b64 v[120:121], v1
	s_wait_loadcnt_dscnt 0x0
	v_pk_mul_f32 v[122:123], v[120:121], v[116:117] op_sel:[1,1] op_sel_hi:[0,1]
	s_delay_alu instid0(VALU_DEP_1) | instskip(SKIP_1) | instid1(VALU_DEP_2)
	v_pk_fma_f32 v[124:125], v[120:121], v[116:117], v[122:123] op_sel_hi:[1,0,1]
	v_pk_fma_f32 v[116:117], v[120:121], v[116:117], v[122:123] neg_lo:[0,0,1] neg_hi:[0,0,1]
	v_mov_b32_e32 v117, v125
	s_cbranch_execz .LBB55_754
	s_branch .LBB55_755
.LBB55_753:
                                        ; implicit-def: $vgpr116_vgpr117
.LBB55_754:
	ds_load_b64 v[116:117], v1
.LBB55_755:
	s_mov_b32 s2, exec_lo
	v_cmpx_ne_u32_e32 20, v0
	s_cbranch_execz .LBB55_759
; %bb.756:
	v_add_nc_u32_e32 v119, 0x1c8, v44
	v_add3_u32 v120, 0, v44, 8
	v_mov_b32_e32 v121, v0
	s_mov_b32 s3, 0
.LBB55_757:                             ; =>This Inner Loop Header: Depth=1
	scratch_load_b64 v[122:123], v120, off
	ds_load_b64 v[124:125], v119
	s_wait_xcnt 0x0
	v_dual_add_nc_u32 v119, 8, v119 :: v_dual_add_nc_u32 v120, 8, v120
	s_wait_loadcnt_dscnt 0x0
	v_pk_mul_f32 v[126:127], v[124:125], v[122:123] op_sel:[1,1] op_sel_hi:[0,1]
	s_delay_alu instid0(VALU_DEP_1) | instskip(SKIP_2) | instid1(VALU_DEP_3)
	v_pk_fma_f32 v[128:129], v[124:125], v[122:123], v[126:127] op_sel_hi:[1,0,1]
	v_add_nc_u32_e32 v121, 1, v121
	v_pk_fma_f32 v[122:123], v[124:125], v[122:123], v[126:127] neg_lo:[0,0,1] neg_hi:[0,0,1]
	v_mov_b32_e32 v123, v129
	s_delay_alu instid0(VALU_DEP_3) | instskip(NEXT) | instid1(VALU_DEP_2)
	v_cmp_lt_u32_e32 vcc_lo, 19, v121
	v_pk_add_f32 v[116:117], v[116:117], v[122:123]
	s_or_b32 s3, vcc_lo, s3
	s_delay_alu instid0(SALU_CYCLE_1)
	s_and_not1_b32 exec_lo, exec_lo, s3
	s_cbranch_execnz .LBB55_757
; %bb.758:
	s_or_b32 exec_lo, exec_lo, s3
.LBB55_759:
	s_delay_alu instid0(SALU_CYCLE_1) | instskip(SKIP_4) | instid1(VALU_DEP_1)
	s_or_b32 exec_lo, exec_lo, s2
	v_mov_b32_e32 v119, 0
	ds_load_b64 v[120:121], v119 offset:168
	s_wait_dscnt 0x0
	v_pk_mul_f32 v[122:123], v[116:117], v[120:121] op_sel:[1,1] op_sel_hi:[0,1]
	v_pk_fma_f32 v[124:125], v[116:117], v[120:121], v[122:123] op_sel_hi:[1,0,1]
	v_pk_fma_f32 v[116:117], v[116:117], v[120:121], v[122:123] neg_lo:[0,0,1] neg_hi:[0,0,1]
	s_delay_alu instid0(VALU_DEP_2)
	v_mov_b32_e32 v117, v125
	scratch_store_b64 off, v[116:117], off offset:168
.LBB55_760:
	s_wait_xcnt 0x0
	s_or_b32 exec_lo, exec_lo, s0
	scratch_load_b64 v[116:117], off, off offset:176
	s_mov_b32 s0, exec_lo
	s_wait_loadcnt 0x0
	ds_store_b64 v1, v[116:117]
	s_wait_storecnt_dscnt 0x0
	s_barrier_signal -1
	s_barrier_wait -1
	s_wait_xcnt 0x0
	v_cmpx_gt_u32_e32 22, v0
	s_cbranch_execz .LBB55_770
; %bb.761:
	v_cmp_ne_u32_e32 vcc_lo, 1, v118
	s_cbranch_vccnz .LBB55_763
; %bb.762:
	scratch_load_b64 v[116:117], v45, off
	ds_load_b64 v[120:121], v1
	s_wait_loadcnt_dscnt 0x0
	v_pk_mul_f32 v[122:123], v[120:121], v[116:117] op_sel:[1,1] op_sel_hi:[0,1]
	s_delay_alu instid0(VALU_DEP_1) | instskip(SKIP_1) | instid1(VALU_DEP_2)
	v_pk_fma_f32 v[124:125], v[120:121], v[116:117], v[122:123] op_sel_hi:[1,0,1]
	v_pk_fma_f32 v[116:117], v[120:121], v[116:117], v[122:123] neg_lo:[0,0,1] neg_hi:[0,0,1]
	v_mov_b32_e32 v117, v125
	s_cbranch_execz .LBB55_764
	s_branch .LBB55_765
.LBB55_763:
                                        ; implicit-def: $vgpr116_vgpr117
.LBB55_764:
	ds_load_b64 v[116:117], v1
.LBB55_765:
	s_mov_b32 s2, exec_lo
	v_cmpx_ne_u32_e32 21, v0
	s_cbranch_execz .LBB55_769
; %bb.766:
	v_add_nc_u32_e32 v119, 0x1c8, v44
	v_add3_u32 v120, 0, v44, 8
	v_mov_b32_e32 v121, v0
	s_mov_b32 s3, 0
.LBB55_767:                             ; =>This Inner Loop Header: Depth=1
	scratch_load_b64 v[122:123], v120, off
	ds_load_b64 v[124:125], v119
	s_wait_xcnt 0x0
	v_dual_add_nc_u32 v119, 8, v119 :: v_dual_add_nc_u32 v120, 8, v120
	s_wait_loadcnt_dscnt 0x0
	v_pk_mul_f32 v[126:127], v[124:125], v[122:123] op_sel:[1,1] op_sel_hi:[0,1]
	s_delay_alu instid0(VALU_DEP_1) | instskip(SKIP_2) | instid1(VALU_DEP_3)
	v_pk_fma_f32 v[128:129], v[124:125], v[122:123], v[126:127] op_sel_hi:[1,0,1]
	v_add_nc_u32_e32 v121, 1, v121
	v_pk_fma_f32 v[122:123], v[124:125], v[122:123], v[126:127] neg_lo:[0,0,1] neg_hi:[0,0,1]
	v_mov_b32_e32 v123, v129
	s_delay_alu instid0(VALU_DEP_3) | instskip(NEXT) | instid1(VALU_DEP_2)
	v_cmp_lt_u32_e32 vcc_lo, 20, v121
	v_pk_add_f32 v[116:117], v[116:117], v[122:123]
	s_or_b32 s3, vcc_lo, s3
	s_delay_alu instid0(SALU_CYCLE_1)
	s_and_not1_b32 exec_lo, exec_lo, s3
	s_cbranch_execnz .LBB55_767
; %bb.768:
	s_or_b32 exec_lo, exec_lo, s3
.LBB55_769:
	s_delay_alu instid0(SALU_CYCLE_1) | instskip(SKIP_4) | instid1(VALU_DEP_1)
	s_or_b32 exec_lo, exec_lo, s2
	v_mov_b32_e32 v119, 0
	ds_load_b64 v[120:121], v119 offset:176
	s_wait_dscnt 0x0
	v_pk_mul_f32 v[122:123], v[116:117], v[120:121] op_sel:[1,1] op_sel_hi:[0,1]
	v_pk_fma_f32 v[124:125], v[116:117], v[120:121], v[122:123] op_sel_hi:[1,0,1]
	v_pk_fma_f32 v[116:117], v[116:117], v[120:121], v[122:123] neg_lo:[0,0,1] neg_hi:[0,0,1]
	s_delay_alu instid0(VALU_DEP_2)
	v_mov_b32_e32 v117, v125
	scratch_store_b64 off, v[116:117], off offset:176
.LBB55_770:
	s_wait_xcnt 0x0
	s_or_b32 exec_lo, exec_lo, s0
	scratch_load_b64 v[116:117], off, off offset:184
	s_mov_b32 s0, exec_lo
	s_wait_loadcnt 0x0
	ds_store_b64 v1, v[116:117]
	s_wait_storecnt_dscnt 0x0
	s_barrier_signal -1
	s_barrier_wait -1
	s_wait_xcnt 0x0
	v_cmpx_gt_u32_e32 23, v0
	s_cbranch_execz .LBB55_780
; %bb.771:
	v_cmp_ne_u32_e32 vcc_lo, 1, v118
	s_cbranch_vccnz .LBB55_773
; %bb.772:
	scratch_load_b64 v[116:117], v45, off
	ds_load_b64 v[120:121], v1
	s_wait_loadcnt_dscnt 0x0
	v_pk_mul_f32 v[122:123], v[120:121], v[116:117] op_sel:[1,1] op_sel_hi:[0,1]
	s_delay_alu instid0(VALU_DEP_1) | instskip(SKIP_1) | instid1(VALU_DEP_2)
	v_pk_fma_f32 v[124:125], v[120:121], v[116:117], v[122:123] op_sel_hi:[1,0,1]
	v_pk_fma_f32 v[116:117], v[120:121], v[116:117], v[122:123] neg_lo:[0,0,1] neg_hi:[0,0,1]
	v_mov_b32_e32 v117, v125
	s_cbranch_execz .LBB55_774
	s_branch .LBB55_775
.LBB55_773:
                                        ; implicit-def: $vgpr116_vgpr117
.LBB55_774:
	ds_load_b64 v[116:117], v1
.LBB55_775:
	s_mov_b32 s2, exec_lo
	v_cmpx_ne_u32_e32 22, v0
	s_cbranch_execz .LBB55_779
; %bb.776:
	v_add_nc_u32_e32 v119, 0x1c8, v44
	v_add3_u32 v120, 0, v44, 8
	v_mov_b32_e32 v121, v0
	s_mov_b32 s3, 0
.LBB55_777:                             ; =>This Inner Loop Header: Depth=1
	scratch_load_b64 v[122:123], v120, off
	ds_load_b64 v[124:125], v119
	s_wait_xcnt 0x0
	v_dual_add_nc_u32 v119, 8, v119 :: v_dual_add_nc_u32 v120, 8, v120
	s_wait_loadcnt_dscnt 0x0
	v_pk_mul_f32 v[126:127], v[124:125], v[122:123] op_sel:[1,1] op_sel_hi:[0,1]
	s_delay_alu instid0(VALU_DEP_1) | instskip(SKIP_2) | instid1(VALU_DEP_3)
	v_pk_fma_f32 v[128:129], v[124:125], v[122:123], v[126:127] op_sel_hi:[1,0,1]
	v_add_nc_u32_e32 v121, 1, v121
	v_pk_fma_f32 v[122:123], v[124:125], v[122:123], v[126:127] neg_lo:[0,0,1] neg_hi:[0,0,1]
	v_mov_b32_e32 v123, v129
	s_delay_alu instid0(VALU_DEP_3) | instskip(NEXT) | instid1(VALU_DEP_2)
	v_cmp_lt_u32_e32 vcc_lo, 21, v121
	v_pk_add_f32 v[116:117], v[116:117], v[122:123]
	s_or_b32 s3, vcc_lo, s3
	s_delay_alu instid0(SALU_CYCLE_1)
	s_and_not1_b32 exec_lo, exec_lo, s3
	s_cbranch_execnz .LBB55_777
; %bb.778:
	s_or_b32 exec_lo, exec_lo, s3
.LBB55_779:
	s_delay_alu instid0(SALU_CYCLE_1) | instskip(SKIP_4) | instid1(VALU_DEP_1)
	s_or_b32 exec_lo, exec_lo, s2
	v_mov_b32_e32 v119, 0
	ds_load_b64 v[120:121], v119 offset:184
	s_wait_dscnt 0x0
	v_pk_mul_f32 v[122:123], v[116:117], v[120:121] op_sel:[1,1] op_sel_hi:[0,1]
	v_pk_fma_f32 v[124:125], v[116:117], v[120:121], v[122:123] op_sel_hi:[1,0,1]
	v_pk_fma_f32 v[116:117], v[116:117], v[120:121], v[122:123] neg_lo:[0,0,1] neg_hi:[0,0,1]
	s_delay_alu instid0(VALU_DEP_2)
	v_mov_b32_e32 v117, v125
	scratch_store_b64 off, v[116:117], off offset:184
.LBB55_780:
	s_wait_xcnt 0x0
	s_or_b32 exec_lo, exec_lo, s0
	scratch_load_b64 v[116:117], off, off offset:192
	s_mov_b32 s0, exec_lo
	s_wait_loadcnt 0x0
	ds_store_b64 v1, v[116:117]
	s_wait_storecnt_dscnt 0x0
	s_barrier_signal -1
	s_barrier_wait -1
	s_wait_xcnt 0x0
	v_cmpx_gt_u32_e32 24, v0
	s_cbranch_execz .LBB55_790
; %bb.781:
	v_cmp_ne_u32_e32 vcc_lo, 1, v118
	s_cbranch_vccnz .LBB55_783
; %bb.782:
	scratch_load_b64 v[116:117], v45, off
	ds_load_b64 v[120:121], v1
	s_wait_loadcnt_dscnt 0x0
	v_pk_mul_f32 v[122:123], v[120:121], v[116:117] op_sel:[1,1] op_sel_hi:[0,1]
	s_delay_alu instid0(VALU_DEP_1) | instskip(SKIP_1) | instid1(VALU_DEP_2)
	v_pk_fma_f32 v[124:125], v[120:121], v[116:117], v[122:123] op_sel_hi:[1,0,1]
	v_pk_fma_f32 v[116:117], v[120:121], v[116:117], v[122:123] neg_lo:[0,0,1] neg_hi:[0,0,1]
	v_mov_b32_e32 v117, v125
	s_cbranch_execz .LBB55_784
	s_branch .LBB55_785
.LBB55_783:
                                        ; implicit-def: $vgpr116_vgpr117
.LBB55_784:
	ds_load_b64 v[116:117], v1
.LBB55_785:
	s_mov_b32 s2, exec_lo
	v_cmpx_ne_u32_e32 23, v0
	s_cbranch_execz .LBB55_789
; %bb.786:
	v_add_nc_u32_e32 v119, 0x1c8, v44
	v_add3_u32 v120, 0, v44, 8
	v_mov_b32_e32 v121, v0
	s_mov_b32 s3, 0
.LBB55_787:                             ; =>This Inner Loop Header: Depth=1
	scratch_load_b64 v[122:123], v120, off
	ds_load_b64 v[124:125], v119
	s_wait_xcnt 0x0
	v_dual_add_nc_u32 v119, 8, v119 :: v_dual_add_nc_u32 v120, 8, v120
	s_wait_loadcnt_dscnt 0x0
	v_pk_mul_f32 v[126:127], v[124:125], v[122:123] op_sel:[1,1] op_sel_hi:[0,1]
	s_delay_alu instid0(VALU_DEP_1) | instskip(SKIP_2) | instid1(VALU_DEP_3)
	v_pk_fma_f32 v[128:129], v[124:125], v[122:123], v[126:127] op_sel_hi:[1,0,1]
	v_add_nc_u32_e32 v121, 1, v121
	v_pk_fma_f32 v[122:123], v[124:125], v[122:123], v[126:127] neg_lo:[0,0,1] neg_hi:[0,0,1]
	v_mov_b32_e32 v123, v129
	s_delay_alu instid0(VALU_DEP_3) | instskip(NEXT) | instid1(VALU_DEP_2)
	v_cmp_lt_u32_e32 vcc_lo, 22, v121
	v_pk_add_f32 v[116:117], v[116:117], v[122:123]
	s_or_b32 s3, vcc_lo, s3
	s_delay_alu instid0(SALU_CYCLE_1)
	s_and_not1_b32 exec_lo, exec_lo, s3
	s_cbranch_execnz .LBB55_787
; %bb.788:
	s_or_b32 exec_lo, exec_lo, s3
.LBB55_789:
	s_delay_alu instid0(SALU_CYCLE_1) | instskip(SKIP_4) | instid1(VALU_DEP_1)
	s_or_b32 exec_lo, exec_lo, s2
	v_mov_b32_e32 v119, 0
	ds_load_b64 v[120:121], v119 offset:192
	s_wait_dscnt 0x0
	v_pk_mul_f32 v[122:123], v[116:117], v[120:121] op_sel:[1,1] op_sel_hi:[0,1]
	v_pk_fma_f32 v[124:125], v[116:117], v[120:121], v[122:123] op_sel_hi:[1,0,1]
	v_pk_fma_f32 v[116:117], v[116:117], v[120:121], v[122:123] neg_lo:[0,0,1] neg_hi:[0,0,1]
	s_delay_alu instid0(VALU_DEP_2)
	v_mov_b32_e32 v117, v125
	scratch_store_b64 off, v[116:117], off offset:192
.LBB55_790:
	s_wait_xcnt 0x0
	s_or_b32 exec_lo, exec_lo, s0
	scratch_load_b64 v[116:117], off, off offset:200
	s_mov_b32 s0, exec_lo
	s_wait_loadcnt 0x0
	ds_store_b64 v1, v[116:117]
	s_wait_storecnt_dscnt 0x0
	s_barrier_signal -1
	s_barrier_wait -1
	s_wait_xcnt 0x0
	v_cmpx_gt_u32_e32 25, v0
	s_cbranch_execz .LBB55_800
; %bb.791:
	v_cmp_ne_u32_e32 vcc_lo, 1, v118
	s_cbranch_vccnz .LBB55_793
; %bb.792:
	scratch_load_b64 v[116:117], v45, off
	ds_load_b64 v[120:121], v1
	s_wait_loadcnt_dscnt 0x0
	v_pk_mul_f32 v[122:123], v[120:121], v[116:117] op_sel:[1,1] op_sel_hi:[0,1]
	s_delay_alu instid0(VALU_DEP_1) | instskip(SKIP_1) | instid1(VALU_DEP_2)
	v_pk_fma_f32 v[124:125], v[120:121], v[116:117], v[122:123] op_sel_hi:[1,0,1]
	v_pk_fma_f32 v[116:117], v[120:121], v[116:117], v[122:123] neg_lo:[0,0,1] neg_hi:[0,0,1]
	v_mov_b32_e32 v117, v125
	s_cbranch_execz .LBB55_794
	s_branch .LBB55_795
.LBB55_793:
                                        ; implicit-def: $vgpr116_vgpr117
.LBB55_794:
	ds_load_b64 v[116:117], v1
.LBB55_795:
	s_mov_b32 s2, exec_lo
	v_cmpx_ne_u32_e32 24, v0
	s_cbranch_execz .LBB55_799
; %bb.796:
	v_add_nc_u32_e32 v119, 0x1c8, v44
	v_add3_u32 v120, 0, v44, 8
	v_mov_b32_e32 v121, v0
	s_mov_b32 s3, 0
.LBB55_797:                             ; =>This Inner Loop Header: Depth=1
	scratch_load_b64 v[122:123], v120, off
	ds_load_b64 v[124:125], v119
	s_wait_xcnt 0x0
	v_dual_add_nc_u32 v119, 8, v119 :: v_dual_add_nc_u32 v120, 8, v120
	s_wait_loadcnt_dscnt 0x0
	v_pk_mul_f32 v[126:127], v[124:125], v[122:123] op_sel:[1,1] op_sel_hi:[0,1]
	s_delay_alu instid0(VALU_DEP_1) | instskip(SKIP_2) | instid1(VALU_DEP_3)
	v_pk_fma_f32 v[128:129], v[124:125], v[122:123], v[126:127] op_sel_hi:[1,0,1]
	v_add_nc_u32_e32 v121, 1, v121
	v_pk_fma_f32 v[122:123], v[124:125], v[122:123], v[126:127] neg_lo:[0,0,1] neg_hi:[0,0,1]
	v_mov_b32_e32 v123, v129
	s_delay_alu instid0(VALU_DEP_3) | instskip(NEXT) | instid1(VALU_DEP_2)
	v_cmp_lt_u32_e32 vcc_lo, 23, v121
	v_pk_add_f32 v[116:117], v[116:117], v[122:123]
	s_or_b32 s3, vcc_lo, s3
	s_delay_alu instid0(SALU_CYCLE_1)
	s_and_not1_b32 exec_lo, exec_lo, s3
	s_cbranch_execnz .LBB55_797
; %bb.798:
	s_or_b32 exec_lo, exec_lo, s3
.LBB55_799:
	s_delay_alu instid0(SALU_CYCLE_1) | instskip(SKIP_4) | instid1(VALU_DEP_1)
	s_or_b32 exec_lo, exec_lo, s2
	v_mov_b32_e32 v119, 0
	ds_load_b64 v[120:121], v119 offset:200
	s_wait_dscnt 0x0
	v_pk_mul_f32 v[122:123], v[116:117], v[120:121] op_sel:[1,1] op_sel_hi:[0,1]
	v_pk_fma_f32 v[124:125], v[116:117], v[120:121], v[122:123] op_sel_hi:[1,0,1]
	v_pk_fma_f32 v[116:117], v[116:117], v[120:121], v[122:123] neg_lo:[0,0,1] neg_hi:[0,0,1]
	s_delay_alu instid0(VALU_DEP_2)
	v_mov_b32_e32 v117, v125
	scratch_store_b64 off, v[116:117], off offset:200
.LBB55_800:
	s_wait_xcnt 0x0
	s_or_b32 exec_lo, exec_lo, s0
	scratch_load_b64 v[116:117], off, off offset:208
	s_mov_b32 s0, exec_lo
	s_wait_loadcnt 0x0
	ds_store_b64 v1, v[116:117]
	s_wait_storecnt_dscnt 0x0
	s_barrier_signal -1
	s_barrier_wait -1
	s_wait_xcnt 0x0
	v_cmpx_gt_u32_e32 26, v0
	s_cbranch_execz .LBB55_810
; %bb.801:
	v_cmp_ne_u32_e32 vcc_lo, 1, v118
	s_cbranch_vccnz .LBB55_803
; %bb.802:
	scratch_load_b64 v[116:117], v45, off
	ds_load_b64 v[120:121], v1
	s_wait_loadcnt_dscnt 0x0
	v_pk_mul_f32 v[122:123], v[120:121], v[116:117] op_sel:[1,1] op_sel_hi:[0,1]
	s_delay_alu instid0(VALU_DEP_1) | instskip(SKIP_1) | instid1(VALU_DEP_2)
	v_pk_fma_f32 v[124:125], v[120:121], v[116:117], v[122:123] op_sel_hi:[1,0,1]
	v_pk_fma_f32 v[116:117], v[120:121], v[116:117], v[122:123] neg_lo:[0,0,1] neg_hi:[0,0,1]
	v_mov_b32_e32 v117, v125
	s_cbranch_execz .LBB55_804
	s_branch .LBB55_805
.LBB55_803:
                                        ; implicit-def: $vgpr116_vgpr117
.LBB55_804:
	ds_load_b64 v[116:117], v1
.LBB55_805:
	s_mov_b32 s2, exec_lo
	v_cmpx_ne_u32_e32 25, v0
	s_cbranch_execz .LBB55_809
; %bb.806:
	v_add_nc_u32_e32 v119, 0x1c8, v44
	v_add3_u32 v120, 0, v44, 8
	v_mov_b32_e32 v121, v0
	s_mov_b32 s3, 0
.LBB55_807:                             ; =>This Inner Loop Header: Depth=1
	scratch_load_b64 v[122:123], v120, off
	ds_load_b64 v[124:125], v119
	s_wait_xcnt 0x0
	v_dual_add_nc_u32 v119, 8, v119 :: v_dual_add_nc_u32 v120, 8, v120
	s_wait_loadcnt_dscnt 0x0
	v_pk_mul_f32 v[126:127], v[124:125], v[122:123] op_sel:[1,1] op_sel_hi:[0,1]
	s_delay_alu instid0(VALU_DEP_1) | instskip(SKIP_2) | instid1(VALU_DEP_3)
	v_pk_fma_f32 v[128:129], v[124:125], v[122:123], v[126:127] op_sel_hi:[1,0,1]
	v_add_nc_u32_e32 v121, 1, v121
	v_pk_fma_f32 v[122:123], v[124:125], v[122:123], v[126:127] neg_lo:[0,0,1] neg_hi:[0,0,1]
	v_mov_b32_e32 v123, v129
	s_delay_alu instid0(VALU_DEP_3) | instskip(NEXT) | instid1(VALU_DEP_2)
	v_cmp_lt_u32_e32 vcc_lo, 24, v121
	v_pk_add_f32 v[116:117], v[116:117], v[122:123]
	s_or_b32 s3, vcc_lo, s3
	s_delay_alu instid0(SALU_CYCLE_1)
	s_and_not1_b32 exec_lo, exec_lo, s3
	s_cbranch_execnz .LBB55_807
; %bb.808:
	s_or_b32 exec_lo, exec_lo, s3
.LBB55_809:
	s_delay_alu instid0(SALU_CYCLE_1) | instskip(SKIP_4) | instid1(VALU_DEP_1)
	s_or_b32 exec_lo, exec_lo, s2
	v_mov_b32_e32 v119, 0
	ds_load_b64 v[120:121], v119 offset:208
	s_wait_dscnt 0x0
	v_pk_mul_f32 v[122:123], v[116:117], v[120:121] op_sel:[1,1] op_sel_hi:[0,1]
	v_pk_fma_f32 v[124:125], v[116:117], v[120:121], v[122:123] op_sel_hi:[1,0,1]
	v_pk_fma_f32 v[116:117], v[116:117], v[120:121], v[122:123] neg_lo:[0,0,1] neg_hi:[0,0,1]
	s_delay_alu instid0(VALU_DEP_2)
	v_mov_b32_e32 v117, v125
	scratch_store_b64 off, v[116:117], off offset:208
.LBB55_810:
	s_wait_xcnt 0x0
	s_or_b32 exec_lo, exec_lo, s0
	scratch_load_b64 v[116:117], off, off offset:216
	s_mov_b32 s0, exec_lo
	s_wait_loadcnt 0x0
	ds_store_b64 v1, v[116:117]
	s_wait_storecnt_dscnt 0x0
	s_barrier_signal -1
	s_barrier_wait -1
	s_wait_xcnt 0x0
	v_cmpx_gt_u32_e32 27, v0
	s_cbranch_execz .LBB55_820
; %bb.811:
	v_cmp_ne_u32_e32 vcc_lo, 1, v118
	s_cbranch_vccnz .LBB55_813
; %bb.812:
	scratch_load_b64 v[116:117], v45, off
	ds_load_b64 v[120:121], v1
	s_wait_loadcnt_dscnt 0x0
	v_pk_mul_f32 v[122:123], v[120:121], v[116:117] op_sel:[1,1] op_sel_hi:[0,1]
	s_delay_alu instid0(VALU_DEP_1) | instskip(SKIP_1) | instid1(VALU_DEP_2)
	v_pk_fma_f32 v[124:125], v[120:121], v[116:117], v[122:123] op_sel_hi:[1,0,1]
	v_pk_fma_f32 v[116:117], v[120:121], v[116:117], v[122:123] neg_lo:[0,0,1] neg_hi:[0,0,1]
	v_mov_b32_e32 v117, v125
	s_cbranch_execz .LBB55_814
	s_branch .LBB55_815
.LBB55_813:
                                        ; implicit-def: $vgpr116_vgpr117
.LBB55_814:
	ds_load_b64 v[116:117], v1
.LBB55_815:
	s_mov_b32 s2, exec_lo
	v_cmpx_ne_u32_e32 26, v0
	s_cbranch_execz .LBB55_819
; %bb.816:
	v_add_nc_u32_e32 v119, 0x1c8, v44
	v_add3_u32 v120, 0, v44, 8
	v_mov_b32_e32 v121, v0
	s_mov_b32 s3, 0
.LBB55_817:                             ; =>This Inner Loop Header: Depth=1
	scratch_load_b64 v[122:123], v120, off
	ds_load_b64 v[124:125], v119
	s_wait_xcnt 0x0
	v_dual_add_nc_u32 v119, 8, v119 :: v_dual_add_nc_u32 v120, 8, v120
	s_wait_loadcnt_dscnt 0x0
	v_pk_mul_f32 v[126:127], v[124:125], v[122:123] op_sel:[1,1] op_sel_hi:[0,1]
	s_delay_alu instid0(VALU_DEP_1) | instskip(SKIP_2) | instid1(VALU_DEP_3)
	v_pk_fma_f32 v[128:129], v[124:125], v[122:123], v[126:127] op_sel_hi:[1,0,1]
	v_add_nc_u32_e32 v121, 1, v121
	v_pk_fma_f32 v[122:123], v[124:125], v[122:123], v[126:127] neg_lo:[0,0,1] neg_hi:[0,0,1]
	v_mov_b32_e32 v123, v129
	s_delay_alu instid0(VALU_DEP_3) | instskip(NEXT) | instid1(VALU_DEP_2)
	v_cmp_lt_u32_e32 vcc_lo, 25, v121
	v_pk_add_f32 v[116:117], v[116:117], v[122:123]
	s_or_b32 s3, vcc_lo, s3
	s_delay_alu instid0(SALU_CYCLE_1)
	s_and_not1_b32 exec_lo, exec_lo, s3
	s_cbranch_execnz .LBB55_817
; %bb.818:
	s_or_b32 exec_lo, exec_lo, s3
.LBB55_819:
	s_delay_alu instid0(SALU_CYCLE_1) | instskip(SKIP_4) | instid1(VALU_DEP_1)
	s_or_b32 exec_lo, exec_lo, s2
	v_mov_b32_e32 v119, 0
	ds_load_b64 v[120:121], v119 offset:216
	s_wait_dscnt 0x0
	v_pk_mul_f32 v[122:123], v[116:117], v[120:121] op_sel:[1,1] op_sel_hi:[0,1]
	v_pk_fma_f32 v[124:125], v[116:117], v[120:121], v[122:123] op_sel_hi:[1,0,1]
	v_pk_fma_f32 v[116:117], v[116:117], v[120:121], v[122:123] neg_lo:[0,0,1] neg_hi:[0,0,1]
	s_delay_alu instid0(VALU_DEP_2)
	v_mov_b32_e32 v117, v125
	scratch_store_b64 off, v[116:117], off offset:216
.LBB55_820:
	s_wait_xcnt 0x0
	s_or_b32 exec_lo, exec_lo, s0
	scratch_load_b64 v[116:117], off, off offset:224
	s_mov_b32 s0, exec_lo
	s_wait_loadcnt 0x0
	ds_store_b64 v1, v[116:117]
	s_wait_storecnt_dscnt 0x0
	s_barrier_signal -1
	s_barrier_wait -1
	s_wait_xcnt 0x0
	v_cmpx_gt_u32_e32 28, v0
	s_cbranch_execz .LBB55_830
; %bb.821:
	v_cmp_ne_u32_e32 vcc_lo, 1, v118
	s_cbranch_vccnz .LBB55_823
; %bb.822:
	scratch_load_b64 v[116:117], v45, off
	ds_load_b64 v[120:121], v1
	s_wait_loadcnt_dscnt 0x0
	v_pk_mul_f32 v[122:123], v[120:121], v[116:117] op_sel:[1,1] op_sel_hi:[0,1]
	s_delay_alu instid0(VALU_DEP_1) | instskip(SKIP_1) | instid1(VALU_DEP_2)
	v_pk_fma_f32 v[124:125], v[120:121], v[116:117], v[122:123] op_sel_hi:[1,0,1]
	v_pk_fma_f32 v[116:117], v[120:121], v[116:117], v[122:123] neg_lo:[0,0,1] neg_hi:[0,0,1]
	v_mov_b32_e32 v117, v125
	s_cbranch_execz .LBB55_824
	s_branch .LBB55_825
.LBB55_823:
                                        ; implicit-def: $vgpr116_vgpr117
.LBB55_824:
	ds_load_b64 v[116:117], v1
.LBB55_825:
	s_mov_b32 s2, exec_lo
	v_cmpx_ne_u32_e32 27, v0
	s_cbranch_execz .LBB55_829
; %bb.826:
	v_add_nc_u32_e32 v119, 0x1c8, v44
	v_add3_u32 v120, 0, v44, 8
	v_mov_b32_e32 v121, v0
	s_mov_b32 s3, 0
.LBB55_827:                             ; =>This Inner Loop Header: Depth=1
	scratch_load_b64 v[122:123], v120, off
	ds_load_b64 v[124:125], v119
	s_wait_xcnt 0x0
	v_dual_add_nc_u32 v119, 8, v119 :: v_dual_add_nc_u32 v120, 8, v120
	s_wait_loadcnt_dscnt 0x0
	v_pk_mul_f32 v[126:127], v[124:125], v[122:123] op_sel:[1,1] op_sel_hi:[0,1]
	s_delay_alu instid0(VALU_DEP_1) | instskip(SKIP_2) | instid1(VALU_DEP_3)
	v_pk_fma_f32 v[128:129], v[124:125], v[122:123], v[126:127] op_sel_hi:[1,0,1]
	v_add_nc_u32_e32 v121, 1, v121
	v_pk_fma_f32 v[122:123], v[124:125], v[122:123], v[126:127] neg_lo:[0,0,1] neg_hi:[0,0,1]
	v_mov_b32_e32 v123, v129
	s_delay_alu instid0(VALU_DEP_3) | instskip(NEXT) | instid1(VALU_DEP_2)
	v_cmp_lt_u32_e32 vcc_lo, 26, v121
	v_pk_add_f32 v[116:117], v[116:117], v[122:123]
	s_or_b32 s3, vcc_lo, s3
	s_delay_alu instid0(SALU_CYCLE_1)
	s_and_not1_b32 exec_lo, exec_lo, s3
	s_cbranch_execnz .LBB55_827
; %bb.828:
	s_or_b32 exec_lo, exec_lo, s3
.LBB55_829:
	s_delay_alu instid0(SALU_CYCLE_1) | instskip(SKIP_4) | instid1(VALU_DEP_1)
	s_or_b32 exec_lo, exec_lo, s2
	v_mov_b32_e32 v119, 0
	ds_load_b64 v[120:121], v119 offset:224
	s_wait_dscnt 0x0
	v_pk_mul_f32 v[122:123], v[116:117], v[120:121] op_sel:[1,1] op_sel_hi:[0,1]
	v_pk_fma_f32 v[124:125], v[116:117], v[120:121], v[122:123] op_sel_hi:[1,0,1]
	v_pk_fma_f32 v[116:117], v[116:117], v[120:121], v[122:123] neg_lo:[0,0,1] neg_hi:[0,0,1]
	s_delay_alu instid0(VALU_DEP_2)
	v_mov_b32_e32 v117, v125
	scratch_store_b64 off, v[116:117], off offset:224
.LBB55_830:
	s_wait_xcnt 0x0
	s_or_b32 exec_lo, exec_lo, s0
	scratch_load_b64 v[116:117], off, off offset:232
	s_mov_b32 s0, exec_lo
	s_wait_loadcnt 0x0
	ds_store_b64 v1, v[116:117]
	s_wait_storecnt_dscnt 0x0
	s_barrier_signal -1
	s_barrier_wait -1
	s_wait_xcnt 0x0
	v_cmpx_gt_u32_e32 29, v0
	s_cbranch_execz .LBB55_840
; %bb.831:
	v_cmp_ne_u32_e32 vcc_lo, 1, v118
	s_cbranch_vccnz .LBB55_833
; %bb.832:
	scratch_load_b64 v[116:117], v45, off
	ds_load_b64 v[120:121], v1
	s_wait_loadcnt_dscnt 0x0
	v_pk_mul_f32 v[122:123], v[120:121], v[116:117] op_sel:[1,1] op_sel_hi:[0,1]
	s_delay_alu instid0(VALU_DEP_1) | instskip(SKIP_1) | instid1(VALU_DEP_2)
	v_pk_fma_f32 v[124:125], v[120:121], v[116:117], v[122:123] op_sel_hi:[1,0,1]
	v_pk_fma_f32 v[116:117], v[120:121], v[116:117], v[122:123] neg_lo:[0,0,1] neg_hi:[0,0,1]
	v_mov_b32_e32 v117, v125
	s_cbranch_execz .LBB55_834
	s_branch .LBB55_835
.LBB55_833:
                                        ; implicit-def: $vgpr116_vgpr117
.LBB55_834:
	ds_load_b64 v[116:117], v1
.LBB55_835:
	s_mov_b32 s2, exec_lo
	v_cmpx_ne_u32_e32 28, v0
	s_cbranch_execz .LBB55_839
; %bb.836:
	v_add_nc_u32_e32 v119, 0x1c8, v44
	v_add3_u32 v120, 0, v44, 8
	v_mov_b32_e32 v121, v0
	s_mov_b32 s3, 0
.LBB55_837:                             ; =>This Inner Loop Header: Depth=1
	scratch_load_b64 v[122:123], v120, off
	ds_load_b64 v[124:125], v119
	s_wait_xcnt 0x0
	v_dual_add_nc_u32 v119, 8, v119 :: v_dual_add_nc_u32 v120, 8, v120
	s_wait_loadcnt_dscnt 0x0
	v_pk_mul_f32 v[126:127], v[124:125], v[122:123] op_sel:[1,1] op_sel_hi:[0,1]
	s_delay_alu instid0(VALU_DEP_1) | instskip(SKIP_2) | instid1(VALU_DEP_3)
	v_pk_fma_f32 v[128:129], v[124:125], v[122:123], v[126:127] op_sel_hi:[1,0,1]
	v_add_nc_u32_e32 v121, 1, v121
	v_pk_fma_f32 v[122:123], v[124:125], v[122:123], v[126:127] neg_lo:[0,0,1] neg_hi:[0,0,1]
	v_mov_b32_e32 v123, v129
	s_delay_alu instid0(VALU_DEP_3) | instskip(NEXT) | instid1(VALU_DEP_2)
	v_cmp_lt_u32_e32 vcc_lo, 27, v121
	v_pk_add_f32 v[116:117], v[116:117], v[122:123]
	s_or_b32 s3, vcc_lo, s3
	s_delay_alu instid0(SALU_CYCLE_1)
	s_and_not1_b32 exec_lo, exec_lo, s3
	s_cbranch_execnz .LBB55_837
; %bb.838:
	s_or_b32 exec_lo, exec_lo, s3
.LBB55_839:
	s_delay_alu instid0(SALU_CYCLE_1) | instskip(SKIP_4) | instid1(VALU_DEP_1)
	s_or_b32 exec_lo, exec_lo, s2
	v_mov_b32_e32 v119, 0
	ds_load_b64 v[120:121], v119 offset:232
	s_wait_dscnt 0x0
	v_pk_mul_f32 v[122:123], v[116:117], v[120:121] op_sel:[1,1] op_sel_hi:[0,1]
	v_pk_fma_f32 v[124:125], v[116:117], v[120:121], v[122:123] op_sel_hi:[1,0,1]
	v_pk_fma_f32 v[116:117], v[116:117], v[120:121], v[122:123] neg_lo:[0,0,1] neg_hi:[0,0,1]
	s_delay_alu instid0(VALU_DEP_2)
	v_mov_b32_e32 v117, v125
	scratch_store_b64 off, v[116:117], off offset:232
.LBB55_840:
	s_wait_xcnt 0x0
	s_or_b32 exec_lo, exec_lo, s0
	scratch_load_b64 v[116:117], off, off offset:240
	s_mov_b32 s0, exec_lo
	s_wait_loadcnt 0x0
	ds_store_b64 v1, v[116:117]
	s_wait_storecnt_dscnt 0x0
	s_barrier_signal -1
	s_barrier_wait -1
	s_wait_xcnt 0x0
	v_cmpx_gt_u32_e32 30, v0
	s_cbranch_execz .LBB55_850
; %bb.841:
	v_cmp_ne_u32_e32 vcc_lo, 1, v118
	s_cbranch_vccnz .LBB55_843
; %bb.842:
	scratch_load_b64 v[116:117], v45, off
	ds_load_b64 v[120:121], v1
	s_wait_loadcnt_dscnt 0x0
	v_pk_mul_f32 v[122:123], v[120:121], v[116:117] op_sel:[1,1] op_sel_hi:[0,1]
	s_delay_alu instid0(VALU_DEP_1) | instskip(SKIP_1) | instid1(VALU_DEP_2)
	v_pk_fma_f32 v[124:125], v[120:121], v[116:117], v[122:123] op_sel_hi:[1,0,1]
	v_pk_fma_f32 v[116:117], v[120:121], v[116:117], v[122:123] neg_lo:[0,0,1] neg_hi:[0,0,1]
	v_mov_b32_e32 v117, v125
	s_cbranch_execz .LBB55_844
	s_branch .LBB55_845
.LBB55_843:
                                        ; implicit-def: $vgpr116_vgpr117
.LBB55_844:
	ds_load_b64 v[116:117], v1
.LBB55_845:
	s_mov_b32 s2, exec_lo
	v_cmpx_ne_u32_e32 29, v0
	s_cbranch_execz .LBB55_849
; %bb.846:
	v_add_nc_u32_e32 v119, 0x1c8, v44
	v_add3_u32 v120, 0, v44, 8
	v_mov_b32_e32 v121, v0
	s_mov_b32 s3, 0
.LBB55_847:                             ; =>This Inner Loop Header: Depth=1
	scratch_load_b64 v[122:123], v120, off
	ds_load_b64 v[124:125], v119
	s_wait_xcnt 0x0
	v_dual_add_nc_u32 v119, 8, v119 :: v_dual_add_nc_u32 v120, 8, v120
	s_wait_loadcnt_dscnt 0x0
	v_pk_mul_f32 v[126:127], v[124:125], v[122:123] op_sel:[1,1] op_sel_hi:[0,1]
	s_delay_alu instid0(VALU_DEP_1) | instskip(SKIP_2) | instid1(VALU_DEP_3)
	v_pk_fma_f32 v[128:129], v[124:125], v[122:123], v[126:127] op_sel_hi:[1,0,1]
	v_add_nc_u32_e32 v121, 1, v121
	v_pk_fma_f32 v[122:123], v[124:125], v[122:123], v[126:127] neg_lo:[0,0,1] neg_hi:[0,0,1]
	v_mov_b32_e32 v123, v129
	s_delay_alu instid0(VALU_DEP_3) | instskip(NEXT) | instid1(VALU_DEP_2)
	v_cmp_lt_u32_e32 vcc_lo, 28, v121
	v_pk_add_f32 v[116:117], v[116:117], v[122:123]
	s_or_b32 s3, vcc_lo, s3
	s_delay_alu instid0(SALU_CYCLE_1)
	s_and_not1_b32 exec_lo, exec_lo, s3
	s_cbranch_execnz .LBB55_847
; %bb.848:
	s_or_b32 exec_lo, exec_lo, s3
.LBB55_849:
	s_delay_alu instid0(SALU_CYCLE_1) | instskip(SKIP_4) | instid1(VALU_DEP_1)
	s_or_b32 exec_lo, exec_lo, s2
	v_mov_b32_e32 v119, 0
	ds_load_b64 v[120:121], v119 offset:240
	s_wait_dscnt 0x0
	v_pk_mul_f32 v[122:123], v[116:117], v[120:121] op_sel:[1,1] op_sel_hi:[0,1]
	v_pk_fma_f32 v[124:125], v[116:117], v[120:121], v[122:123] op_sel_hi:[1,0,1]
	v_pk_fma_f32 v[116:117], v[116:117], v[120:121], v[122:123] neg_lo:[0,0,1] neg_hi:[0,0,1]
	s_delay_alu instid0(VALU_DEP_2)
	v_mov_b32_e32 v117, v125
	scratch_store_b64 off, v[116:117], off offset:240
.LBB55_850:
	s_wait_xcnt 0x0
	s_or_b32 exec_lo, exec_lo, s0
	scratch_load_b64 v[116:117], off, off offset:248
	s_mov_b32 s0, exec_lo
	s_wait_loadcnt 0x0
	ds_store_b64 v1, v[116:117]
	s_wait_storecnt_dscnt 0x0
	s_barrier_signal -1
	s_barrier_wait -1
	s_wait_xcnt 0x0
	v_cmpx_gt_u32_e32 31, v0
	s_cbranch_execz .LBB55_860
; %bb.851:
	v_cmp_ne_u32_e32 vcc_lo, 1, v118
	s_cbranch_vccnz .LBB55_853
; %bb.852:
	scratch_load_b64 v[116:117], v45, off
	ds_load_b64 v[120:121], v1
	s_wait_loadcnt_dscnt 0x0
	v_pk_mul_f32 v[122:123], v[120:121], v[116:117] op_sel:[1,1] op_sel_hi:[0,1]
	s_delay_alu instid0(VALU_DEP_1) | instskip(SKIP_1) | instid1(VALU_DEP_2)
	v_pk_fma_f32 v[124:125], v[120:121], v[116:117], v[122:123] op_sel_hi:[1,0,1]
	v_pk_fma_f32 v[116:117], v[120:121], v[116:117], v[122:123] neg_lo:[0,0,1] neg_hi:[0,0,1]
	v_mov_b32_e32 v117, v125
	s_cbranch_execz .LBB55_854
	s_branch .LBB55_855
.LBB55_853:
                                        ; implicit-def: $vgpr116_vgpr117
.LBB55_854:
	ds_load_b64 v[116:117], v1
.LBB55_855:
	s_mov_b32 s2, exec_lo
	v_cmpx_ne_u32_e32 30, v0
	s_cbranch_execz .LBB55_859
; %bb.856:
	v_add_nc_u32_e32 v119, 0x1c8, v44
	v_add3_u32 v120, 0, v44, 8
	v_mov_b32_e32 v121, v0
	s_mov_b32 s3, 0
.LBB55_857:                             ; =>This Inner Loop Header: Depth=1
	scratch_load_b64 v[122:123], v120, off
	ds_load_b64 v[124:125], v119
	s_wait_xcnt 0x0
	v_dual_add_nc_u32 v119, 8, v119 :: v_dual_add_nc_u32 v120, 8, v120
	s_wait_loadcnt_dscnt 0x0
	v_pk_mul_f32 v[126:127], v[124:125], v[122:123] op_sel:[1,1] op_sel_hi:[0,1]
	s_delay_alu instid0(VALU_DEP_1) | instskip(SKIP_2) | instid1(VALU_DEP_3)
	v_pk_fma_f32 v[128:129], v[124:125], v[122:123], v[126:127] op_sel_hi:[1,0,1]
	v_add_nc_u32_e32 v121, 1, v121
	v_pk_fma_f32 v[122:123], v[124:125], v[122:123], v[126:127] neg_lo:[0,0,1] neg_hi:[0,0,1]
	v_mov_b32_e32 v123, v129
	s_delay_alu instid0(VALU_DEP_3) | instskip(NEXT) | instid1(VALU_DEP_2)
	v_cmp_lt_u32_e32 vcc_lo, 29, v121
	v_pk_add_f32 v[116:117], v[116:117], v[122:123]
	s_or_b32 s3, vcc_lo, s3
	s_delay_alu instid0(SALU_CYCLE_1)
	s_and_not1_b32 exec_lo, exec_lo, s3
	s_cbranch_execnz .LBB55_857
; %bb.858:
	s_or_b32 exec_lo, exec_lo, s3
.LBB55_859:
	s_delay_alu instid0(SALU_CYCLE_1) | instskip(SKIP_4) | instid1(VALU_DEP_1)
	s_or_b32 exec_lo, exec_lo, s2
	v_mov_b32_e32 v119, 0
	ds_load_b64 v[120:121], v119 offset:248
	s_wait_dscnt 0x0
	v_pk_mul_f32 v[122:123], v[116:117], v[120:121] op_sel:[1,1] op_sel_hi:[0,1]
	v_pk_fma_f32 v[124:125], v[116:117], v[120:121], v[122:123] op_sel_hi:[1,0,1]
	v_pk_fma_f32 v[116:117], v[116:117], v[120:121], v[122:123] neg_lo:[0,0,1] neg_hi:[0,0,1]
	s_delay_alu instid0(VALU_DEP_2)
	v_mov_b32_e32 v117, v125
	scratch_store_b64 off, v[116:117], off offset:248
.LBB55_860:
	s_wait_xcnt 0x0
	s_or_b32 exec_lo, exec_lo, s0
	scratch_load_b64 v[116:117], off, off offset:256
	s_mov_b32 s0, exec_lo
	s_wait_loadcnt 0x0
	ds_store_b64 v1, v[116:117]
	s_wait_storecnt_dscnt 0x0
	s_barrier_signal -1
	s_barrier_wait -1
	s_wait_xcnt 0x0
	v_cmpx_gt_u32_e32 32, v0
	s_cbranch_execz .LBB55_870
; %bb.861:
	v_cmp_ne_u32_e32 vcc_lo, 1, v118
	s_cbranch_vccnz .LBB55_863
; %bb.862:
	scratch_load_b64 v[116:117], v45, off
	ds_load_b64 v[120:121], v1
	s_wait_loadcnt_dscnt 0x0
	v_pk_mul_f32 v[122:123], v[120:121], v[116:117] op_sel:[1,1] op_sel_hi:[0,1]
	s_delay_alu instid0(VALU_DEP_1) | instskip(SKIP_1) | instid1(VALU_DEP_2)
	v_pk_fma_f32 v[124:125], v[120:121], v[116:117], v[122:123] op_sel_hi:[1,0,1]
	v_pk_fma_f32 v[116:117], v[120:121], v[116:117], v[122:123] neg_lo:[0,0,1] neg_hi:[0,0,1]
	v_mov_b32_e32 v117, v125
	s_cbranch_execz .LBB55_864
	s_branch .LBB55_865
.LBB55_863:
                                        ; implicit-def: $vgpr116_vgpr117
.LBB55_864:
	ds_load_b64 v[116:117], v1
.LBB55_865:
	s_mov_b32 s2, exec_lo
	v_cmpx_ne_u32_e32 31, v0
	s_cbranch_execz .LBB55_869
; %bb.866:
	v_add_nc_u32_e32 v119, 0x1c8, v44
	v_add3_u32 v120, 0, v44, 8
	v_mov_b32_e32 v121, v0
	s_mov_b32 s3, 0
.LBB55_867:                             ; =>This Inner Loop Header: Depth=1
	scratch_load_b64 v[122:123], v120, off
	ds_load_b64 v[124:125], v119
	s_wait_xcnt 0x0
	v_dual_add_nc_u32 v119, 8, v119 :: v_dual_add_nc_u32 v120, 8, v120
	s_wait_loadcnt_dscnt 0x0
	v_pk_mul_f32 v[126:127], v[124:125], v[122:123] op_sel:[1,1] op_sel_hi:[0,1]
	s_delay_alu instid0(VALU_DEP_1) | instskip(SKIP_2) | instid1(VALU_DEP_3)
	v_pk_fma_f32 v[128:129], v[124:125], v[122:123], v[126:127] op_sel_hi:[1,0,1]
	v_add_nc_u32_e32 v121, 1, v121
	v_pk_fma_f32 v[122:123], v[124:125], v[122:123], v[126:127] neg_lo:[0,0,1] neg_hi:[0,0,1]
	v_mov_b32_e32 v123, v129
	s_delay_alu instid0(VALU_DEP_3) | instskip(NEXT) | instid1(VALU_DEP_2)
	v_cmp_lt_u32_e32 vcc_lo, 30, v121
	v_pk_add_f32 v[116:117], v[116:117], v[122:123]
	s_or_b32 s3, vcc_lo, s3
	s_delay_alu instid0(SALU_CYCLE_1)
	s_and_not1_b32 exec_lo, exec_lo, s3
	s_cbranch_execnz .LBB55_867
; %bb.868:
	s_or_b32 exec_lo, exec_lo, s3
.LBB55_869:
	s_delay_alu instid0(SALU_CYCLE_1) | instskip(SKIP_4) | instid1(VALU_DEP_1)
	s_or_b32 exec_lo, exec_lo, s2
	v_mov_b32_e32 v119, 0
	ds_load_b64 v[120:121], v119 offset:256
	s_wait_dscnt 0x0
	v_pk_mul_f32 v[122:123], v[116:117], v[120:121] op_sel:[1,1] op_sel_hi:[0,1]
	v_pk_fma_f32 v[124:125], v[116:117], v[120:121], v[122:123] op_sel_hi:[1,0,1]
	v_pk_fma_f32 v[116:117], v[116:117], v[120:121], v[122:123] neg_lo:[0,0,1] neg_hi:[0,0,1]
	s_delay_alu instid0(VALU_DEP_2)
	v_mov_b32_e32 v117, v125
	scratch_store_b64 off, v[116:117], off offset:256
.LBB55_870:
	s_wait_xcnt 0x0
	s_or_b32 exec_lo, exec_lo, s0
	scratch_load_b64 v[116:117], off, off offset:264
	s_mov_b32 s0, exec_lo
	s_wait_loadcnt 0x0
	ds_store_b64 v1, v[116:117]
	s_wait_storecnt_dscnt 0x0
	s_barrier_signal -1
	s_barrier_wait -1
	s_wait_xcnt 0x0
	v_cmpx_gt_u32_e32 33, v0
	s_cbranch_execz .LBB55_880
; %bb.871:
	v_cmp_ne_u32_e32 vcc_lo, 1, v118
	s_cbranch_vccnz .LBB55_873
; %bb.872:
	scratch_load_b64 v[116:117], v45, off
	ds_load_b64 v[120:121], v1
	s_wait_loadcnt_dscnt 0x0
	v_pk_mul_f32 v[122:123], v[120:121], v[116:117] op_sel:[1,1] op_sel_hi:[0,1]
	s_delay_alu instid0(VALU_DEP_1) | instskip(SKIP_1) | instid1(VALU_DEP_2)
	v_pk_fma_f32 v[124:125], v[120:121], v[116:117], v[122:123] op_sel_hi:[1,0,1]
	v_pk_fma_f32 v[116:117], v[120:121], v[116:117], v[122:123] neg_lo:[0,0,1] neg_hi:[0,0,1]
	v_mov_b32_e32 v117, v125
	s_cbranch_execz .LBB55_874
	s_branch .LBB55_875
.LBB55_873:
                                        ; implicit-def: $vgpr116_vgpr117
.LBB55_874:
	ds_load_b64 v[116:117], v1
.LBB55_875:
	s_mov_b32 s2, exec_lo
	v_cmpx_ne_u32_e32 32, v0
	s_cbranch_execz .LBB55_879
; %bb.876:
	v_add_nc_u32_e32 v119, 0x1c8, v44
	v_add3_u32 v120, 0, v44, 8
	v_mov_b32_e32 v121, v0
	s_mov_b32 s3, 0
.LBB55_877:                             ; =>This Inner Loop Header: Depth=1
	scratch_load_b64 v[122:123], v120, off
	ds_load_b64 v[124:125], v119
	s_wait_xcnt 0x0
	v_dual_add_nc_u32 v119, 8, v119 :: v_dual_add_nc_u32 v120, 8, v120
	s_wait_loadcnt_dscnt 0x0
	v_pk_mul_f32 v[126:127], v[124:125], v[122:123] op_sel:[1,1] op_sel_hi:[0,1]
	s_delay_alu instid0(VALU_DEP_1) | instskip(SKIP_2) | instid1(VALU_DEP_3)
	v_pk_fma_f32 v[128:129], v[124:125], v[122:123], v[126:127] op_sel_hi:[1,0,1]
	v_add_nc_u32_e32 v121, 1, v121
	v_pk_fma_f32 v[122:123], v[124:125], v[122:123], v[126:127] neg_lo:[0,0,1] neg_hi:[0,0,1]
	v_mov_b32_e32 v123, v129
	s_delay_alu instid0(VALU_DEP_3) | instskip(NEXT) | instid1(VALU_DEP_2)
	v_cmp_lt_u32_e32 vcc_lo, 31, v121
	v_pk_add_f32 v[116:117], v[116:117], v[122:123]
	s_or_b32 s3, vcc_lo, s3
	s_delay_alu instid0(SALU_CYCLE_1)
	s_and_not1_b32 exec_lo, exec_lo, s3
	s_cbranch_execnz .LBB55_877
; %bb.878:
	s_or_b32 exec_lo, exec_lo, s3
.LBB55_879:
	s_delay_alu instid0(SALU_CYCLE_1) | instskip(SKIP_4) | instid1(VALU_DEP_1)
	s_or_b32 exec_lo, exec_lo, s2
	v_mov_b32_e32 v119, 0
	ds_load_b64 v[120:121], v119 offset:264
	s_wait_dscnt 0x0
	v_pk_mul_f32 v[122:123], v[116:117], v[120:121] op_sel:[1,1] op_sel_hi:[0,1]
	v_pk_fma_f32 v[124:125], v[116:117], v[120:121], v[122:123] op_sel_hi:[1,0,1]
	v_pk_fma_f32 v[116:117], v[116:117], v[120:121], v[122:123] neg_lo:[0,0,1] neg_hi:[0,0,1]
	s_delay_alu instid0(VALU_DEP_2)
	v_mov_b32_e32 v117, v125
	scratch_store_b64 off, v[116:117], off offset:264
.LBB55_880:
	s_wait_xcnt 0x0
	s_or_b32 exec_lo, exec_lo, s0
	scratch_load_b64 v[116:117], off, off offset:272
	s_mov_b32 s0, exec_lo
	s_wait_loadcnt 0x0
	ds_store_b64 v1, v[116:117]
	s_wait_storecnt_dscnt 0x0
	s_barrier_signal -1
	s_barrier_wait -1
	s_wait_xcnt 0x0
	v_cmpx_gt_u32_e32 34, v0
	s_cbranch_execz .LBB55_890
; %bb.881:
	v_cmp_ne_u32_e32 vcc_lo, 1, v118
	s_cbranch_vccnz .LBB55_883
; %bb.882:
	scratch_load_b64 v[116:117], v45, off
	ds_load_b64 v[120:121], v1
	s_wait_loadcnt_dscnt 0x0
	v_pk_mul_f32 v[122:123], v[120:121], v[116:117] op_sel:[1,1] op_sel_hi:[0,1]
	s_delay_alu instid0(VALU_DEP_1) | instskip(SKIP_1) | instid1(VALU_DEP_2)
	v_pk_fma_f32 v[124:125], v[120:121], v[116:117], v[122:123] op_sel_hi:[1,0,1]
	v_pk_fma_f32 v[116:117], v[120:121], v[116:117], v[122:123] neg_lo:[0,0,1] neg_hi:[0,0,1]
	v_mov_b32_e32 v117, v125
	s_cbranch_execz .LBB55_884
	s_branch .LBB55_885
.LBB55_883:
                                        ; implicit-def: $vgpr116_vgpr117
.LBB55_884:
	ds_load_b64 v[116:117], v1
.LBB55_885:
	s_mov_b32 s2, exec_lo
	v_cmpx_ne_u32_e32 33, v0
	s_cbranch_execz .LBB55_889
; %bb.886:
	v_add_nc_u32_e32 v119, 0x1c8, v44
	v_add3_u32 v120, 0, v44, 8
	v_mov_b32_e32 v121, v0
	s_mov_b32 s3, 0
.LBB55_887:                             ; =>This Inner Loop Header: Depth=1
	scratch_load_b64 v[122:123], v120, off
	ds_load_b64 v[124:125], v119
	s_wait_xcnt 0x0
	v_dual_add_nc_u32 v119, 8, v119 :: v_dual_add_nc_u32 v120, 8, v120
	s_wait_loadcnt_dscnt 0x0
	v_pk_mul_f32 v[126:127], v[124:125], v[122:123] op_sel:[1,1] op_sel_hi:[0,1]
	s_delay_alu instid0(VALU_DEP_1) | instskip(SKIP_2) | instid1(VALU_DEP_3)
	v_pk_fma_f32 v[128:129], v[124:125], v[122:123], v[126:127] op_sel_hi:[1,0,1]
	v_add_nc_u32_e32 v121, 1, v121
	v_pk_fma_f32 v[122:123], v[124:125], v[122:123], v[126:127] neg_lo:[0,0,1] neg_hi:[0,0,1]
	v_mov_b32_e32 v123, v129
	s_delay_alu instid0(VALU_DEP_3) | instskip(NEXT) | instid1(VALU_DEP_2)
	v_cmp_lt_u32_e32 vcc_lo, 32, v121
	v_pk_add_f32 v[116:117], v[116:117], v[122:123]
	s_or_b32 s3, vcc_lo, s3
	s_delay_alu instid0(SALU_CYCLE_1)
	s_and_not1_b32 exec_lo, exec_lo, s3
	s_cbranch_execnz .LBB55_887
; %bb.888:
	s_or_b32 exec_lo, exec_lo, s3
.LBB55_889:
	s_delay_alu instid0(SALU_CYCLE_1) | instskip(SKIP_4) | instid1(VALU_DEP_1)
	s_or_b32 exec_lo, exec_lo, s2
	v_mov_b32_e32 v119, 0
	ds_load_b64 v[120:121], v119 offset:272
	s_wait_dscnt 0x0
	v_pk_mul_f32 v[122:123], v[116:117], v[120:121] op_sel:[1,1] op_sel_hi:[0,1]
	v_pk_fma_f32 v[124:125], v[116:117], v[120:121], v[122:123] op_sel_hi:[1,0,1]
	v_pk_fma_f32 v[116:117], v[116:117], v[120:121], v[122:123] neg_lo:[0,0,1] neg_hi:[0,0,1]
	s_delay_alu instid0(VALU_DEP_2)
	v_mov_b32_e32 v117, v125
	scratch_store_b64 off, v[116:117], off offset:272
.LBB55_890:
	s_wait_xcnt 0x0
	s_or_b32 exec_lo, exec_lo, s0
	scratch_load_b64 v[116:117], off, off offset:280
	s_mov_b32 s0, exec_lo
	s_wait_loadcnt 0x0
	ds_store_b64 v1, v[116:117]
	s_wait_storecnt_dscnt 0x0
	s_barrier_signal -1
	s_barrier_wait -1
	s_wait_xcnt 0x0
	v_cmpx_gt_u32_e32 35, v0
	s_cbranch_execz .LBB55_900
; %bb.891:
	v_cmp_ne_u32_e32 vcc_lo, 1, v118
	s_cbranch_vccnz .LBB55_893
; %bb.892:
	scratch_load_b64 v[116:117], v45, off
	ds_load_b64 v[120:121], v1
	s_wait_loadcnt_dscnt 0x0
	v_pk_mul_f32 v[122:123], v[120:121], v[116:117] op_sel:[1,1] op_sel_hi:[0,1]
	s_delay_alu instid0(VALU_DEP_1) | instskip(SKIP_1) | instid1(VALU_DEP_2)
	v_pk_fma_f32 v[124:125], v[120:121], v[116:117], v[122:123] op_sel_hi:[1,0,1]
	v_pk_fma_f32 v[116:117], v[120:121], v[116:117], v[122:123] neg_lo:[0,0,1] neg_hi:[0,0,1]
	v_mov_b32_e32 v117, v125
	s_cbranch_execz .LBB55_894
	s_branch .LBB55_895
.LBB55_893:
                                        ; implicit-def: $vgpr116_vgpr117
.LBB55_894:
	ds_load_b64 v[116:117], v1
.LBB55_895:
	s_mov_b32 s2, exec_lo
	v_cmpx_ne_u32_e32 34, v0
	s_cbranch_execz .LBB55_899
; %bb.896:
	v_add_nc_u32_e32 v119, 0x1c8, v44
	v_add3_u32 v120, 0, v44, 8
	v_mov_b32_e32 v121, v0
	s_mov_b32 s3, 0
.LBB55_897:                             ; =>This Inner Loop Header: Depth=1
	scratch_load_b64 v[122:123], v120, off
	ds_load_b64 v[124:125], v119
	s_wait_xcnt 0x0
	v_dual_add_nc_u32 v119, 8, v119 :: v_dual_add_nc_u32 v120, 8, v120
	s_wait_loadcnt_dscnt 0x0
	v_pk_mul_f32 v[126:127], v[124:125], v[122:123] op_sel:[1,1] op_sel_hi:[0,1]
	s_delay_alu instid0(VALU_DEP_1) | instskip(SKIP_2) | instid1(VALU_DEP_3)
	v_pk_fma_f32 v[128:129], v[124:125], v[122:123], v[126:127] op_sel_hi:[1,0,1]
	v_add_nc_u32_e32 v121, 1, v121
	v_pk_fma_f32 v[122:123], v[124:125], v[122:123], v[126:127] neg_lo:[0,0,1] neg_hi:[0,0,1]
	v_mov_b32_e32 v123, v129
	s_delay_alu instid0(VALU_DEP_3) | instskip(NEXT) | instid1(VALU_DEP_2)
	v_cmp_lt_u32_e32 vcc_lo, 33, v121
	v_pk_add_f32 v[116:117], v[116:117], v[122:123]
	s_or_b32 s3, vcc_lo, s3
	s_delay_alu instid0(SALU_CYCLE_1)
	s_and_not1_b32 exec_lo, exec_lo, s3
	s_cbranch_execnz .LBB55_897
; %bb.898:
	s_or_b32 exec_lo, exec_lo, s3
.LBB55_899:
	s_delay_alu instid0(SALU_CYCLE_1) | instskip(SKIP_4) | instid1(VALU_DEP_1)
	s_or_b32 exec_lo, exec_lo, s2
	v_mov_b32_e32 v119, 0
	ds_load_b64 v[120:121], v119 offset:280
	s_wait_dscnt 0x0
	v_pk_mul_f32 v[122:123], v[116:117], v[120:121] op_sel:[1,1] op_sel_hi:[0,1]
	v_pk_fma_f32 v[124:125], v[116:117], v[120:121], v[122:123] op_sel_hi:[1,0,1]
	v_pk_fma_f32 v[116:117], v[116:117], v[120:121], v[122:123] neg_lo:[0,0,1] neg_hi:[0,0,1]
	s_delay_alu instid0(VALU_DEP_2)
	v_mov_b32_e32 v117, v125
	scratch_store_b64 off, v[116:117], off offset:280
.LBB55_900:
	s_wait_xcnt 0x0
	s_or_b32 exec_lo, exec_lo, s0
	scratch_load_b64 v[116:117], off, off offset:288
	s_mov_b32 s0, exec_lo
	s_wait_loadcnt 0x0
	ds_store_b64 v1, v[116:117]
	s_wait_storecnt_dscnt 0x0
	s_barrier_signal -1
	s_barrier_wait -1
	s_wait_xcnt 0x0
	v_cmpx_gt_u32_e32 36, v0
	s_cbranch_execz .LBB55_910
; %bb.901:
	v_cmp_ne_u32_e32 vcc_lo, 1, v118
	s_cbranch_vccnz .LBB55_903
; %bb.902:
	scratch_load_b64 v[116:117], v45, off
	ds_load_b64 v[120:121], v1
	s_wait_loadcnt_dscnt 0x0
	v_pk_mul_f32 v[122:123], v[120:121], v[116:117] op_sel:[1,1] op_sel_hi:[0,1]
	s_delay_alu instid0(VALU_DEP_1) | instskip(SKIP_1) | instid1(VALU_DEP_2)
	v_pk_fma_f32 v[124:125], v[120:121], v[116:117], v[122:123] op_sel_hi:[1,0,1]
	v_pk_fma_f32 v[116:117], v[120:121], v[116:117], v[122:123] neg_lo:[0,0,1] neg_hi:[0,0,1]
	v_mov_b32_e32 v117, v125
	s_cbranch_execz .LBB55_904
	s_branch .LBB55_905
.LBB55_903:
                                        ; implicit-def: $vgpr116_vgpr117
.LBB55_904:
	ds_load_b64 v[116:117], v1
.LBB55_905:
	s_mov_b32 s2, exec_lo
	v_cmpx_ne_u32_e32 35, v0
	s_cbranch_execz .LBB55_909
; %bb.906:
	v_add_nc_u32_e32 v119, 0x1c8, v44
	v_add3_u32 v120, 0, v44, 8
	v_mov_b32_e32 v121, v0
	s_mov_b32 s3, 0
.LBB55_907:                             ; =>This Inner Loop Header: Depth=1
	scratch_load_b64 v[122:123], v120, off
	ds_load_b64 v[124:125], v119
	s_wait_xcnt 0x0
	v_dual_add_nc_u32 v119, 8, v119 :: v_dual_add_nc_u32 v120, 8, v120
	s_wait_loadcnt_dscnt 0x0
	v_pk_mul_f32 v[126:127], v[124:125], v[122:123] op_sel:[1,1] op_sel_hi:[0,1]
	s_delay_alu instid0(VALU_DEP_1) | instskip(SKIP_2) | instid1(VALU_DEP_3)
	v_pk_fma_f32 v[128:129], v[124:125], v[122:123], v[126:127] op_sel_hi:[1,0,1]
	v_add_nc_u32_e32 v121, 1, v121
	v_pk_fma_f32 v[122:123], v[124:125], v[122:123], v[126:127] neg_lo:[0,0,1] neg_hi:[0,0,1]
	v_mov_b32_e32 v123, v129
	s_delay_alu instid0(VALU_DEP_3) | instskip(NEXT) | instid1(VALU_DEP_2)
	v_cmp_lt_u32_e32 vcc_lo, 34, v121
	v_pk_add_f32 v[116:117], v[116:117], v[122:123]
	s_or_b32 s3, vcc_lo, s3
	s_delay_alu instid0(SALU_CYCLE_1)
	s_and_not1_b32 exec_lo, exec_lo, s3
	s_cbranch_execnz .LBB55_907
; %bb.908:
	s_or_b32 exec_lo, exec_lo, s3
.LBB55_909:
	s_delay_alu instid0(SALU_CYCLE_1) | instskip(SKIP_4) | instid1(VALU_DEP_1)
	s_or_b32 exec_lo, exec_lo, s2
	v_mov_b32_e32 v119, 0
	ds_load_b64 v[120:121], v119 offset:288
	s_wait_dscnt 0x0
	v_pk_mul_f32 v[122:123], v[116:117], v[120:121] op_sel:[1,1] op_sel_hi:[0,1]
	v_pk_fma_f32 v[124:125], v[116:117], v[120:121], v[122:123] op_sel_hi:[1,0,1]
	v_pk_fma_f32 v[116:117], v[116:117], v[120:121], v[122:123] neg_lo:[0,0,1] neg_hi:[0,0,1]
	s_delay_alu instid0(VALU_DEP_2)
	v_mov_b32_e32 v117, v125
	scratch_store_b64 off, v[116:117], off offset:288
.LBB55_910:
	s_wait_xcnt 0x0
	s_or_b32 exec_lo, exec_lo, s0
	scratch_load_b64 v[116:117], off, off offset:296
	s_mov_b32 s0, exec_lo
	s_wait_loadcnt 0x0
	ds_store_b64 v1, v[116:117]
	s_wait_storecnt_dscnt 0x0
	s_barrier_signal -1
	s_barrier_wait -1
	s_wait_xcnt 0x0
	v_cmpx_gt_u32_e32 37, v0
	s_cbranch_execz .LBB55_920
; %bb.911:
	v_cmp_ne_u32_e32 vcc_lo, 1, v118
	s_cbranch_vccnz .LBB55_913
; %bb.912:
	scratch_load_b64 v[116:117], v45, off
	ds_load_b64 v[120:121], v1
	s_wait_loadcnt_dscnt 0x0
	v_pk_mul_f32 v[122:123], v[120:121], v[116:117] op_sel:[1,1] op_sel_hi:[0,1]
	s_delay_alu instid0(VALU_DEP_1) | instskip(SKIP_1) | instid1(VALU_DEP_2)
	v_pk_fma_f32 v[124:125], v[120:121], v[116:117], v[122:123] op_sel_hi:[1,0,1]
	v_pk_fma_f32 v[116:117], v[120:121], v[116:117], v[122:123] neg_lo:[0,0,1] neg_hi:[0,0,1]
	v_mov_b32_e32 v117, v125
	s_cbranch_execz .LBB55_914
	s_branch .LBB55_915
.LBB55_913:
                                        ; implicit-def: $vgpr116_vgpr117
.LBB55_914:
	ds_load_b64 v[116:117], v1
.LBB55_915:
	s_mov_b32 s2, exec_lo
	v_cmpx_ne_u32_e32 36, v0
	s_cbranch_execz .LBB55_919
; %bb.916:
	v_add_nc_u32_e32 v119, 0x1c8, v44
	v_add3_u32 v120, 0, v44, 8
	v_mov_b32_e32 v121, v0
	s_mov_b32 s3, 0
.LBB55_917:                             ; =>This Inner Loop Header: Depth=1
	scratch_load_b64 v[122:123], v120, off
	ds_load_b64 v[124:125], v119
	s_wait_xcnt 0x0
	v_dual_add_nc_u32 v119, 8, v119 :: v_dual_add_nc_u32 v120, 8, v120
	s_wait_loadcnt_dscnt 0x0
	v_pk_mul_f32 v[126:127], v[124:125], v[122:123] op_sel:[1,1] op_sel_hi:[0,1]
	s_delay_alu instid0(VALU_DEP_1) | instskip(SKIP_2) | instid1(VALU_DEP_3)
	v_pk_fma_f32 v[128:129], v[124:125], v[122:123], v[126:127] op_sel_hi:[1,0,1]
	v_add_nc_u32_e32 v121, 1, v121
	v_pk_fma_f32 v[122:123], v[124:125], v[122:123], v[126:127] neg_lo:[0,0,1] neg_hi:[0,0,1]
	v_mov_b32_e32 v123, v129
	s_delay_alu instid0(VALU_DEP_3) | instskip(NEXT) | instid1(VALU_DEP_2)
	v_cmp_lt_u32_e32 vcc_lo, 35, v121
	v_pk_add_f32 v[116:117], v[116:117], v[122:123]
	s_or_b32 s3, vcc_lo, s3
	s_delay_alu instid0(SALU_CYCLE_1)
	s_and_not1_b32 exec_lo, exec_lo, s3
	s_cbranch_execnz .LBB55_917
; %bb.918:
	s_or_b32 exec_lo, exec_lo, s3
.LBB55_919:
	s_delay_alu instid0(SALU_CYCLE_1) | instskip(SKIP_4) | instid1(VALU_DEP_1)
	s_or_b32 exec_lo, exec_lo, s2
	v_mov_b32_e32 v119, 0
	ds_load_b64 v[120:121], v119 offset:296
	s_wait_dscnt 0x0
	v_pk_mul_f32 v[122:123], v[116:117], v[120:121] op_sel:[1,1] op_sel_hi:[0,1]
	v_pk_fma_f32 v[124:125], v[116:117], v[120:121], v[122:123] op_sel_hi:[1,0,1]
	v_pk_fma_f32 v[116:117], v[116:117], v[120:121], v[122:123] neg_lo:[0,0,1] neg_hi:[0,0,1]
	s_delay_alu instid0(VALU_DEP_2)
	v_mov_b32_e32 v117, v125
	scratch_store_b64 off, v[116:117], off offset:296
.LBB55_920:
	s_wait_xcnt 0x0
	s_or_b32 exec_lo, exec_lo, s0
	scratch_load_b64 v[116:117], off, off offset:304
	s_mov_b32 s0, exec_lo
	s_wait_loadcnt 0x0
	ds_store_b64 v1, v[116:117]
	s_wait_storecnt_dscnt 0x0
	s_barrier_signal -1
	s_barrier_wait -1
	s_wait_xcnt 0x0
	v_cmpx_gt_u32_e32 38, v0
	s_cbranch_execz .LBB55_930
; %bb.921:
	v_cmp_ne_u32_e32 vcc_lo, 1, v118
	s_cbranch_vccnz .LBB55_923
; %bb.922:
	scratch_load_b64 v[116:117], v45, off
	ds_load_b64 v[120:121], v1
	s_wait_loadcnt_dscnt 0x0
	v_pk_mul_f32 v[122:123], v[120:121], v[116:117] op_sel:[1,1] op_sel_hi:[0,1]
	s_delay_alu instid0(VALU_DEP_1) | instskip(SKIP_1) | instid1(VALU_DEP_2)
	v_pk_fma_f32 v[124:125], v[120:121], v[116:117], v[122:123] op_sel_hi:[1,0,1]
	v_pk_fma_f32 v[116:117], v[120:121], v[116:117], v[122:123] neg_lo:[0,0,1] neg_hi:[0,0,1]
	v_mov_b32_e32 v117, v125
	s_cbranch_execz .LBB55_924
	s_branch .LBB55_925
.LBB55_923:
                                        ; implicit-def: $vgpr116_vgpr117
.LBB55_924:
	ds_load_b64 v[116:117], v1
.LBB55_925:
	s_mov_b32 s2, exec_lo
	v_cmpx_ne_u32_e32 37, v0
	s_cbranch_execz .LBB55_929
; %bb.926:
	v_add_nc_u32_e32 v119, 0x1c8, v44
	v_add3_u32 v120, 0, v44, 8
	v_mov_b32_e32 v121, v0
	s_mov_b32 s3, 0
.LBB55_927:                             ; =>This Inner Loop Header: Depth=1
	scratch_load_b64 v[122:123], v120, off
	ds_load_b64 v[124:125], v119
	s_wait_xcnt 0x0
	v_dual_add_nc_u32 v119, 8, v119 :: v_dual_add_nc_u32 v120, 8, v120
	s_wait_loadcnt_dscnt 0x0
	v_pk_mul_f32 v[126:127], v[124:125], v[122:123] op_sel:[1,1] op_sel_hi:[0,1]
	s_delay_alu instid0(VALU_DEP_1) | instskip(SKIP_2) | instid1(VALU_DEP_3)
	v_pk_fma_f32 v[128:129], v[124:125], v[122:123], v[126:127] op_sel_hi:[1,0,1]
	v_add_nc_u32_e32 v121, 1, v121
	v_pk_fma_f32 v[122:123], v[124:125], v[122:123], v[126:127] neg_lo:[0,0,1] neg_hi:[0,0,1]
	v_mov_b32_e32 v123, v129
	s_delay_alu instid0(VALU_DEP_3) | instskip(NEXT) | instid1(VALU_DEP_2)
	v_cmp_lt_u32_e32 vcc_lo, 36, v121
	v_pk_add_f32 v[116:117], v[116:117], v[122:123]
	s_or_b32 s3, vcc_lo, s3
	s_delay_alu instid0(SALU_CYCLE_1)
	s_and_not1_b32 exec_lo, exec_lo, s3
	s_cbranch_execnz .LBB55_927
; %bb.928:
	s_or_b32 exec_lo, exec_lo, s3
.LBB55_929:
	s_delay_alu instid0(SALU_CYCLE_1) | instskip(SKIP_4) | instid1(VALU_DEP_1)
	s_or_b32 exec_lo, exec_lo, s2
	v_mov_b32_e32 v119, 0
	ds_load_b64 v[120:121], v119 offset:304
	s_wait_dscnt 0x0
	v_pk_mul_f32 v[122:123], v[116:117], v[120:121] op_sel:[1,1] op_sel_hi:[0,1]
	v_pk_fma_f32 v[124:125], v[116:117], v[120:121], v[122:123] op_sel_hi:[1,0,1]
	v_pk_fma_f32 v[116:117], v[116:117], v[120:121], v[122:123] neg_lo:[0,0,1] neg_hi:[0,0,1]
	s_delay_alu instid0(VALU_DEP_2)
	v_mov_b32_e32 v117, v125
	scratch_store_b64 off, v[116:117], off offset:304
.LBB55_930:
	s_wait_xcnt 0x0
	s_or_b32 exec_lo, exec_lo, s0
	scratch_load_b64 v[116:117], off, off offset:312
	s_mov_b32 s0, exec_lo
	s_wait_loadcnt 0x0
	ds_store_b64 v1, v[116:117]
	s_wait_storecnt_dscnt 0x0
	s_barrier_signal -1
	s_barrier_wait -1
	s_wait_xcnt 0x0
	v_cmpx_gt_u32_e32 39, v0
	s_cbranch_execz .LBB55_940
; %bb.931:
	v_cmp_ne_u32_e32 vcc_lo, 1, v118
	s_cbranch_vccnz .LBB55_933
; %bb.932:
	scratch_load_b64 v[116:117], v45, off
	ds_load_b64 v[120:121], v1
	s_wait_loadcnt_dscnt 0x0
	v_pk_mul_f32 v[122:123], v[120:121], v[116:117] op_sel:[1,1] op_sel_hi:[0,1]
	s_delay_alu instid0(VALU_DEP_1) | instskip(SKIP_1) | instid1(VALU_DEP_2)
	v_pk_fma_f32 v[124:125], v[120:121], v[116:117], v[122:123] op_sel_hi:[1,0,1]
	v_pk_fma_f32 v[116:117], v[120:121], v[116:117], v[122:123] neg_lo:[0,0,1] neg_hi:[0,0,1]
	v_mov_b32_e32 v117, v125
	s_cbranch_execz .LBB55_934
	s_branch .LBB55_935
.LBB55_933:
                                        ; implicit-def: $vgpr116_vgpr117
.LBB55_934:
	ds_load_b64 v[116:117], v1
.LBB55_935:
	s_mov_b32 s2, exec_lo
	v_cmpx_ne_u32_e32 38, v0
	s_cbranch_execz .LBB55_939
; %bb.936:
	v_add_nc_u32_e32 v119, 0x1c8, v44
	v_add3_u32 v120, 0, v44, 8
	v_mov_b32_e32 v121, v0
	s_mov_b32 s3, 0
.LBB55_937:                             ; =>This Inner Loop Header: Depth=1
	scratch_load_b64 v[122:123], v120, off
	ds_load_b64 v[124:125], v119
	s_wait_xcnt 0x0
	v_dual_add_nc_u32 v119, 8, v119 :: v_dual_add_nc_u32 v120, 8, v120
	s_wait_loadcnt_dscnt 0x0
	v_pk_mul_f32 v[126:127], v[124:125], v[122:123] op_sel:[1,1] op_sel_hi:[0,1]
	s_delay_alu instid0(VALU_DEP_1) | instskip(SKIP_2) | instid1(VALU_DEP_3)
	v_pk_fma_f32 v[128:129], v[124:125], v[122:123], v[126:127] op_sel_hi:[1,0,1]
	v_add_nc_u32_e32 v121, 1, v121
	v_pk_fma_f32 v[122:123], v[124:125], v[122:123], v[126:127] neg_lo:[0,0,1] neg_hi:[0,0,1]
	v_mov_b32_e32 v123, v129
	s_delay_alu instid0(VALU_DEP_3) | instskip(NEXT) | instid1(VALU_DEP_2)
	v_cmp_lt_u32_e32 vcc_lo, 37, v121
	v_pk_add_f32 v[116:117], v[116:117], v[122:123]
	s_or_b32 s3, vcc_lo, s3
	s_delay_alu instid0(SALU_CYCLE_1)
	s_and_not1_b32 exec_lo, exec_lo, s3
	s_cbranch_execnz .LBB55_937
; %bb.938:
	s_or_b32 exec_lo, exec_lo, s3
.LBB55_939:
	s_delay_alu instid0(SALU_CYCLE_1) | instskip(SKIP_4) | instid1(VALU_DEP_1)
	s_or_b32 exec_lo, exec_lo, s2
	v_mov_b32_e32 v119, 0
	ds_load_b64 v[120:121], v119 offset:312
	s_wait_dscnt 0x0
	v_pk_mul_f32 v[122:123], v[116:117], v[120:121] op_sel:[1,1] op_sel_hi:[0,1]
	v_pk_fma_f32 v[124:125], v[116:117], v[120:121], v[122:123] op_sel_hi:[1,0,1]
	v_pk_fma_f32 v[116:117], v[116:117], v[120:121], v[122:123] neg_lo:[0,0,1] neg_hi:[0,0,1]
	s_delay_alu instid0(VALU_DEP_2)
	v_mov_b32_e32 v117, v125
	scratch_store_b64 off, v[116:117], off offset:312
.LBB55_940:
	s_wait_xcnt 0x0
	s_or_b32 exec_lo, exec_lo, s0
	scratch_load_b64 v[116:117], off, off offset:320
	s_mov_b32 s0, exec_lo
	s_wait_loadcnt 0x0
	ds_store_b64 v1, v[116:117]
	s_wait_storecnt_dscnt 0x0
	s_barrier_signal -1
	s_barrier_wait -1
	s_wait_xcnt 0x0
	v_cmpx_gt_u32_e32 40, v0
	s_cbranch_execz .LBB55_950
; %bb.941:
	v_cmp_ne_u32_e32 vcc_lo, 1, v118
	s_cbranch_vccnz .LBB55_943
; %bb.942:
	scratch_load_b64 v[116:117], v45, off
	ds_load_b64 v[120:121], v1
	s_wait_loadcnt_dscnt 0x0
	v_pk_mul_f32 v[122:123], v[120:121], v[116:117] op_sel:[1,1] op_sel_hi:[0,1]
	s_delay_alu instid0(VALU_DEP_1) | instskip(SKIP_1) | instid1(VALU_DEP_2)
	v_pk_fma_f32 v[124:125], v[120:121], v[116:117], v[122:123] op_sel_hi:[1,0,1]
	v_pk_fma_f32 v[116:117], v[120:121], v[116:117], v[122:123] neg_lo:[0,0,1] neg_hi:[0,0,1]
	v_mov_b32_e32 v117, v125
	s_cbranch_execz .LBB55_944
	s_branch .LBB55_945
.LBB55_943:
                                        ; implicit-def: $vgpr116_vgpr117
.LBB55_944:
	ds_load_b64 v[116:117], v1
.LBB55_945:
	s_mov_b32 s2, exec_lo
	v_cmpx_ne_u32_e32 39, v0
	s_cbranch_execz .LBB55_949
; %bb.946:
	v_add_nc_u32_e32 v119, 0x1c8, v44
	v_add3_u32 v120, 0, v44, 8
	v_mov_b32_e32 v121, v0
	s_mov_b32 s3, 0
.LBB55_947:                             ; =>This Inner Loop Header: Depth=1
	scratch_load_b64 v[122:123], v120, off
	ds_load_b64 v[124:125], v119
	s_wait_xcnt 0x0
	v_dual_add_nc_u32 v119, 8, v119 :: v_dual_add_nc_u32 v120, 8, v120
	s_wait_loadcnt_dscnt 0x0
	v_pk_mul_f32 v[126:127], v[124:125], v[122:123] op_sel:[1,1] op_sel_hi:[0,1]
	s_delay_alu instid0(VALU_DEP_1) | instskip(SKIP_2) | instid1(VALU_DEP_3)
	v_pk_fma_f32 v[128:129], v[124:125], v[122:123], v[126:127] op_sel_hi:[1,0,1]
	v_add_nc_u32_e32 v121, 1, v121
	v_pk_fma_f32 v[122:123], v[124:125], v[122:123], v[126:127] neg_lo:[0,0,1] neg_hi:[0,0,1]
	v_mov_b32_e32 v123, v129
	s_delay_alu instid0(VALU_DEP_3) | instskip(NEXT) | instid1(VALU_DEP_2)
	v_cmp_lt_u32_e32 vcc_lo, 38, v121
	v_pk_add_f32 v[116:117], v[116:117], v[122:123]
	s_or_b32 s3, vcc_lo, s3
	s_delay_alu instid0(SALU_CYCLE_1)
	s_and_not1_b32 exec_lo, exec_lo, s3
	s_cbranch_execnz .LBB55_947
; %bb.948:
	s_or_b32 exec_lo, exec_lo, s3
.LBB55_949:
	s_delay_alu instid0(SALU_CYCLE_1) | instskip(SKIP_4) | instid1(VALU_DEP_1)
	s_or_b32 exec_lo, exec_lo, s2
	v_mov_b32_e32 v119, 0
	ds_load_b64 v[120:121], v119 offset:320
	s_wait_dscnt 0x0
	v_pk_mul_f32 v[122:123], v[116:117], v[120:121] op_sel:[1,1] op_sel_hi:[0,1]
	v_pk_fma_f32 v[124:125], v[116:117], v[120:121], v[122:123] op_sel_hi:[1,0,1]
	v_pk_fma_f32 v[116:117], v[116:117], v[120:121], v[122:123] neg_lo:[0,0,1] neg_hi:[0,0,1]
	s_delay_alu instid0(VALU_DEP_2)
	v_mov_b32_e32 v117, v125
	scratch_store_b64 off, v[116:117], off offset:320
.LBB55_950:
	s_wait_xcnt 0x0
	s_or_b32 exec_lo, exec_lo, s0
	scratch_load_b64 v[116:117], off, off offset:328
	s_mov_b32 s0, exec_lo
	s_wait_loadcnt 0x0
	ds_store_b64 v1, v[116:117]
	s_wait_storecnt_dscnt 0x0
	s_barrier_signal -1
	s_barrier_wait -1
	s_wait_xcnt 0x0
	v_cmpx_gt_u32_e32 41, v0
	s_cbranch_execz .LBB55_960
; %bb.951:
	v_cmp_ne_u32_e32 vcc_lo, 1, v118
	s_cbranch_vccnz .LBB55_953
; %bb.952:
	scratch_load_b64 v[116:117], v45, off
	ds_load_b64 v[120:121], v1
	s_wait_loadcnt_dscnt 0x0
	v_pk_mul_f32 v[122:123], v[120:121], v[116:117] op_sel:[1,1] op_sel_hi:[0,1]
	s_delay_alu instid0(VALU_DEP_1) | instskip(SKIP_1) | instid1(VALU_DEP_2)
	v_pk_fma_f32 v[124:125], v[120:121], v[116:117], v[122:123] op_sel_hi:[1,0,1]
	v_pk_fma_f32 v[116:117], v[120:121], v[116:117], v[122:123] neg_lo:[0,0,1] neg_hi:[0,0,1]
	v_mov_b32_e32 v117, v125
	s_cbranch_execz .LBB55_954
	s_branch .LBB55_955
.LBB55_953:
                                        ; implicit-def: $vgpr116_vgpr117
.LBB55_954:
	ds_load_b64 v[116:117], v1
.LBB55_955:
	s_mov_b32 s2, exec_lo
	v_cmpx_ne_u32_e32 40, v0
	s_cbranch_execz .LBB55_959
; %bb.956:
	v_add_nc_u32_e32 v119, 0x1c8, v44
	v_add3_u32 v120, 0, v44, 8
	v_mov_b32_e32 v121, v0
	s_mov_b32 s3, 0
.LBB55_957:                             ; =>This Inner Loop Header: Depth=1
	scratch_load_b64 v[122:123], v120, off
	ds_load_b64 v[124:125], v119
	s_wait_xcnt 0x0
	v_dual_add_nc_u32 v119, 8, v119 :: v_dual_add_nc_u32 v120, 8, v120
	s_wait_loadcnt_dscnt 0x0
	v_pk_mul_f32 v[126:127], v[124:125], v[122:123] op_sel:[1,1] op_sel_hi:[0,1]
	s_delay_alu instid0(VALU_DEP_1) | instskip(SKIP_2) | instid1(VALU_DEP_3)
	v_pk_fma_f32 v[128:129], v[124:125], v[122:123], v[126:127] op_sel_hi:[1,0,1]
	v_add_nc_u32_e32 v121, 1, v121
	v_pk_fma_f32 v[122:123], v[124:125], v[122:123], v[126:127] neg_lo:[0,0,1] neg_hi:[0,0,1]
	v_mov_b32_e32 v123, v129
	s_delay_alu instid0(VALU_DEP_3) | instskip(NEXT) | instid1(VALU_DEP_2)
	v_cmp_lt_u32_e32 vcc_lo, 39, v121
	v_pk_add_f32 v[116:117], v[116:117], v[122:123]
	s_or_b32 s3, vcc_lo, s3
	s_delay_alu instid0(SALU_CYCLE_1)
	s_and_not1_b32 exec_lo, exec_lo, s3
	s_cbranch_execnz .LBB55_957
; %bb.958:
	s_or_b32 exec_lo, exec_lo, s3
.LBB55_959:
	s_delay_alu instid0(SALU_CYCLE_1) | instskip(SKIP_4) | instid1(VALU_DEP_1)
	s_or_b32 exec_lo, exec_lo, s2
	v_mov_b32_e32 v119, 0
	ds_load_b64 v[120:121], v119 offset:328
	s_wait_dscnt 0x0
	v_pk_mul_f32 v[122:123], v[116:117], v[120:121] op_sel:[1,1] op_sel_hi:[0,1]
	v_pk_fma_f32 v[124:125], v[116:117], v[120:121], v[122:123] op_sel_hi:[1,0,1]
	v_pk_fma_f32 v[116:117], v[116:117], v[120:121], v[122:123] neg_lo:[0,0,1] neg_hi:[0,0,1]
	s_delay_alu instid0(VALU_DEP_2)
	v_mov_b32_e32 v117, v125
	scratch_store_b64 off, v[116:117], off offset:328
.LBB55_960:
	s_wait_xcnt 0x0
	s_or_b32 exec_lo, exec_lo, s0
	scratch_load_b64 v[116:117], off, off offset:336
	s_mov_b32 s0, exec_lo
	s_wait_loadcnt 0x0
	ds_store_b64 v1, v[116:117]
	s_wait_storecnt_dscnt 0x0
	s_barrier_signal -1
	s_barrier_wait -1
	s_wait_xcnt 0x0
	v_cmpx_gt_u32_e32 42, v0
	s_cbranch_execz .LBB55_970
; %bb.961:
	v_cmp_ne_u32_e32 vcc_lo, 1, v118
	s_cbranch_vccnz .LBB55_963
; %bb.962:
	scratch_load_b64 v[116:117], v45, off
	ds_load_b64 v[120:121], v1
	s_wait_loadcnt_dscnt 0x0
	v_pk_mul_f32 v[122:123], v[120:121], v[116:117] op_sel:[1,1] op_sel_hi:[0,1]
	s_delay_alu instid0(VALU_DEP_1) | instskip(SKIP_1) | instid1(VALU_DEP_2)
	v_pk_fma_f32 v[124:125], v[120:121], v[116:117], v[122:123] op_sel_hi:[1,0,1]
	v_pk_fma_f32 v[116:117], v[120:121], v[116:117], v[122:123] neg_lo:[0,0,1] neg_hi:[0,0,1]
	v_mov_b32_e32 v117, v125
	s_cbranch_execz .LBB55_964
	s_branch .LBB55_965
.LBB55_963:
                                        ; implicit-def: $vgpr116_vgpr117
.LBB55_964:
	ds_load_b64 v[116:117], v1
.LBB55_965:
	s_mov_b32 s2, exec_lo
	v_cmpx_ne_u32_e32 41, v0
	s_cbranch_execz .LBB55_969
; %bb.966:
	v_add_nc_u32_e32 v119, 0x1c8, v44
	v_add3_u32 v120, 0, v44, 8
	v_mov_b32_e32 v121, v0
	s_mov_b32 s3, 0
.LBB55_967:                             ; =>This Inner Loop Header: Depth=1
	scratch_load_b64 v[122:123], v120, off
	ds_load_b64 v[124:125], v119
	s_wait_xcnt 0x0
	v_dual_add_nc_u32 v119, 8, v119 :: v_dual_add_nc_u32 v120, 8, v120
	s_wait_loadcnt_dscnt 0x0
	v_pk_mul_f32 v[126:127], v[124:125], v[122:123] op_sel:[1,1] op_sel_hi:[0,1]
	s_delay_alu instid0(VALU_DEP_1) | instskip(SKIP_2) | instid1(VALU_DEP_3)
	v_pk_fma_f32 v[128:129], v[124:125], v[122:123], v[126:127] op_sel_hi:[1,0,1]
	v_add_nc_u32_e32 v121, 1, v121
	v_pk_fma_f32 v[122:123], v[124:125], v[122:123], v[126:127] neg_lo:[0,0,1] neg_hi:[0,0,1]
	v_mov_b32_e32 v123, v129
	s_delay_alu instid0(VALU_DEP_3) | instskip(NEXT) | instid1(VALU_DEP_2)
	v_cmp_lt_u32_e32 vcc_lo, 40, v121
	v_pk_add_f32 v[116:117], v[116:117], v[122:123]
	s_or_b32 s3, vcc_lo, s3
	s_delay_alu instid0(SALU_CYCLE_1)
	s_and_not1_b32 exec_lo, exec_lo, s3
	s_cbranch_execnz .LBB55_967
; %bb.968:
	s_or_b32 exec_lo, exec_lo, s3
.LBB55_969:
	s_delay_alu instid0(SALU_CYCLE_1) | instskip(SKIP_4) | instid1(VALU_DEP_1)
	s_or_b32 exec_lo, exec_lo, s2
	v_mov_b32_e32 v119, 0
	ds_load_b64 v[120:121], v119 offset:336
	s_wait_dscnt 0x0
	v_pk_mul_f32 v[122:123], v[116:117], v[120:121] op_sel:[1,1] op_sel_hi:[0,1]
	v_pk_fma_f32 v[124:125], v[116:117], v[120:121], v[122:123] op_sel_hi:[1,0,1]
	v_pk_fma_f32 v[116:117], v[116:117], v[120:121], v[122:123] neg_lo:[0,0,1] neg_hi:[0,0,1]
	s_delay_alu instid0(VALU_DEP_2)
	v_mov_b32_e32 v117, v125
	scratch_store_b64 off, v[116:117], off offset:336
.LBB55_970:
	s_wait_xcnt 0x0
	s_or_b32 exec_lo, exec_lo, s0
	scratch_load_b64 v[116:117], off, off offset:344
	s_mov_b32 s0, exec_lo
	s_wait_loadcnt 0x0
	ds_store_b64 v1, v[116:117]
	s_wait_storecnt_dscnt 0x0
	s_barrier_signal -1
	s_barrier_wait -1
	s_wait_xcnt 0x0
	v_cmpx_gt_u32_e32 43, v0
	s_cbranch_execz .LBB55_980
; %bb.971:
	v_cmp_ne_u32_e32 vcc_lo, 1, v118
	s_cbranch_vccnz .LBB55_973
; %bb.972:
	scratch_load_b64 v[116:117], v45, off
	ds_load_b64 v[120:121], v1
	s_wait_loadcnt_dscnt 0x0
	v_pk_mul_f32 v[122:123], v[120:121], v[116:117] op_sel:[1,1] op_sel_hi:[0,1]
	s_delay_alu instid0(VALU_DEP_1) | instskip(SKIP_1) | instid1(VALU_DEP_2)
	v_pk_fma_f32 v[124:125], v[120:121], v[116:117], v[122:123] op_sel_hi:[1,0,1]
	v_pk_fma_f32 v[116:117], v[120:121], v[116:117], v[122:123] neg_lo:[0,0,1] neg_hi:[0,0,1]
	v_mov_b32_e32 v117, v125
	s_cbranch_execz .LBB55_974
	s_branch .LBB55_975
.LBB55_973:
                                        ; implicit-def: $vgpr116_vgpr117
.LBB55_974:
	ds_load_b64 v[116:117], v1
.LBB55_975:
	s_mov_b32 s2, exec_lo
	v_cmpx_ne_u32_e32 42, v0
	s_cbranch_execz .LBB55_979
; %bb.976:
	v_add_nc_u32_e32 v119, 0x1c8, v44
	v_add3_u32 v120, 0, v44, 8
	v_mov_b32_e32 v121, v0
	s_mov_b32 s3, 0
.LBB55_977:                             ; =>This Inner Loop Header: Depth=1
	scratch_load_b64 v[122:123], v120, off
	ds_load_b64 v[124:125], v119
	s_wait_xcnt 0x0
	v_dual_add_nc_u32 v119, 8, v119 :: v_dual_add_nc_u32 v120, 8, v120
	s_wait_loadcnt_dscnt 0x0
	v_pk_mul_f32 v[126:127], v[124:125], v[122:123] op_sel:[1,1] op_sel_hi:[0,1]
	s_delay_alu instid0(VALU_DEP_1) | instskip(SKIP_2) | instid1(VALU_DEP_3)
	v_pk_fma_f32 v[128:129], v[124:125], v[122:123], v[126:127] op_sel_hi:[1,0,1]
	v_add_nc_u32_e32 v121, 1, v121
	v_pk_fma_f32 v[122:123], v[124:125], v[122:123], v[126:127] neg_lo:[0,0,1] neg_hi:[0,0,1]
	v_mov_b32_e32 v123, v129
	s_delay_alu instid0(VALU_DEP_3) | instskip(NEXT) | instid1(VALU_DEP_2)
	v_cmp_lt_u32_e32 vcc_lo, 41, v121
	v_pk_add_f32 v[116:117], v[116:117], v[122:123]
	s_or_b32 s3, vcc_lo, s3
	s_delay_alu instid0(SALU_CYCLE_1)
	s_and_not1_b32 exec_lo, exec_lo, s3
	s_cbranch_execnz .LBB55_977
; %bb.978:
	s_or_b32 exec_lo, exec_lo, s3
.LBB55_979:
	s_delay_alu instid0(SALU_CYCLE_1) | instskip(SKIP_4) | instid1(VALU_DEP_1)
	s_or_b32 exec_lo, exec_lo, s2
	v_mov_b32_e32 v119, 0
	ds_load_b64 v[120:121], v119 offset:344
	s_wait_dscnt 0x0
	v_pk_mul_f32 v[122:123], v[116:117], v[120:121] op_sel:[1,1] op_sel_hi:[0,1]
	v_pk_fma_f32 v[124:125], v[116:117], v[120:121], v[122:123] op_sel_hi:[1,0,1]
	v_pk_fma_f32 v[116:117], v[116:117], v[120:121], v[122:123] neg_lo:[0,0,1] neg_hi:[0,0,1]
	s_delay_alu instid0(VALU_DEP_2)
	v_mov_b32_e32 v117, v125
	scratch_store_b64 off, v[116:117], off offset:344
.LBB55_980:
	s_wait_xcnt 0x0
	s_or_b32 exec_lo, exec_lo, s0
	scratch_load_b64 v[116:117], off, off offset:352
	s_mov_b32 s0, exec_lo
	s_wait_loadcnt 0x0
	ds_store_b64 v1, v[116:117]
	s_wait_storecnt_dscnt 0x0
	s_barrier_signal -1
	s_barrier_wait -1
	s_wait_xcnt 0x0
	v_cmpx_gt_u32_e32 44, v0
	s_cbranch_execz .LBB55_990
; %bb.981:
	v_cmp_ne_u32_e32 vcc_lo, 1, v118
	s_cbranch_vccnz .LBB55_983
; %bb.982:
	scratch_load_b64 v[116:117], v45, off
	ds_load_b64 v[120:121], v1
	s_wait_loadcnt_dscnt 0x0
	v_pk_mul_f32 v[122:123], v[120:121], v[116:117] op_sel:[1,1] op_sel_hi:[0,1]
	s_delay_alu instid0(VALU_DEP_1) | instskip(SKIP_1) | instid1(VALU_DEP_2)
	v_pk_fma_f32 v[124:125], v[120:121], v[116:117], v[122:123] op_sel_hi:[1,0,1]
	v_pk_fma_f32 v[116:117], v[120:121], v[116:117], v[122:123] neg_lo:[0,0,1] neg_hi:[0,0,1]
	v_mov_b32_e32 v117, v125
	s_cbranch_execz .LBB55_984
	s_branch .LBB55_985
.LBB55_983:
                                        ; implicit-def: $vgpr116_vgpr117
.LBB55_984:
	ds_load_b64 v[116:117], v1
.LBB55_985:
	s_mov_b32 s2, exec_lo
	v_cmpx_ne_u32_e32 43, v0
	s_cbranch_execz .LBB55_989
; %bb.986:
	v_add_nc_u32_e32 v119, 0x1c8, v44
	v_add3_u32 v120, 0, v44, 8
	v_mov_b32_e32 v121, v0
	s_mov_b32 s3, 0
.LBB55_987:                             ; =>This Inner Loop Header: Depth=1
	scratch_load_b64 v[122:123], v120, off
	ds_load_b64 v[124:125], v119
	s_wait_xcnt 0x0
	v_dual_add_nc_u32 v119, 8, v119 :: v_dual_add_nc_u32 v120, 8, v120
	s_wait_loadcnt_dscnt 0x0
	v_pk_mul_f32 v[126:127], v[124:125], v[122:123] op_sel:[1,1] op_sel_hi:[0,1]
	s_delay_alu instid0(VALU_DEP_1) | instskip(SKIP_2) | instid1(VALU_DEP_3)
	v_pk_fma_f32 v[128:129], v[124:125], v[122:123], v[126:127] op_sel_hi:[1,0,1]
	v_add_nc_u32_e32 v121, 1, v121
	v_pk_fma_f32 v[122:123], v[124:125], v[122:123], v[126:127] neg_lo:[0,0,1] neg_hi:[0,0,1]
	v_mov_b32_e32 v123, v129
	s_delay_alu instid0(VALU_DEP_3) | instskip(NEXT) | instid1(VALU_DEP_2)
	v_cmp_lt_u32_e32 vcc_lo, 42, v121
	v_pk_add_f32 v[116:117], v[116:117], v[122:123]
	s_or_b32 s3, vcc_lo, s3
	s_delay_alu instid0(SALU_CYCLE_1)
	s_and_not1_b32 exec_lo, exec_lo, s3
	s_cbranch_execnz .LBB55_987
; %bb.988:
	s_or_b32 exec_lo, exec_lo, s3
.LBB55_989:
	s_delay_alu instid0(SALU_CYCLE_1) | instskip(SKIP_4) | instid1(VALU_DEP_1)
	s_or_b32 exec_lo, exec_lo, s2
	v_mov_b32_e32 v119, 0
	ds_load_b64 v[120:121], v119 offset:352
	s_wait_dscnt 0x0
	v_pk_mul_f32 v[122:123], v[116:117], v[120:121] op_sel:[1,1] op_sel_hi:[0,1]
	v_pk_fma_f32 v[124:125], v[116:117], v[120:121], v[122:123] op_sel_hi:[1,0,1]
	v_pk_fma_f32 v[116:117], v[116:117], v[120:121], v[122:123] neg_lo:[0,0,1] neg_hi:[0,0,1]
	s_delay_alu instid0(VALU_DEP_2)
	v_mov_b32_e32 v117, v125
	scratch_store_b64 off, v[116:117], off offset:352
.LBB55_990:
	s_wait_xcnt 0x0
	s_or_b32 exec_lo, exec_lo, s0
	scratch_load_b64 v[116:117], off, off offset:360
	s_mov_b32 s0, exec_lo
	s_wait_loadcnt 0x0
	ds_store_b64 v1, v[116:117]
	s_wait_storecnt_dscnt 0x0
	s_barrier_signal -1
	s_barrier_wait -1
	s_wait_xcnt 0x0
	v_cmpx_gt_u32_e32 45, v0
	s_cbranch_execz .LBB55_1000
; %bb.991:
	v_cmp_ne_u32_e32 vcc_lo, 1, v118
	s_cbranch_vccnz .LBB55_993
; %bb.992:
	scratch_load_b64 v[116:117], v45, off
	ds_load_b64 v[120:121], v1
	s_wait_loadcnt_dscnt 0x0
	v_pk_mul_f32 v[122:123], v[120:121], v[116:117] op_sel:[1,1] op_sel_hi:[0,1]
	s_delay_alu instid0(VALU_DEP_1) | instskip(SKIP_1) | instid1(VALU_DEP_2)
	v_pk_fma_f32 v[124:125], v[120:121], v[116:117], v[122:123] op_sel_hi:[1,0,1]
	v_pk_fma_f32 v[116:117], v[120:121], v[116:117], v[122:123] neg_lo:[0,0,1] neg_hi:[0,0,1]
	v_mov_b32_e32 v117, v125
	s_cbranch_execz .LBB55_994
	s_branch .LBB55_995
.LBB55_993:
                                        ; implicit-def: $vgpr116_vgpr117
.LBB55_994:
	ds_load_b64 v[116:117], v1
.LBB55_995:
	s_mov_b32 s2, exec_lo
	v_cmpx_ne_u32_e32 44, v0
	s_cbranch_execz .LBB55_999
; %bb.996:
	v_add_nc_u32_e32 v119, 0x1c8, v44
	v_add3_u32 v120, 0, v44, 8
	v_mov_b32_e32 v121, v0
	s_mov_b32 s3, 0
.LBB55_997:                             ; =>This Inner Loop Header: Depth=1
	scratch_load_b64 v[122:123], v120, off
	ds_load_b64 v[124:125], v119
	s_wait_xcnt 0x0
	v_dual_add_nc_u32 v119, 8, v119 :: v_dual_add_nc_u32 v120, 8, v120
	s_wait_loadcnt_dscnt 0x0
	v_pk_mul_f32 v[126:127], v[124:125], v[122:123] op_sel:[1,1] op_sel_hi:[0,1]
	s_delay_alu instid0(VALU_DEP_1) | instskip(SKIP_2) | instid1(VALU_DEP_3)
	v_pk_fma_f32 v[128:129], v[124:125], v[122:123], v[126:127] op_sel_hi:[1,0,1]
	v_add_nc_u32_e32 v121, 1, v121
	v_pk_fma_f32 v[122:123], v[124:125], v[122:123], v[126:127] neg_lo:[0,0,1] neg_hi:[0,0,1]
	v_mov_b32_e32 v123, v129
	s_delay_alu instid0(VALU_DEP_3) | instskip(NEXT) | instid1(VALU_DEP_2)
	v_cmp_lt_u32_e32 vcc_lo, 43, v121
	v_pk_add_f32 v[116:117], v[116:117], v[122:123]
	s_or_b32 s3, vcc_lo, s3
	s_delay_alu instid0(SALU_CYCLE_1)
	s_and_not1_b32 exec_lo, exec_lo, s3
	s_cbranch_execnz .LBB55_997
; %bb.998:
	s_or_b32 exec_lo, exec_lo, s3
.LBB55_999:
	s_delay_alu instid0(SALU_CYCLE_1) | instskip(SKIP_4) | instid1(VALU_DEP_1)
	s_or_b32 exec_lo, exec_lo, s2
	v_mov_b32_e32 v119, 0
	ds_load_b64 v[120:121], v119 offset:360
	s_wait_dscnt 0x0
	v_pk_mul_f32 v[122:123], v[116:117], v[120:121] op_sel:[1,1] op_sel_hi:[0,1]
	v_pk_fma_f32 v[124:125], v[116:117], v[120:121], v[122:123] op_sel_hi:[1,0,1]
	v_pk_fma_f32 v[116:117], v[116:117], v[120:121], v[122:123] neg_lo:[0,0,1] neg_hi:[0,0,1]
	s_delay_alu instid0(VALU_DEP_2)
	v_mov_b32_e32 v117, v125
	scratch_store_b64 off, v[116:117], off offset:360
.LBB55_1000:
	s_wait_xcnt 0x0
	s_or_b32 exec_lo, exec_lo, s0
	scratch_load_b64 v[116:117], off, off offset:368
	s_mov_b32 s0, exec_lo
	s_wait_loadcnt 0x0
	ds_store_b64 v1, v[116:117]
	s_wait_storecnt_dscnt 0x0
	s_barrier_signal -1
	s_barrier_wait -1
	s_wait_xcnt 0x0
	v_cmpx_gt_u32_e32 46, v0
	s_cbranch_execz .LBB55_1010
; %bb.1001:
	v_cmp_ne_u32_e32 vcc_lo, 1, v118
	s_cbranch_vccnz .LBB55_1003
; %bb.1002:
	scratch_load_b64 v[116:117], v45, off
	ds_load_b64 v[120:121], v1
	s_wait_loadcnt_dscnt 0x0
	v_pk_mul_f32 v[122:123], v[120:121], v[116:117] op_sel:[1,1] op_sel_hi:[0,1]
	s_delay_alu instid0(VALU_DEP_1) | instskip(SKIP_1) | instid1(VALU_DEP_2)
	v_pk_fma_f32 v[124:125], v[120:121], v[116:117], v[122:123] op_sel_hi:[1,0,1]
	v_pk_fma_f32 v[116:117], v[120:121], v[116:117], v[122:123] neg_lo:[0,0,1] neg_hi:[0,0,1]
	v_mov_b32_e32 v117, v125
	s_cbranch_execz .LBB55_1004
	s_branch .LBB55_1005
.LBB55_1003:
                                        ; implicit-def: $vgpr116_vgpr117
.LBB55_1004:
	ds_load_b64 v[116:117], v1
.LBB55_1005:
	s_mov_b32 s2, exec_lo
	v_cmpx_ne_u32_e32 45, v0
	s_cbranch_execz .LBB55_1009
; %bb.1006:
	v_add_nc_u32_e32 v119, 0x1c8, v44
	v_add3_u32 v120, 0, v44, 8
	v_mov_b32_e32 v121, v0
	s_mov_b32 s3, 0
.LBB55_1007:                            ; =>This Inner Loop Header: Depth=1
	scratch_load_b64 v[122:123], v120, off
	ds_load_b64 v[124:125], v119
	s_wait_xcnt 0x0
	v_dual_add_nc_u32 v119, 8, v119 :: v_dual_add_nc_u32 v120, 8, v120
	s_wait_loadcnt_dscnt 0x0
	v_pk_mul_f32 v[126:127], v[124:125], v[122:123] op_sel:[1,1] op_sel_hi:[0,1]
	s_delay_alu instid0(VALU_DEP_1) | instskip(SKIP_2) | instid1(VALU_DEP_3)
	v_pk_fma_f32 v[128:129], v[124:125], v[122:123], v[126:127] op_sel_hi:[1,0,1]
	v_add_nc_u32_e32 v121, 1, v121
	v_pk_fma_f32 v[122:123], v[124:125], v[122:123], v[126:127] neg_lo:[0,0,1] neg_hi:[0,0,1]
	v_mov_b32_e32 v123, v129
	s_delay_alu instid0(VALU_DEP_3) | instskip(NEXT) | instid1(VALU_DEP_2)
	v_cmp_lt_u32_e32 vcc_lo, 44, v121
	v_pk_add_f32 v[116:117], v[116:117], v[122:123]
	s_or_b32 s3, vcc_lo, s3
	s_delay_alu instid0(SALU_CYCLE_1)
	s_and_not1_b32 exec_lo, exec_lo, s3
	s_cbranch_execnz .LBB55_1007
; %bb.1008:
	s_or_b32 exec_lo, exec_lo, s3
.LBB55_1009:
	s_delay_alu instid0(SALU_CYCLE_1) | instskip(SKIP_4) | instid1(VALU_DEP_1)
	s_or_b32 exec_lo, exec_lo, s2
	v_mov_b32_e32 v119, 0
	ds_load_b64 v[120:121], v119 offset:368
	s_wait_dscnt 0x0
	v_pk_mul_f32 v[122:123], v[116:117], v[120:121] op_sel:[1,1] op_sel_hi:[0,1]
	v_pk_fma_f32 v[124:125], v[116:117], v[120:121], v[122:123] op_sel_hi:[1,0,1]
	v_pk_fma_f32 v[116:117], v[116:117], v[120:121], v[122:123] neg_lo:[0,0,1] neg_hi:[0,0,1]
	s_delay_alu instid0(VALU_DEP_2)
	v_mov_b32_e32 v117, v125
	scratch_store_b64 off, v[116:117], off offset:368
.LBB55_1010:
	s_wait_xcnt 0x0
	s_or_b32 exec_lo, exec_lo, s0
	scratch_load_b64 v[116:117], off, off offset:376
	s_mov_b32 s0, exec_lo
	s_wait_loadcnt 0x0
	ds_store_b64 v1, v[116:117]
	s_wait_storecnt_dscnt 0x0
	s_barrier_signal -1
	s_barrier_wait -1
	s_wait_xcnt 0x0
	v_cmpx_gt_u32_e32 47, v0
	s_cbranch_execz .LBB55_1020
; %bb.1011:
	v_cmp_ne_u32_e32 vcc_lo, 1, v118
	s_cbranch_vccnz .LBB55_1013
; %bb.1012:
	scratch_load_b64 v[116:117], v45, off
	ds_load_b64 v[120:121], v1
	s_wait_loadcnt_dscnt 0x0
	v_pk_mul_f32 v[122:123], v[120:121], v[116:117] op_sel:[1,1] op_sel_hi:[0,1]
	s_delay_alu instid0(VALU_DEP_1) | instskip(SKIP_1) | instid1(VALU_DEP_2)
	v_pk_fma_f32 v[124:125], v[120:121], v[116:117], v[122:123] op_sel_hi:[1,0,1]
	v_pk_fma_f32 v[116:117], v[120:121], v[116:117], v[122:123] neg_lo:[0,0,1] neg_hi:[0,0,1]
	v_mov_b32_e32 v117, v125
	s_cbranch_execz .LBB55_1014
	s_branch .LBB55_1015
.LBB55_1013:
                                        ; implicit-def: $vgpr116_vgpr117
.LBB55_1014:
	ds_load_b64 v[116:117], v1
.LBB55_1015:
	s_mov_b32 s2, exec_lo
	v_cmpx_ne_u32_e32 46, v0
	s_cbranch_execz .LBB55_1019
; %bb.1016:
	v_add_nc_u32_e32 v119, 0x1c8, v44
	v_add3_u32 v120, 0, v44, 8
	v_mov_b32_e32 v121, v0
	s_mov_b32 s3, 0
.LBB55_1017:                            ; =>This Inner Loop Header: Depth=1
	scratch_load_b64 v[122:123], v120, off
	ds_load_b64 v[124:125], v119
	s_wait_xcnt 0x0
	v_dual_add_nc_u32 v119, 8, v119 :: v_dual_add_nc_u32 v120, 8, v120
	s_wait_loadcnt_dscnt 0x0
	v_pk_mul_f32 v[126:127], v[124:125], v[122:123] op_sel:[1,1] op_sel_hi:[0,1]
	s_delay_alu instid0(VALU_DEP_1) | instskip(SKIP_2) | instid1(VALU_DEP_3)
	v_pk_fma_f32 v[128:129], v[124:125], v[122:123], v[126:127] op_sel_hi:[1,0,1]
	v_add_nc_u32_e32 v121, 1, v121
	v_pk_fma_f32 v[122:123], v[124:125], v[122:123], v[126:127] neg_lo:[0,0,1] neg_hi:[0,0,1]
	v_mov_b32_e32 v123, v129
	s_delay_alu instid0(VALU_DEP_3) | instskip(NEXT) | instid1(VALU_DEP_2)
	v_cmp_lt_u32_e32 vcc_lo, 45, v121
	v_pk_add_f32 v[116:117], v[116:117], v[122:123]
	s_or_b32 s3, vcc_lo, s3
	s_delay_alu instid0(SALU_CYCLE_1)
	s_and_not1_b32 exec_lo, exec_lo, s3
	s_cbranch_execnz .LBB55_1017
; %bb.1018:
	s_or_b32 exec_lo, exec_lo, s3
.LBB55_1019:
	s_delay_alu instid0(SALU_CYCLE_1) | instskip(SKIP_4) | instid1(VALU_DEP_1)
	s_or_b32 exec_lo, exec_lo, s2
	v_mov_b32_e32 v119, 0
	ds_load_b64 v[120:121], v119 offset:376
	s_wait_dscnt 0x0
	v_pk_mul_f32 v[122:123], v[116:117], v[120:121] op_sel:[1,1] op_sel_hi:[0,1]
	v_pk_fma_f32 v[124:125], v[116:117], v[120:121], v[122:123] op_sel_hi:[1,0,1]
	v_pk_fma_f32 v[116:117], v[116:117], v[120:121], v[122:123] neg_lo:[0,0,1] neg_hi:[0,0,1]
	s_delay_alu instid0(VALU_DEP_2)
	v_mov_b32_e32 v117, v125
	scratch_store_b64 off, v[116:117], off offset:376
.LBB55_1020:
	s_wait_xcnt 0x0
	s_or_b32 exec_lo, exec_lo, s0
	scratch_load_b64 v[116:117], off, off offset:384
	s_mov_b32 s0, exec_lo
	s_wait_loadcnt 0x0
	ds_store_b64 v1, v[116:117]
	s_wait_storecnt_dscnt 0x0
	s_barrier_signal -1
	s_barrier_wait -1
	s_wait_xcnt 0x0
	v_cmpx_gt_u32_e32 48, v0
	s_cbranch_execz .LBB55_1030
; %bb.1021:
	v_cmp_ne_u32_e32 vcc_lo, 1, v118
	s_cbranch_vccnz .LBB55_1023
; %bb.1022:
	scratch_load_b64 v[116:117], v45, off
	ds_load_b64 v[120:121], v1
	s_wait_loadcnt_dscnt 0x0
	v_pk_mul_f32 v[122:123], v[120:121], v[116:117] op_sel:[1,1] op_sel_hi:[0,1]
	s_delay_alu instid0(VALU_DEP_1) | instskip(SKIP_1) | instid1(VALU_DEP_2)
	v_pk_fma_f32 v[124:125], v[120:121], v[116:117], v[122:123] op_sel_hi:[1,0,1]
	v_pk_fma_f32 v[116:117], v[120:121], v[116:117], v[122:123] neg_lo:[0,0,1] neg_hi:[0,0,1]
	v_mov_b32_e32 v117, v125
	s_cbranch_execz .LBB55_1024
	s_branch .LBB55_1025
.LBB55_1023:
                                        ; implicit-def: $vgpr116_vgpr117
.LBB55_1024:
	ds_load_b64 v[116:117], v1
.LBB55_1025:
	s_mov_b32 s2, exec_lo
	v_cmpx_ne_u32_e32 47, v0
	s_cbranch_execz .LBB55_1029
; %bb.1026:
	v_add_nc_u32_e32 v119, 0x1c8, v44
	v_add3_u32 v120, 0, v44, 8
	v_mov_b32_e32 v121, v0
	s_mov_b32 s3, 0
.LBB55_1027:                            ; =>This Inner Loop Header: Depth=1
	scratch_load_b64 v[122:123], v120, off
	ds_load_b64 v[124:125], v119
	s_wait_xcnt 0x0
	v_dual_add_nc_u32 v119, 8, v119 :: v_dual_add_nc_u32 v120, 8, v120
	s_wait_loadcnt_dscnt 0x0
	v_pk_mul_f32 v[126:127], v[124:125], v[122:123] op_sel:[1,1] op_sel_hi:[0,1]
	s_delay_alu instid0(VALU_DEP_1) | instskip(SKIP_2) | instid1(VALU_DEP_3)
	v_pk_fma_f32 v[128:129], v[124:125], v[122:123], v[126:127] op_sel_hi:[1,0,1]
	v_add_nc_u32_e32 v121, 1, v121
	v_pk_fma_f32 v[122:123], v[124:125], v[122:123], v[126:127] neg_lo:[0,0,1] neg_hi:[0,0,1]
	v_mov_b32_e32 v123, v129
	s_delay_alu instid0(VALU_DEP_3) | instskip(NEXT) | instid1(VALU_DEP_2)
	v_cmp_lt_u32_e32 vcc_lo, 46, v121
	v_pk_add_f32 v[116:117], v[116:117], v[122:123]
	s_or_b32 s3, vcc_lo, s3
	s_delay_alu instid0(SALU_CYCLE_1)
	s_and_not1_b32 exec_lo, exec_lo, s3
	s_cbranch_execnz .LBB55_1027
; %bb.1028:
	s_or_b32 exec_lo, exec_lo, s3
.LBB55_1029:
	s_delay_alu instid0(SALU_CYCLE_1) | instskip(SKIP_4) | instid1(VALU_DEP_1)
	s_or_b32 exec_lo, exec_lo, s2
	v_mov_b32_e32 v119, 0
	ds_load_b64 v[120:121], v119 offset:384
	s_wait_dscnt 0x0
	v_pk_mul_f32 v[122:123], v[116:117], v[120:121] op_sel:[1,1] op_sel_hi:[0,1]
	v_pk_fma_f32 v[124:125], v[116:117], v[120:121], v[122:123] op_sel_hi:[1,0,1]
	v_pk_fma_f32 v[116:117], v[116:117], v[120:121], v[122:123] neg_lo:[0,0,1] neg_hi:[0,0,1]
	s_delay_alu instid0(VALU_DEP_2)
	v_mov_b32_e32 v117, v125
	scratch_store_b64 off, v[116:117], off offset:384
.LBB55_1030:
	s_wait_xcnt 0x0
	s_or_b32 exec_lo, exec_lo, s0
	scratch_load_b64 v[116:117], off, off offset:392
	s_mov_b32 s0, exec_lo
	s_wait_loadcnt 0x0
	ds_store_b64 v1, v[116:117]
	s_wait_storecnt_dscnt 0x0
	s_barrier_signal -1
	s_barrier_wait -1
	s_wait_xcnt 0x0
	v_cmpx_gt_u32_e32 49, v0
	s_cbranch_execz .LBB55_1040
; %bb.1031:
	v_cmp_ne_u32_e32 vcc_lo, 1, v118
	s_cbranch_vccnz .LBB55_1033
; %bb.1032:
	scratch_load_b64 v[116:117], v45, off
	ds_load_b64 v[120:121], v1
	s_wait_loadcnt_dscnt 0x0
	v_pk_mul_f32 v[122:123], v[120:121], v[116:117] op_sel:[1,1] op_sel_hi:[0,1]
	s_delay_alu instid0(VALU_DEP_1) | instskip(SKIP_1) | instid1(VALU_DEP_2)
	v_pk_fma_f32 v[124:125], v[120:121], v[116:117], v[122:123] op_sel_hi:[1,0,1]
	v_pk_fma_f32 v[116:117], v[120:121], v[116:117], v[122:123] neg_lo:[0,0,1] neg_hi:[0,0,1]
	v_mov_b32_e32 v117, v125
	s_cbranch_execz .LBB55_1034
	s_branch .LBB55_1035
.LBB55_1033:
                                        ; implicit-def: $vgpr116_vgpr117
.LBB55_1034:
	ds_load_b64 v[116:117], v1
.LBB55_1035:
	s_mov_b32 s2, exec_lo
	v_cmpx_ne_u32_e32 48, v0
	s_cbranch_execz .LBB55_1039
; %bb.1036:
	v_add_nc_u32_e32 v119, 0x1c8, v44
	v_add3_u32 v120, 0, v44, 8
	v_mov_b32_e32 v121, v0
	s_mov_b32 s3, 0
.LBB55_1037:                            ; =>This Inner Loop Header: Depth=1
	scratch_load_b64 v[122:123], v120, off
	ds_load_b64 v[124:125], v119
	s_wait_xcnt 0x0
	v_dual_add_nc_u32 v119, 8, v119 :: v_dual_add_nc_u32 v120, 8, v120
	s_wait_loadcnt_dscnt 0x0
	v_pk_mul_f32 v[126:127], v[124:125], v[122:123] op_sel:[1,1] op_sel_hi:[0,1]
	s_delay_alu instid0(VALU_DEP_1) | instskip(SKIP_2) | instid1(VALU_DEP_3)
	v_pk_fma_f32 v[128:129], v[124:125], v[122:123], v[126:127] op_sel_hi:[1,0,1]
	v_add_nc_u32_e32 v121, 1, v121
	v_pk_fma_f32 v[122:123], v[124:125], v[122:123], v[126:127] neg_lo:[0,0,1] neg_hi:[0,0,1]
	v_mov_b32_e32 v123, v129
	s_delay_alu instid0(VALU_DEP_3) | instskip(NEXT) | instid1(VALU_DEP_2)
	v_cmp_lt_u32_e32 vcc_lo, 47, v121
	v_pk_add_f32 v[116:117], v[116:117], v[122:123]
	s_or_b32 s3, vcc_lo, s3
	s_delay_alu instid0(SALU_CYCLE_1)
	s_and_not1_b32 exec_lo, exec_lo, s3
	s_cbranch_execnz .LBB55_1037
; %bb.1038:
	s_or_b32 exec_lo, exec_lo, s3
.LBB55_1039:
	s_delay_alu instid0(SALU_CYCLE_1) | instskip(SKIP_4) | instid1(VALU_DEP_1)
	s_or_b32 exec_lo, exec_lo, s2
	v_mov_b32_e32 v119, 0
	ds_load_b64 v[120:121], v119 offset:392
	s_wait_dscnt 0x0
	v_pk_mul_f32 v[122:123], v[116:117], v[120:121] op_sel:[1,1] op_sel_hi:[0,1]
	v_pk_fma_f32 v[124:125], v[116:117], v[120:121], v[122:123] op_sel_hi:[1,0,1]
	v_pk_fma_f32 v[116:117], v[116:117], v[120:121], v[122:123] neg_lo:[0,0,1] neg_hi:[0,0,1]
	s_delay_alu instid0(VALU_DEP_2)
	v_mov_b32_e32 v117, v125
	scratch_store_b64 off, v[116:117], off offset:392
.LBB55_1040:
	s_wait_xcnt 0x0
	s_or_b32 exec_lo, exec_lo, s0
	scratch_load_b64 v[116:117], off, off offset:400
	s_mov_b32 s0, exec_lo
	s_wait_loadcnt 0x0
	ds_store_b64 v1, v[116:117]
	s_wait_storecnt_dscnt 0x0
	s_barrier_signal -1
	s_barrier_wait -1
	s_wait_xcnt 0x0
	v_cmpx_gt_u32_e32 50, v0
	s_cbranch_execz .LBB55_1050
; %bb.1041:
	v_cmp_ne_u32_e32 vcc_lo, 1, v118
	s_cbranch_vccnz .LBB55_1043
; %bb.1042:
	scratch_load_b64 v[116:117], v45, off
	ds_load_b64 v[120:121], v1
	s_wait_loadcnt_dscnt 0x0
	v_pk_mul_f32 v[122:123], v[120:121], v[116:117] op_sel:[1,1] op_sel_hi:[0,1]
	s_delay_alu instid0(VALU_DEP_1) | instskip(SKIP_1) | instid1(VALU_DEP_2)
	v_pk_fma_f32 v[124:125], v[120:121], v[116:117], v[122:123] op_sel_hi:[1,0,1]
	v_pk_fma_f32 v[116:117], v[120:121], v[116:117], v[122:123] neg_lo:[0,0,1] neg_hi:[0,0,1]
	v_mov_b32_e32 v117, v125
	s_cbranch_execz .LBB55_1044
	s_branch .LBB55_1045
.LBB55_1043:
                                        ; implicit-def: $vgpr116_vgpr117
.LBB55_1044:
	ds_load_b64 v[116:117], v1
.LBB55_1045:
	s_mov_b32 s2, exec_lo
	v_cmpx_ne_u32_e32 49, v0
	s_cbranch_execz .LBB55_1049
; %bb.1046:
	v_add_nc_u32_e32 v119, 0x1c8, v44
	v_add3_u32 v120, 0, v44, 8
	v_mov_b32_e32 v121, v0
	s_mov_b32 s3, 0
.LBB55_1047:                            ; =>This Inner Loop Header: Depth=1
	scratch_load_b64 v[122:123], v120, off
	ds_load_b64 v[124:125], v119
	s_wait_xcnt 0x0
	v_dual_add_nc_u32 v119, 8, v119 :: v_dual_add_nc_u32 v120, 8, v120
	s_wait_loadcnt_dscnt 0x0
	v_pk_mul_f32 v[126:127], v[124:125], v[122:123] op_sel:[1,1] op_sel_hi:[0,1]
	s_delay_alu instid0(VALU_DEP_1) | instskip(SKIP_2) | instid1(VALU_DEP_3)
	v_pk_fma_f32 v[128:129], v[124:125], v[122:123], v[126:127] op_sel_hi:[1,0,1]
	v_add_nc_u32_e32 v121, 1, v121
	v_pk_fma_f32 v[122:123], v[124:125], v[122:123], v[126:127] neg_lo:[0,0,1] neg_hi:[0,0,1]
	v_mov_b32_e32 v123, v129
	s_delay_alu instid0(VALU_DEP_3) | instskip(NEXT) | instid1(VALU_DEP_2)
	v_cmp_lt_u32_e32 vcc_lo, 48, v121
	v_pk_add_f32 v[116:117], v[116:117], v[122:123]
	s_or_b32 s3, vcc_lo, s3
	s_delay_alu instid0(SALU_CYCLE_1)
	s_and_not1_b32 exec_lo, exec_lo, s3
	s_cbranch_execnz .LBB55_1047
; %bb.1048:
	s_or_b32 exec_lo, exec_lo, s3
.LBB55_1049:
	s_delay_alu instid0(SALU_CYCLE_1) | instskip(SKIP_4) | instid1(VALU_DEP_1)
	s_or_b32 exec_lo, exec_lo, s2
	v_mov_b32_e32 v119, 0
	ds_load_b64 v[120:121], v119 offset:400
	s_wait_dscnt 0x0
	v_pk_mul_f32 v[122:123], v[116:117], v[120:121] op_sel:[1,1] op_sel_hi:[0,1]
	v_pk_fma_f32 v[124:125], v[116:117], v[120:121], v[122:123] op_sel_hi:[1,0,1]
	v_pk_fma_f32 v[116:117], v[116:117], v[120:121], v[122:123] neg_lo:[0,0,1] neg_hi:[0,0,1]
	s_delay_alu instid0(VALU_DEP_2)
	v_mov_b32_e32 v117, v125
	scratch_store_b64 off, v[116:117], off offset:400
.LBB55_1050:
	s_wait_xcnt 0x0
	s_or_b32 exec_lo, exec_lo, s0
	scratch_load_b64 v[116:117], off, off offset:408
	s_mov_b32 s0, exec_lo
	s_wait_loadcnt 0x0
	ds_store_b64 v1, v[116:117]
	s_wait_storecnt_dscnt 0x0
	s_barrier_signal -1
	s_barrier_wait -1
	s_wait_xcnt 0x0
	v_cmpx_gt_u32_e32 51, v0
	s_cbranch_execz .LBB55_1060
; %bb.1051:
	v_cmp_ne_u32_e32 vcc_lo, 1, v118
	s_cbranch_vccnz .LBB55_1053
; %bb.1052:
	scratch_load_b64 v[116:117], v45, off
	ds_load_b64 v[120:121], v1
	s_wait_loadcnt_dscnt 0x0
	v_pk_mul_f32 v[122:123], v[120:121], v[116:117] op_sel:[1,1] op_sel_hi:[0,1]
	s_delay_alu instid0(VALU_DEP_1) | instskip(SKIP_1) | instid1(VALU_DEP_2)
	v_pk_fma_f32 v[124:125], v[120:121], v[116:117], v[122:123] op_sel_hi:[1,0,1]
	v_pk_fma_f32 v[116:117], v[120:121], v[116:117], v[122:123] neg_lo:[0,0,1] neg_hi:[0,0,1]
	v_mov_b32_e32 v117, v125
	s_cbranch_execz .LBB55_1054
	s_branch .LBB55_1055
.LBB55_1053:
                                        ; implicit-def: $vgpr116_vgpr117
.LBB55_1054:
	ds_load_b64 v[116:117], v1
.LBB55_1055:
	s_mov_b32 s2, exec_lo
	v_cmpx_ne_u32_e32 50, v0
	s_cbranch_execz .LBB55_1059
; %bb.1056:
	v_add_nc_u32_e32 v119, 0x1c8, v44
	v_add3_u32 v120, 0, v44, 8
	v_mov_b32_e32 v121, v0
	s_mov_b32 s3, 0
.LBB55_1057:                            ; =>This Inner Loop Header: Depth=1
	scratch_load_b64 v[122:123], v120, off
	ds_load_b64 v[124:125], v119
	s_wait_xcnt 0x0
	v_dual_add_nc_u32 v119, 8, v119 :: v_dual_add_nc_u32 v120, 8, v120
	s_wait_loadcnt_dscnt 0x0
	v_pk_mul_f32 v[126:127], v[124:125], v[122:123] op_sel:[1,1] op_sel_hi:[0,1]
	s_delay_alu instid0(VALU_DEP_1) | instskip(SKIP_2) | instid1(VALU_DEP_3)
	v_pk_fma_f32 v[128:129], v[124:125], v[122:123], v[126:127] op_sel_hi:[1,0,1]
	v_add_nc_u32_e32 v121, 1, v121
	v_pk_fma_f32 v[122:123], v[124:125], v[122:123], v[126:127] neg_lo:[0,0,1] neg_hi:[0,0,1]
	v_mov_b32_e32 v123, v129
	s_delay_alu instid0(VALU_DEP_3) | instskip(NEXT) | instid1(VALU_DEP_2)
	v_cmp_lt_u32_e32 vcc_lo, 49, v121
	v_pk_add_f32 v[116:117], v[116:117], v[122:123]
	s_or_b32 s3, vcc_lo, s3
	s_delay_alu instid0(SALU_CYCLE_1)
	s_and_not1_b32 exec_lo, exec_lo, s3
	s_cbranch_execnz .LBB55_1057
; %bb.1058:
	s_or_b32 exec_lo, exec_lo, s3
.LBB55_1059:
	s_delay_alu instid0(SALU_CYCLE_1) | instskip(SKIP_4) | instid1(VALU_DEP_1)
	s_or_b32 exec_lo, exec_lo, s2
	v_mov_b32_e32 v119, 0
	ds_load_b64 v[120:121], v119 offset:408
	s_wait_dscnt 0x0
	v_pk_mul_f32 v[122:123], v[116:117], v[120:121] op_sel:[1,1] op_sel_hi:[0,1]
	v_pk_fma_f32 v[124:125], v[116:117], v[120:121], v[122:123] op_sel_hi:[1,0,1]
	v_pk_fma_f32 v[116:117], v[116:117], v[120:121], v[122:123] neg_lo:[0,0,1] neg_hi:[0,0,1]
	s_delay_alu instid0(VALU_DEP_2)
	v_mov_b32_e32 v117, v125
	scratch_store_b64 off, v[116:117], off offset:408
.LBB55_1060:
	s_wait_xcnt 0x0
	s_or_b32 exec_lo, exec_lo, s0
	scratch_load_b64 v[116:117], off, off offset:416
	s_mov_b32 s0, exec_lo
	s_wait_loadcnt 0x0
	ds_store_b64 v1, v[116:117]
	s_wait_storecnt_dscnt 0x0
	s_barrier_signal -1
	s_barrier_wait -1
	s_wait_xcnt 0x0
	v_cmpx_gt_u32_e32 52, v0
	s_cbranch_execz .LBB55_1070
; %bb.1061:
	v_cmp_ne_u32_e32 vcc_lo, 1, v118
	s_cbranch_vccnz .LBB55_1063
; %bb.1062:
	scratch_load_b64 v[116:117], v45, off
	ds_load_b64 v[120:121], v1
	s_wait_loadcnt_dscnt 0x0
	v_pk_mul_f32 v[122:123], v[120:121], v[116:117] op_sel:[1,1] op_sel_hi:[0,1]
	s_delay_alu instid0(VALU_DEP_1) | instskip(SKIP_1) | instid1(VALU_DEP_2)
	v_pk_fma_f32 v[124:125], v[120:121], v[116:117], v[122:123] op_sel_hi:[1,0,1]
	v_pk_fma_f32 v[116:117], v[120:121], v[116:117], v[122:123] neg_lo:[0,0,1] neg_hi:[0,0,1]
	v_mov_b32_e32 v117, v125
	s_cbranch_execz .LBB55_1064
	s_branch .LBB55_1065
.LBB55_1063:
                                        ; implicit-def: $vgpr116_vgpr117
.LBB55_1064:
	ds_load_b64 v[116:117], v1
.LBB55_1065:
	s_mov_b32 s2, exec_lo
	v_cmpx_ne_u32_e32 51, v0
	s_cbranch_execz .LBB55_1069
; %bb.1066:
	v_add_nc_u32_e32 v119, 0x1c8, v44
	v_add3_u32 v120, 0, v44, 8
	v_mov_b32_e32 v121, v0
	s_mov_b32 s3, 0
.LBB55_1067:                            ; =>This Inner Loop Header: Depth=1
	scratch_load_b64 v[122:123], v120, off
	ds_load_b64 v[124:125], v119
	s_wait_xcnt 0x0
	v_dual_add_nc_u32 v119, 8, v119 :: v_dual_add_nc_u32 v120, 8, v120
	s_wait_loadcnt_dscnt 0x0
	v_pk_mul_f32 v[126:127], v[124:125], v[122:123] op_sel:[1,1] op_sel_hi:[0,1]
	s_delay_alu instid0(VALU_DEP_1) | instskip(SKIP_2) | instid1(VALU_DEP_3)
	v_pk_fma_f32 v[128:129], v[124:125], v[122:123], v[126:127] op_sel_hi:[1,0,1]
	v_add_nc_u32_e32 v121, 1, v121
	v_pk_fma_f32 v[122:123], v[124:125], v[122:123], v[126:127] neg_lo:[0,0,1] neg_hi:[0,0,1]
	v_mov_b32_e32 v123, v129
	s_delay_alu instid0(VALU_DEP_3) | instskip(NEXT) | instid1(VALU_DEP_2)
	v_cmp_lt_u32_e32 vcc_lo, 50, v121
	v_pk_add_f32 v[116:117], v[116:117], v[122:123]
	s_or_b32 s3, vcc_lo, s3
	s_delay_alu instid0(SALU_CYCLE_1)
	s_and_not1_b32 exec_lo, exec_lo, s3
	s_cbranch_execnz .LBB55_1067
; %bb.1068:
	s_or_b32 exec_lo, exec_lo, s3
.LBB55_1069:
	s_delay_alu instid0(SALU_CYCLE_1) | instskip(SKIP_4) | instid1(VALU_DEP_1)
	s_or_b32 exec_lo, exec_lo, s2
	v_mov_b32_e32 v119, 0
	ds_load_b64 v[120:121], v119 offset:416
	s_wait_dscnt 0x0
	v_pk_mul_f32 v[122:123], v[116:117], v[120:121] op_sel:[1,1] op_sel_hi:[0,1]
	v_pk_fma_f32 v[124:125], v[116:117], v[120:121], v[122:123] op_sel_hi:[1,0,1]
	v_pk_fma_f32 v[116:117], v[116:117], v[120:121], v[122:123] neg_lo:[0,0,1] neg_hi:[0,0,1]
	s_delay_alu instid0(VALU_DEP_2)
	v_mov_b32_e32 v117, v125
	scratch_store_b64 off, v[116:117], off offset:416
.LBB55_1070:
	s_wait_xcnt 0x0
	s_or_b32 exec_lo, exec_lo, s0
	scratch_load_b64 v[116:117], off, off offset:424
	s_mov_b32 s0, exec_lo
	s_wait_loadcnt 0x0
	ds_store_b64 v1, v[116:117]
	s_wait_storecnt_dscnt 0x0
	s_barrier_signal -1
	s_barrier_wait -1
	s_wait_xcnt 0x0
	v_cmpx_gt_u32_e32 53, v0
	s_cbranch_execz .LBB55_1080
; %bb.1071:
	v_cmp_ne_u32_e32 vcc_lo, 1, v118
	s_cbranch_vccnz .LBB55_1073
; %bb.1072:
	scratch_load_b64 v[116:117], v45, off
	ds_load_b64 v[120:121], v1
	s_wait_loadcnt_dscnt 0x0
	v_pk_mul_f32 v[122:123], v[120:121], v[116:117] op_sel:[1,1] op_sel_hi:[0,1]
	s_delay_alu instid0(VALU_DEP_1) | instskip(SKIP_1) | instid1(VALU_DEP_2)
	v_pk_fma_f32 v[124:125], v[120:121], v[116:117], v[122:123] op_sel_hi:[1,0,1]
	v_pk_fma_f32 v[116:117], v[120:121], v[116:117], v[122:123] neg_lo:[0,0,1] neg_hi:[0,0,1]
	v_mov_b32_e32 v117, v125
	s_cbranch_execz .LBB55_1074
	s_branch .LBB55_1075
.LBB55_1073:
                                        ; implicit-def: $vgpr116_vgpr117
.LBB55_1074:
	ds_load_b64 v[116:117], v1
.LBB55_1075:
	s_mov_b32 s2, exec_lo
	v_cmpx_ne_u32_e32 52, v0
	s_cbranch_execz .LBB55_1079
; %bb.1076:
	v_add_nc_u32_e32 v119, 0x1c8, v44
	v_add3_u32 v120, 0, v44, 8
	v_mov_b32_e32 v121, v0
	s_mov_b32 s3, 0
.LBB55_1077:                            ; =>This Inner Loop Header: Depth=1
	scratch_load_b64 v[122:123], v120, off
	ds_load_b64 v[124:125], v119
	s_wait_xcnt 0x0
	v_dual_add_nc_u32 v119, 8, v119 :: v_dual_add_nc_u32 v120, 8, v120
	s_wait_loadcnt_dscnt 0x0
	v_pk_mul_f32 v[126:127], v[124:125], v[122:123] op_sel:[1,1] op_sel_hi:[0,1]
	s_delay_alu instid0(VALU_DEP_1) | instskip(SKIP_2) | instid1(VALU_DEP_3)
	v_pk_fma_f32 v[128:129], v[124:125], v[122:123], v[126:127] op_sel_hi:[1,0,1]
	v_add_nc_u32_e32 v121, 1, v121
	v_pk_fma_f32 v[122:123], v[124:125], v[122:123], v[126:127] neg_lo:[0,0,1] neg_hi:[0,0,1]
	v_mov_b32_e32 v123, v129
	s_delay_alu instid0(VALU_DEP_3) | instskip(NEXT) | instid1(VALU_DEP_2)
	v_cmp_lt_u32_e32 vcc_lo, 51, v121
	v_pk_add_f32 v[116:117], v[116:117], v[122:123]
	s_or_b32 s3, vcc_lo, s3
	s_delay_alu instid0(SALU_CYCLE_1)
	s_and_not1_b32 exec_lo, exec_lo, s3
	s_cbranch_execnz .LBB55_1077
; %bb.1078:
	s_or_b32 exec_lo, exec_lo, s3
.LBB55_1079:
	s_delay_alu instid0(SALU_CYCLE_1) | instskip(SKIP_4) | instid1(VALU_DEP_1)
	s_or_b32 exec_lo, exec_lo, s2
	v_mov_b32_e32 v119, 0
	ds_load_b64 v[120:121], v119 offset:424
	s_wait_dscnt 0x0
	v_pk_mul_f32 v[122:123], v[116:117], v[120:121] op_sel:[1,1] op_sel_hi:[0,1]
	v_pk_fma_f32 v[124:125], v[116:117], v[120:121], v[122:123] op_sel_hi:[1,0,1]
	v_pk_fma_f32 v[116:117], v[116:117], v[120:121], v[122:123] neg_lo:[0,0,1] neg_hi:[0,0,1]
	s_delay_alu instid0(VALU_DEP_2)
	v_mov_b32_e32 v117, v125
	scratch_store_b64 off, v[116:117], off offset:424
.LBB55_1080:
	s_wait_xcnt 0x0
	s_or_b32 exec_lo, exec_lo, s0
	scratch_load_b64 v[116:117], off, off offset:432
	v_cmp_gt_u32_e64 s0, 54, v0
	s_wait_loadcnt 0x0
	ds_store_b64 v1, v[116:117]
	s_wait_storecnt_dscnt 0x0
	s_barrier_signal -1
	s_barrier_wait -1
	s_wait_xcnt 0x0
	s_and_saveexec_b32 s2, s0
	s_cbranch_execz .LBB55_1090
; %bb.1081:
	v_cmp_ne_u32_e32 vcc_lo, 1, v118
	s_cbranch_vccnz .LBB55_1083
; %bb.1082:
	scratch_load_b64 v[116:117], v45, off
	ds_load_b64 v[120:121], v1
	s_wait_loadcnt_dscnt 0x0
	v_pk_mul_f32 v[122:123], v[120:121], v[116:117] op_sel:[1,1] op_sel_hi:[0,1]
	s_delay_alu instid0(VALU_DEP_1) | instskip(SKIP_1) | instid1(VALU_DEP_2)
	v_pk_fma_f32 v[124:125], v[120:121], v[116:117], v[122:123] op_sel_hi:[1,0,1]
	v_pk_fma_f32 v[116:117], v[120:121], v[116:117], v[122:123] neg_lo:[0,0,1] neg_hi:[0,0,1]
	v_mov_b32_e32 v117, v125
	s_cbranch_execz .LBB55_1084
	s_branch .LBB55_1085
.LBB55_1083:
                                        ; implicit-def: $vgpr116_vgpr117
.LBB55_1084:
	ds_load_b64 v[116:117], v1
.LBB55_1085:
	s_mov_b32 s3, exec_lo
	v_cmpx_ne_u32_e32 53, v0
	s_cbranch_execz .LBB55_1089
; %bb.1086:
	v_add_nc_u32_e32 v119, 0x1c8, v44
	v_add3_u32 v120, 0, v44, 8
	v_mov_b32_e32 v121, v0
	s_mov_b32 s4, 0
.LBB55_1087:                            ; =>This Inner Loop Header: Depth=1
	scratch_load_b64 v[122:123], v120, off
	ds_load_b64 v[124:125], v119
	s_wait_xcnt 0x0
	v_dual_add_nc_u32 v119, 8, v119 :: v_dual_add_nc_u32 v120, 8, v120
	s_wait_loadcnt_dscnt 0x0
	v_pk_mul_f32 v[126:127], v[124:125], v[122:123] op_sel:[1,1] op_sel_hi:[0,1]
	s_delay_alu instid0(VALU_DEP_1) | instskip(SKIP_2) | instid1(VALU_DEP_3)
	v_pk_fma_f32 v[128:129], v[124:125], v[122:123], v[126:127] op_sel_hi:[1,0,1]
	v_add_nc_u32_e32 v121, 1, v121
	v_pk_fma_f32 v[122:123], v[124:125], v[122:123], v[126:127] neg_lo:[0,0,1] neg_hi:[0,0,1]
	v_mov_b32_e32 v123, v129
	s_delay_alu instid0(VALU_DEP_3) | instskip(NEXT) | instid1(VALU_DEP_2)
	v_cmp_lt_u32_e32 vcc_lo, 52, v121
	v_pk_add_f32 v[116:117], v[116:117], v[122:123]
	s_or_b32 s4, vcc_lo, s4
	s_delay_alu instid0(SALU_CYCLE_1)
	s_and_not1_b32 exec_lo, exec_lo, s4
	s_cbranch_execnz .LBB55_1087
; %bb.1088:
	s_or_b32 exec_lo, exec_lo, s4
.LBB55_1089:
	s_delay_alu instid0(SALU_CYCLE_1) | instskip(SKIP_4) | instid1(VALU_DEP_1)
	s_or_b32 exec_lo, exec_lo, s3
	v_mov_b32_e32 v119, 0
	ds_load_b64 v[120:121], v119 offset:432
	s_wait_dscnt 0x0
	v_pk_mul_f32 v[122:123], v[116:117], v[120:121] op_sel:[1,1] op_sel_hi:[0,1]
	v_pk_fma_f32 v[124:125], v[116:117], v[120:121], v[122:123] op_sel_hi:[1,0,1]
	v_pk_fma_f32 v[116:117], v[116:117], v[120:121], v[122:123] neg_lo:[0,0,1] neg_hi:[0,0,1]
	s_delay_alu instid0(VALU_DEP_2)
	v_mov_b32_e32 v117, v125
	scratch_store_b64 off, v[116:117], off offset:432
.LBB55_1090:
	s_wait_xcnt 0x0
	s_or_b32 exec_lo, exec_lo, s2
	scratch_load_b64 v[116:117], off, off offset:440
	s_mov_b32 s2, exec_lo
                                        ; implicit-def: $vgpr156
                                        ; implicit-def: $sgpr4
	s_wait_loadcnt 0x0
	ds_store_b64 v1, v[116:117]
	s_wait_storecnt_dscnt 0x0
	s_barrier_signal -1
	s_barrier_wait -1
	s_wait_xcnt 0x0
	v_cmpx_ne_u32_e32 55, v0
	s_cbranch_execz .LBB55_1100
; %bb.1091:
	v_cmp_ne_u32_e32 vcc_lo, 1, v118
	s_cbranch_vccnz .LBB55_1093
; %bb.1092:
	scratch_load_b64 v[118:119], v45, off
	ds_load_b64 v[120:121], v1
	s_wait_loadcnt_dscnt 0x0
	v_dual_mul_f32 v45, v121, v119 :: v_dual_mul_f32 v117, v120, v119
	s_delay_alu instid0(VALU_DEP_1) | instskip(NEXT) | instid1(VALU_DEP_2)
	v_fma_f32 v116, v120, v118, -v45
	v_fmac_f32_e32 v117, v121, v118
	s_cbranch_execz .LBB55_1094
	s_branch .LBB55_1095
.LBB55_1093:
                                        ; implicit-def: $vgpr117
.LBB55_1094:
	ds_load_b64 v[116:117], v1
.LBB55_1095:
	s_and_saveexec_b32 s3, s0
	s_cbranch_execz .LBB55_1099
; %bb.1096:
	v_add_nc_u32_e32 v1, 0x1c8, v44
	v_add3_u32 v44, 0, v44, 8
	s_mov_b32 s0, 0
.LBB55_1097:                            ; =>This Inner Loop Header: Depth=1
	scratch_load_b64 v[118:119], v44, off
	ds_load_b64 v[120:121], v1
	s_wait_loadcnt_dscnt 0x0
	v_dual_add_nc_u32 v1, 8, v1 :: v_dual_mul_f32 v45, v121, v119
	v_dual_mul_f32 v119, v120, v119 :: v_dual_add_nc_u32 v0, 1, v0
	s_delay_alu instid0(VALU_DEP_1) | instskip(NEXT) | instid1(VALU_DEP_2)
	v_dual_fma_f32 v45, v120, v118, -v45 :: v_dual_fmac_f32 v119, v121, v118
	v_cmp_lt_u32_e32 vcc_lo, 53, v0
	s_delay_alu instid0(VALU_DEP_2) | instskip(NEXT) | instid1(VALU_DEP_3)
	v_dual_add_nc_u32 v44, 8, v44 :: v_dual_add_f32 v116, v116, v45
	v_add_f32_e32 v117, v117, v119
	s_or_b32 s0, vcc_lo, s0
	s_delay_alu instid0(SALU_CYCLE_1)
	s_and_not1_b32 exec_lo, exec_lo, s0
	s_cbranch_execnz .LBB55_1097
; %bb.1098:
	s_or_b32 exec_lo, exec_lo, s0
.LBB55_1099:
	s_delay_alu instid0(SALU_CYCLE_1)
	s_or_b32 exec_lo, exec_lo, s3
	v_mov_b32_e32 v0, 0
	s_movk_i32 s4, 0x1bc
	s_or_b32 s1, s1, exec_lo
	ds_load_b64 v[0:1], v0 offset:440
	s_wait_dscnt 0x0
	v_dual_mul_f32 v44, v117, v1 :: v_dual_mul_f32 v156, v116, v1
	s_delay_alu instid0(VALU_DEP_1) | instskip(NEXT) | instid1(VALU_DEP_2)
	v_fma_f32 v1, v116, v0, -v44
	v_fmac_f32_e32 v156, v117, v0
	scratch_store_b32 off, v1, off offset:440
.LBB55_1100:
	s_wait_xcnt 0x0
	s_or_b32 exec_lo, exec_lo, s2
.LBB55_1101:
	v_lshl_add_u64 v[152:153], v[4:5], 3, s[6:7]
	v_lshl_add_u64 v[154:155], v[6:7], 3, s[6:7]
	;; [unrolled: 1-line block ×54, first 2 shown]
	s_and_saveexec_b32 s0, s1
	s_cbranch_execz .LBB55_1103
; %bb.1102:
	scratch_store_b32 off, v156, s4
.LBB55_1103:
	s_wait_xcnt 0x0
	s_or_b32 exec_lo, exec_lo, s0
	s_clause 0x6
	scratch_load_b128 v[72:75], off, off
	scratch_load_b128 v[76:79], off, off offset:16
	scratch_load_b128 v[80:83], off, off offset:32
	;; [unrolled: 1-line block ×6, first 2 shown]
	s_wait_loadcnt 0x6
	s_clause 0x1
	global_store_b64 v[2:3], v[72:73], off
	global_store_b64 v[8:9], v[74:75], off
	s_clause 0x1
	scratch_load_b128 v[72:75], off, off offset:112
	scratch_load_b128 v[100:103], off, off offset:128
	s_wait_loadcnt 0x7
	s_clause 0x1
	global_store_b64 v[152:153], v[76:77], off
	global_store_b64 v[154:155], v[78:79], off
	s_clause 0x1
	scratch_load_b128 v[76:79], off, off offset:144
	scratch_load_b128 v[104:107], off, off offset:160
	s_wait_loadcnt 0x8
	s_clause 0x1
	global_store_b64 v[148:149], v[80:81], off
	global_store_b64 v[150:151], v[82:83], off
	s_clause 0x1
	scratch_load_b128 v[80:83], off, off offset:176
	scratch_load_b128 v[108:111], off, off offset:192
	s_wait_loadcnt 0x9
	s_clause 0x1
	global_store_b64 v[144:145], v[84:85], off
	global_store_b64 v[146:147], v[86:87], off
	s_clause 0x1
	scratch_load_b128 v[84:87], off, off offset:208
	scratch_load_b128 v[112:115], off, off offset:224
	s_wait_loadcnt 0xa
	s_clause 0x1
	global_store_b64 v[140:141], v[88:89], off
	global_store_b64 v[142:143], v[90:91], off
	s_clause 0x1
	scratch_load_b128 v[88:91], off, off offset:240
	scratch_load_b128 v[140:143], off, off offset:256
	s_wait_loadcnt 0xb
	s_clause 0x1
	global_store_b64 v[136:137], v[92:93], off
	global_store_b64 v[138:139], v[94:95], off
	s_clause 0x1
	scratch_load_b128 v[92:95], off, off offset:272
	scratch_load_b128 v[136:139], off, off offset:288
	s_wait_loadcnt 0xc
	s_clause 0x1
	global_store_b64 v[132:133], v[96:97], off
	global_store_b64 v[134:135], v[98:99], off
	s_clause 0x1
	scratch_load_b128 v[96:99], off, off offset:304
	scratch_load_b128 v[132:135], off, off offset:320
	s_wait_loadcnt 0xd
	s_clause 0x1
	global_store_b64 v[128:129], v[72:73], off
	global_store_b64 v[130:131], v[74:75], off
	s_clause 0x1
	scratch_load_b128 v[72:75], off, off offset:336
	scratch_load_b128 v[128:131], off, off offset:352
	s_wait_loadcnt 0xe
	s_clause 0x1
	global_store_b64 v[124:125], v[100:101], off
	global_store_b64 v[126:127], v[102:103], off
	s_clause 0x1
	scratch_load_b128 v[100:103], off, off offset:368
	scratch_load_b128 v[124:127], off, off offset:384
	s_wait_loadcnt 0xf
	s_clause 0x1
	global_store_b64 v[120:121], v[76:77], off
	global_store_b64 v[122:123], v[78:79], off
	s_clause 0x1
	scratch_load_b128 v[76:79], off, off offset:400
	scratch_load_b128 v[120:123], off, off offset:416
	s_wait_loadcnt 0x10
	s_clause 0x1
	global_store_b64 v[116:117], v[104:105], off
	global_store_b64 v[118:119], v[106:107], off
	scratch_load_b128 v[104:107], off, off offset:432
	s_wait_loadcnt 0x10
	s_clause 0x1
	global_store_b64 v[6:7], v[80:81], off
	global_store_b64 v[10:11], v[82:83], off
	s_wait_loadcnt 0xf
	s_clause 0x1
	global_store_b64 v[12:13], v[108:109], off
	global_store_b64 v[14:15], v[110:111], off
	;; [unrolled: 4-line block ×17, first 2 shown]
.LBB55_1104:
	s_sendmsg sendmsg(MSG_DEALLOC_VGPRS)
	s_endpgm
	.section	.rodata,"a",@progbits
	.p2align	6, 0x0
	.amdhsa_kernel _ZN9rocsolver6v33100L18trti2_kernel_smallILi56E19rocblas_complex_numIfEPS3_EEv13rocblas_fill_17rocblas_diagonal_T1_iil
		.amdhsa_group_segment_fixed_size 896
		.amdhsa_private_segment_fixed_size 464
		.amdhsa_kernarg_size 32
		.amdhsa_user_sgpr_count 2
		.amdhsa_user_sgpr_dispatch_ptr 0
		.amdhsa_user_sgpr_queue_ptr 0
		.amdhsa_user_sgpr_kernarg_segment_ptr 1
		.amdhsa_user_sgpr_dispatch_id 0
		.amdhsa_user_sgpr_kernarg_preload_length 0
		.amdhsa_user_sgpr_kernarg_preload_offset 0
		.amdhsa_user_sgpr_private_segment_size 0
		.amdhsa_wavefront_size32 1
		.amdhsa_uses_dynamic_stack 0
		.amdhsa_enable_private_segment 1
		.amdhsa_system_sgpr_workgroup_id_x 1
		.amdhsa_system_sgpr_workgroup_id_y 0
		.amdhsa_system_sgpr_workgroup_id_z 0
		.amdhsa_system_sgpr_workgroup_info 0
		.amdhsa_system_vgpr_workitem_id 0
		.amdhsa_next_free_vgpr 164
		.amdhsa_next_free_sgpr 36
		.amdhsa_named_barrier_count 0
		.amdhsa_reserve_vcc 1
		.amdhsa_float_round_mode_32 0
		.amdhsa_float_round_mode_16_64 0
		.amdhsa_float_denorm_mode_32 3
		.amdhsa_float_denorm_mode_16_64 3
		.amdhsa_fp16_overflow 0
		.amdhsa_memory_ordered 1
		.amdhsa_forward_progress 1
		.amdhsa_inst_pref_size 255
		.amdhsa_round_robin_scheduling 0
		.amdhsa_exception_fp_ieee_invalid_op 0
		.amdhsa_exception_fp_denorm_src 0
		.amdhsa_exception_fp_ieee_div_zero 0
		.amdhsa_exception_fp_ieee_overflow 0
		.amdhsa_exception_fp_ieee_underflow 0
		.amdhsa_exception_fp_ieee_inexact 0
		.amdhsa_exception_int_div_zero 0
	.end_amdhsa_kernel
	.section	.text._ZN9rocsolver6v33100L18trti2_kernel_smallILi56E19rocblas_complex_numIfEPS3_EEv13rocblas_fill_17rocblas_diagonal_T1_iil,"axG",@progbits,_ZN9rocsolver6v33100L18trti2_kernel_smallILi56E19rocblas_complex_numIfEPS3_EEv13rocblas_fill_17rocblas_diagonal_T1_iil,comdat
.Lfunc_end55:
	.size	_ZN9rocsolver6v33100L18trti2_kernel_smallILi56E19rocblas_complex_numIfEPS3_EEv13rocblas_fill_17rocblas_diagonal_T1_iil, .Lfunc_end55-_ZN9rocsolver6v33100L18trti2_kernel_smallILi56E19rocblas_complex_numIfEPS3_EEv13rocblas_fill_17rocblas_diagonal_T1_iil
                                        ; -- End function
	.set _ZN9rocsolver6v33100L18trti2_kernel_smallILi56E19rocblas_complex_numIfEPS3_EEv13rocblas_fill_17rocblas_diagonal_T1_iil.num_vgpr, 164
	.set _ZN9rocsolver6v33100L18trti2_kernel_smallILi56E19rocblas_complex_numIfEPS3_EEv13rocblas_fill_17rocblas_diagonal_T1_iil.num_agpr, 0
	.set _ZN9rocsolver6v33100L18trti2_kernel_smallILi56E19rocblas_complex_numIfEPS3_EEv13rocblas_fill_17rocblas_diagonal_T1_iil.numbered_sgpr, 36
	.set _ZN9rocsolver6v33100L18trti2_kernel_smallILi56E19rocblas_complex_numIfEPS3_EEv13rocblas_fill_17rocblas_diagonal_T1_iil.num_named_barrier, 0
	.set _ZN9rocsolver6v33100L18trti2_kernel_smallILi56E19rocblas_complex_numIfEPS3_EEv13rocblas_fill_17rocblas_diagonal_T1_iil.private_seg_size, 464
	.set _ZN9rocsolver6v33100L18trti2_kernel_smallILi56E19rocblas_complex_numIfEPS3_EEv13rocblas_fill_17rocblas_diagonal_T1_iil.uses_vcc, 1
	.set _ZN9rocsolver6v33100L18trti2_kernel_smallILi56E19rocblas_complex_numIfEPS3_EEv13rocblas_fill_17rocblas_diagonal_T1_iil.uses_flat_scratch, 1
	.set _ZN9rocsolver6v33100L18trti2_kernel_smallILi56E19rocblas_complex_numIfEPS3_EEv13rocblas_fill_17rocblas_diagonal_T1_iil.has_dyn_sized_stack, 0
	.set _ZN9rocsolver6v33100L18trti2_kernel_smallILi56E19rocblas_complex_numIfEPS3_EEv13rocblas_fill_17rocblas_diagonal_T1_iil.has_recursion, 0
	.set _ZN9rocsolver6v33100L18trti2_kernel_smallILi56E19rocblas_complex_numIfEPS3_EEv13rocblas_fill_17rocblas_diagonal_T1_iil.has_indirect_call, 0
	.section	.AMDGPU.csdata,"",@progbits
; Kernel info:
; codeLenInByte = 42452
; TotalNumSgprs: 38
; NumVgprs: 164
; ScratchSize: 464
; MemoryBound: 0
; FloatMode: 240
; IeeeMode: 1
; LDSByteSize: 896 bytes/workgroup (compile time only)
; SGPRBlocks: 0
; VGPRBlocks: 10
; NumSGPRsForWavesPerEU: 38
; NumVGPRsForWavesPerEU: 164
; NamedBarCnt: 0
; Occupancy: 5
; WaveLimiterHint : 0
; COMPUTE_PGM_RSRC2:SCRATCH_EN: 1
; COMPUTE_PGM_RSRC2:USER_SGPR: 2
; COMPUTE_PGM_RSRC2:TRAP_HANDLER: 0
; COMPUTE_PGM_RSRC2:TGID_X_EN: 1
; COMPUTE_PGM_RSRC2:TGID_Y_EN: 0
; COMPUTE_PGM_RSRC2:TGID_Z_EN: 0
; COMPUTE_PGM_RSRC2:TIDIG_COMP_CNT: 0
	.section	.text._ZN9rocsolver6v33100L18trti2_kernel_smallILi57E19rocblas_complex_numIfEPS3_EEv13rocblas_fill_17rocblas_diagonal_T1_iil,"axG",@progbits,_ZN9rocsolver6v33100L18trti2_kernel_smallILi57E19rocblas_complex_numIfEPS3_EEv13rocblas_fill_17rocblas_diagonal_T1_iil,comdat
	.globl	_ZN9rocsolver6v33100L18trti2_kernel_smallILi57E19rocblas_complex_numIfEPS3_EEv13rocblas_fill_17rocblas_diagonal_T1_iil ; -- Begin function _ZN9rocsolver6v33100L18trti2_kernel_smallILi57E19rocblas_complex_numIfEPS3_EEv13rocblas_fill_17rocblas_diagonal_T1_iil
	.p2align	8
	.type	_ZN9rocsolver6v33100L18trti2_kernel_smallILi57E19rocblas_complex_numIfEPS3_EEv13rocblas_fill_17rocblas_diagonal_T1_iil,@function
_ZN9rocsolver6v33100L18trti2_kernel_smallILi57E19rocblas_complex_numIfEPS3_EEv13rocblas_fill_17rocblas_diagonal_T1_iil: ; @_ZN9rocsolver6v33100L18trti2_kernel_smallILi57E19rocblas_complex_numIfEPS3_EEv13rocblas_fill_17rocblas_diagonal_T1_iil
; %bb.0:
	s_mov_b32 s2, exec_lo
	v_cmpx_gt_u32_e32 57, v0
	s_cbranch_execz .LBB56_1124
; %bb.1:
	s_load_b256 s[4:11], s[0:1], 0x0
	s_wait_xcnt 0x0
	s_bfe_u32 s0, ttmp6, 0x4000c
	s_and_b32 s1, ttmp6, 15
	s_add_co_i32 s0, s0, 1
	s_getreg_b32 s2, hwreg(HW_REG_IB_STS2, 6, 4)
	s_mul_i32 s0, ttmp9, s0
	v_mov_b32_e32 v49, 0
	s_add_co_i32 s0, s1, s0
	s_wait_kmcnt 0x0
	v_add3_u32 v2, s9, s9, v0
	s_ashr_i32 s1, s8, 31
	s_cmp_eq_u32 s2, 0
	s_cselect_b32 s2, ttmp9, s0
	s_delay_alu instid0(VALU_DEP_1)
	v_add_nc_u32_e32 v4, s9, v2
	s_ashr_i32 s3, s2, 31
	s_mov_b32 s0, s8
	s_mul_u64 s[2:3], s[10:11], s[2:3]
	s_lshl_b64 s[0:1], s[0:1], 3
	v_add_nc_u32_e32 v8, s9, v4
	s_lshl_b64 s[2:3], s[2:3], 3
	s_delay_alu instid0(SALU_CYCLE_1) | instskip(NEXT) | instid1(VALU_DEP_1)
	s_add_nc_u64 s[2:3], s[6:7], s[2:3]
	v_add_nc_u32_e32 v12, s9, v8
	s_add_nc_u64 s[6:7], s[2:3], s[0:1]
	s_mov_b32 s0, s9
	s_ashr_i32 s1, s9, 31
	s_cmp_lg_u32 s5, 0x84
	v_add_nc_u32_e32 v14, s9, v12
	s_cselect_b32 s3, -1, 0
	s_delay_alu instid0(SALU_CYCLE_1) | instskip(NEXT) | instid1(VALU_DEP_1)
	s_and_b32 vcc_lo, exec_lo, s3
	v_add_nc_u32_e32 v16, s9, v14
	s_delay_alu instid0(VALU_DEP_1) | instskip(NEXT) | instid1(VALU_DEP_1)
	v_add_nc_u32_e32 v18, s9, v16
	v_add_nc_u32_e32 v20, s9, v18
	s_delay_alu instid0(VALU_DEP_1) | instskip(NEXT) | instid1(VALU_DEP_1)
	v_add_nc_u32_e32 v22, s9, v20
	;; [unrolled: 3-line block ×4, first 2 shown]
	v_dual_lshlrev_b32 v48, 3, v0 :: v_dual_add_nc_u32 v32, s9, v30
	s_delay_alu instid0(VALU_DEP_1) | instskip(NEXT) | instid1(VALU_DEP_2)
	v_add_nc_u64_e32 v[6:7], s[6:7], v[48:49]
	v_add_nc_u32_e32 v34, s9, v32
	s_delay_alu instid0(VALU_DEP_2)
	v_lshl_add_u64 v[10:11], s[0:1], 3, v[6:7]
	s_clause 0x3
	global_load_b64 v[84:85], v8, s[6:7] scale_offset
	global_load_b64 v[86:87], v12, s[6:7] scale_offset
	;; [unrolled: 1-line block ×3, first 2 shown]
	global_load_b64 v[90:91], v[10:11], off
	v_add_nc_u32_e32 v36, s9, v34
	s_clause 0xb
	global_load_b64 v[92:93], v2, s[6:7] scale_offset
	global_load_b64 v[94:95], v4, s[6:7] scale_offset
	global_load_b64 v[96:97], v14, s[6:7] scale_offset
	global_load_b64 v[98:99], v16, s[6:7] scale_offset
	global_load_b64 v[100:101], v18, s[6:7] scale_offset
	global_load_b64 v[102:103], v20, s[6:7] scale_offset
	global_load_b64 v[104:105], v22, s[6:7] scale_offset
	global_load_b64 v[106:107], v24, s[6:7] scale_offset
	global_load_b64 v[108:109], v26, s[6:7] scale_offset
	global_load_b64 v[110:111], v28, s[6:7] scale_offset
	global_load_b64 v[112:113], v30, s[6:7] scale_offset
	global_load_b64 v[114:115], v32, s[6:7] scale_offset
	s_mov_b32 s0, -1
	v_add_nc_u32_e32 v38, s9, v36
	s_delay_alu instid0(VALU_DEP_1) | instskip(NEXT) | instid1(VALU_DEP_1)
	v_add_nc_u32_e32 v40, s9, v38
	v_add_nc_u32_e32 v42, s9, v40
	s_delay_alu instid0(VALU_DEP_1)
	v_add_nc_u32_e32 v44, s9, v42
	s_clause 0x3
	global_load_b64 v[116:117], v34, s[6:7] scale_offset
	global_load_b64 v[118:119], v36, s[6:7] scale_offset
	;; [unrolled: 1-line block ×4, first 2 shown]
	v_add_nc_u32_e32 v46, s9, v44
	s_delay_alu instid0(VALU_DEP_1) | instskip(NEXT) | instid1(VALU_DEP_1)
	v_add_nc_u32_e32 v50, s9, v46
	v_add_nc_u32_e32 v52, s9, v50
	s_clause 0x3
	global_load_b64 v[124:125], v42, s[6:7] scale_offset
	global_load_b64 v[126:127], v44, s[6:7] scale_offset
	;; [unrolled: 1-line block ×4, first 2 shown]
	v_add_nc_u32_e32 v54, s9, v52
	s_delay_alu instid0(VALU_DEP_1) | instskip(NEXT) | instid1(VALU_DEP_1)
	v_add_nc_u32_e32 v56, s9, v54
	v_add_nc_u32_e32 v58, s9, v56
	s_delay_alu instid0(VALU_DEP_1) | instskip(SKIP_4) | instid1(VALU_DEP_1)
	v_add_nc_u32_e32 v60, s9, v58
	s_clause 0x1
	global_load_b64 v[132:133], v52, s[6:7] scale_offset
	global_load_b64 v[134:135], v54, s[6:7] scale_offset
	v_add_nc_u32_e32 v62, s9, v60
	v_add_nc_u32_e32 v64, s9, v62
	s_clause 0x1
	global_load_b64 v[136:137], v56, s[6:7] scale_offset
	global_load_b64 v[138:139], v58, s[6:7] scale_offset
	v_add_nc_u32_e32 v66, s9, v64
	s_delay_alu instid0(VALU_DEP_1) | instskip(NEXT) | instid1(VALU_DEP_1)
	v_add_nc_u32_e32 v68, s9, v66
	v_add_nc_u32_e32 v70, s9, v68
	s_delay_alu instid0(VALU_DEP_1) | instskip(NEXT) | instid1(VALU_DEP_1)
	v_add_nc_u32_e32 v72, s9, v70
	;; [unrolled: 3-line block ×4, first 2 shown]
	v_add_nc_u32_e32 v82, s9, v80
	s_wait_loadcnt 0x1a
	scratch_store_b128 off, v[84:87], off offset:32
	s_wait_xcnt 0x0
	v_add_nc_u32_e32 v84, s9, v82
	s_wait_loadcnt 0x18
	scratch_store_b128 off, v[88:91], off
	s_clause 0x1
	global_load_b64 v[140:141], v60, s[6:7] scale_offset
	global_load_b64 v[142:143], v62, s[6:7] scale_offset
	s_wait_loadcnt 0x18
	scratch_store_b128 off, v[92:95], off offset:16
	s_wait_loadcnt 0x16
	scratch_store_b128 off, v[96:99], off offset:48
	v_add_nc_u32_e32 v86, s9, v84
	s_clause 0x1
	global_load_b64 v[144:145], v64, s[6:7] scale_offset
	global_load_b64 v[146:147], v66, s[6:7] scale_offset
	s_wait_loadcnt 0x16
	scratch_store_b128 off, v[100:103], off offset:64
	s_wait_loadcnt 0x14
	scratch_store_b128 off, v[104:107], off offset:80
	s_clause 0x3
	global_load_b64 v[148:149], v68, s[6:7] scale_offset
	global_load_b64 v[150:151], v70, s[6:7] scale_offset
	;; [unrolled: 1-line block ×4, first 2 shown]
	s_wait_loadcnt 0x16
	scratch_store_b128 off, v[108:111], off offset:96
	s_wait_xcnt 0xd
	v_add_nc_u32_e32 v88, s9, v86
	s_wait_loadcnt 0x14
	scratch_store_b128 off, v[112:115], off offset:112
	s_wait_loadcnt 0x12
	scratch_store_b128 off, v[116:119], off offset:128
	v_add_nc_u32_e32 v90, s9, v88
	s_clause 0x3
	global_load_b64 v[116:117], v76, s[6:7] scale_offset
	global_load_b64 v[118:119], v78, s[6:7] scale_offset
	;; [unrolled: 1-line block ×4, first 2 shown]
	s_wait_loadcnt 0x14
	scratch_store_b128 off, v[120:123], off offset:144
	s_wait_loadcnt 0x12
	scratch_store_b128 off, v[124:127], off offset:160
	v_add_nc_u32_e32 v92, s9, v90
	s_delay_alu instid0(VALU_DEP_1) | instskip(NEXT) | instid1(VALU_DEP_1)
	v_add_nc_u32_e32 v94, s9, v92
	v_add_nc_u32_e32 v96, s9, v94
	s_clause 0x3
	global_load_b64 v[120:121], v84, s[6:7] scale_offset
	global_load_b64 v[122:123], v86, s[6:7] scale_offset
	;; [unrolled: 1-line block ×4, first 2 shown]
	s_wait_loadcnt 0x14
	scratch_store_b128 off, v[128:131], off offset:176
	v_add_nc_u32_e32 v98, s9, v96
	s_delay_alu instid0(VALU_DEP_1)
	v_add_nc_u32_e32 v100, s9, v98
	s_clause 0x1
	global_load_b64 v[128:129], v92, s[6:7] scale_offset
	global_load_b64 v[130:131], v94, s[6:7] scale_offset
	s_wait_loadcnt 0x14
	scratch_store_b128 off, v[132:135], off offset:192
	v_add_nc_u32_e32 v102, s9, v100
	s_delay_alu instid0(VALU_DEP_1) | instskip(SKIP_3) | instid1(VALU_DEP_1)
	v_add_nc_u32_e32 v104, s9, v102
	s_wait_loadcnt 0x12
	scratch_store_b128 off, v[136:139], off offset:208
	v_add_nc_u32_e32 v106, s9, v104
	v_add_nc_u32_e32 v108, s9, v106
	s_delay_alu instid0(VALU_DEP_1) | instskip(NEXT) | instid1(VALU_DEP_1)
	v_add_nc_u32_e32 v110, s9, v108
	v_add_nc_u32_e32 v112, s9, v110
	s_delay_alu instid0(VALU_DEP_1)
	v_add_nc_u32_e32 v114, s9, v112
	s_wait_loadcnt 0x10
	scratch_store_b128 off, v[140:143], off offset:224
	s_wait_loadcnt 0xe
	scratch_store_b128 off, v[144:147], off offset:240
	;; [unrolled: 2-line block ×4, first 2 shown]
	s_clause 0x1
	global_load_b64 v[132:133], v96, s[6:7] scale_offset
	global_load_b64 v[134:135], v98, s[6:7] scale_offset
	s_wait_loadcnt 0xa
	scratch_store_b128 off, v[116:119], off offset:288
	s_wait_loadcnt 0x8
	scratch_store_b128 off, v[156:159], off offset:304
	s_clause 0x3
	global_load_b64 v[136:137], v100, s[6:7] scale_offset
	global_load_b64 v[138:139], v102, s[6:7] scale_offset
	;; [unrolled: 1-line block ×4, first 2 shown]
	s_wait_xcnt 0x5
	v_add_nc_u32_e32 v116, s9, v114
	s_wait_loadcnt 0xa
	scratch_store_b128 off, v[120:123], off offset:320
	s_wait_loadcnt 0x8
	scratch_store_b128 off, v[124:127], off offset:336
	;; [unrolled: 2-line block ×3, first 2 shown]
	s_clause 0x4
	global_load_b64 v[118:119], v108, s[6:7] scale_offset
	global_load_b64 v[120:121], v110, s[6:7] scale_offset
	;; [unrolled: 1-line block ×5, first 2 shown]
	s_wait_loadcnt 0x9
	scratch_store_b128 off, v[132:135], off offset:368
	s_wait_loadcnt 0x7
	scratch_store_b128 off, v[136:139], off offset:384
	;; [unrolled: 2-line block ×5, first 2 shown]
	s_wait_loadcnt 0x0
	scratch_store_b64 off, v[126:127], off offset:448
	s_cbranch_vccz .LBB56_7
; %bb.2:
	scratch_load_b64 v[118:119], v0, off scale_offset
                                        ; implicit-def: $vgpr123
                                        ; implicit-def: $vgpr120
	s_wait_loadcnt 0x0
	v_cmp_ngt_f32_e64 s0, |v118|, |v119|
	s_wait_xcnt 0x0
	s_and_saveexec_b32 s1, s0
	s_delay_alu instid0(SALU_CYCLE_1)
	s_xor_b32 s0, exec_lo, s1
	s_cbranch_execz .LBB56_4
; %bb.3:
	v_div_scale_f32 v1, null, v119, v119, v118
	v_div_scale_f32 v9, vcc_lo, v118, v119, v118
	s_delay_alu instid0(VALU_DEP_2) | instskip(SKIP_1) | instid1(TRANS32_DEP_1)
	v_rcp_f32_e32 v3, v1
	v_nop
	v_fma_f32 v5, -v1, v3, 1.0
	s_delay_alu instid0(VALU_DEP_1) | instskip(NEXT) | instid1(VALU_DEP_1)
	v_fmac_f32_e32 v3, v5, v3
	v_mul_f32_e32 v5, v9, v3
	s_delay_alu instid0(VALU_DEP_1) | instskip(NEXT) | instid1(VALU_DEP_1)
	v_fma_f32 v13, -v1, v5, v9
	v_fmac_f32_e32 v5, v13, v3
	s_delay_alu instid0(VALU_DEP_1) | instskip(NEXT) | instid1(VALU_DEP_1)
	v_fma_f32 v1, -v1, v5, v9
	v_div_fmas_f32 v1, v1, v3, v5
	s_delay_alu instid0(VALU_DEP_1) | instskip(NEXT) | instid1(VALU_DEP_1)
	v_div_fixup_f32 v1, v1, v119, v118
	v_fmac_f32_e32 v119, v118, v1
	s_delay_alu instid0(VALU_DEP_1) | instskip(NEXT) | instid1(VALU_DEP_1)
	v_div_scale_f32 v3, null, v119, v119, -1.0
	v_rcp_f32_e32 v5, v3
	v_nop
	s_delay_alu instid0(TRANS32_DEP_1) | instskip(NEXT) | instid1(VALU_DEP_1)
	v_fma_f32 v9, -v3, v5, 1.0
	v_fmac_f32_e32 v5, v9, v5
	v_div_scale_f32 v9, vcc_lo, -1.0, v119, -1.0
	s_delay_alu instid0(VALU_DEP_1) | instskip(NEXT) | instid1(VALU_DEP_1)
	v_mul_f32_e32 v13, v9, v5
	v_fma_f32 v15, -v3, v13, v9
	s_delay_alu instid0(VALU_DEP_1) | instskip(NEXT) | instid1(VALU_DEP_1)
	v_fmac_f32_e32 v13, v15, v5
	v_fma_f32 v3, -v3, v13, v9
	s_delay_alu instid0(VALU_DEP_1) | instskip(NEXT) | instid1(VALU_DEP_1)
	v_div_fmas_f32 v3, v3, v5, v13
	v_div_fixup_f32 v123, v3, v119, -1.0
                                        ; implicit-def: $vgpr118_vgpr119
	s_delay_alu instid0(VALU_DEP_1) | instskip(NEXT) | instid1(VALU_DEP_1)
	v_mul_f32_e32 v120, v1, v123
	v_xor_b32_e32 v122, 0x80000000, v120
.LBB56_4:
	s_or_saveexec_b32 s0, s0
	v_lshl_add_u32 v1, v0, 3, 0
	s_xor_b32 exec_lo, exec_lo, s0
	s_cbranch_execz .LBB56_6
; %bb.5:
	v_div_scale_f32 v3, null, v118, v118, v119
	v_div_scale_f32 v13, vcc_lo, v119, v118, v119
	s_delay_alu instid0(VALU_DEP_2) | instskip(SKIP_1) | instid1(TRANS32_DEP_1)
	v_rcp_f32_e32 v5, v3
	v_nop
	v_fma_f32 v9, -v3, v5, 1.0
	s_delay_alu instid0(VALU_DEP_1) | instskip(NEXT) | instid1(VALU_DEP_1)
	v_fmac_f32_e32 v5, v9, v5
	v_mul_f32_e32 v9, v13, v5
	s_delay_alu instid0(VALU_DEP_1) | instskip(NEXT) | instid1(VALU_DEP_1)
	v_fma_f32 v15, -v3, v9, v13
	v_fmac_f32_e32 v9, v15, v5
	s_delay_alu instid0(VALU_DEP_1) | instskip(NEXT) | instid1(VALU_DEP_1)
	v_fma_f32 v3, -v3, v9, v13
	v_div_fmas_f32 v3, v3, v5, v9
	s_delay_alu instid0(VALU_DEP_1) | instskip(NEXT) | instid1(VALU_DEP_1)
	v_div_fixup_f32 v3, v3, v118, v119
	v_fmac_f32_e32 v118, v119, v3
	s_delay_alu instid0(VALU_DEP_1) | instskip(SKIP_1) | instid1(VALU_DEP_2)
	v_div_scale_f32 v5, null, v118, v118, 1.0
	v_div_scale_f32 v15, vcc_lo, 1.0, v118, 1.0
	v_rcp_f32_e32 v9, v5
	v_nop
	s_delay_alu instid0(TRANS32_DEP_1) | instskip(NEXT) | instid1(VALU_DEP_1)
	v_fma_f32 v13, -v5, v9, 1.0
	v_fmac_f32_e32 v9, v13, v9
	s_delay_alu instid0(VALU_DEP_1) | instskip(NEXT) | instid1(VALU_DEP_1)
	v_mul_f32_e32 v13, v15, v9
	v_fma_f32 v17, -v5, v13, v15
	s_delay_alu instid0(VALU_DEP_1) | instskip(NEXT) | instid1(VALU_DEP_1)
	v_fmac_f32_e32 v13, v17, v9
	v_fma_f32 v5, -v5, v13, v15
	s_delay_alu instid0(VALU_DEP_1) | instskip(NEXT) | instid1(VALU_DEP_1)
	v_div_fmas_f32 v5, v5, v9, v13
	v_div_fixup_f32 v122, v5, v118, 1.0
	s_delay_alu instid0(VALU_DEP_1)
	v_xor_b32_e32 v120, 0x80000000, v122
	v_mul_f32_e64 v123, v3, -v122
.LBB56_6:
	s_or_b32 exec_lo, exec_lo, s0
	s_delay_alu instid0(VALU_DEP_1)
	v_xor_b32_e32 v121, 0x80000000, v123
	s_mov_b32 s0, 0
	scratch_store_b64 v1, v[122:123], off
	ds_store_b64 v48, v[120:121]
.LBB56_7:
	s_and_b32 vcc_lo, exec_lo, s0
	s_cbranch_vccz .LBB56_9
; %bb.8:
	s_mov_b64 s[0:1], 0xbf800000
	s_wait_xcnt 0x2
	v_mov_b64_e32 v[118:119], s[0:1]
	ds_store_b64 v48, v[118:119]
.LBB56_9:
	v_dual_ashrrev_i32 v3, 31, v2 :: v_dual_ashrrev_i32 v5, 31, v4
	v_dual_ashrrev_i32 v9, 31, v8 :: v_dual_ashrrev_i32 v15, 31, v14
	;; [unrolled: 1-line block ×27, first 2 shown]
	v_dual_ashrrev_i32 v117, 31, v116 :: v_dual_mov_b32 v49, v48
	s_wait_xcnt 0x0
	v_add_nc_u32_e32 v1, 0x1d0, v48
	s_cmp_eq_u32 s4, 0x79
	s_cbranch_scc1 .LBB56_13
; %bb.10:
	scratch_load_b64 v[118:119], off, off offset:440
	v_cmp_eq_u32_e64 s0, 56, v0
	s_movk_i32 s1, 0x50
	s_movk_i32 s2, 0x60
	;; [unrolled: 1-line block ×23, first 2 shown]
	s_wait_loadcnt 0x0
	ds_store_b64 v1, v[118:119]
	s_wait_storecnt_dscnt 0x0
	s_barrier_signal -1
	s_barrier_wait -1
	s_wait_xcnt 0x0
	s_and_saveexec_b32 s4, s0
	s_cbranch_execz .LBB56_17
; %bb.11:
	s_and_b32 vcc_lo, exec_lo, s3
	s_cbranch_vccz .LBB56_14
; %bb.12:
	scratch_load_b64 v[118:119], v49, off
	ds_load_b64 v[120:121], v1
	s_wait_loadcnt_dscnt 0x0
	v_pk_mul_f32 v[122:123], v[120:121], v[118:119] op_sel:[1,1] op_sel_hi:[0,1]
	v_pk_mul_f32 v[124:125], v[120:121], v[118:119] op_sel_hi:[1,0]
	s_delay_alu instid0(VALU_DEP_2) | instskip(NEXT) | instid1(VALU_DEP_2)
	v_pk_fma_f32 v[118:119], v[120:121], v[118:119], v[122:123] op_sel_hi:[1,0,1]
	v_sub_f32_e32 v118, v124, v122
	s_cbranch_execz .LBB56_15
	s_branch .LBB56_16
.LBB56_13:
	s_mov_b32 s1, 0
                                        ; implicit-def: $vgpr158
                                        ; implicit-def: $sgpr4
	s_cbranch_execnz .LBB56_566
	s_branch .LBB56_1121
.LBB56_14:
                                        ; implicit-def: $vgpr119
.LBB56_15:
	ds_load_b64 v[118:119], v1
.LBB56_16:
	s_wait_dscnt 0x0
	v_dual_mov_b32 v120, 0 :: v_dual_mov_b32 v122, v119
	v_mov_b32_e32 v123, v118
	ds_load_b64 v[120:121], v120 offset:440
	s_wait_dscnt 0x0
	v_pk_mul_f32 v[122:123], v[122:123], v[120:121] op_sel:[0,1]
	s_delay_alu instid0(VALU_DEP_1) | instskip(SKIP_1) | instid1(VALU_DEP_2)
	v_pk_fma_f32 v[124:125], v[118:119], v[120:121], v[122:123] op_sel_hi:[1,0,1]
	v_pk_fma_f32 v[118:119], v[118:119], v[120:121], v[122:123] neg_lo:[0,0,1] neg_hi:[0,0,1]
	v_mov_b32_e32 v119, v125
	scratch_store_b64 off, v[118:119], off offset:440
.LBB56_17:
	s_wait_xcnt 0x0
	s_or_b32 exec_lo, exec_lo, s4
	scratch_load_b64 v[118:119], off, off offset:432
	s_mov_b32 s11, s2
	v_cmp_lt_u32_e64 s2, 54, v0
	s_mov_b32 s4, 16
	s_mov_b32 s5, 32
	;; [unrolled: 1-line block ×5, first 2 shown]
	s_wait_loadcnt 0x0
	ds_store_b64 v1, v[118:119]
	s_wait_storecnt_dscnt 0x0
	s_barrier_signal -1
	s_barrier_wait -1
	s_wait_xcnt 0x0
	s_and_saveexec_b32 s1, s2
	s_cbranch_execz .LBB56_25
; %bb.18:
	s_and_not1_b32 vcc_lo, exec_lo, s3
	s_cbranch_vccnz .LBB56_20
; %bb.19:
	scratch_load_b64 v[118:119], v49, off
	ds_load_b64 v[120:121], v1
	s_wait_loadcnt_dscnt 0x0
	v_pk_mul_f32 v[122:123], v[120:121], v[118:119] op_sel:[1,1] op_sel_hi:[0,1]
	s_delay_alu instid0(VALU_DEP_1) | instskip(SKIP_1) | instid1(VALU_DEP_2)
	v_pk_fma_f32 v[124:125], v[120:121], v[118:119], v[122:123] op_sel_hi:[1,0,1]
	v_pk_fma_f32 v[118:119], v[120:121], v[118:119], v[122:123] neg_lo:[0,0,1] neg_hi:[0,0,1]
	v_mov_b32_e32 v119, v125
	s_cbranch_execz .LBB56_21
	s_branch .LBB56_22
.LBB56_20:
                                        ; implicit-def: $vgpr118_vgpr119
.LBB56_21:
	ds_load_b64 v[118:119], v1
.LBB56_22:
	s_and_saveexec_b32 s34, s0
	s_cbranch_execz .LBB56_24
; %bb.23:
	scratch_load_b64 v[120:121], off, off offset:440
	v_mov_b32_e32 v122, 0
	ds_load_b64 v[122:123], v122 offset:904
	s_wait_loadcnt_dscnt 0x0
	v_pk_mul_f32 v[124:125], v[122:123], v[120:121] op_sel:[1,1] op_sel_hi:[0,1]
	s_delay_alu instid0(VALU_DEP_1) | instskip(SKIP_1) | instid1(VALU_DEP_2)
	v_pk_fma_f32 v[126:127], v[122:123], v[120:121], v[124:125] op_sel_hi:[1,0,1]
	v_pk_fma_f32 v[120:121], v[122:123], v[120:121], v[124:125] neg_lo:[0,0,1] neg_hi:[0,0,1]
	v_mov_b32_e32 v121, v127
	s_delay_alu instid0(VALU_DEP_1)
	v_pk_add_f32 v[118:119], v[118:119], v[120:121]
.LBB56_24:
	s_or_b32 exec_lo, exec_lo, s34
	v_mov_b32_e32 v120, 0
	ds_load_b64 v[120:121], v120 offset:432
	s_wait_dscnt 0x0
	v_pk_mul_f32 v[122:123], v[118:119], v[120:121] op_sel:[1,1] op_sel_hi:[0,1]
	s_delay_alu instid0(VALU_DEP_1) | instskip(SKIP_1) | instid1(VALU_DEP_2)
	v_pk_fma_f32 v[124:125], v[118:119], v[120:121], v[122:123] op_sel_hi:[1,0,1]
	v_pk_fma_f32 v[118:119], v[118:119], v[120:121], v[122:123] neg_lo:[0,0,1] neg_hi:[0,0,1]
	v_mov_b32_e32 v119, v125
	scratch_store_b64 off, v[118:119], off offset:432
.LBB56_25:
	s_wait_xcnt 0x0
	s_or_b32 exec_lo, exec_lo, s1
	scratch_load_b64 v[118:119], off, off offset:424
	v_cmp_lt_u32_e64 s1, 53, v0
	s_wait_loadcnt 0x0
	ds_store_b64 v1, v[118:119]
	s_wait_storecnt_dscnt 0x0
	s_barrier_signal -1
	s_barrier_wait -1
	s_wait_xcnt 0x0
	s_and_saveexec_b32 s0, s1
	s_cbranch_execz .LBB56_35
; %bb.26:
	s_and_not1_b32 vcc_lo, exec_lo, s3
	s_cbranch_vccnz .LBB56_28
; %bb.27:
	scratch_load_b64 v[118:119], v49, off
	ds_load_b64 v[120:121], v1
	s_wait_loadcnt_dscnt 0x0
	v_pk_mul_f32 v[122:123], v[120:121], v[118:119] op_sel:[1,1] op_sel_hi:[0,1]
	s_delay_alu instid0(VALU_DEP_1) | instskip(SKIP_1) | instid1(VALU_DEP_2)
	v_pk_fma_f32 v[124:125], v[120:121], v[118:119], v[122:123] op_sel_hi:[1,0,1]
	v_pk_fma_f32 v[118:119], v[120:121], v[118:119], v[122:123] neg_lo:[0,0,1] neg_hi:[0,0,1]
	v_mov_b32_e32 v119, v125
	s_cbranch_execz .LBB56_29
	s_branch .LBB56_30
.LBB56_28:
                                        ; implicit-def: $vgpr118_vgpr119
.LBB56_29:
	ds_load_b64 v[118:119], v1
.LBB56_30:
	s_and_saveexec_b32 s34, s2
	s_cbranch_execz .LBB56_34
; %bb.31:
	v_subrev_nc_u32_e32 v120, 54, v0
	s_movk_i32 s35, 0x380
	s_mov_b32 s2, 0
.LBB56_32:                              ; =>This Inner Loop Header: Depth=1
	scratch_load_b64 v[122:123], off, s33
	v_dual_mov_b32 v121, s35 :: v_dual_add_nc_u32 v120, -1, v120
	s_add_co_i32 s35, s35, 8
	s_wait_xcnt 0x0
	s_add_co_i32 s33, s33, 8
	ds_load_b64 v[124:125], v121
	v_cmp_eq_u32_e32 vcc_lo, 0, v120
	s_or_b32 s2, vcc_lo, s2
	s_wait_loadcnt_dscnt 0x0
	v_pk_mul_f32 v[126:127], v[124:125], v[122:123] op_sel:[1,1] op_sel_hi:[0,1]
	s_delay_alu instid0(VALU_DEP_1) | instskip(SKIP_1) | instid1(VALU_DEP_2)
	v_pk_fma_f32 v[128:129], v[124:125], v[122:123], v[126:127] op_sel_hi:[1,0,1]
	v_pk_fma_f32 v[122:123], v[124:125], v[122:123], v[126:127] neg_lo:[0,0,1] neg_hi:[0,0,1]
	v_mov_b32_e32 v123, v129
	s_delay_alu instid0(VALU_DEP_1)
	v_pk_add_f32 v[118:119], v[118:119], v[122:123]
	s_and_not1_b32 exec_lo, exec_lo, s2
	s_cbranch_execnz .LBB56_32
; %bb.33:
	s_or_b32 exec_lo, exec_lo, s2
.LBB56_34:
	s_delay_alu instid0(SALU_CYCLE_1) | instskip(SKIP_4) | instid1(VALU_DEP_1)
	s_or_b32 exec_lo, exec_lo, s34
	v_mov_b32_e32 v120, 0
	ds_load_b64 v[120:121], v120 offset:424
	s_wait_dscnt 0x0
	v_pk_mul_f32 v[122:123], v[118:119], v[120:121] op_sel:[1,1] op_sel_hi:[0,1]
	v_pk_fma_f32 v[124:125], v[118:119], v[120:121], v[122:123] op_sel_hi:[1,0,1]
	v_pk_fma_f32 v[118:119], v[118:119], v[120:121], v[122:123] neg_lo:[0,0,1] neg_hi:[0,0,1]
	s_delay_alu instid0(VALU_DEP_2)
	v_mov_b32_e32 v119, v125
	scratch_store_b64 off, v[118:119], off offset:424
.LBB56_35:
	s_wait_xcnt 0x0
	s_or_b32 exec_lo, exec_lo, s0
	scratch_load_b64 v[118:119], off, off offset:416
	v_cmp_lt_u32_e64 s0, 52, v0
	s_wait_loadcnt 0x0
	ds_store_b64 v1, v[118:119]
	s_wait_storecnt_dscnt 0x0
	s_barrier_signal -1
	s_barrier_wait -1
	s_wait_xcnt 0x0
	s_and_saveexec_b32 s2, s0
	s_cbranch_execz .LBB56_45
; %bb.36:
	s_and_not1_b32 vcc_lo, exec_lo, s3
	s_cbranch_vccnz .LBB56_38
; %bb.37:
	scratch_load_b64 v[118:119], v49, off
	ds_load_b64 v[120:121], v1
	s_wait_loadcnt_dscnt 0x0
	v_pk_mul_f32 v[122:123], v[120:121], v[118:119] op_sel:[1,1] op_sel_hi:[0,1]
	s_delay_alu instid0(VALU_DEP_1) | instskip(SKIP_1) | instid1(VALU_DEP_2)
	v_pk_fma_f32 v[124:125], v[120:121], v[118:119], v[122:123] op_sel_hi:[1,0,1]
	v_pk_fma_f32 v[118:119], v[120:121], v[118:119], v[122:123] neg_lo:[0,0,1] neg_hi:[0,0,1]
	v_mov_b32_e32 v119, v125
	s_cbranch_execz .LBB56_39
	s_branch .LBB56_40
.LBB56_38:
                                        ; implicit-def: $vgpr118_vgpr119
.LBB56_39:
	ds_load_b64 v[118:119], v1
.LBB56_40:
	s_and_saveexec_b32 s33, s1
	s_cbranch_execz .LBB56_44
; %bb.41:
	v_subrev_nc_u32_e32 v120, 53, v0
	s_movk_i32 s1, 0x1a8
	s_movk_i32 s35, 0x378
	s_mov_b32 s34, 0
.LBB56_42:                              ; =>This Inner Loop Header: Depth=1
	scratch_load_b64 v[122:123], off, s1
	v_dual_mov_b32 v121, s35 :: v_dual_add_nc_u32 v120, -1, v120
	s_add_co_i32 s35, s35, 8
	s_wait_xcnt 0x0
	s_add_co_i32 s1, s1, 8
	ds_load_b64 v[124:125], v121
	v_cmp_eq_u32_e32 vcc_lo, 0, v120
	s_or_b32 s34, vcc_lo, s34
	s_wait_loadcnt_dscnt 0x0
	v_pk_mul_f32 v[126:127], v[124:125], v[122:123] op_sel:[1,1] op_sel_hi:[0,1]
	s_delay_alu instid0(VALU_DEP_1) | instskip(SKIP_1) | instid1(VALU_DEP_2)
	v_pk_fma_f32 v[128:129], v[124:125], v[122:123], v[126:127] op_sel_hi:[1,0,1]
	v_pk_fma_f32 v[122:123], v[124:125], v[122:123], v[126:127] neg_lo:[0,0,1] neg_hi:[0,0,1]
	v_mov_b32_e32 v123, v129
	s_delay_alu instid0(VALU_DEP_1)
	v_pk_add_f32 v[118:119], v[118:119], v[122:123]
	s_and_not1_b32 exec_lo, exec_lo, s34
	s_cbranch_execnz .LBB56_42
; %bb.43:
	s_or_b32 exec_lo, exec_lo, s34
.LBB56_44:
	s_delay_alu instid0(SALU_CYCLE_1) | instskip(SKIP_4) | instid1(VALU_DEP_1)
	s_or_b32 exec_lo, exec_lo, s33
	v_mov_b32_e32 v120, 0
	ds_load_b64 v[120:121], v120 offset:416
	s_wait_dscnt 0x0
	v_pk_mul_f32 v[122:123], v[118:119], v[120:121] op_sel:[1,1] op_sel_hi:[0,1]
	v_pk_fma_f32 v[124:125], v[118:119], v[120:121], v[122:123] op_sel_hi:[1,0,1]
	v_pk_fma_f32 v[118:119], v[118:119], v[120:121], v[122:123] neg_lo:[0,0,1] neg_hi:[0,0,1]
	s_delay_alu instid0(VALU_DEP_2)
	v_mov_b32_e32 v119, v125
	scratch_store_b64 off, v[118:119], off offset:416
.LBB56_45:
	s_wait_xcnt 0x0
	s_or_b32 exec_lo, exec_lo, s2
	scratch_load_b64 v[118:119], off, off offset:408
	v_cmp_lt_u32_e64 s1, 51, v0
	s_wait_loadcnt 0x0
	ds_store_b64 v1, v[118:119]
	s_wait_storecnt_dscnt 0x0
	s_barrier_signal -1
	s_barrier_wait -1
	s_wait_xcnt 0x0
	s_and_saveexec_b32 s2, s1
	s_cbranch_execz .LBB56_55
; %bb.46:
	s_and_not1_b32 vcc_lo, exec_lo, s3
	s_cbranch_vccnz .LBB56_48
; %bb.47:
	scratch_load_b64 v[118:119], v49, off
	ds_load_b64 v[120:121], v1
	s_wait_loadcnt_dscnt 0x0
	v_pk_mul_f32 v[122:123], v[120:121], v[118:119] op_sel:[1,1] op_sel_hi:[0,1]
	s_delay_alu instid0(VALU_DEP_1) | instskip(SKIP_1) | instid1(VALU_DEP_2)
	v_pk_fma_f32 v[124:125], v[120:121], v[118:119], v[122:123] op_sel_hi:[1,0,1]
	v_pk_fma_f32 v[118:119], v[120:121], v[118:119], v[122:123] neg_lo:[0,0,1] neg_hi:[0,0,1]
	v_mov_b32_e32 v119, v125
	s_cbranch_execz .LBB56_49
	s_branch .LBB56_50
.LBB56_48:
                                        ; implicit-def: $vgpr118_vgpr119
.LBB56_49:
	ds_load_b64 v[118:119], v1
.LBB56_50:
	s_and_saveexec_b32 s33, s0
	s_cbranch_execz .LBB56_54
; %bb.51:
	v_subrev_nc_u32_e32 v120, 52, v0
	s_movk_i32 s34, 0x370
	s_mov_b32 s0, 0
.LBB56_52:                              ; =>This Inner Loop Header: Depth=1
	scratch_load_b64 v[122:123], off, s31
	v_dual_mov_b32 v121, s34 :: v_dual_add_nc_u32 v120, -1, v120
	s_add_co_i32 s34, s34, 8
	s_wait_xcnt 0x0
	s_add_co_i32 s31, s31, 8
	ds_load_b64 v[124:125], v121
	v_cmp_eq_u32_e32 vcc_lo, 0, v120
	s_or_b32 s0, vcc_lo, s0
	s_wait_loadcnt_dscnt 0x0
	v_pk_mul_f32 v[126:127], v[124:125], v[122:123] op_sel:[1,1] op_sel_hi:[0,1]
	s_delay_alu instid0(VALU_DEP_1) | instskip(SKIP_1) | instid1(VALU_DEP_2)
	v_pk_fma_f32 v[128:129], v[124:125], v[122:123], v[126:127] op_sel_hi:[1,0,1]
	v_pk_fma_f32 v[122:123], v[124:125], v[122:123], v[126:127] neg_lo:[0,0,1] neg_hi:[0,0,1]
	v_mov_b32_e32 v123, v129
	s_delay_alu instid0(VALU_DEP_1)
	v_pk_add_f32 v[118:119], v[118:119], v[122:123]
	s_and_not1_b32 exec_lo, exec_lo, s0
	s_cbranch_execnz .LBB56_52
; %bb.53:
	s_or_b32 exec_lo, exec_lo, s0
.LBB56_54:
	s_delay_alu instid0(SALU_CYCLE_1) | instskip(SKIP_4) | instid1(VALU_DEP_1)
	s_or_b32 exec_lo, exec_lo, s33
	v_mov_b32_e32 v120, 0
	ds_load_b64 v[120:121], v120 offset:408
	s_wait_dscnt 0x0
	v_pk_mul_f32 v[122:123], v[118:119], v[120:121] op_sel:[1,1] op_sel_hi:[0,1]
	v_pk_fma_f32 v[124:125], v[118:119], v[120:121], v[122:123] op_sel_hi:[1,0,1]
	v_pk_fma_f32 v[118:119], v[118:119], v[120:121], v[122:123] neg_lo:[0,0,1] neg_hi:[0,0,1]
	s_delay_alu instid0(VALU_DEP_2)
	v_mov_b32_e32 v119, v125
	scratch_store_b64 off, v[118:119], off offset:408
.LBB56_55:
	s_wait_xcnt 0x0
	s_or_b32 exec_lo, exec_lo, s2
	scratch_load_b64 v[118:119], off, off offset:400
	v_cmp_lt_u32_e64 s0, 50, v0
	s_wait_loadcnt 0x0
	ds_store_b64 v1, v[118:119]
	s_wait_storecnt_dscnt 0x0
	s_barrier_signal -1
	s_barrier_wait -1
	s_wait_xcnt 0x0
	s_and_saveexec_b32 s2, s0
	s_cbranch_execz .LBB56_65
; %bb.56:
	s_and_not1_b32 vcc_lo, exec_lo, s3
	s_cbranch_vccnz .LBB56_58
; %bb.57:
	scratch_load_b64 v[118:119], v49, off
	ds_load_b64 v[120:121], v1
	s_wait_loadcnt_dscnt 0x0
	v_pk_mul_f32 v[122:123], v[120:121], v[118:119] op_sel:[1,1] op_sel_hi:[0,1]
	s_delay_alu instid0(VALU_DEP_1) | instskip(SKIP_1) | instid1(VALU_DEP_2)
	v_pk_fma_f32 v[124:125], v[120:121], v[118:119], v[122:123] op_sel_hi:[1,0,1]
	v_pk_fma_f32 v[118:119], v[120:121], v[118:119], v[122:123] neg_lo:[0,0,1] neg_hi:[0,0,1]
	v_mov_b32_e32 v119, v125
	s_cbranch_execz .LBB56_59
	s_branch .LBB56_60
.LBB56_58:
                                        ; implicit-def: $vgpr118_vgpr119
.LBB56_59:
	ds_load_b64 v[118:119], v1
.LBB56_60:
	s_and_saveexec_b32 s31, s1
	s_cbranch_execz .LBB56_64
; %bb.61:
	v_subrev_nc_u32_e32 v120, 51, v0
	s_movk_i32 s1, 0x198
	s_movk_i32 s34, 0x368
	s_mov_b32 s33, 0
.LBB56_62:                              ; =>This Inner Loop Header: Depth=1
	scratch_load_b64 v[122:123], off, s1
	v_dual_mov_b32 v121, s34 :: v_dual_add_nc_u32 v120, -1, v120
	s_add_co_i32 s34, s34, 8
	s_wait_xcnt 0x0
	s_add_co_i32 s1, s1, 8
	ds_load_b64 v[124:125], v121
	v_cmp_eq_u32_e32 vcc_lo, 0, v120
	s_or_b32 s33, vcc_lo, s33
	s_wait_loadcnt_dscnt 0x0
	v_pk_mul_f32 v[126:127], v[124:125], v[122:123] op_sel:[1,1] op_sel_hi:[0,1]
	s_delay_alu instid0(VALU_DEP_1) | instskip(SKIP_1) | instid1(VALU_DEP_2)
	v_pk_fma_f32 v[128:129], v[124:125], v[122:123], v[126:127] op_sel_hi:[1,0,1]
	v_pk_fma_f32 v[122:123], v[124:125], v[122:123], v[126:127] neg_lo:[0,0,1] neg_hi:[0,0,1]
	v_mov_b32_e32 v123, v129
	s_delay_alu instid0(VALU_DEP_1)
	v_pk_add_f32 v[118:119], v[118:119], v[122:123]
	s_and_not1_b32 exec_lo, exec_lo, s33
	s_cbranch_execnz .LBB56_62
; %bb.63:
	s_or_b32 exec_lo, exec_lo, s33
.LBB56_64:
	s_delay_alu instid0(SALU_CYCLE_1) | instskip(SKIP_4) | instid1(VALU_DEP_1)
	s_or_b32 exec_lo, exec_lo, s31
	v_mov_b32_e32 v120, 0
	ds_load_b64 v[120:121], v120 offset:400
	s_wait_dscnt 0x0
	v_pk_mul_f32 v[122:123], v[118:119], v[120:121] op_sel:[1,1] op_sel_hi:[0,1]
	v_pk_fma_f32 v[124:125], v[118:119], v[120:121], v[122:123] op_sel_hi:[1,0,1]
	v_pk_fma_f32 v[118:119], v[118:119], v[120:121], v[122:123] neg_lo:[0,0,1] neg_hi:[0,0,1]
	s_delay_alu instid0(VALU_DEP_2)
	v_mov_b32_e32 v119, v125
	scratch_store_b64 off, v[118:119], off offset:400
.LBB56_65:
	s_wait_xcnt 0x0
	s_or_b32 exec_lo, exec_lo, s2
	scratch_load_b64 v[118:119], off, off offset:392
	v_cmp_lt_u32_e64 s1, 49, v0
	s_wait_loadcnt 0x0
	ds_store_b64 v1, v[118:119]
	s_wait_storecnt_dscnt 0x0
	s_barrier_signal -1
	s_barrier_wait -1
	s_wait_xcnt 0x0
	s_and_saveexec_b32 s2, s1
	s_cbranch_execz .LBB56_75
; %bb.66:
	s_and_not1_b32 vcc_lo, exec_lo, s3
	s_cbranch_vccnz .LBB56_68
; %bb.67:
	scratch_load_b64 v[118:119], v49, off
	ds_load_b64 v[120:121], v1
	s_wait_loadcnt_dscnt 0x0
	v_pk_mul_f32 v[122:123], v[120:121], v[118:119] op_sel:[1,1] op_sel_hi:[0,1]
	s_delay_alu instid0(VALU_DEP_1) | instskip(SKIP_1) | instid1(VALU_DEP_2)
	v_pk_fma_f32 v[124:125], v[120:121], v[118:119], v[122:123] op_sel_hi:[1,0,1]
	v_pk_fma_f32 v[118:119], v[120:121], v[118:119], v[122:123] neg_lo:[0,0,1] neg_hi:[0,0,1]
	v_mov_b32_e32 v119, v125
	s_cbranch_execz .LBB56_69
	s_branch .LBB56_70
.LBB56_68:
                                        ; implicit-def: $vgpr118_vgpr119
.LBB56_69:
	ds_load_b64 v[118:119], v1
.LBB56_70:
	s_and_saveexec_b32 s31, s0
	s_cbranch_execz .LBB56_74
; %bb.71:
	v_subrev_nc_u32_e32 v120, 50, v0
	s_movk_i32 s33, 0x360
	s_mov_b32 s0, 0
.LBB56_72:                              ; =>This Inner Loop Header: Depth=1
	scratch_load_b64 v[122:123], off, s30
	v_dual_mov_b32 v121, s33 :: v_dual_add_nc_u32 v120, -1, v120
	s_add_co_i32 s33, s33, 8
	s_wait_xcnt 0x0
	s_add_co_i32 s30, s30, 8
	ds_load_b64 v[124:125], v121
	v_cmp_eq_u32_e32 vcc_lo, 0, v120
	s_or_b32 s0, vcc_lo, s0
	s_wait_loadcnt_dscnt 0x0
	v_pk_mul_f32 v[126:127], v[124:125], v[122:123] op_sel:[1,1] op_sel_hi:[0,1]
	s_delay_alu instid0(VALU_DEP_1) | instskip(SKIP_1) | instid1(VALU_DEP_2)
	v_pk_fma_f32 v[128:129], v[124:125], v[122:123], v[126:127] op_sel_hi:[1,0,1]
	v_pk_fma_f32 v[122:123], v[124:125], v[122:123], v[126:127] neg_lo:[0,0,1] neg_hi:[0,0,1]
	v_mov_b32_e32 v123, v129
	s_delay_alu instid0(VALU_DEP_1)
	v_pk_add_f32 v[118:119], v[118:119], v[122:123]
	s_and_not1_b32 exec_lo, exec_lo, s0
	s_cbranch_execnz .LBB56_72
; %bb.73:
	s_or_b32 exec_lo, exec_lo, s0
.LBB56_74:
	s_delay_alu instid0(SALU_CYCLE_1) | instskip(SKIP_4) | instid1(VALU_DEP_1)
	s_or_b32 exec_lo, exec_lo, s31
	v_mov_b32_e32 v120, 0
	ds_load_b64 v[120:121], v120 offset:392
	s_wait_dscnt 0x0
	v_pk_mul_f32 v[122:123], v[118:119], v[120:121] op_sel:[1,1] op_sel_hi:[0,1]
	v_pk_fma_f32 v[124:125], v[118:119], v[120:121], v[122:123] op_sel_hi:[1,0,1]
	v_pk_fma_f32 v[118:119], v[118:119], v[120:121], v[122:123] neg_lo:[0,0,1] neg_hi:[0,0,1]
	s_delay_alu instid0(VALU_DEP_2)
	v_mov_b32_e32 v119, v125
	scratch_store_b64 off, v[118:119], off offset:392
.LBB56_75:
	s_wait_xcnt 0x0
	s_or_b32 exec_lo, exec_lo, s2
	scratch_load_b64 v[118:119], off, off offset:384
	v_cmp_lt_u32_e64 s0, 48, v0
	s_wait_loadcnt 0x0
	ds_store_b64 v1, v[118:119]
	s_wait_storecnt_dscnt 0x0
	s_barrier_signal -1
	s_barrier_wait -1
	s_wait_xcnt 0x0
	s_and_saveexec_b32 s2, s0
	s_cbranch_execz .LBB56_85
; %bb.76:
	s_and_not1_b32 vcc_lo, exec_lo, s3
	s_cbranch_vccnz .LBB56_78
; %bb.77:
	scratch_load_b64 v[118:119], v49, off
	ds_load_b64 v[120:121], v1
	s_wait_loadcnt_dscnt 0x0
	v_pk_mul_f32 v[122:123], v[120:121], v[118:119] op_sel:[1,1] op_sel_hi:[0,1]
	s_delay_alu instid0(VALU_DEP_1) | instskip(SKIP_1) | instid1(VALU_DEP_2)
	v_pk_fma_f32 v[124:125], v[120:121], v[118:119], v[122:123] op_sel_hi:[1,0,1]
	v_pk_fma_f32 v[118:119], v[120:121], v[118:119], v[122:123] neg_lo:[0,0,1] neg_hi:[0,0,1]
	v_mov_b32_e32 v119, v125
	s_cbranch_execz .LBB56_79
	s_branch .LBB56_80
.LBB56_78:
                                        ; implicit-def: $vgpr118_vgpr119
.LBB56_79:
	ds_load_b64 v[118:119], v1
.LBB56_80:
	s_and_saveexec_b32 s30, s1
	s_cbranch_execz .LBB56_84
; %bb.81:
	v_subrev_nc_u32_e32 v120, 49, v0
	s_movk_i32 s1, 0x188
	s_movk_i32 s33, 0x358
	s_mov_b32 s31, 0
.LBB56_82:                              ; =>This Inner Loop Header: Depth=1
	scratch_load_b64 v[122:123], off, s1
	v_dual_mov_b32 v121, s33 :: v_dual_add_nc_u32 v120, -1, v120
	s_add_co_i32 s33, s33, 8
	s_wait_xcnt 0x0
	s_add_co_i32 s1, s1, 8
	ds_load_b64 v[124:125], v121
	v_cmp_eq_u32_e32 vcc_lo, 0, v120
	s_or_b32 s31, vcc_lo, s31
	s_wait_loadcnt_dscnt 0x0
	v_pk_mul_f32 v[126:127], v[124:125], v[122:123] op_sel:[1,1] op_sel_hi:[0,1]
	s_delay_alu instid0(VALU_DEP_1) | instskip(SKIP_1) | instid1(VALU_DEP_2)
	v_pk_fma_f32 v[128:129], v[124:125], v[122:123], v[126:127] op_sel_hi:[1,0,1]
	v_pk_fma_f32 v[122:123], v[124:125], v[122:123], v[126:127] neg_lo:[0,0,1] neg_hi:[0,0,1]
	v_mov_b32_e32 v123, v129
	s_delay_alu instid0(VALU_DEP_1)
	v_pk_add_f32 v[118:119], v[118:119], v[122:123]
	s_and_not1_b32 exec_lo, exec_lo, s31
	s_cbranch_execnz .LBB56_82
; %bb.83:
	s_or_b32 exec_lo, exec_lo, s31
.LBB56_84:
	s_delay_alu instid0(SALU_CYCLE_1) | instskip(SKIP_4) | instid1(VALU_DEP_1)
	s_or_b32 exec_lo, exec_lo, s30
	v_mov_b32_e32 v120, 0
	ds_load_b64 v[120:121], v120 offset:384
	s_wait_dscnt 0x0
	v_pk_mul_f32 v[122:123], v[118:119], v[120:121] op_sel:[1,1] op_sel_hi:[0,1]
	v_pk_fma_f32 v[124:125], v[118:119], v[120:121], v[122:123] op_sel_hi:[1,0,1]
	v_pk_fma_f32 v[118:119], v[118:119], v[120:121], v[122:123] neg_lo:[0,0,1] neg_hi:[0,0,1]
	s_delay_alu instid0(VALU_DEP_2)
	v_mov_b32_e32 v119, v125
	scratch_store_b64 off, v[118:119], off offset:384
.LBB56_85:
	s_wait_xcnt 0x0
	s_or_b32 exec_lo, exec_lo, s2
	scratch_load_b64 v[118:119], off, off offset:376
	v_cmp_lt_u32_e64 s1, 47, v0
	s_wait_loadcnt 0x0
	ds_store_b64 v1, v[118:119]
	s_wait_storecnt_dscnt 0x0
	s_barrier_signal -1
	s_barrier_wait -1
	s_wait_xcnt 0x0
	s_and_saveexec_b32 s2, s1
	s_cbranch_execz .LBB56_95
; %bb.86:
	s_and_not1_b32 vcc_lo, exec_lo, s3
	s_cbranch_vccnz .LBB56_88
; %bb.87:
	scratch_load_b64 v[118:119], v49, off
	ds_load_b64 v[120:121], v1
	s_wait_loadcnt_dscnt 0x0
	v_pk_mul_f32 v[122:123], v[120:121], v[118:119] op_sel:[1,1] op_sel_hi:[0,1]
	s_delay_alu instid0(VALU_DEP_1) | instskip(SKIP_1) | instid1(VALU_DEP_2)
	v_pk_fma_f32 v[124:125], v[120:121], v[118:119], v[122:123] op_sel_hi:[1,0,1]
	v_pk_fma_f32 v[118:119], v[120:121], v[118:119], v[122:123] neg_lo:[0,0,1] neg_hi:[0,0,1]
	v_mov_b32_e32 v119, v125
	s_cbranch_execz .LBB56_89
	s_branch .LBB56_90
.LBB56_88:
                                        ; implicit-def: $vgpr118_vgpr119
.LBB56_89:
	ds_load_b64 v[118:119], v1
.LBB56_90:
	s_and_saveexec_b32 s30, s0
	s_cbranch_execz .LBB56_94
; %bb.91:
	v_subrev_nc_u32_e32 v120, 48, v0
	s_movk_i32 s31, 0x350
	s_mov_b32 s0, 0
.LBB56_92:                              ; =>This Inner Loop Header: Depth=1
	scratch_load_b64 v[122:123], off, s29
	v_dual_mov_b32 v121, s31 :: v_dual_add_nc_u32 v120, -1, v120
	s_add_co_i32 s31, s31, 8
	s_wait_xcnt 0x0
	s_add_co_i32 s29, s29, 8
	ds_load_b64 v[124:125], v121
	v_cmp_eq_u32_e32 vcc_lo, 0, v120
	s_or_b32 s0, vcc_lo, s0
	s_wait_loadcnt_dscnt 0x0
	v_pk_mul_f32 v[126:127], v[124:125], v[122:123] op_sel:[1,1] op_sel_hi:[0,1]
	s_delay_alu instid0(VALU_DEP_1) | instskip(SKIP_1) | instid1(VALU_DEP_2)
	v_pk_fma_f32 v[128:129], v[124:125], v[122:123], v[126:127] op_sel_hi:[1,0,1]
	v_pk_fma_f32 v[122:123], v[124:125], v[122:123], v[126:127] neg_lo:[0,0,1] neg_hi:[0,0,1]
	v_mov_b32_e32 v123, v129
	s_delay_alu instid0(VALU_DEP_1)
	v_pk_add_f32 v[118:119], v[118:119], v[122:123]
	s_and_not1_b32 exec_lo, exec_lo, s0
	s_cbranch_execnz .LBB56_92
; %bb.93:
	s_or_b32 exec_lo, exec_lo, s0
.LBB56_94:
	s_delay_alu instid0(SALU_CYCLE_1) | instskip(SKIP_4) | instid1(VALU_DEP_1)
	s_or_b32 exec_lo, exec_lo, s30
	v_mov_b32_e32 v120, 0
	ds_load_b64 v[120:121], v120 offset:376
	s_wait_dscnt 0x0
	v_pk_mul_f32 v[122:123], v[118:119], v[120:121] op_sel:[1,1] op_sel_hi:[0,1]
	v_pk_fma_f32 v[124:125], v[118:119], v[120:121], v[122:123] op_sel_hi:[1,0,1]
	v_pk_fma_f32 v[118:119], v[118:119], v[120:121], v[122:123] neg_lo:[0,0,1] neg_hi:[0,0,1]
	s_delay_alu instid0(VALU_DEP_2)
	v_mov_b32_e32 v119, v125
	scratch_store_b64 off, v[118:119], off offset:376
.LBB56_95:
	s_wait_xcnt 0x0
	s_or_b32 exec_lo, exec_lo, s2
	scratch_load_b64 v[118:119], off, off offset:368
	v_cmp_lt_u32_e64 s0, 46, v0
	s_wait_loadcnt 0x0
	ds_store_b64 v1, v[118:119]
	s_wait_storecnt_dscnt 0x0
	s_barrier_signal -1
	s_barrier_wait -1
	s_wait_xcnt 0x0
	s_and_saveexec_b32 s2, s0
	s_cbranch_execz .LBB56_105
; %bb.96:
	s_and_not1_b32 vcc_lo, exec_lo, s3
	s_cbranch_vccnz .LBB56_98
; %bb.97:
	scratch_load_b64 v[118:119], v49, off
	ds_load_b64 v[120:121], v1
	s_wait_loadcnt_dscnt 0x0
	v_pk_mul_f32 v[122:123], v[120:121], v[118:119] op_sel:[1,1] op_sel_hi:[0,1]
	s_delay_alu instid0(VALU_DEP_1) | instskip(SKIP_1) | instid1(VALU_DEP_2)
	v_pk_fma_f32 v[124:125], v[120:121], v[118:119], v[122:123] op_sel_hi:[1,0,1]
	v_pk_fma_f32 v[118:119], v[120:121], v[118:119], v[122:123] neg_lo:[0,0,1] neg_hi:[0,0,1]
	v_mov_b32_e32 v119, v125
	s_cbranch_execz .LBB56_99
	s_branch .LBB56_100
.LBB56_98:
                                        ; implicit-def: $vgpr118_vgpr119
.LBB56_99:
	ds_load_b64 v[118:119], v1
.LBB56_100:
	s_and_saveexec_b32 s29, s1
	s_cbranch_execz .LBB56_104
; %bb.101:
	v_subrev_nc_u32_e32 v120, 47, v0
	s_movk_i32 s1, 0x178
	s_movk_i32 s31, 0x348
	s_mov_b32 s30, 0
.LBB56_102:                             ; =>This Inner Loop Header: Depth=1
	scratch_load_b64 v[122:123], off, s1
	v_dual_mov_b32 v121, s31 :: v_dual_add_nc_u32 v120, -1, v120
	s_add_co_i32 s31, s31, 8
	s_wait_xcnt 0x0
	s_add_co_i32 s1, s1, 8
	ds_load_b64 v[124:125], v121
	v_cmp_eq_u32_e32 vcc_lo, 0, v120
	s_or_b32 s30, vcc_lo, s30
	s_wait_loadcnt_dscnt 0x0
	v_pk_mul_f32 v[126:127], v[124:125], v[122:123] op_sel:[1,1] op_sel_hi:[0,1]
	s_delay_alu instid0(VALU_DEP_1) | instskip(SKIP_1) | instid1(VALU_DEP_2)
	v_pk_fma_f32 v[128:129], v[124:125], v[122:123], v[126:127] op_sel_hi:[1,0,1]
	v_pk_fma_f32 v[122:123], v[124:125], v[122:123], v[126:127] neg_lo:[0,0,1] neg_hi:[0,0,1]
	v_mov_b32_e32 v123, v129
	s_delay_alu instid0(VALU_DEP_1)
	v_pk_add_f32 v[118:119], v[118:119], v[122:123]
	s_and_not1_b32 exec_lo, exec_lo, s30
	s_cbranch_execnz .LBB56_102
; %bb.103:
	s_or_b32 exec_lo, exec_lo, s30
.LBB56_104:
	s_delay_alu instid0(SALU_CYCLE_1) | instskip(SKIP_4) | instid1(VALU_DEP_1)
	s_or_b32 exec_lo, exec_lo, s29
	v_mov_b32_e32 v120, 0
	ds_load_b64 v[120:121], v120 offset:368
	s_wait_dscnt 0x0
	v_pk_mul_f32 v[122:123], v[118:119], v[120:121] op_sel:[1,1] op_sel_hi:[0,1]
	v_pk_fma_f32 v[124:125], v[118:119], v[120:121], v[122:123] op_sel_hi:[1,0,1]
	v_pk_fma_f32 v[118:119], v[118:119], v[120:121], v[122:123] neg_lo:[0,0,1] neg_hi:[0,0,1]
	s_delay_alu instid0(VALU_DEP_2)
	v_mov_b32_e32 v119, v125
	scratch_store_b64 off, v[118:119], off offset:368
.LBB56_105:
	s_wait_xcnt 0x0
	s_or_b32 exec_lo, exec_lo, s2
	scratch_load_b64 v[118:119], off, off offset:360
	v_cmp_lt_u32_e64 s1, 45, v0
	s_wait_loadcnt 0x0
	ds_store_b64 v1, v[118:119]
	s_wait_storecnt_dscnt 0x0
	s_barrier_signal -1
	s_barrier_wait -1
	s_wait_xcnt 0x0
	s_and_saveexec_b32 s2, s1
	s_cbranch_execz .LBB56_115
; %bb.106:
	s_and_not1_b32 vcc_lo, exec_lo, s3
	s_cbranch_vccnz .LBB56_108
; %bb.107:
	scratch_load_b64 v[118:119], v49, off
	ds_load_b64 v[120:121], v1
	s_wait_loadcnt_dscnt 0x0
	v_pk_mul_f32 v[122:123], v[120:121], v[118:119] op_sel:[1,1] op_sel_hi:[0,1]
	s_delay_alu instid0(VALU_DEP_1) | instskip(SKIP_1) | instid1(VALU_DEP_2)
	v_pk_fma_f32 v[124:125], v[120:121], v[118:119], v[122:123] op_sel_hi:[1,0,1]
	v_pk_fma_f32 v[118:119], v[120:121], v[118:119], v[122:123] neg_lo:[0,0,1] neg_hi:[0,0,1]
	v_mov_b32_e32 v119, v125
	s_cbranch_execz .LBB56_109
	s_branch .LBB56_110
.LBB56_108:
                                        ; implicit-def: $vgpr118_vgpr119
.LBB56_109:
	ds_load_b64 v[118:119], v1
.LBB56_110:
	s_and_saveexec_b32 s29, s0
	s_cbranch_execz .LBB56_114
; %bb.111:
	v_subrev_nc_u32_e32 v120, 46, v0
	s_movk_i32 s30, 0x340
	s_mov_b32 s0, 0
.LBB56_112:                             ; =>This Inner Loop Header: Depth=1
	scratch_load_b64 v[122:123], off, s28
	v_dual_mov_b32 v121, s30 :: v_dual_add_nc_u32 v120, -1, v120
	s_add_co_i32 s30, s30, 8
	s_wait_xcnt 0x0
	s_add_co_i32 s28, s28, 8
	ds_load_b64 v[124:125], v121
	v_cmp_eq_u32_e32 vcc_lo, 0, v120
	s_or_b32 s0, vcc_lo, s0
	s_wait_loadcnt_dscnt 0x0
	v_pk_mul_f32 v[126:127], v[124:125], v[122:123] op_sel:[1,1] op_sel_hi:[0,1]
	s_delay_alu instid0(VALU_DEP_1) | instskip(SKIP_1) | instid1(VALU_DEP_2)
	v_pk_fma_f32 v[128:129], v[124:125], v[122:123], v[126:127] op_sel_hi:[1,0,1]
	v_pk_fma_f32 v[122:123], v[124:125], v[122:123], v[126:127] neg_lo:[0,0,1] neg_hi:[0,0,1]
	v_mov_b32_e32 v123, v129
	s_delay_alu instid0(VALU_DEP_1)
	v_pk_add_f32 v[118:119], v[118:119], v[122:123]
	s_and_not1_b32 exec_lo, exec_lo, s0
	s_cbranch_execnz .LBB56_112
; %bb.113:
	s_or_b32 exec_lo, exec_lo, s0
.LBB56_114:
	s_delay_alu instid0(SALU_CYCLE_1) | instskip(SKIP_4) | instid1(VALU_DEP_1)
	s_or_b32 exec_lo, exec_lo, s29
	v_mov_b32_e32 v120, 0
	ds_load_b64 v[120:121], v120 offset:360
	s_wait_dscnt 0x0
	v_pk_mul_f32 v[122:123], v[118:119], v[120:121] op_sel:[1,1] op_sel_hi:[0,1]
	v_pk_fma_f32 v[124:125], v[118:119], v[120:121], v[122:123] op_sel_hi:[1,0,1]
	v_pk_fma_f32 v[118:119], v[118:119], v[120:121], v[122:123] neg_lo:[0,0,1] neg_hi:[0,0,1]
	s_delay_alu instid0(VALU_DEP_2)
	v_mov_b32_e32 v119, v125
	scratch_store_b64 off, v[118:119], off offset:360
.LBB56_115:
	s_wait_xcnt 0x0
	s_or_b32 exec_lo, exec_lo, s2
	scratch_load_b64 v[118:119], off, off offset:352
	v_cmp_lt_u32_e64 s0, 44, v0
	s_wait_loadcnt 0x0
	ds_store_b64 v1, v[118:119]
	s_wait_storecnt_dscnt 0x0
	s_barrier_signal -1
	s_barrier_wait -1
	s_wait_xcnt 0x0
	s_and_saveexec_b32 s2, s0
	s_cbranch_execz .LBB56_125
; %bb.116:
	s_and_not1_b32 vcc_lo, exec_lo, s3
	s_cbranch_vccnz .LBB56_118
; %bb.117:
	scratch_load_b64 v[118:119], v49, off
	ds_load_b64 v[120:121], v1
	s_wait_loadcnt_dscnt 0x0
	v_pk_mul_f32 v[122:123], v[120:121], v[118:119] op_sel:[1,1] op_sel_hi:[0,1]
	s_delay_alu instid0(VALU_DEP_1) | instskip(SKIP_1) | instid1(VALU_DEP_2)
	v_pk_fma_f32 v[124:125], v[120:121], v[118:119], v[122:123] op_sel_hi:[1,0,1]
	v_pk_fma_f32 v[118:119], v[120:121], v[118:119], v[122:123] neg_lo:[0,0,1] neg_hi:[0,0,1]
	v_mov_b32_e32 v119, v125
	s_cbranch_execz .LBB56_119
	s_branch .LBB56_120
.LBB56_118:
                                        ; implicit-def: $vgpr118_vgpr119
.LBB56_119:
	ds_load_b64 v[118:119], v1
.LBB56_120:
	s_and_saveexec_b32 s28, s1
	s_cbranch_execz .LBB56_124
; %bb.121:
	v_subrev_nc_u32_e32 v120, 45, v0
	s_movk_i32 s1, 0x168
	s_movk_i32 s30, 0x338
	s_mov_b32 s29, 0
.LBB56_122:                             ; =>This Inner Loop Header: Depth=1
	scratch_load_b64 v[122:123], off, s1
	v_dual_mov_b32 v121, s30 :: v_dual_add_nc_u32 v120, -1, v120
	s_add_co_i32 s30, s30, 8
	s_wait_xcnt 0x0
	s_add_co_i32 s1, s1, 8
	ds_load_b64 v[124:125], v121
	v_cmp_eq_u32_e32 vcc_lo, 0, v120
	s_or_b32 s29, vcc_lo, s29
	s_wait_loadcnt_dscnt 0x0
	v_pk_mul_f32 v[126:127], v[124:125], v[122:123] op_sel:[1,1] op_sel_hi:[0,1]
	s_delay_alu instid0(VALU_DEP_1) | instskip(SKIP_1) | instid1(VALU_DEP_2)
	v_pk_fma_f32 v[128:129], v[124:125], v[122:123], v[126:127] op_sel_hi:[1,0,1]
	v_pk_fma_f32 v[122:123], v[124:125], v[122:123], v[126:127] neg_lo:[0,0,1] neg_hi:[0,0,1]
	v_mov_b32_e32 v123, v129
	s_delay_alu instid0(VALU_DEP_1)
	v_pk_add_f32 v[118:119], v[118:119], v[122:123]
	s_and_not1_b32 exec_lo, exec_lo, s29
	s_cbranch_execnz .LBB56_122
; %bb.123:
	s_or_b32 exec_lo, exec_lo, s29
.LBB56_124:
	s_delay_alu instid0(SALU_CYCLE_1) | instskip(SKIP_4) | instid1(VALU_DEP_1)
	s_or_b32 exec_lo, exec_lo, s28
	v_mov_b32_e32 v120, 0
	ds_load_b64 v[120:121], v120 offset:352
	s_wait_dscnt 0x0
	v_pk_mul_f32 v[122:123], v[118:119], v[120:121] op_sel:[1,1] op_sel_hi:[0,1]
	v_pk_fma_f32 v[124:125], v[118:119], v[120:121], v[122:123] op_sel_hi:[1,0,1]
	v_pk_fma_f32 v[118:119], v[118:119], v[120:121], v[122:123] neg_lo:[0,0,1] neg_hi:[0,0,1]
	s_delay_alu instid0(VALU_DEP_2)
	v_mov_b32_e32 v119, v125
	scratch_store_b64 off, v[118:119], off offset:352
.LBB56_125:
	s_wait_xcnt 0x0
	s_or_b32 exec_lo, exec_lo, s2
	scratch_load_b64 v[118:119], off, off offset:344
	v_cmp_lt_u32_e64 s1, 43, v0
	s_wait_loadcnt 0x0
	ds_store_b64 v1, v[118:119]
	s_wait_storecnt_dscnt 0x0
	s_barrier_signal -1
	s_barrier_wait -1
	s_wait_xcnt 0x0
	s_and_saveexec_b32 s2, s1
	s_cbranch_execz .LBB56_135
; %bb.126:
	s_and_not1_b32 vcc_lo, exec_lo, s3
	s_cbranch_vccnz .LBB56_128
; %bb.127:
	scratch_load_b64 v[118:119], v49, off
	ds_load_b64 v[120:121], v1
	s_wait_loadcnt_dscnt 0x0
	v_pk_mul_f32 v[122:123], v[120:121], v[118:119] op_sel:[1,1] op_sel_hi:[0,1]
	s_delay_alu instid0(VALU_DEP_1) | instskip(SKIP_1) | instid1(VALU_DEP_2)
	v_pk_fma_f32 v[124:125], v[120:121], v[118:119], v[122:123] op_sel_hi:[1,0,1]
	v_pk_fma_f32 v[118:119], v[120:121], v[118:119], v[122:123] neg_lo:[0,0,1] neg_hi:[0,0,1]
	v_mov_b32_e32 v119, v125
	s_cbranch_execz .LBB56_129
	s_branch .LBB56_130
.LBB56_128:
                                        ; implicit-def: $vgpr118_vgpr119
.LBB56_129:
	ds_load_b64 v[118:119], v1
.LBB56_130:
	s_and_saveexec_b32 s28, s0
	s_cbranch_execz .LBB56_134
; %bb.131:
	v_subrev_nc_u32_e32 v120, 44, v0
	s_movk_i32 s29, 0x330
	s_mov_b32 s0, 0
.LBB56_132:                             ; =>This Inner Loop Header: Depth=1
	scratch_load_b64 v[122:123], off, s27
	v_dual_mov_b32 v121, s29 :: v_dual_add_nc_u32 v120, -1, v120
	s_add_co_i32 s29, s29, 8
	s_wait_xcnt 0x0
	s_add_co_i32 s27, s27, 8
	ds_load_b64 v[124:125], v121
	v_cmp_eq_u32_e32 vcc_lo, 0, v120
	s_or_b32 s0, vcc_lo, s0
	s_wait_loadcnt_dscnt 0x0
	v_pk_mul_f32 v[126:127], v[124:125], v[122:123] op_sel:[1,1] op_sel_hi:[0,1]
	s_delay_alu instid0(VALU_DEP_1) | instskip(SKIP_1) | instid1(VALU_DEP_2)
	v_pk_fma_f32 v[128:129], v[124:125], v[122:123], v[126:127] op_sel_hi:[1,0,1]
	v_pk_fma_f32 v[122:123], v[124:125], v[122:123], v[126:127] neg_lo:[0,0,1] neg_hi:[0,0,1]
	v_mov_b32_e32 v123, v129
	s_delay_alu instid0(VALU_DEP_1)
	v_pk_add_f32 v[118:119], v[118:119], v[122:123]
	s_and_not1_b32 exec_lo, exec_lo, s0
	s_cbranch_execnz .LBB56_132
; %bb.133:
	s_or_b32 exec_lo, exec_lo, s0
.LBB56_134:
	s_delay_alu instid0(SALU_CYCLE_1) | instskip(SKIP_4) | instid1(VALU_DEP_1)
	s_or_b32 exec_lo, exec_lo, s28
	v_mov_b32_e32 v120, 0
	ds_load_b64 v[120:121], v120 offset:344
	s_wait_dscnt 0x0
	v_pk_mul_f32 v[122:123], v[118:119], v[120:121] op_sel:[1,1] op_sel_hi:[0,1]
	v_pk_fma_f32 v[124:125], v[118:119], v[120:121], v[122:123] op_sel_hi:[1,0,1]
	v_pk_fma_f32 v[118:119], v[118:119], v[120:121], v[122:123] neg_lo:[0,0,1] neg_hi:[0,0,1]
	s_delay_alu instid0(VALU_DEP_2)
	v_mov_b32_e32 v119, v125
	scratch_store_b64 off, v[118:119], off offset:344
.LBB56_135:
	s_wait_xcnt 0x0
	s_or_b32 exec_lo, exec_lo, s2
	scratch_load_b64 v[118:119], off, off offset:336
	v_cmp_lt_u32_e64 s0, 42, v0
	s_wait_loadcnt 0x0
	ds_store_b64 v1, v[118:119]
	s_wait_storecnt_dscnt 0x0
	s_barrier_signal -1
	s_barrier_wait -1
	s_wait_xcnt 0x0
	s_and_saveexec_b32 s2, s0
	s_cbranch_execz .LBB56_145
; %bb.136:
	s_and_not1_b32 vcc_lo, exec_lo, s3
	s_cbranch_vccnz .LBB56_138
; %bb.137:
	scratch_load_b64 v[118:119], v49, off
	ds_load_b64 v[120:121], v1
	s_wait_loadcnt_dscnt 0x0
	v_pk_mul_f32 v[122:123], v[120:121], v[118:119] op_sel:[1,1] op_sel_hi:[0,1]
	s_delay_alu instid0(VALU_DEP_1) | instskip(SKIP_1) | instid1(VALU_DEP_2)
	v_pk_fma_f32 v[124:125], v[120:121], v[118:119], v[122:123] op_sel_hi:[1,0,1]
	v_pk_fma_f32 v[118:119], v[120:121], v[118:119], v[122:123] neg_lo:[0,0,1] neg_hi:[0,0,1]
	v_mov_b32_e32 v119, v125
	s_cbranch_execz .LBB56_139
	s_branch .LBB56_140
.LBB56_138:
                                        ; implicit-def: $vgpr118_vgpr119
.LBB56_139:
	ds_load_b64 v[118:119], v1
.LBB56_140:
	s_and_saveexec_b32 s27, s1
	s_cbranch_execz .LBB56_144
; %bb.141:
	v_subrev_nc_u32_e32 v120, 43, v0
	s_movk_i32 s1, 0x158
	s_movk_i32 s29, 0x328
	s_mov_b32 s28, 0
.LBB56_142:                             ; =>This Inner Loop Header: Depth=1
	scratch_load_b64 v[122:123], off, s1
	v_dual_mov_b32 v121, s29 :: v_dual_add_nc_u32 v120, -1, v120
	s_add_co_i32 s29, s29, 8
	s_wait_xcnt 0x0
	s_add_co_i32 s1, s1, 8
	ds_load_b64 v[124:125], v121
	v_cmp_eq_u32_e32 vcc_lo, 0, v120
	s_or_b32 s28, vcc_lo, s28
	s_wait_loadcnt_dscnt 0x0
	v_pk_mul_f32 v[126:127], v[124:125], v[122:123] op_sel:[1,1] op_sel_hi:[0,1]
	s_delay_alu instid0(VALU_DEP_1) | instskip(SKIP_1) | instid1(VALU_DEP_2)
	v_pk_fma_f32 v[128:129], v[124:125], v[122:123], v[126:127] op_sel_hi:[1,0,1]
	v_pk_fma_f32 v[122:123], v[124:125], v[122:123], v[126:127] neg_lo:[0,0,1] neg_hi:[0,0,1]
	v_mov_b32_e32 v123, v129
	s_delay_alu instid0(VALU_DEP_1)
	v_pk_add_f32 v[118:119], v[118:119], v[122:123]
	s_and_not1_b32 exec_lo, exec_lo, s28
	s_cbranch_execnz .LBB56_142
; %bb.143:
	s_or_b32 exec_lo, exec_lo, s28
.LBB56_144:
	s_delay_alu instid0(SALU_CYCLE_1) | instskip(SKIP_4) | instid1(VALU_DEP_1)
	s_or_b32 exec_lo, exec_lo, s27
	v_mov_b32_e32 v120, 0
	ds_load_b64 v[120:121], v120 offset:336
	s_wait_dscnt 0x0
	v_pk_mul_f32 v[122:123], v[118:119], v[120:121] op_sel:[1,1] op_sel_hi:[0,1]
	v_pk_fma_f32 v[124:125], v[118:119], v[120:121], v[122:123] op_sel_hi:[1,0,1]
	v_pk_fma_f32 v[118:119], v[118:119], v[120:121], v[122:123] neg_lo:[0,0,1] neg_hi:[0,0,1]
	s_delay_alu instid0(VALU_DEP_2)
	v_mov_b32_e32 v119, v125
	scratch_store_b64 off, v[118:119], off offset:336
.LBB56_145:
	s_wait_xcnt 0x0
	s_or_b32 exec_lo, exec_lo, s2
	scratch_load_b64 v[118:119], off, off offset:328
	v_cmp_lt_u32_e64 s1, 41, v0
	s_wait_loadcnt 0x0
	ds_store_b64 v1, v[118:119]
	s_wait_storecnt_dscnt 0x0
	s_barrier_signal -1
	s_barrier_wait -1
	s_wait_xcnt 0x0
	s_and_saveexec_b32 s2, s1
	s_cbranch_execz .LBB56_155
; %bb.146:
	s_and_not1_b32 vcc_lo, exec_lo, s3
	s_cbranch_vccnz .LBB56_148
; %bb.147:
	scratch_load_b64 v[118:119], v49, off
	ds_load_b64 v[120:121], v1
	s_wait_loadcnt_dscnt 0x0
	v_pk_mul_f32 v[122:123], v[120:121], v[118:119] op_sel:[1,1] op_sel_hi:[0,1]
	s_delay_alu instid0(VALU_DEP_1) | instskip(SKIP_1) | instid1(VALU_DEP_2)
	v_pk_fma_f32 v[124:125], v[120:121], v[118:119], v[122:123] op_sel_hi:[1,0,1]
	v_pk_fma_f32 v[118:119], v[120:121], v[118:119], v[122:123] neg_lo:[0,0,1] neg_hi:[0,0,1]
	v_mov_b32_e32 v119, v125
	s_cbranch_execz .LBB56_149
	s_branch .LBB56_150
.LBB56_148:
                                        ; implicit-def: $vgpr118_vgpr119
.LBB56_149:
	ds_load_b64 v[118:119], v1
.LBB56_150:
	s_and_saveexec_b32 s27, s0
	s_cbranch_execz .LBB56_154
; %bb.151:
	v_subrev_nc_u32_e32 v120, 42, v0
	s_movk_i32 s28, 0x320
	s_mov_b32 s0, 0
.LBB56_152:                             ; =>This Inner Loop Header: Depth=1
	scratch_load_b64 v[122:123], off, s26
	v_dual_mov_b32 v121, s28 :: v_dual_add_nc_u32 v120, -1, v120
	s_add_co_i32 s28, s28, 8
	s_wait_xcnt 0x0
	s_add_co_i32 s26, s26, 8
	ds_load_b64 v[124:125], v121
	v_cmp_eq_u32_e32 vcc_lo, 0, v120
	s_or_b32 s0, vcc_lo, s0
	s_wait_loadcnt_dscnt 0x0
	v_pk_mul_f32 v[126:127], v[124:125], v[122:123] op_sel:[1,1] op_sel_hi:[0,1]
	s_delay_alu instid0(VALU_DEP_1) | instskip(SKIP_1) | instid1(VALU_DEP_2)
	v_pk_fma_f32 v[128:129], v[124:125], v[122:123], v[126:127] op_sel_hi:[1,0,1]
	v_pk_fma_f32 v[122:123], v[124:125], v[122:123], v[126:127] neg_lo:[0,0,1] neg_hi:[0,0,1]
	v_mov_b32_e32 v123, v129
	s_delay_alu instid0(VALU_DEP_1)
	v_pk_add_f32 v[118:119], v[118:119], v[122:123]
	s_and_not1_b32 exec_lo, exec_lo, s0
	s_cbranch_execnz .LBB56_152
; %bb.153:
	s_or_b32 exec_lo, exec_lo, s0
.LBB56_154:
	s_delay_alu instid0(SALU_CYCLE_1) | instskip(SKIP_4) | instid1(VALU_DEP_1)
	s_or_b32 exec_lo, exec_lo, s27
	v_mov_b32_e32 v120, 0
	ds_load_b64 v[120:121], v120 offset:328
	s_wait_dscnt 0x0
	v_pk_mul_f32 v[122:123], v[118:119], v[120:121] op_sel:[1,1] op_sel_hi:[0,1]
	v_pk_fma_f32 v[124:125], v[118:119], v[120:121], v[122:123] op_sel_hi:[1,0,1]
	v_pk_fma_f32 v[118:119], v[118:119], v[120:121], v[122:123] neg_lo:[0,0,1] neg_hi:[0,0,1]
	s_delay_alu instid0(VALU_DEP_2)
	v_mov_b32_e32 v119, v125
	scratch_store_b64 off, v[118:119], off offset:328
.LBB56_155:
	s_wait_xcnt 0x0
	s_or_b32 exec_lo, exec_lo, s2
	scratch_load_b64 v[118:119], off, off offset:320
	v_cmp_lt_u32_e64 s0, 40, v0
	s_wait_loadcnt 0x0
	ds_store_b64 v1, v[118:119]
	s_wait_storecnt_dscnt 0x0
	s_barrier_signal -1
	s_barrier_wait -1
	s_wait_xcnt 0x0
	s_and_saveexec_b32 s2, s0
	s_cbranch_execz .LBB56_165
; %bb.156:
	s_and_not1_b32 vcc_lo, exec_lo, s3
	s_cbranch_vccnz .LBB56_158
; %bb.157:
	scratch_load_b64 v[118:119], v49, off
	ds_load_b64 v[120:121], v1
	s_wait_loadcnt_dscnt 0x0
	v_pk_mul_f32 v[122:123], v[120:121], v[118:119] op_sel:[1,1] op_sel_hi:[0,1]
	s_delay_alu instid0(VALU_DEP_1) | instskip(SKIP_1) | instid1(VALU_DEP_2)
	v_pk_fma_f32 v[124:125], v[120:121], v[118:119], v[122:123] op_sel_hi:[1,0,1]
	v_pk_fma_f32 v[118:119], v[120:121], v[118:119], v[122:123] neg_lo:[0,0,1] neg_hi:[0,0,1]
	v_mov_b32_e32 v119, v125
	s_cbranch_execz .LBB56_159
	s_branch .LBB56_160
.LBB56_158:
                                        ; implicit-def: $vgpr118_vgpr119
.LBB56_159:
	ds_load_b64 v[118:119], v1
.LBB56_160:
	s_and_saveexec_b32 s26, s1
	s_cbranch_execz .LBB56_164
; %bb.161:
	v_subrev_nc_u32_e32 v120, 41, v0
	s_movk_i32 s1, 0x148
	s_movk_i32 s28, 0x318
	s_mov_b32 s27, 0
.LBB56_162:                             ; =>This Inner Loop Header: Depth=1
	scratch_load_b64 v[122:123], off, s1
	v_dual_mov_b32 v121, s28 :: v_dual_add_nc_u32 v120, -1, v120
	s_add_co_i32 s28, s28, 8
	s_wait_xcnt 0x0
	s_add_co_i32 s1, s1, 8
	ds_load_b64 v[124:125], v121
	v_cmp_eq_u32_e32 vcc_lo, 0, v120
	s_or_b32 s27, vcc_lo, s27
	s_wait_loadcnt_dscnt 0x0
	v_pk_mul_f32 v[126:127], v[124:125], v[122:123] op_sel:[1,1] op_sel_hi:[0,1]
	s_delay_alu instid0(VALU_DEP_1) | instskip(SKIP_1) | instid1(VALU_DEP_2)
	v_pk_fma_f32 v[128:129], v[124:125], v[122:123], v[126:127] op_sel_hi:[1,0,1]
	v_pk_fma_f32 v[122:123], v[124:125], v[122:123], v[126:127] neg_lo:[0,0,1] neg_hi:[0,0,1]
	v_mov_b32_e32 v123, v129
	s_delay_alu instid0(VALU_DEP_1)
	v_pk_add_f32 v[118:119], v[118:119], v[122:123]
	s_and_not1_b32 exec_lo, exec_lo, s27
	s_cbranch_execnz .LBB56_162
; %bb.163:
	s_or_b32 exec_lo, exec_lo, s27
.LBB56_164:
	s_delay_alu instid0(SALU_CYCLE_1) | instskip(SKIP_4) | instid1(VALU_DEP_1)
	s_or_b32 exec_lo, exec_lo, s26
	v_mov_b32_e32 v120, 0
	ds_load_b64 v[120:121], v120 offset:320
	s_wait_dscnt 0x0
	v_pk_mul_f32 v[122:123], v[118:119], v[120:121] op_sel:[1,1] op_sel_hi:[0,1]
	v_pk_fma_f32 v[124:125], v[118:119], v[120:121], v[122:123] op_sel_hi:[1,0,1]
	v_pk_fma_f32 v[118:119], v[118:119], v[120:121], v[122:123] neg_lo:[0,0,1] neg_hi:[0,0,1]
	s_delay_alu instid0(VALU_DEP_2)
	v_mov_b32_e32 v119, v125
	scratch_store_b64 off, v[118:119], off offset:320
.LBB56_165:
	s_wait_xcnt 0x0
	s_or_b32 exec_lo, exec_lo, s2
	scratch_load_b64 v[118:119], off, off offset:312
	v_cmp_lt_u32_e64 s1, 39, v0
	s_wait_loadcnt 0x0
	ds_store_b64 v1, v[118:119]
	s_wait_storecnt_dscnt 0x0
	s_barrier_signal -1
	s_barrier_wait -1
	s_wait_xcnt 0x0
	s_and_saveexec_b32 s2, s1
	s_cbranch_execz .LBB56_175
; %bb.166:
	s_and_not1_b32 vcc_lo, exec_lo, s3
	s_cbranch_vccnz .LBB56_168
; %bb.167:
	scratch_load_b64 v[118:119], v49, off
	ds_load_b64 v[120:121], v1
	s_wait_loadcnt_dscnt 0x0
	v_pk_mul_f32 v[122:123], v[120:121], v[118:119] op_sel:[1,1] op_sel_hi:[0,1]
	s_delay_alu instid0(VALU_DEP_1) | instskip(SKIP_1) | instid1(VALU_DEP_2)
	v_pk_fma_f32 v[124:125], v[120:121], v[118:119], v[122:123] op_sel_hi:[1,0,1]
	v_pk_fma_f32 v[118:119], v[120:121], v[118:119], v[122:123] neg_lo:[0,0,1] neg_hi:[0,0,1]
	v_mov_b32_e32 v119, v125
	s_cbranch_execz .LBB56_169
	s_branch .LBB56_170
.LBB56_168:
                                        ; implicit-def: $vgpr118_vgpr119
.LBB56_169:
	ds_load_b64 v[118:119], v1
.LBB56_170:
	s_and_saveexec_b32 s26, s0
	s_cbranch_execz .LBB56_174
; %bb.171:
	v_subrev_nc_u32_e32 v120, 40, v0
	s_movk_i32 s27, 0x310
	s_mov_b32 s0, 0
.LBB56_172:                             ; =>This Inner Loop Header: Depth=1
	scratch_load_b64 v[122:123], off, s25
	v_dual_mov_b32 v121, s27 :: v_dual_add_nc_u32 v120, -1, v120
	s_add_co_i32 s27, s27, 8
	s_wait_xcnt 0x0
	s_add_co_i32 s25, s25, 8
	ds_load_b64 v[124:125], v121
	v_cmp_eq_u32_e32 vcc_lo, 0, v120
	s_or_b32 s0, vcc_lo, s0
	s_wait_loadcnt_dscnt 0x0
	v_pk_mul_f32 v[126:127], v[124:125], v[122:123] op_sel:[1,1] op_sel_hi:[0,1]
	s_delay_alu instid0(VALU_DEP_1) | instskip(SKIP_1) | instid1(VALU_DEP_2)
	v_pk_fma_f32 v[128:129], v[124:125], v[122:123], v[126:127] op_sel_hi:[1,0,1]
	v_pk_fma_f32 v[122:123], v[124:125], v[122:123], v[126:127] neg_lo:[0,0,1] neg_hi:[0,0,1]
	v_mov_b32_e32 v123, v129
	s_delay_alu instid0(VALU_DEP_1)
	v_pk_add_f32 v[118:119], v[118:119], v[122:123]
	s_and_not1_b32 exec_lo, exec_lo, s0
	s_cbranch_execnz .LBB56_172
; %bb.173:
	s_or_b32 exec_lo, exec_lo, s0
.LBB56_174:
	s_delay_alu instid0(SALU_CYCLE_1) | instskip(SKIP_4) | instid1(VALU_DEP_1)
	s_or_b32 exec_lo, exec_lo, s26
	v_mov_b32_e32 v120, 0
	ds_load_b64 v[120:121], v120 offset:312
	s_wait_dscnt 0x0
	v_pk_mul_f32 v[122:123], v[118:119], v[120:121] op_sel:[1,1] op_sel_hi:[0,1]
	v_pk_fma_f32 v[124:125], v[118:119], v[120:121], v[122:123] op_sel_hi:[1,0,1]
	v_pk_fma_f32 v[118:119], v[118:119], v[120:121], v[122:123] neg_lo:[0,0,1] neg_hi:[0,0,1]
	s_delay_alu instid0(VALU_DEP_2)
	v_mov_b32_e32 v119, v125
	scratch_store_b64 off, v[118:119], off offset:312
.LBB56_175:
	s_wait_xcnt 0x0
	s_or_b32 exec_lo, exec_lo, s2
	scratch_load_b64 v[118:119], off, off offset:304
	v_cmp_lt_u32_e64 s0, 38, v0
	s_wait_loadcnt 0x0
	ds_store_b64 v1, v[118:119]
	s_wait_storecnt_dscnt 0x0
	s_barrier_signal -1
	s_barrier_wait -1
	s_wait_xcnt 0x0
	s_and_saveexec_b32 s2, s0
	s_cbranch_execz .LBB56_185
; %bb.176:
	s_and_not1_b32 vcc_lo, exec_lo, s3
	s_cbranch_vccnz .LBB56_178
; %bb.177:
	scratch_load_b64 v[118:119], v49, off
	ds_load_b64 v[120:121], v1
	s_wait_loadcnt_dscnt 0x0
	v_pk_mul_f32 v[122:123], v[120:121], v[118:119] op_sel:[1,1] op_sel_hi:[0,1]
	s_delay_alu instid0(VALU_DEP_1) | instskip(SKIP_1) | instid1(VALU_DEP_2)
	v_pk_fma_f32 v[124:125], v[120:121], v[118:119], v[122:123] op_sel_hi:[1,0,1]
	v_pk_fma_f32 v[118:119], v[120:121], v[118:119], v[122:123] neg_lo:[0,0,1] neg_hi:[0,0,1]
	v_mov_b32_e32 v119, v125
	s_cbranch_execz .LBB56_179
	s_branch .LBB56_180
.LBB56_178:
                                        ; implicit-def: $vgpr118_vgpr119
.LBB56_179:
	ds_load_b64 v[118:119], v1
.LBB56_180:
	s_and_saveexec_b32 s25, s1
	s_cbranch_execz .LBB56_184
; %bb.181:
	v_subrev_nc_u32_e32 v120, 39, v0
	s_movk_i32 s1, 0x138
	s_movk_i32 s27, 0x308
	s_mov_b32 s26, 0
.LBB56_182:                             ; =>This Inner Loop Header: Depth=1
	scratch_load_b64 v[122:123], off, s1
	v_dual_mov_b32 v121, s27 :: v_dual_add_nc_u32 v120, -1, v120
	s_add_co_i32 s27, s27, 8
	s_wait_xcnt 0x0
	s_add_co_i32 s1, s1, 8
	ds_load_b64 v[124:125], v121
	v_cmp_eq_u32_e32 vcc_lo, 0, v120
	s_or_b32 s26, vcc_lo, s26
	s_wait_loadcnt_dscnt 0x0
	v_pk_mul_f32 v[126:127], v[124:125], v[122:123] op_sel:[1,1] op_sel_hi:[0,1]
	s_delay_alu instid0(VALU_DEP_1) | instskip(SKIP_1) | instid1(VALU_DEP_2)
	v_pk_fma_f32 v[128:129], v[124:125], v[122:123], v[126:127] op_sel_hi:[1,0,1]
	v_pk_fma_f32 v[122:123], v[124:125], v[122:123], v[126:127] neg_lo:[0,0,1] neg_hi:[0,0,1]
	v_mov_b32_e32 v123, v129
	s_delay_alu instid0(VALU_DEP_1)
	v_pk_add_f32 v[118:119], v[118:119], v[122:123]
	s_and_not1_b32 exec_lo, exec_lo, s26
	s_cbranch_execnz .LBB56_182
; %bb.183:
	s_or_b32 exec_lo, exec_lo, s26
.LBB56_184:
	s_delay_alu instid0(SALU_CYCLE_1) | instskip(SKIP_4) | instid1(VALU_DEP_1)
	s_or_b32 exec_lo, exec_lo, s25
	v_mov_b32_e32 v120, 0
	ds_load_b64 v[120:121], v120 offset:304
	s_wait_dscnt 0x0
	v_pk_mul_f32 v[122:123], v[118:119], v[120:121] op_sel:[1,1] op_sel_hi:[0,1]
	v_pk_fma_f32 v[124:125], v[118:119], v[120:121], v[122:123] op_sel_hi:[1,0,1]
	v_pk_fma_f32 v[118:119], v[118:119], v[120:121], v[122:123] neg_lo:[0,0,1] neg_hi:[0,0,1]
	s_delay_alu instid0(VALU_DEP_2)
	v_mov_b32_e32 v119, v125
	scratch_store_b64 off, v[118:119], off offset:304
.LBB56_185:
	s_wait_xcnt 0x0
	s_or_b32 exec_lo, exec_lo, s2
	scratch_load_b64 v[118:119], off, off offset:296
	v_cmp_lt_u32_e64 s1, 37, v0
	s_wait_loadcnt 0x0
	ds_store_b64 v1, v[118:119]
	s_wait_storecnt_dscnt 0x0
	s_barrier_signal -1
	s_barrier_wait -1
	s_wait_xcnt 0x0
	s_and_saveexec_b32 s2, s1
	s_cbranch_execz .LBB56_195
; %bb.186:
	s_and_not1_b32 vcc_lo, exec_lo, s3
	s_cbranch_vccnz .LBB56_188
; %bb.187:
	scratch_load_b64 v[118:119], v49, off
	ds_load_b64 v[120:121], v1
	s_wait_loadcnt_dscnt 0x0
	v_pk_mul_f32 v[122:123], v[120:121], v[118:119] op_sel:[1,1] op_sel_hi:[0,1]
	s_delay_alu instid0(VALU_DEP_1) | instskip(SKIP_1) | instid1(VALU_DEP_2)
	v_pk_fma_f32 v[124:125], v[120:121], v[118:119], v[122:123] op_sel_hi:[1,0,1]
	v_pk_fma_f32 v[118:119], v[120:121], v[118:119], v[122:123] neg_lo:[0,0,1] neg_hi:[0,0,1]
	v_mov_b32_e32 v119, v125
	s_cbranch_execz .LBB56_189
	s_branch .LBB56_190
.LBB56_188:
                                        ; implicit-def: $vgpr118_vgpr119
.LBB56_189:
	ds_load_b64 v[118:119], v1
.LBB56_190:
	s_and_saveexec_b32 s25, s0
	s_cbranch_execz .LBB56_194
; %bb.191:
	v_subrev_nc_u32_e32 v120, 38, v0
	s_movk_i32 s26, 0x300
	s_mov_b32 s0, 0
.LBB56_192:                             ; =>This Inner Loop Header: Depth=1
	scratch_load_b64 v[122:123], off, s24
	v_dual_mov_b32 v121, s26 :: v_dual_add_nc_u32 v120, -1, v120
	s_add_co_i32 s26, s26, 8
	s_wait_xcnt 0x0
	s_add_co_i32 s24, s24, 8
	ds_load_b64 v[124:125], v121
	v_cmp_eq_u32_e32 vcc_lo, 0, v120
	s_or_b32 s0, vcc_lo, s0
	s_wait_loadcnt_dscnt 0x0
	v_pk_mul_f32 v[126:127], v[124:125], v[122:123] op_sel:[1,1] op_sel_hi:[0,1]
	s_delay_alu instid0(VALU_DEP_1) | instskip(SKIP_1) | instid1(VALU_DEP_2)
	v_pk_fma_f32 v[128:129], v[124:125], v[122:123], v[126:127] op_sel_hi:[1,0,1]
	v_pk_fma_f32 v[122:123], v[124:125], v[122:123], v[126:127] neg_lo:[0,0,1] neg_hi:[0,0,1]
	v_mov_b32_e32 v123, v129
	s_delay_alu instid0(VALU_DEP_1)
	v_pk_add_f32 v[118:119], v[118:119], v[122:123]
	s_and_not1_b32 exec_lo, exec_lo, s0
	s_cbranch_execnz .LBB56_192
; %bb.193:
	s_or_b32 exec_lo, exec_lo, s0
.LBB56_194:
	s_delay_alu instid0(SALU_CYCLE_1) | instskip(SKIP_4) | instid1(VALU_DEP_1)
	s_or_b32 exec_lo, exec_lo, s25
	v_mov_b32_e32 v120, 0
	ds_load_b64 v[120:121], v120 offset:296
	s_wait_dscnt 0x0
	v_pk_mul_f32 v[122:123], v[118:119], v[120:121] op_sel:[1,1] op_sel_hi:[0,1]
	v_pk_fma_f32 v[124:125], v[118:119], v[120:121], v[122:123] op_sel_hi:[1,0,1]
	v_pk_fma_f32 v[118:119], v[118:119], v[120:121], v[122:123] neg_lo:[0,0,1] neg_hi:[0,0,1]
	s_delay_alu instid0(VALU_DEP_2)
	v_mov_b32_e32 v119, v125
	scratch_store_b64 off, v[118:119], off offset:296
.LBB56_195:
	s_wait_xcnt 0x0
	s_or_b32 exec_lo, exec_lo, s2
	scratch_load_b64 v[118:119], off, off offset:288
	v_cmp_lt_u32_e64 s0, 36, v0
	s_wait_loadcnt 0x0
	ds_store_b64 v1, v[118:119]
	s_wait_storecnt_dscnt 0x0
	s_barrier_signal -1
	s_barrier_wait -1
	s_wait_xcnt 0x0
	s_and_saveexec_b32 s2, s0
	s_cbranch_execz .LBB56_205
; %bb.196:
	s_and_not1_b32 vcc_lo, exec_lo, s3
	s_cbranch_vccnz .LBB56_198
; %bb.197:
	scratch_load_b64 v[118:119], v49, off
	ds_load_b64 v[120:121], v1
	s_wait_loadcnt_dscnt 0x0
	v_pk_mul_f32 v[122:123], v[120:121], v[118:119] op_sel:[1,1] op_sel_hi:[0,1]
	s_delay_alu instid0(VALU_DEP_1) | instskip(SKIP_1) | instid1(VALU_DEP_2)
	v_pk_fma_f32 v[124:125], v[120:121], v[118:119], v[122:123] op_sel_hi:[1,0,1]
	v_pk_fma_f32 v[118:119], v[120:121], v[118:119], v[122:123] neg_lo:[0,0,1] neg_hi:[0,0,1]
	v_mov_b32_e32 v119, v125
	s_cbranch_execz .LBB56_199
	s_branch .LBB56_200
.LBB56_198:
                                        ; implicit-def: $vgpr118_vgpr119
.LBB56_199:
	ds_load_b64 v[118:119], v1
.LBB56_200:
	s_and_saveexec_b32 s24, s1
	s_cbranch_execz .LBB56_204
; %bb.201:
	v_subrev_nc_u32_e32 v120, 37, v0
	s_movk_i32 s1, 0x128
	s_movk_i32 s26, 0x2f8
	s_mov_b32 s25, 0
.LBB56_202:                             ; =>This Inner Loop Header: Depth=1
	scratch_load_b64 v[122:123], off, s1
	v_dual_mov_b32 v121, s26 :: v_dual_add_nc_u32 v120, -1, v120
	s_add_co_i32 s26, s26, 8
	s_wait_xcnt 0x0
	s_add_co_i32 s1, s1, 8
	ds_load_b64 v[124:125], v121
	v_cmp_eq_u32_e32 vcc_lo, 0, v120
	s_or_b32 s25, vcc_lo, s25
	s_wait_loadcnt_dscnt 0x0
	v_pk_mul_f32 v[126:127], v[124:125], v[122:123] op_sel:[1,1] op_sel_hi:[0,1]
	s_delay_alu instid0(VALU_DEP_1) | instskip(SKIP_1) | instid1(VALU_DEP_2)
	v_pk_fma_f32 v[128:129], v[124:125], v[122:123], v[126:127] op_sel_hi:[1,0,1]
	v_pk_fma_f32 v[122:123], v[124:125], v[122:123], v[126:127] neg_lo:[0,0,1] neg_hi:[0,0,1]
	v_mov_b32_e32 v123, v129
	s_delay_alu instid0(VALU_DEP_1)
	v_pk_add_f32 v[118:119], v[118:119], v[122:123]
	s_and_not1_b32 exec_lo, exec_lo, s25
	s_cbranch_execnz .LBB56_202
; %bb.203:
	s_or_b32 exec_lo, exec_lo, s25
.LBB56_204:
	s_delay_alu instid0(SALU_CYCLE_1) | instskip(SKIP_4) | instid1(VALU_DEP_1)
	s_or_b32 exec_lo, exec_lo, s24
	v_mov_b32_e32 v120, 0
	ds_load_b64 v[120:121], v120 offset:288
	s_wait_dscnt 0x0
	v_pk_mul_f32 v[122:123], v[118:119], v[120:121] op_sel:[1,1] op_sel_hi:[0,1]
	v_pk_fma_f32 v[124:125], v[118:119], v[120:121], v[122:123] op_sel_hi:[1,0,1]
	v_pk_fma_f32 v[118:119], v[118:119], v[120:121], v[122:123] neg_lo:[0,0,1] neg_hi:[0,0,1]
	s_delay_alu instid0(VALU_DEP_2)
	v_mov_b32_e32 v119, v125
	scratch_store_b64 off, v[118:119], off offset:288
.LBB56_205:
	s_wait_xcnt 0x0
	s_or_b32 exec_lo, exec_lo, s2
	scratch_load_b64 v[118:119], off, off offset:280
	v_cmp_lt_u32_e64 s1, 35, v0
	s_wait_loadcnt 0x0
	ds_store_b64 v1, v[118:119]
	s_wait_storecnt_dscnt 0x0
	s_barrier_signal -1
	s_barrier_wait -1
	s_wait_xcnt 0x0
	s_and_saveexec_b32 s2, s1
	s_cbranch_execz .LBB56_215
; %bb.206:
	s_and_not1_b32 vcc_lo, exec_lo, s3
	s_cbranch_vccnz .LBB56_208
; %bb.207:
	scratch_load_b64 v[118:119], v49, off
	ds_load_b64 v[120:121], v1
	s_wait_loadcnt_dscnt 0x0
	v_pk_mul_f32 v[122:123], v[120:121], v[118:119] op_sel:[1,1] op_sel_hi:[0,1]
	s_delay_alu instid0(VALU_DEP_1) | instskip(SKIP_1) | instid1(VALU_DEP_2)
	v_pk_fma_f32 v[124:125], v[120:121], v[118:119], v[122:123] op_sel_hi:[1,0,1]
	v_pk_fma_f32 v[118:119], v[120:121], v[118:119], v[122:123] neg_lo:[0,0,1] neg_hi:[0,0,1]
	v_mov_b32_e32 v119, v125
	s_cbranch_execz .LBB56_209
	s_branch .LBB56_210
.LBB56_208:
                                        ; implicit-def: $vgpr118_vgpr119
.LBB56_209:
	ds_load_b64 v[118:119], v1
.LBB56_210:
	s_and_saveexec_b32 s24, s0
	s_cbranch_execz .LBB56_214
; %bb.211:
	v_subrev_nc_u32_e32 v120, 36, v0
	s_movk_i32 s25, 0x2f0
	s_mov_b32 s0, 0
.LBB56_212:                             ; =>This Inner Loop Header: Depth=1
	scratch_load_b64 v[122:123], off, s23
	v_dual_mov_b32 v121, s25 :: v_dual_add_nc_u32 v120, -1, v120
	s_add_co_i32 s25, s25, 8
	s_wait_xcnt 0x0
	s_add_co_i32 s23, s23, 8
	ds_load_b64 v[124:125], v121
	v_cmp_eq_u32_e32 vcc_lo, 0, v120
	s_or_b32 s0, vcc_lo, s0
	s_wait_loadcnt_dscnt 0x0
	v_pk_mul_f32 v[126:127], v[124:125], v[122:123] op_sel:[1,1] op_sel_hi:[0,1]
	s_delay_alu instid0(VALU_DEP_1) | instskip(SKIP_1) | instid1(VALU_DEP_2)
	v_pk_fma_f32 v[128:129], v[124:125], v[122:123], v[126:127] op_sel_hi:[1,0,1]
	v_pk_fma_f32 v[122:123], v[124:125], v[122:123], v[126:127] neg_lo:[0,0,1] neg_hi:[0,0,1]
	v_mov_b32_e32 v123, v129
	s_delay_alu instid0(VALU_DEP_1)
	v_pk_add_f32 v[118:119], v[118:119], v[122:123]
	s_and_not1_b32 exec_lo, exec_lo, s0
	s_cbranch_execnz .LBB56_212
; %bb.213:
	s_or_b32 exec_lo, exec_lo, s0
.LBB56_214:
	s_delay_alu instid0(SALU_CYCLE_1) | instskip(SKIP_4) | instid1(VALU_DEP_1)
	s_or_b32 exec_lo, exec_lo, s24
	v_mov_b32_e32 v120, 0
	ds_load_b64 v[120:121], v120 offset:280
	s_wait_dscnt 0x0
	v_pk_mul_f32 v[122:123], v[118:119], v[120:121] op_sel:[1,1] op_sel_hi:[0,1]
	v_pk_fma_f32 v[124:125], v[118:119], v[120:121], v[122:123] op_sel_hi:[1,0,1]
	v_pk_fma_f32 v[118:119], v[118:119], v[120:121], v[122:123] neg_lo:[0,0,1] neg_hi:[0,0,1]
	s_delay_alu instid0(VALU_DEP_2)
	v_mov_b32_e32 v119, v125
	scratch_store_b64 off, v[118:119], off offset:280
.LBB56_215:
	s_wait_xcnt 0x0
	s_or_b32 exec_lo, exec_lo, s2
	scratch_load_b64 v[118:119], off, off offset:272
	v_cmp_lt_u32_e64 s0, 34, v0
	s_wait_loadcnt 0x0
	ds_store_b64 v1, v[118:119]
	s_wait_storecnt_dscnt 0x0
	s_barrier_signal -1
	s_barrier_wait -1
	s_wait_xcnt 0x0
	s_and_saveexec_b32 s2, s0
	s_cbranch_execz .LBB56_225
; %bb.216:
	s_and_not1_b32 vcc_lo, exec_lo, s3
	s_cbranch_vccnz .LBB56_218
; %bb.217:
	scratch_load_b64 v[118:119], v49, off
	ds_load_b64 v[120:121], v1
	s_wait_loadcnt_dscnt 0x0
	v_pk_mul_f32 v[122:123], v[120:121], v[118:119] op_sel:[1,1] op_sel_hi:[0,1]
	s_delay_alu instid0(VALU_DEP_1) | instskip(SKIP_1) | instid1(VALU_DEP_2)
	v_pk_fma_f32 v[124:125], v[120:121], v[118:119], v[122:123] op_sel_hi:[1,0,1]
	v_pk_fma_f32 v[118:119], v[120:121], v[118:119], v[122:123] neg_lo:[0,0,1] neg_hi:[0,0,1]
	v_mov_b32_e32 v119, v125
	s_cbranch_execz .LBB56_219
	s_branch .LBB56_220
.LBB56_218:
                                        ; implicit-def: $vgpr118_vgpr119
.LBB56_219:
	ds_load_b64 v[118:119], v1
.LBB56_220:
	s_and_saveexec_b32 s23, s1
	s_cbranch_execz .LBB56_224
; %bb.221:
	v_subrev_nc_u32_e32 v120, 35, v0
	s_movk_i32 s1, 0x118
	s_movk_i32 s25, 0x2e8
	s_mov_b32 s24, 0
.LBB56_222:                             ; =>This Inner Loop Header: Depth=1
	scratch_load_b64 v[122:123], off, s1
	v_dual_mov_b32 v121, s25 :: v_dual_add_nc_u32 v120, -1, v120
	s_add_co_i32 s25, s25, 8
	s_wait_xcnt 0x0
	s_add_co_i32 s1, s1, 8
	ds_load_b64 v[124:125], v121
	v_cmp_eq_u32_e32 vcc_lo, 0, v120
	s_or_b32 s24, vcc_lo, s24
	s_wait_loadcnt_dscnt 0x0
	v_pk_mul_f32 v[126:127], v[124:125], v[122:123] op_sel:[1,1] op_sel_hi:[0,1]
	s_delay_alu instid0(VALU_DEP_1) | instskip(SKIP_1) | instid1(VALU_DEP_2)
	v_pk_fma_f32 v[128:129], v[124:125], v[122:123], v[126:127] op_sel_hi:[1,0,1]
	v_pk_fma_f32 v[122:123], v[124:125], v[122:123], v[126:127] neg_lo:[0,0,1] neg_hi:[0,0,1]
	v_mov_b32_e32 v123, v129
	s_delay_alu instid0(VALU_DEP_1)
	v_pk_add_f32 v[118:119], v[118:119], v[122:123]
	s_and_not1_b32 exec_lo, exec_lo, s24
	s_cbranch_execnz .LBB56_222
; %bb.223:
	s_or_b32 exec_lo, exec_lo, s24
.LBB56_224:
	s_delay_alu instid0(SALU_CYCLE_1) | instskip(SKIP_4) | instid1(VALU_DEP_1)
	s_or_b32 exec_lo, exec_lo, s23
	v_mov_b32_e32 v120, 0
	ds_load_b64 v[120:121], v120 offset:272
	s_wait_dscnt 0x0
	v_pk_mul_f32 v[122:123], v[118:119], v[120:121] op_sel:[1,1] op_sel_hi:[0,1]
	v_pk_fma_f32 v[124:125], v[118:119], v[120:121], v[122:123] op_sel_hi:[1,0,1]
	v_pk_fma_f32 v[118:119], v[118:119], v[120:121], v[122:123] neg_lo:[0,0,1] neg_hi:[0,0,1]
	s_delay_alu instid0(VALU_DEP_2)
	v_mov_b32_e32 v119, v125
	scratch_store_b64 off, v[118:119], off offset:272
.LBB56_225:
	s_wait_xcnt 0x0
	s_or_b32 exec_lo, exec_lo, s2
	scratch_load_b64 v[118:119], off, off offset:264
	v_cmp_lt_u32_e64 s1, 33, v0
	s_wait_loadcnt 0x0
	ds_store_b64 v1, v[118:119]
	s_wait_storecnt_dscnt 0x0
	s_barrier_signal -1
	s_barrier_wait -1
	s_wait_xcnt 0x0
	s_and_saveexec_b32 s2, s1
	s_cbranch_execz .LBB56_235
; %bb.226:
	s_and_not1_b32 vcc_lo, exec_lo, s3
	s_cbranch_vccnz .LBB56_228
; %bb.227:
	scratch_load_b64 v[118:119], v49, off
	ds_load_b64 v[120:121], v1
	s_wait_loadcnt_dscnt 0x0
	v_pk_mul_f32 v[122:123], v[120:121], v[118:119] op_sel:[1,1] op_sel_hi:[0,1]
	s_delay_alu instid0(VALU_DEP_1) | instskip(SKIP_1) | instid1(VALU_DEP_2)
	v_pk_fma_f32 v[124:125], v[120:121], v[118:119], v[122:123] op_sel_hi:[1,0,1]
	v_pk_fma_f32 v[118:119], v[120:121], v[118:119], v[122:123] neg_lo:[0,0,1] neg_hi:[0,0,1]
	v_mov_b32_e32 v119, v125
	s_cbranch_execz .LBB56_229
	s_branch .LBB56_230
.LBB56_228:
                                        ; implicit-def: $vgpr118_vgpr119
.LBB56_229:
	ds_load_b64 v[118:119], v1
.LBB56_230:
	s_and_saveexec_b32 s23, s0
	s_cbranch_execz .LBB56_234
; %bb.231:
	v_subrev_nc_u32_e32 v120, 34, v0
	s_movk_i32 s24, 0x2e0
	s_mov_b32 s0, 0
.LBB56_232:                             ; =>This Inner Loop Header: Depth=1
	scratch_load_b64 v[122:123], off, s22
	v_dual_mov_b32 v121, s24 :: v_dual_add_nc_u32 v120, -1, v120
	s_add_co_i32 s24, s24, 8
	s_wait_xcnt 0x0
	s_add_co_i32 s22, s22, 8
	ds_load_b64 v[124:125], v121
	v_cmp_eq_u32_e32 vcc_lo, 0, v120
	s_or_b32 s0, vcc_lo, s0
	s_wait_loadcnt_dscnt 0x0
	v_pk_mul_f32 v[126:127], v[124:125], v[122:123] op_sel:[1,1] op_sel_hi:[0,1]
	s_delay_alu instid0(VALU_DEP_1) | instskip(SKIP_1) | instid1(VALU_DEP_2)
	v_pk_fma_f32 v[128:129], v[124:125], v[122:123], v[126:127] op_sel_hi:[1,0,1]
	v_pk_fma_f32 v[122:123], v[124:125], v[122:123], v[126:127] neg_lo:[0,0,1] neg_hi:[0,0,1]
	v_mov_b32_e32 v123, v129
	s_delay_alu instid0(VALU_DEP_1)
	v_pk_add_f32 v[118:119], v[118:119], v[122:123]
	s_and_not1_b32 exec_lo, exec_lo, s0
	s_cbranch_execnz .LBB56_232
; %bb.233:
	s_or_b32 exec_lo, exec_lo, s0
.LBB56_234:
	s_delay_alu instid0(SALU_CYCLE_1) | instskip(SKIP_4) | instid1(VALU_DEP_1)
	s_or_b32 exec_lo, exec_lo, s23
	v_mov_b32_e32 v120, 0
	ds_load_b64 v[120:121], v120 offset:264
	s_wait_dscnt 0x0
	v_pk_mul_f32 v[122:123], v[118:119], v[120:121] op_sel:[1,1] op_sel_hi:[0,1]
	v_pk_fma_f32 v[124:125], v[118:119], v[120:121], v[122:123] op_sel_hi:[1,0,1]
	v_pk_fma_f32 v[118:119], v[118:119], v[120:121], v[122:123] neg_lo:[0,0,1] neg_hi:[0,0,1]
	s_delay_alu instid0(VALU_DEP_2)
	v_mov_b32_e32 v119, v125
	scratch_store_b64 off, v[118:119], off offset:264
.LBB56_235:
	s_wait_xcnt 0x0
	s_or_b32 exec_lo, exec_lo, s2
	scratch_load_b64 v[118:119], off, off offset:256
	v_cmp_lt_u32_e64 s0, 32, v0
	s_wait_loadcnt 0x0
	ds_store_b64 v1, v[118:119]
	s_wait_storecnt_dscnt 0x0
	s_barrier_signal -1
	s_barrier_wait -1
	s_wait_xcnt 0x0
	s_and_saveexec_b32 s2, s0
	s_cbranch_execz .LBB56_245
; %bb.236:
	s_and_not1_b32 vcc_lo, exec_lo, s3
	s_cbranch_vccnz .LBB56_238
; %bb.237:
	scratch_load_b64 v[118:119], v49, off
	ds_load_b64 v[120:121], v1
	s_wait_loadcnt_dscnt 0x0
	v_pk_mul_f32 v[122:123], v[120:121], v[118:119] op_sel:[1,1] op_sel_hi:[0,1]
	s_delay_alu instid0(VALU_DEP_1) | instskip(SKIP_1) | instid1(VALU_DEP_2)
	v_pk_fma_f32 v[124:125], v[120:121], v[118:119], v[122:123] op_sel_hi:[1,0,1]
	v_pk_fma_f32 v[118:119], v[120:121], v[118:119], v[122:123] neg_lo:[0,0,1] neg_hi:[0,0,1]
	v_mov_b32_e32 v119, v125
	s_cbranch_execz .LBB56_239
	s_branch .LBB56_240
.LBB56_238:
                                        ; implicit-def: $vgpr118_vgpr119
.LBB56_239:
	ds_load_b64 v[118:119], v1
.LBB56_240:
	s_and_saveexec_b32 s22, s1
	s_cbranch_execz .LBB56_244
; %bb.241:
	v_subrev_nc_u32_e32 v120, 33, v0
	s_movk_i32 s1, 0x108
	s_movk_i32 s24, 0x2d8
	s_mov_b32 s23, 0
.LBB56_242:                             ; =>This Inner Loop Header: Depth=1
	scratch_load_b64 v[122:123], off, s1
	v_dual_mov_b32 v121, s24 :: v_dual_add_nc_u32 v120, -1, v120
	s_add_co_i32 s24, s24, 8
	s_wait_xcnt 0x0
	s_add_co_i32 s1, s1, 8
	ds_load_b64 v[124:125], v121
	v_cmp_eq_u32_e32 vcc_lo, 0, v120
	s_or_b32 s23, vcc_lo, s23
	s_wait_loadcnt_dscnt 0x0
	v_pk_mul_f32 v[126:127], v[124:125], v[122:123] op_sel:[1,1] op_sel_hi:[0,1]
	s_delay_alu instid0(VALU_DEP_1) | instskip(SKIP_1) | instid1(VALU_DEP_2)
	v_pk_fma_f32 v[128:129], v[124:125], v[122:123], v[126:127] op_sel_hi:[1,0,1]
	v_pk_fma_f32 v[122:123], v[124:125], v[122:123], v[126:127] neg_lo:[0,0,1] neg_hi:[0,0,1]
	v_mov_b32_e32 v123, v129
	s_delay_alu instid0(VALU_DEP_1)
	v_pk_add_f32 v[118:119], v[118:119], v[122:123]
	s_and_not1_b32 exec_lo, exec_lo, s23
	s_cbranch_execnz .LBB56_242
; %bb.243:
	s_or_b32 exec_lo, exec_lo, s23
.LBB56_244:
	s_delay_alu instid0(SALU_CYCLE_1) | instskip(SKIP_4) | instid1(VALU_DEP_1)
	s_or_b32 exec_lo, exec_lo, s22
	v_mov_b32_e32 v120, 0
	ds_load_b64 v[120:121], v120 offset:256
	s_wait_dscnt 0x0
	v_pk_mul_f32 v[122:123], v[118:119], v[120:121] op_sel:[1,1] op_sel_hi:[0,1]
	v_pk_fma_f32 v[124:125], v[118:119], v[120:121], v[122:123] op_sel_hi:[1,0,1]
	v_pk_fma_f32 v[118:119], v[118:119], v[120:121], v[122:123] neg_lo:[0,0,1] neg_hi:[0,0,1]
	s_delay_alu instid0(VALU_DEP_2)
	v_mov_b32_e32 v119, v125
	scratch_store_b64 off, v[118:119], off offset:256
.LBB56_245:
	s_wait_xcnt 0x0
	s_or_b32 exec_lo, exec_lo, s2
	scratch_load_b64 v[118:119], off, off offset:248
	v_cmp_lt_u32_e64 s1, 31, v0
	s_wait_loadcnt 0x0
	ds_store_b64 v1, v[118:119]
	s_wait_storecnt_dscnt 0x0
	s_barrier_signal -1
	s_barrier_wait -1
	s_wait_xcnt 0x0
	s_and_saveexec_b32 s2, s1
	s_cbranch_execz .LBB56_255
; %bb.246:
	s_and_not1_b32 vcc_lo, exec_lo, s3
	s_cbranch_vccnz .LBB56_248
; %bb.247:
	scratch_load_b64 v[118:119], v49, off
	ds_load_b64 v[120:121], v1
	s_wait_loadcnt_dscnt 0x0
	v_pk_mul_f32 v[122:123], v[120:121], v[118:119] op_sel:[1,1] op_sel_hi:[0,1]
	s_delay_alu instid0(VALU_DEP_1) | instskip(SKIP_1) | instid1(VALU_DEP_2)
	v_pk_fma_f32 v[124:125], v[120:121], v[118:119], v[122:123] op_sel_hi:[1,0,1]
	v_pk_fma_f32 v[118:119], v[120:121], v[118:119], v[122:123] neg_lo:[0,0,1] neg_hi:[0,0,1]
	v_mov_b32_e32 v119, v125
	s_cbranch_execz .LBB56_249
	s_branch .LBB56_250
.LBB56_248:
                                        ; implicit-def: $vgpr118_vgpr119
.LBB56_249:
	ds_load_b64 v[118:119], v1
.LBB56_250:
	s_and_saveexec_b32 s22, s0
	s_cbranch_execz .LBB56_254
; %bb.251:
	v_subrev_nc_u32_e32 v120, 32, v0
	s_movk_i32 s23, 0x2d0
	s_mov_b32 s0, 0
.LBB56_252:                             ; =>This Inner Loop Header: Depth=1
	scratch_load_b64 v[122:123], off, s21
	v_dual_mov_b32 v121, s23 :: v_dual_add_nc_u32 v120, -1, v120
	s_add_co_i32 s23, s23, 8
	s_wait_xcnt 0x0
	s_add_co_i32 s21, s21, 8
	ds_load_b64 v[124:125], v121
	v_cmp_eq_u32_e32 vcc_lo, 0, v120
	s_or_b32 s0, vcc_lo, s0
	s_wait_loadcnt_dscnt 0x0
	v_pk_mul_f32 v[126:127], v[124:125], v[122:123] op_sel:[1,1] op_sel_hi:[0,1]
	s_delay_alu instid0(VALU_DEP_1) | instskip(SKIP_1) | instid1(VALU_DEP_2)
	v_pk_fma_f32 v[128:129], v[124:125], v[122:123], v[126:127] op_sel_hi:[1,0,1]
	v_pk_fma_f32 v[122:123], v[124:125], v[122:123], v[126:127] neg_lo:[0,0,1] neg_hi:[0,0,1]
	v_mov_b32_e32 v123, v129
	s_delay_alu instid0(VALU_DEP_1)
	v_pk_add_f32 v[118:119], v[118:119], v[122:123]
	s_and_not1_b32 exec_lo, exec_lo, s0
	s_cbranch_execnz .LBB56_252
; %bb.253:
	s_or_b32 exec_lo, exec_lo, s0
.LBB56_254:
	s_delay_alu instid0(SALU_CYCLE_1) | instskip(SKIP_4) | instid1(VALU_DEP_1)
	s_or_b32 exec_lo, exec_lo, s22
	v_mov_b32_e32 v120, 0
	ds_load_b64 v[120:121], v120 offset:248
	s_wait_dscnt 0x0
	v_pk_mul_f32 v[122:123], v[118:119], v[120:121] op_sel:[1,1] op_sel_hi:[0,1]
	v_pk_fma_f32 v[124:125], v[118:119], v[120:121], v[122:123] op_sel_hi:[1,0,1]
	v_pk_fma_f32 v[118:119], v[118:119], v[120:121], v[122:123] neg_lo:[0,0,1] neg_hi:[0,0,1]
	s_delay_alu instid0(VALU_DEP_2)
	v_mov_b32_e32 v119, v125
	scratch_store_b64 off, v[118:119], off offset:248
.LBB56_255:
	s_wait_xcnt 0x0
	s_or_b32 exec_lo, exec_lo, s2
	scratch_load_b64 v[118:119], off, off offset:240
	v_cmp_lt_u32_e64 s0, 30, v0
	s_wait_loadcnt 0x0
	ds_store_b64 v1, v[118:119]
	s_wait_storecnt_dscnt 0x0
	s_barrier_signal -1
	s_barrier_wait -1
	s_wait_xcnt 0x0
	s_and_saveexec_b32 s2, s0
	s_cbranch_execz .LBB56_265
; %bb.256:
	s_and_not1_b32 vcc_lo, exec_lo, s3
	s_cbranch_vccnz .LBB56_258
; %bb.257:
	scratch_load_b64 v[118:119], v49, off
	ds_load_b64 v[120:121], v1
	s_wait_loadcnt_dscnt 0x0
	v_pk_mul_f32 v[122:123], v[120:121], v[118:119] op_sel:[1,1] op_sel_hi:[0,1]
	s_delay_alu instid0(VALU_DEP_1) | instskip(SKIP_1) | instid1(VALU_DEP_2)
	v_pk_fma_f32 v[124:125], v[120:121], v[118:119], v[122:123] op_sel_hi:[1,0,1]
	v_pk_fma_f32 v[118:119], v[120:121], v[118:119], v[122:123] neg_lo:[0,0,1] neg_hi:[0,0,1]
	v_mov_b32_e32 v119, v125
	s_cbranch_execz .LBB56_259
	s_branch .LBB56_260
.LBB56_258:
                                        ; implicit-def: $vgpr118_vgpr119
.LBB56_259:
	ds_load_b64 v[118:119], v1
.LBB56_260:
	s_and_saveexec_b32 s21, s1
	s_cbranch_execz .LBB56_264
; %bb.261:
	v_subrev_nc_u32_e32 v120, 31, v0
	s_movk_i32 s1, 0xf8
	s_movk_i32 s23, 0x2c8
	s_mov_b32 s22, 0
.LBB56_262:                             ; =>This Inner Loop Header: Depth=1
	scratch_load_b64 v[122:123], off, s1
	v_dual_mov_b32 v121, s23 :: v_dual_add_nc_u32 v120, -1, v120
	s_add_co_i32 s23, s23, 8
	s_wait_xcnt 0x0
	s_add_co_i32 s1, s1, 8
	ds_load_b64 v[124:125], v121
	v_cmp_eq_u32_e32 vcc_lo, 0, v120
	s_or_b32 s22, vcc_lo, s22
	s_wait_loadcnt_dscnt 0x0
	v_pk_mul_f32 v[126:127], v[124:125], v[122:123] op_sel:[1,1] op_sel_hi:[0,1]
	s_delay_alu instid0(VALU_DEP_1) | instskip(SKIP_1) | instid1(VALU_DEP_2)
	v_pk_fma_f32 v[128:129], v[124:125], v[122:123], v[126:127] op_sel_hi:[1,0,1]
	v_pk_fma_f32 v[122:123], v[124:125], v[122:123], v[126:127] neg_lo:[0,0,1] neg_hi:[0,0,1]
	v_mov_b32_e32 v123, v129
	s_delay_alu instid0(VALU_DEP_1)
	v_pk_add_f32 v[118:119], v[118:119], v[122:123]
	s_and_not1_b32 exec_lo, exec_lo, s22
	s_cbranch_execnz .LBB56_262
; %bb.263:
	s_or_b32 exec_lo, exec_lo, s22
.LBB56_264:
	s_delay_alu instid0(SALU_CYCLE_1) | instskip(SKIP_4) | instid1(VALU_DEP_1)
	s_or_b32 exec_lo, exec_lo, s21
	v_mov_b32_e32 v120, 0
	ds_load_b64 v[120:121], v120 offset:240
	s_wait_dscnt 0x0
	v_pk_mul_f32 v[122:123], v[118:119], v[120:121] op_sel:[1,1] op_sel_hi:[0,1]
	v_pk_fma_f32 v[124:125], v[118:119], v[120:121], v[122:123] op_sel_hi:[1,0,1]
	v_pk_fma_f32 v[118:119], v[118:119], v[120:121], v[122:123] neg_lo:[0,0,1] neg_hi:[0,0,1]
	s_delay_alu instid0(VALU_DEP_2)
	v_mov_b32_e32 v119, v125
	scratch_store_b64 off, v[118:119], off offset:240
.LBB56_265:
	s_wait_xcnt 0x0
	s_or_b32 exec_lo, exec_lo, s2
	scratch_load_b64 v[118:119], off, off offset:232
	v_cmp_lt_u32_e64 s1, 29, v0
	s_wait_loadcnt 0x0
	ds_store_b64 v1, v[118:119]
	s_wait_storecnt_dscnt 0x0
	s_barrier_signal -1
	s_barrier_wait -1
	s_wait_xcnt 0x0
	s_and_saveexec_b32 s2, s1
	s_cbranch_execz .LBB56_275
; %bb.266:
	s_and_not1_b32 vcc_lo, exec_lo, s3
	s_cbranch_vccnz .LBB56_268
; %bb.267:
	scratch_load_b64 v[118:119], v49, off
	ds_load_b64 v[120:121], v1
	s_wait_loadcnt_dscnt 0x0
	v_pk_mul_f32 v[122:123], v[120:121], v[118:119] op_sel:[1,1] op_sel_hi:[0,1]
	s_delay_alu instid0(VALU_DEP_1) | instskip(SKIP_1) | instid1(VALU_DEP_2)
	v_pk_fma_f32 v[124:125], v[120:121], v[118:119], v[122:123] op_sel_hi:[1,0,1]
	v_pk_fma_f32 v[118:119], v[120:121], v[118:119], v[122:123] neg_lo:[0,0,1] neg_hi:[0,0,1]
	v_mov_b32_e32 v119, v125
	s_cbranch_execz .LBB56_269
	s_branch .LBB56_270
.LBB56_268:
                                        ; implicit-def: $vgpr118_vgpr119
.LBB56_269:
	ds_load_b64 v[118:119], v1
.LBB56_270:
	s_and_saveexec_b32 s21, s0
	s_cbranch_execz .LBB56_274
; %bb.271:
	v_subrev_nc_u32_e32 v120, 30, v0
	s_movk_i32 s22, 0x2c0
	s_mov_b32 s0, 0
.LBB56_272:                             ; =>This Inner Loop Header: Depth=1
	scratch_load_b64 v[122:123], off, s20
	v_dual_mov_b32 v121, s22 :: v_dual_add_nc_u32 v120, -1, v120
	s_add_co_i32 s22, s22, 8
	s_wait_xcnt 0x0
	s_add_co_i32 s20, s20, 8
	ds_load_b64 v[124:125], v121
	v_cmp_eq_u32_e32 vcc_lo, 0, v120
	s_or_b32 s0, vcc_lo, s0
	s_wait_loadcnt_dscnt 0x0
	v_pk_mul_f32 v[126:127], v[124:125], v[122:123] op_sel:[1,1] op_sel_hi:[0,1]
	s_delay_alu instid0(VALU_DEP_1) | instskip(SKIP_1) | instid1(VALU_DEP_2)
	v_pk_fma_f32 v[128:129], v[124:125], v[122:123], v[126:127] op_sel_hi:[1,0,1]
	v_pk_fma_f32 v[122:123], v[124:125], v[122:123], v[126:127] neg_lo:[0,0,1] neg_hi:[0,0,1]
	v_mov_b32_e32 v123, v129
	s_delay_alu instid0(VALU_DEP_1)
	v_pk_add_f32 v[118:119], v[118:119], v[122:123]
	s_and_not1_b32 exec_lo, exec_lo, s0
	s_cbranch_execnz .LBB56_272
; %bb.273:
	s_or_b32 exec_lo, exec_lo, s0
.LBB56_274:
	s_delay_alu instid0(SALU_CYCLE_1) | instskip(SKIP_4) | instid1(VALU_DEP_1)
	s_or_b32 exec_lo, exec_lo, s21
	v_mov_b32_e32 v120, 0
	ds_load_b64 v[120:121], v120 offset:232
	s_wait_dscnt 0x0
	v_pk_mul_f32 v[122:123], v[118:119], v[120:121] op_sel:[1,1] op_sel_hi:[0,1]
	v_pk_fma_f32 v[124:125], v[118:119], v[120:121], v[122:123] op_sel_hi:[1,0,1]
	v_pk_fma_f32 v[118:119], v[118:119], v[120:121], v[122:123] neg_lo:[0,0,1] neg_hi:[0,0,1]
	s_delay_alu instid0(VALU_DEP_2)
	v_mov_b32_e32 v119, v125
	scratch_store_b64 off, v[118:119], off offset:232
.LBB56_275:
	s_wait_xcnt 0x0
	s_or_b32 exec_lo, exec_lo, s2
	scratch_load_b64 v[118:119], off, off offset:224
	v_cmp_lt_u32_e64 s0, 28, v0
	s_wait_loadcnt 0x0
	ds_store_b64 v1, v[118:119]
	s_wait_storecnt_dscnt 0x0
	s_barrier_signal -1
	s_barrier_wait -1
	s_wait_xcnt 0x0
	s_and_saveexec_b32 s2, s0
	s_cbranch_execz .LBB56_285
; %bb.276:
	s_and_not1_b32 vcc_lo, exec_lo, s3
	s_cbranch_vccnz .LBB56_278
; %bb.277:
	scratch_load_b64 v[118:119], v49, off
	ds_load_b64 v[120:121], v1
	s_wait_loadcnt_dscnt 0x0
	v_pk_mul_f32 v[122:123], v[120:121], v[118:119] op_sel:[1,1] op_sel_hi:[0,1]
	s_delay_alu instid0(VALU_DEP_1) | instskip(SKIP_1) | instid1(VALU_DEP_2)
	v_pk_fma_f32 v[124:125], v[120:121], v[118:119], v[122:123] op_sel_hi:[1,0,1]
	v_pk_fma_f32 v[118:119], v[120:121], v[118:119], v[122:123] neg_lo:[0,0,1] neg_hi:[0,0,1]
	v_mov_b32_e32 v119, v125
	s_cbranch_execz .LBB56_279
	s_branch .LBB56_280
.LBB56_278:
                                        ; implicit-def: $vgpr118_vgpr119
.LBB56_279:
	ds_load_b64 v[118:119], v1
.LBB56_280:
	s_and_saveexec_b32 s20, s1
	s_cbranch_execz .LBB56_284
; %bb.281:
	v_subrev_nc_u32_e32 v120, 29, v0
	s_movk_i32 s1, 0xe8
	s_movk_i32 s22, 0x2b8
	s_mov_b32 s21, 0
.LBB56_282:                             ; =>This Inner Loop Header: Depth=1
	scratch_load_b64 v[122:123], off, s1
	v_dual_mov_b32 v121, s22 :: v_dual_add_nc_u32 v120, -1, v120
	s_add_co_i32 s22, s22, 8
	s_wait_xcnt 0x0
	s_add_co_i32 s1, s1, 8
	ds_load_b64 v[124:125], v121
	v_cmp_eq_u32_e32 vcc_lo, 0, v120
	s_or_b32 s21, vcc_lo, s21
	s_wait_loadcnt_dscnt 0x0
	v_pk_mul_f32 v[126:127], v[124:125], v[122:123] op_sel:[1,1] op_sel_hi:[0,1]
	s_delay_alu instid0(VALU_DEP_1) | instskip(SKIP_1) | instid1(VALU_DEP_2)
	v_pk_fma_f32 v[128:129], v[124:125], v[122:123], v[126:127] op_sel_hi:[1,0,1]
	v_pk_fma_f32 v[122:123], v[124:125], v[122:123], v[126:127] neg_lo:[0,0,1] neg_hi:[0,0,1]
	v_mov_b32_e32 v123, v129
	s_delay_alu instid0(VALU_DEP_1)
	v_pk_add_f32 v[118:119], v[118:119], v[122:123]
	s_and_not1_b32 exec_lo, exec_lo, s21
	s_cbranch_execnz .LBB56_282
; %bb.283:
	s_or_b32 exec_lo, exec_lo, s21
.LBB56_284:
	s_delay_alu instid0(SALU_CYCLE_1) | instskip(SKIP_4) | instid1(VALU_DEP_1)
	s_or_b32 exec_lo, exec_lo, s20
	v_mov_b32_e32 v120, 0
	ds_load_b64 v[120:121], v120 offset:224
	s_wait_dscnt 0x0
	v_pk_mul_f32 v[122:123], v[118:119], v[120:121] op_sel:[1,1] op_sel_hi:[0,1]
	v_pk_fma_f32 v[124:125], v[118:119], v[120:121], v[122:123] op_sel_hi:[1,0,1]
	v_pk_fma_f32 v[118:119], v[118:119], v[120:121], v[122:123] neg_lo:[0,0,1] neg_hi:[0,0,1]
	s_delay_alu instid0(VALU_DEP_2)
	v_mov_b32_e32 v119, v125
	scratch_store_b64 off, v[118:119], off offset:224
.LBB56_285:
	s_wait_xcnt 0x0
	s_or_b32 exec_lo, exec_lo, s2
	scratch_load_b64 v[118:119], off, off offset:216
	v_cmp_lt_u32_e64 s1, 27, v0
	s_wait_loadcnt 0x0
	ds_store_b64 v1, v[118:119]
	s_wait_storecnt_dscnt 0x0
	s_barrier_signal -1
	s_barrier_wait -1
	s_wait_xcnt 0x0
	s_and_saveexec_b32 s2, s1
	s_cbranch_execz .LBB56_295
; %bb.286:
	s_and_not1_b32 vcc_lo, exec_lo, s3
	s_cbranch_vccnz .LBB56_288
; %bb.287:
	scratch_load_b64 v[118:119], v49, off
	ds_load_b64 v[120:121], v1
	s_wait_loadcnt_dscnt 0x0
	v_pk_mul_f32 v[122:123], v[120:121], v[118:119] op_sel:[1,1] op_sel_hi:[0,1]
	s_delay_alu instid0(VALU_DEP_1) | instskip(SKIP_1) | instid1(VALU_DEP_2)
	v_pk_fma_f32 v[124:125], v[120:121], v[118:119], v[122:123] op_sel_hi:[1,0,1]
	v_pk_fma_f32 v[118:119], v[120:121], v[118:119], v[122:123] neg_lo:[0,0,1] neg_hi:[0,0,1]
	v_mov_b32_e32 v119, v125
	s_cbranch_execz .LBB56_289
	s_branch .LBB56_290
.LBB56_288:
                                        ; implicit-def: $vgpr118_vgpr119
.LBB56_289:
	ds_load_b64 v[118:119], v1
.LBB56_290:
	s_and_saveexec_b32 s20, s0
	s_cbranch_execz .LBB56_294
; %bb.291:
	v_subrev_nc_u32_e32 v120, 28, v0
	s_movk_i32 s21, 0x2b0
	s_mov_b32 s0, 0
.LBB56_292:                             ; =>This Inner Loop Header: Depth=1
	scratch_load_b64 v[122:123], off, s19
	v_dual_mov_b32 v121, s21 :: v_dual_add_nc_u32 v120, -1, v120
	s_add_co_i32 s21, s21, 8
	s_wait_xcnt 0x0
	s_add_co_i32 s19, s19, 8
	ds_load_b64 v[124:125], v121
	v_cmp_eq_u32_e32 vcc_lo, 0, v120
	s_or_b32 s0, vcc_lo, s0
	s_wait_loadcnt_dscnt 0x0
	v_pk_mul_f32 v[126:127], v[124:125], v[122:123] op_sel:[1,1] op_sel_hi:[0,1]
	s_delay_alu instid0(VALU_DEP_1) | instskip(SKIP_1) | instid1(VALU_DEP_2)
	v_pk_fma_f32 v[128:129], v[124:125], v[122:123], v[126:127] op_sel_hi:[1,0,1]
	v_pk_fma_f32 v[122:123], v[124:125], v[122:123], v[126:127] neg_lo:[0,0,1] neg_hi:[0,0,1]
	v_mov_b32_e32 v123, v129
	s_delay_alu instid0(VALU_DEP_1)
	v_pk_add_f32 v[118:119], v[118:119], v[122:123]
	s_and_not1_b32 exec_lo, exec_lo, s0
	s_cbranch_execnz .LBB56_292
; %bb.293:
	s_or_b32 exec_lo, exec_lo, s0
.LBB56_294:
	s_delay_alu instid0(SALU_CYCLE_1) | instskip(SKIP_4) | instid1(VALU_DEP_1)
	s_or_b32 exec_lo, exec_lo, s20
	v_mov_b32_e32 v120, 0
	ds_load_b64 v[120:121], v120 offset:216
	s_wait_dscnt 0x0
	v_pk_mul_f32 v[122:123], v[118:119], v[120:121] op_sel:[1,1] op_sel_hi:[0,1]
	v_pk_fma_f32 v[124:125], v[118:119], v[120:121], v[122:123] op_sel_hi:[1,0,1]
	v_pk_fma_f32 v[118:119], v[118:119], v[120:121], v[122:123] neg_lo:[0,0,1] neg_hi:[0,0,1]
	s_delay_alu instid0(VALU_DEP_2)
	v_mov_b32_e32 v119, v125
	scratch_store_b64 off, v[118:119], off offset:216
.LBB56_295:
	s_wait_xcnt 0x0
	s_or_b32 exec_lo, exec_lo, s2
	scratch_load_b64 v[118:119], off, off offset:208
	v_cmp_lt_u32_e64 s0, 26, v0
	s_wait_loadcnt 0x0
	ds_store_b64 v1, v[118:119]
	s_wait_storecnt_dscnt 0x0
	s_barrier_signal -1
	s_barrier_wait -1
	s_wait_xcnt 0x0
	s_and_saveexec_b32 s2, s0
	s_cbranch_execz .LBB56_305
; %bb.296:
	s_and_not1_b32 vcc_lo, exec_lo, s3
	s_cbranch_vccnz .LBB56_298
; %bb.297:
	scratch_load_b64 v[118:119], v49, off
	ds_load_b64 v[120:121], v1
	s_wait_loadcnt_dscnt 0x0
	v_pk_mul_f32 v[122:123], v[120:121], v[118:119] op_sel:[1,1] op_sel_hi:[0,1]
	s_delay_alu instid0(VALU_DEP_1) | instskip(SKIP_1) | instid1(VALU_DEP_2)
	v_pk_fma_f32 v[124:125], v[120:121], v[118:119], v[122:123] op_sel_hi:[1,0,1]
	v_pk_fma_f32 v[118:119], v[120:121], v[118:119], v[122:123] neg_lo:[0,0,1] neg_hi:[0,0,1]
	v_mov_b32_e32 v119, v125
	s_cbranch_execz .LBB56_299
	s_branch .LBB56_300
.LBB56_298:
                                        ; implicit-def: $vgpr118_vgpr119
.LBB56_299:
	ds_load_b64 v[118:119], v1
.LBB56_300:
	s_and_saveexec_b32 s19, s1
	s_cbranch_execz .LBB56_304
; %bb.301:
	v_subrev_nc_u32_e32 v120, 27, v0
	s_movk_i32 s1, 0xd8
	s_movk_i32 s21, 0x2a8
	s_mov_b32 s20, 0
.LBB56_302:                             ; =>This Inner Loop Header: Depth=1
	scratch_load_b64 v[122:123], off, s1
	v_dual_mov_b32 v121, s21 :: v_dual_add_nc_u32 v120, -1, v120
	s_add_co_i32 s21, s21, 8
	s_wait_xcnt 0x0
	s_add_co_i32 s1, s1, 8
	ds_load_b64 v[124:125], v121
	v_cmp_eq_u32_e32 vcc_lo, 0, v120
	s_or_b32 s20, vcc_lo, s20
	s_wait_loadcnt_dscnt 0x0
	v_pk_mul_f32 v[126:127], v[124:125], v[122:123] op_sel:[1,1] op_sel_hi:[0,1]
	s_delay_alu instid0(VALU_DEP_1) | instskip(SKIP_1) | instid1(VALU_DEP_2)
	v_pk_fma_f32 v[128:129], v[124:125], v[122:123], v[126:127] op_sel_hi:[1,0,1]
	v_pk_fma_f32 v[122:123], v[124:125], v[122:123], v[126:127] neg_lo:[0,0,1] neg_hi:[0,0,1]
	v_mov_b32_e32 v123, v129
	s_delay_alu instid0(VALU_DEP_1)
	v_pk_add_f32 v[118:119], v[118:119], v[122:123]
	s_and_not1_b32 exec_lo, exec_lo, s20
	s_cbranch_execnz .LBB56_302
; %bb.303:
	s_or_b32 exec_lo, exec_lo, s20
.LBB56_304:
	s_delay_alu instid0(SALU_CYCLE_1) | instskip(SKIP_4) | instid1(VALU_DEP_1)
	s_or_b32 exec_lo, exec_lo, s19
	v_mov_b32_e32 v120, 0
	ds_load_b64 v[120:121], v120 offset:208
	s_wait_dscnt 0x0
	v_pk_mul_f32 v[122:123], v[118:119], v[120:121] op_sel:[1,1] op_sel_hi:[0,1]
	v_pk_fma_f32 v[124:125], v[118:119], v[120:121], v[122:123] op_sel_hi:[1,0,1]
	v_pk_fma_f32 v[118:119], v[118:119], v[120:121], v[122:123] neg_lo:[0,0,1] neg_hi:[0,0,1]
	s_delay_alu instid0(VALU_DEP_2)
	v_mov_b32_e32 v119, v125
	scratch_store_b64 off, v[118:119], off offset:208
.LBB56_305:
	s_wait_xcnt 0x0
	s_or_b32 exec_lo, exec_lo, s2
	scratch_load_b64 v[118:119], off, off offset:200
	v_cmp_lt_u32_e64 s1, 25, v0
	s_wait_loadcnt 0x0
	ds_store_b64 v1, v[118:119]
	s_wait_storecnt_dscnt 0x0
	s_barrier_signal -1
	s_barrier_wait -1
	s_wait_xcnt 0x0
	s_and_saveexec_b32 s2, s1
	s_cbranch_execz .LBB56_315
; %bb.306:
	s_and_not1_b32 vcc_lo, exec_lo, s3
	s_cbranch_vccnz .LBB56_308
; %bb.307:
	scratch_load_b64 v[118:119], v49, off
	ds_load_b64 v[120:121], v1
	s_wait_loadcnt_dscnt 0x0
	v_pk_mul_f32 v[122:123], v[120:121], v[118:119] op_sel:[1,1] op_sel_hi:[0,1]
	s_delay_alu instid0(VALU_DEP_1) | instskip(SKIP_1) | instid1(VALU_DEP_2)
	v_pk_fma_f32 v[124:125], v[120:121], v[118:119], v[122:123] op_sel_hi:[1,0,1]
	v_pk_fma_f32 v[118:119], v[120:121], v[118:119], v[122:123] neg_lo:[0,0,1] neg_hi:[0,0,1]
	v_mov_b32_e32 v119, v125
	s_cbranch_execz .LBB56_309
	s_branch .LBB56_310
.LBB56_308:
                                        ; implicit-def: $vgpr118_vgpr119
.LBB56_309:
	ds_load_b64 v[118:119], v1
.LBB56_310:
	s_and_saveexec_b32 s19, s0
	s_cbranch_execz .LBB56_314
; %bb.311:
	v_subrev_nc_u32_e32 v120, 26, v0
	s_movk_i32 s20, 0x2a0
	s_mov_b32 s0, 0
.LBB56_312:                             ; =>This Inner Loop Header: Depth=1
	scratch_load_b64 v[122:123], off, s18
	v_dual_mov_b32 v121, s20 :: v_dual_add_nc_u32 v120, -1, v120
	s_add_co_i32 s20, s20, 8
	s_wait_xcnt 0x0
	s_add_co_i32 s18, s18, 8
	ds_load_b64 v[124:125], v121
	v_cmp_eq_u32_e32 vcc_lo, 0, v120
	s_or_b32 s0, vcc_lo, s0
	s_wait_loadcnt_dscnt 0x0
	v_pk_mul_f32 v[126:127], v[124:125], v[122:123] op_sel:[1,1] op_sel_hi:[0,1]
	s_delay_alu instid0(VALU_DEP_1) | instskip(SKIP_1) | instid1(VALU_DEP_2)
	v_pk_fma_f32 v[128:129], v[124:125], v[122:123], v[126:127] op_sel_hi:[1,0,1]
	v_pk_fma_f32 v[122:123], v[124:125], v[122:123], v[126:127] neg_lo:[0,0,1] neg_hi:[0,0,1]
	v_mov_b32_e32 v123, v129
	s_delay_alu instid0(VALU_DEP_1)
	v_pk_add_f32 v[118:119], v[118:119], v[122:123]
	s_and_not1_b32 exec_lo, exec_lo, s0
	s_cbranch_execnz .LBB56_312
; %bb.313:
	s_or_b32 exec_lo, exec_lo, s0
.LBB56_314:
	s_delay_alu instid0(SALU_CYCLE_1) | instskip(SKIP_4) | instid1(VALU_DEP_1)
	s_or_b32 exec_lo, exec_lo, s19
	v_mov_b32_e32 v120, 0
	ds_load_b64 v[120:121], v120 offset:200
	s_wait_dscnt 0x0
	v_pk_mul_f32 v[122:123], v[118:119], v[120:121] op_sel:[1,1] op_sel_hi:[0,1]
	v_pk_fma_f32 v[124:125], v[118:119], v[120:121], v[122:123] op_sel_hi:[1,0,1]
	v_pk_fma_f32 v[118:119], v[118:119], v[120:121], v[122:123] neg_lo:[0,0,1] neg_hi:[0,0,1]
	s_delay_alu instid0(VALU_DEP_2)
	v_mov_b32_e32 v119, v125
	scratch_store_b64 off, v[118:119], off offset:200
.LBB56_315:
	s_wait_xcnt 0x0
	s_or_b32 exec_lo, exec_lo, s2
	scratch_load_b64 v[118:119], off, off offset:192
	v_cmp_lt_u32_e64 s0, 24, v0
	s_wait_loadcnt 0x0
	ds_store_b64 v1, v[118:119]
	s_wait_storecnt_dscnt 0x0
	s_barrier_signal -1
	s_barrier_wait -1
	s_wait_xcnt 0x0
	s_and_saveexec_b32 s2, s0
	s_cbranch_execz .LBB56_325
; %bb.316:
	s_and_not1_b32 vcc_lo, exec_lo, s3
	s_cbranch_vccnz .LBB56_318
; %bb.317:
	scratch_load_b64 v[118:119], v49, off
	ds_load_b64 v[120:121], v1
	s_wait_loadcnt_dscnt 0x0
	v_pk_mul_f32 v[122:123], v[120:121], v[118:119] op_sel:[1,1] op_sel_hi:[0,1]
	s_delay_alu instid0(VALU_DEP_1) | instskip(SKIP_1) | instid1(VALU_DEP_2)
	v_pk_fma_f32 v[124:125], v[120:121], v[118:119], v[122:123] op_sel_hi:[1,0,1]
	v_pk_fma_f32 v[118:119], v[120:121], v[118:119], v[122:123] neg_lo:[0,0,1] neg_hi:[0,0,1]
	v_mov_b32_e32 v119, v125
	s_cbranch_execz .LBB56_319
	s_branch .LBB56_320
.LBB56_318:
                                        ; implicit-def: $vgpr118_vgpr119
.LBB56_319:
	ds_load_b64 v[118:119], v1
.LBB56_320:
	s_and_saveexec_b32 s18, s1
	s_cbranch_execz .LBB56_324
; %bb.321:
	v_subrev_nc_u32_e32 v120, 25, v0
	s_movk_i32 s1, 0xc8
	s_movk_i32 s20, 0x298
	s_mov_b32 s19, 0
.LBB56_322:                             ; =>This Inner Loop Header: Depth=1
	scratch_load_b64 v[122:123], off, s1
	v_dual_mov_b32 v121, s20 :: v_dual_add_nc_u32 v120, -1, v120
	s_add_co_i32 s20, s20, 8
	s_wait_xcnt 0x0
	s_add_co_i32 s1, s1, 8
	ds_load_b64 v[124:125], v121
	v_cmp_eq_u32_e32 vcc_lo, 0, v120
	s_or_b32 s19, vcc_lo, s19
	s_wait_loadcnt_dscnt 0x0
	v_pk_mul_f32 v[126:127], v[124:125], v[122:123] op_sel:[1,1] op_sel_hi:[0,1]
	s_delay_alu instid0(VALU_DEP_1) | instskip(SKIP_1) | instid1(VALU_DEP_2)
	v_pk_fma_f32 v[128:129], v[124:125], v[122:123], v[126:127] op_sel_hi:[1,0,1]
	v_pk_fma_f32 v[122:123], v[124:125], v[122:123], v[126:127] neg_lo:[0,0,1] neg_hi:[0,0,1]
	v_mov_b32_e32 v123, v129
	s_delay_alu instid0(VALU_DEP_1)
	v_pk_add_f32 v[118:119], v[118:119], v[122:123]
	s_and_not1_b32 exec_lo, exec_lo, s19
	s_cbranch_execnz .LBB56_322
; %bb.323:
	s_or_b32 exec_lo, exec_lo, s19
.LBB56_324:
	s_delay_alu instid0(SALU_CYCLE_1) | instskip(SKIP_4) | instid1(VALU_DEP_1)
	s_or_b32 exec_lo, exec_lo, s18
	v_mov_b32_e32 v120, 0
	ds_load_b64 v[120:121], v120 offset:192
	s_wait_dscnt 0x0
	v_pk_mul_f32 v[122:123], v[118:119], v[120:121] op_sel:[1,1] op_sel_hi:[0,1]
	v_pk_fma_f32 v[124:125], v[118:119], v[120:121], v[122:123] op_sel_hi:[1,0,1]
	v_pk_fma_f32 v[118:119], v[118:119], v[120:121], v[122:123] neg_lo:[0,0,1] neg_hi:[0,0,1]
	s_delay_alu instid0(VALU_DEP_2)
	v_mov_b32_e32 v119, v125
	scratch_store_b64 off, v[118:119], off offset:192
.LBB56_325:
	s_wait_xcnt 0x0
	s_or_b32 exec_lo, exec_lo, s2
	scratch_load_b64 v[118:119], off, off offset:184
	v_cmp_lt_u32_e64 s1, 23, v0
	s_wait_loadcnt 0x0
	ds_store_b64 v1, v[118:119]
	s_wait_storecnt_dscnt 0x0
	s_barrier_signal -1
	s_barrier_wait -1
	s_wait_xcnt 0x0
	s_and_saveexec_b32 s2, s1
	s_cbranch_execz .LBB56_335
; %bb.326:
	s_and_not1_b32 vcc_lo, exec_lo, s3
	s_cbranch_vccnz .LBB56_328
; %bb.327:
	scratch_load_b64 v[118:119], v49, off
	ds_load_b64 v[120:121], v1
	s_wait_loadcnt_dscnt 0x0
	v_pk_mul_f32 v[122:123], v[120:121], v[118:119] op_sel:[1,1] op_sel_hi:[0,1]
	s_delay_alu instid0(VALU_DEP_1) | instskip(SKIP_1) | instid1(VALU_DEP_2)
	v_pk_fma_f32 v[124:125], v[120:121], v[118:119], v[122:123] op_sel_hi:[1,0,1]
	v_pk_fma_f32 v[118:119], v[120:121], v[118:119], v[122:123] neg_lo:[0,0,1] neg_hi:[0,0,1]
	v_mov_b32_e32 v119, v125
	s_cbranch_execz .LBB56_329
	s_branch .LBB56_330
.LBB56_328:
                                        ; implicit-def: $vgpr118_vgpr119
.LBB56_329:
	ds_load_b64 v[118:119], v1
.LBB56_330:
	s_and_saveexec_b32 s18, s0
	s_cbranch_execz .LBB56_334
; %bb.331:
	v_subrev_nc_u32_e32 v120, 24, v0
	s_movk_i32 s19, 0x290
	s_mov_b32 s0, 0
.LBB56_332:                             ; =>This Inner Loop Header: Depth=1
	scratch_load_b64 v[122:123], off, s17
	v_dual_mov_b32 v121, s19 :: v_dual_add_nc_u32 v120, -1, v120
	s_add_co_i32 s19, s19, 8
	s_wait_xcnt 0x0
	s_add_co_i32 s17, s17, 8
	ds_load_b64 v[124:125], v121
	v_cmp_eq_u32_e32 vcc_lo, 0, v120
	s_or_b32 s0, vcc_lo, s0
	s_wait_loadcnt_dscnt 0x0
	v_pk_mul_f32 v[126:127], v[124:125], v[122:123] op_sel:[1,1] op_sel_hi:[0,1]
	s_delay_alu instid0(VALU_DEP_1) | instskip(SKIP_1) | instid1(VALU_DEP_2)
	v_pk_fma_f32 v[128:129], v[124:125], v[122:123], v[126:127] op_sel_hi:[1,0,1]
	v_pk_fma_f32 v[122:123], v[124:125], v[122:123], v[126:127] neg_lo:[0,0,1] neg_hi:[0,0,1]
	v_mov_b32_e32 v123, v129
	s_delay_alu instid0(VALU_DEP_1)
	v_pk_add_f32 v[118:119], v[118:119], v[122:123]
	s_and_not1_b32 exec_lo, exec_lo, s0
	s_cbranch_execnz .LBB56_332
; %bb.333:
	s_or_b32 exec_lo, exec_lo, s0
.LBB56_334:
	s_delay_alu instid0(SALU_CYCLE_1) | instskip(SKIP_4) | instid1(VALU_DEP_1)
	s_or_b32 exec_lo, exec_lo, s18
	v_mov_b32_e32 v120, 0
	ds_load_b64 v[120:121], v120 offset:184
	s_wait_dscnt 0x0
	v_pk_mul_f32 v[122:123], v[118:119], v[120:121] op_sel:[1,1] op_sel_hi:[0,1]
	v_pk_fma_f32 v[124:125], v[118:119], v[120:121], v[122:123] op_sel_hi:[1,0,1]
	v_pk_fma_f32 v[118:119], v[118:119], v[120:121], v[122:123] neg_lo:[0,0,1] neg_hi:[0,0,1]
	s_delay_alu instid0(VALU_DEP_2)
	v_mov_b32_e32 v119, v125
	scratch_store_b64 off, v[118:119], off offset:184
.LBB56_335:
	s_wait_xcnt 0x0
	s_or_b32 exec_lo, exec_lo, s2
	scratch_load_b64 v[118:119], off, off offset:176
	v_cmp_lt_u32_e64 s0, 22, v0
	s_wait_loadcnt 0x0
	ds_store_b64 v1, v[118:119]
	s_wait_storecnt_dscnt 0x0
	s_barrier_signal -1
	s_barrier_wait -1
	s_wait_xcnt 0x0
	s_and_saveexec_b32 s2, s0
	s_cbranch_execz .LBB56_345
; %bb.336:
	s_and_not1_b32 vcc_lo, exec_lo, s3
	s_cbranch_vccnz .LBB56_338
; %bb.337:
	scratch_load_b64 v[118:119], v49, off
	ds_load_b64 v[120:121], v1
	s_wait_loadcnt_dscnt 0x0
	v_pk_mul_f32 v[122:123], v[120:121], v[118:119] op_sel:[1,1] op_sel_hi:[0,1]
	s_delay_alu instid0(VALU_DEP_1) | instskip(SKIP_1) | instid1(VALU_DEP_2)
	v_pk_fma_f32 v[124:125], v[120:121], v[118:119], v[122:123] op_sel_hi:[1,0,1]
	v_pk_fma_f32 v[118:119], v[120:121], v[118:119], v[122:123] neg_lo:[0,0,1] neg_hi:[0,0,1]
	v_mov_b32_e32 v119, v125
	s_cbranch_execz .LBB56_339
	s_branch .LBB56_340
.LBB56_338:
                                        ; implicit-def: $vgpr118_vgpr119
.LBB56_339:
	ds_load_b64 v[118:119], v1
.LBB56_340:
	s_and_saveexec_b32 s17, s1
	s_cbranch_execz .LBB56_344
; %bb.341:
	v_subrev_nc_u32_e32 v120, 23, v0
	s_movk_i32 s1, 0xb8
	s_movk_i32 s19, 0x288
	s_mov_b32 s18, 0
.LBB56_342:                             ; =>This Inner Loop Header: Depth=1
	scratch_load_b64 v[122:123], off, s1
	v_dual_mov_b32 v121, s19 :: v_dual_add_nc_u32 v120, -1, v120
	s_add_co_i32 s19, s19, 8
	s_wait_xcnt 0x0
	s_add_co_i32 s1, s1, 8
	ds_load_b64 v[124:125], v121
	v_cmp_eq_u32_e32 vcc_lo, 0, v120
	s_or_b32 s18, vcc_lo, s18
	s_wait_loadcnt_dscnt 0x0
	v_pk_mul_f32 v[126:127], v[124:125], v[122:123] op_sel:[1,1] op_sel_hi:[0,1]
	s_delay_alu instid0(VALU_DEP_1) | instskip(SKIP_1) | instid1(VALU_DEP_2)
	v_pk_fma_f32 v[128:129], v[124:125], v[122:123], v[126:127] op_sel_hi:[1,0,1]
	v_pk_fma_f32 v[122:123], v[124:125], v[122:123], v[126:127] neg_lo:[0,0,1] neg_hi:[0,0,1]
	v_mov_b32_e32 v123, v129
	s_delay_alu instid0(VALU_DEP_1)
	v_pk_add_f32 v[118:119], v[118:119], v[122:123]
	s_and_not1_b32 exec_lo, exec_lo, s18
	s_cbranch_execnz .LBB56_342
; %bb.343:
	s_or_b32 exec_lo, exec_lo, s18
.LBB56_344:
	s_delay_alu instid0(SALU_CYCLE_1) | instskip(SKIP_4) | instid1(VALU_DEP_1)
	s_or_b32 exec_lo, exec_lo, s17
	v_mov_b32_e32 v120, 0
	ds_load_b64 v[120:121], v120 offset:176
	s_wait_dscnt 0x0
	v_pk_mul_f32 v[122:123], v[118:119], v[120:121] op_sel:[1,1] op_sel_hi:[0,1]
	v_pk_fma_f32 v[124:125], v[118:119], v[120:121], v[122:123] op_sel_hi:[1,0,1]
	v_pk_fma_f32 v[118:119], v[118:119], v[120:121], v[122:123] neg_lo:[0,0,1] neg_hi:[0,0,1]
	s_delay_alu instid0(VALU_DEP_2)
	v_mov_b32_e32 v119, v125
	scratch_store_b64 off, v[118:119], off offset:176
.LBB56_345:
	s_wait_xcnt 0x0
	s_or_b32 exec_lo, exec_lo, s2
	scratch_load_b64 v[118:119], off, off offset:168
	v_cmp_lt_u32_e64 s1, 21, v0
	s_wait_loadcnt 0x0
	ds_store_b64 v1, v[118:119]
	s_wait_storecnt_dscnt 0x0
	s_barrier_signal -1
	s_barrier_wait -1
	s_wait_xcnt 0x0
	s_and_saveexec_b32 s2, s1
	s_cbranch_execz .LBB56_355
; %bb.346:
	s_and_not1_b32 vcc_lo, exec_lo, s3
	s_cbranch_vccnz .LBB56_348
; %bb.347:
	scratch_load_b64 v[118:119], v49, off
	ds_load_b64 v[120:121], v1
	s_wait_loadcnt_dscnt 0x0
	v_pk_mul_f32 v[122:123], v[120:121], v[118:119] op_sel:[1,1] op_sel_hi:[0,1]
	s_delay_alu instid0(VALU_DEP_1) | instskip(SKIP_1) | instid1(VALU_DEP_2)
	v_pk_fma_f32 v[124:125], v[120:121], v[118:119], v[122:123] op_sel_hi:[1,0,1]
	v_pk_fma_f32 v[118:119], v[120:121], v[118:119], v[122:123] neg_lo:[0,0,1] neg_hi:[0,0,1]
	v_mov_b32_e32 v119, v125
	s_cbranch_execz .LBB56_349
	s_branch .LBB56_350
.LBB56_348:
                                        ; implicit-def: $vgpr118_vgpr119
.LBB56_349:
	ds_load_b64 v[118:119], v1
.LBB56_350:
	s_and_saveexec_b32 s17, s0
	s_cbranch_execz .LBB56_354
; %bb.351:
	v_subrev_nc_u32_e32 v120, 22, v0
	s_movk_i32 s18, 0x280
	s_mov_b32 s0, 0
.LBB56_352:                             ; =>This Inner Loop Header: Depth=1
	scratch_load_b64 v[122:123], off, s16
	v_dual_mov_b32 v121, s18 :: v_dual_add_nc_u32 v120, -1, v120
	s_add_co_i32 s18, s18, 8
	s_wait_xcnt 0x0
	s_add_co_i32 s16, s16, 8
	ds_load_b64 v[124:125], v121
	v_cmp_eq_u32_e32 vcc_lo, 0, v120
	s_or_b32 s0, vcc_lo, s0
	s_wait_loadcnt_dscnt 0x0
	v_pk_mul_f32 v[126:127], v[124:125], v[122:123] op_sel:[1,1] op_sel_hi:[0,1]
	s_delay_alu instid0(VALU_DEP_1) | instskip(SKIP_1) | instid1(VALU_DEP_2)
	v_pk_fma_f32 v[128:129], v[124:125], v[122:123], v[126:127] op_sel_hi:[1,0,1]
	v_pk_fma_f32 v[122:123], v[124:125], v[122:123], v[126:127] neg_lo:[0,0,1] neg_hi:[0,0,1]
	v_mov_b32_e32 v123, v129
	s_delay_alu instid0(VALU_DEP_1)
	v_pk_add_f32 v[118:119], v[118:119], v[122:123]
	s_and_not1_b32 exec_lo, exec_lo, s0
	s_cbranch_execnz .LBB56_352
; %bb.353:
	s_or_b32 exec_lo, exec_lo, s0
.LBB56_354:
	s_delay_alu instid0(SALU_CYCLE_1) | instskip(SKIP_4) | instid1(VALU_DEP_1)
	s_or_b32 exec_lo, exec_lo, s17
	v_mov_b32_e32 v120, 0
	ds_load_b64 v[120:121], v120 offset:168
	s_wait_dscnt 0x0
	v_pk_mul_f32 v[122:123], v[118:119], v[120:121] op_sel:[1,1] op_sel_hi:[0,1]
	v_pk_fma_f32 v[124:125], v[118:119], v[120:121], v[122:123] op_sel_hi:[1,0,1]
	v_pk_fma_f32 v[118:119], v[118:119], v[120:121], v[122:123] neg_lo:[0,0,1] neg_hi:[0,0,1]
	s_delay_alu instid0(VALU_DEP_2)
	v_mov_b32_e32 v119, v125
	scratch_store_b64 off, v[118:119], off offset:168
.LBB56_355:
	s_wait_xcnt 0x0
	s_or_b32 exec_lo, exec_lo, s2
	scratch_load_b64 v[118:119], off, off offset:160
	v_cmp_lt_u32_e64 s0, 20, v0
	s_wait_loadcnt 0x0
	ds_store_b64 v1, v[118:119]
	s_wait_storecnt_dscnt 0x0
	s_barrier_signal -1
	s_barrier_wait -1
	s_wait_xcnt 0x0
	s_and_saveexec_b32 s2, s0
	s_cbranch_execz .LBB56_365
; %bb.356:
	s_and_not1_b32 vcc_lo, exec_lo, s3
	s_cbranch_vccnz .LBB56_358
; %bb.357:
	scratch_load_b64 v[118:119], v49, off
	ds_load_b64 v[120:121], v1
	s_wait_loadcnt_dscnt 0x0
	v_pk_mul_f32 v[122:123], v[120:121], v[118:119] op_sel:[1,1] op_sel_hi:[0,1]
	s_delay_alu instid0(VALU_DEP_1) | instskip(SKIP_1) | instid1(VALU_DEP_2)
	v_pk_fma_f32 v[124:125], v[120:121], v[118:119], v[122:123] op_sel_hi:[1,0,1]
	v_pk_fma_f32 v[118:119], v[120:121], v[118:119], v[122:123] neg_lo:[0,0,1] neg_hi:[0,0,1]
	v_mov_b32_e32 v119, v125
	s_cbranch_execz .LBB56_359
	s_branch .LBB56_360
.LBB56_358:
                                        ; implicit-def: $vgpr118_vgpr119
.LBB56_359:
	ds_load_b64 v[118:119], v1
.LBB56_360:
	s_and_saveexec_b32 s16, s1
	s_cbranch_execz .LBB56_364
; %bb.361:
	v_subrev_nc_u32_e32 v120, 21, v0
	s_movk_i32 s1, 0xa8
	s_movk_i32 s18, 0x278
	s_mov_b32 s17, 0
.LBB56_362:                             ; =>This Inner Loop Header: Depth=1
	scratch_load_b64 v[122:123], off, s1
	v_dual_mov_b32 v121, s18 :: v_dual_add_nc_u32 v120, -1, v120
	s_add_co_i32 s18, s18, 8
	s_wait_xcnt 0x0
	s_add_co_i32 s1, s1, 8
	ds_load_b64 v[124:125], v121
	v_cmp_eq_u32_e32 vcc_lo, 0, v120
	s_or_b32 s17, vcc_lo, s17
	s_wait_loadcnt_dscnt 0x0
	v_pk_mul_f32 v[126:127], v[124:125], v[122:123] op_sel:[1,1] op_sel_hi:[0,1]
	s_delay_alu instid0(VALU_DEP_1) | instskip(SKIP_1) | instid1(VALU_DEP_2)
	v_pk_fma_f32 v[128:129], v[124:125], v[122:123], v[126:127] op_sel_hi:[1,0,1]
	v_pk_fma_f32 v[122:123], v[124:125], v[122:123], v[126:127] neg_lo:[0,0,1] neg_hi:[0,0,1]
	v_mov_b32_e32 v123, v129
	s_delay_alu instid0(VALU_DEP_1)
	v_pk_add_f32 v[118:119], v[118:119], v[122:123]
	s_and_not1_b32 exec_lo, exec_lo, s17
	s_cbranch_execnz .LBB56_362
; %bb.363:
	s_or_b32 exec_lo, exec_lo, s17
.LBB56_364:
	s_delay_alu instid0(SALU_CYCLE_1) | instskip(SKIP_4) | instid1(VALU_DEP_1)
	s_or_b32 exec_lo, exec_lo, s16
	v_mov_b32_e32 v120, 0
	ds_load_b64 v[120:121], v120 offset:160
	s_wait_dscnt 0x0
	v_pk_mul_f32 v[122:123], v[118:119], v[120:121] op_sel:[1,1] op_sel_hi:[0,1]
	v_pk_fma_f32 v[124:125], v[118:119], v[120:121], v[122:123] op_sel_hi:[1,0,1]
	v_pk_fma_f32 v[118:119], v[118:119], v[120:121], v[122:123] neg_lo:[0,0,1] neg_hi:[0,0,1]
	s_delay_alu instid0(VALU_DEP_2)
	v_mov_b32_e32 v119, v125
	scratch_store_b64 off, v[118:119], off offset:160
.LBB56_365:
	s_wait_xcnt 0x0
	s_or_b32 exec_lo, exec_lo, s2
	scratch_load_b64 v[118:119], off, off offset:152
	v_cmp_lt_u32_e64 s1, 19, v0
	s_wait_loadcnt 0x0
	ds_store_b64 v1, v[118:119]
	s_wait_storecnt_dscnt 0x0
	s_barrier_signal -1
	s_barrier_wait -1
	s_wait_xcnt 0x0
	s_and_saveexec_b32 s2, s1
	s_cbranch_execz .LBB56_375
; %bb.366:
	s_and_not1_b32 vcc_lo, exec_lo, s3
	s_cbranch_vccnz .LBB56_368
; %bb.367:
	scratch_load_b64 v[118:119], v49, off
	ds_load_b64 v[120:121], v1
	s_wait_loadcnt_dscnt 0x0
	v_pk_mul_f32 v[122:123], v[120:121], v[118:119] op_sel:[1,1] op_sel_hi:[0,1]
	s_delay_alu instid0(VALU_DEP_1) | instskip(SKIP_1) | instid1(VALU_DEP_2)
	v_pk_fma_f32 v[124:125], v[120:121], v[118:119], v[122:123] op_sel_hi:[1,0,1]
	v_pk_fma_f32 v[118:119], v[120:121], v[118:119], v[122:123] neg_lo:[0,0,1] neg_hi:[0,0,1]
	v_mov_b32_e32 v119, v125
	s_cbranch_execz .LBB56_369
	s_branch .LBB56_370
.LBB56_368:
                                        ; implicit-def: $vgpr118_vgpr119
.LBB56_369:
	ds_load_b64 v[118:119], v1
.LBB56_370:
	s_and_saveexec_b32 s16, s0
	s_cbranch_execz .LBB56_374
; %bb.371:
	v_subrev_nc_u32_e32 v120, 20, v0
	s_movk_i32 s17, 0x270
	s_mov_b32 s0, 0
.LBB56_372:                             ; =>This Inner Loop Header: Depth=1
	scratch_load_b64 v[122:123], off, s15
	v_dual_mov_b32 v121, s17 :: v_dual_add_nc_u32 v120, -1, v120
	s_add_co_i32 s17, s17, 8
	s_wait_xcnt 0x0
	s_add_co_i32 s15, s15, 8
	ds_load_b64 v[124:125], v121
	v_cmp_eq_u32_e32 vcc_lo, 0, v120
	s_or_b32 s0, vcc_lo, s0
	s_wait_loadcnt_dscnt 0x0
	v_pk_mul_f32 v[126:127], v[124:125], v[122:123] op_sel:[1,1] op_sel_hi:[0,1]
	s_delay_alu instid0(VALU_DEP_1) | instskip(SKIP_1) | instid1(VALU_DEP_2)
	v_pk_fma_f32 v[128:129], v[124:125], v[122:123], v[126:127] op_sel_hi:[1,0,1]
	v_pk_fma_f32 v[122:123], v[124:125], v[122:123], v[126:127] neg_lo:[0,0,1] neg_hi:[0,0,1]
	v_mov_b32_e32 v123, v129
	s_delay_alu instid0(VALU_DEP_1)
	v_pk_add_f32 v[118:119], v[118:119], v[122:123]
	s_and_not1_b32 exec_lo, exec_lo, s0
	s_cbranch_execnz .LBB56_372
; %bb.373:
	s_or_b32 exec_lo, exec_lo, s0
.LBB56_374:
	s_delay_alu instid0(SALU_CYCLE_1) | instskip(SKIP_4) | instid1(VALU_DEP_1)
	s_or_b32 exec_lo, exec_lo, s16
	v_mov_b32_e32 v120, 0
	ds_load_b64 v[120:121], v120 offset:152
	s_wait_dscnt 0x0
	v_pk_mul_f32 v[122:123], v[118:119], v[120:121] op_sel:[1,1] op_sel_hi:[0,1]
	v_pk_fma_f32 v[124:125], v[118:119], v[120:121], v[122:123] op_sel_hi:[1,0,1]
	v_pk_fma_f32 v[118:119], v[118:119], v[120:121], v[122:123] neg_lo:[0,0,1] neg_hi:[0,0,1]
	s_delay_alu instid0(VALU_DEP_2)
	v_mov_b32_e32 v119, v125
	scratch_store_b64 off, v[118:119], off offset:152
.LBB56_375:
	s_wait_xcnt 0x0
	s_or_b32 exec_lo, exec_lo, s2
	scratch_load_b64 v[118:119], off, off offset:144
	v_cmp_lt_u32_e64 s0, 18, v0
	s_wait_loadcnt 0x0
	ds_store_b64 v1, v[118:119]
	s_wait_storecnt_dscnt 0x0
	s_barrier_signal -1
	s_barrier_wait -1
	s_wait_xcnt 0x0
	s_and_saveexec_b32 s2, s0
	s_cbranch_execz .LBB56_385
; %bb.376:
	s_and_not1_b32 vcc_lo, exec_lo, s3
	s_cbranch_vccnz .LBB56_378
; %bb.377:
	scratch_load_b64 v[118:119], v49, off
	ds_load_b64 v[120:121], v1
	s_wait_loadcnt_dscnt 0x0
	v_pk_mul_f32 v[122:123], v[120:121], v[118:119] op_sel:[1,1] op_sel_hi:[0,1]
	s_delay_alu instid0(VALU_DEP_1) | instskip(SKIP_1) | instid1(VALU_DEP_2)
	v_pk_fma_f32 v[124:125], v[120:121], v[118:119], v[122:123] op_sel_hi:[1,0,1]
	v_pk_fma_f32 v[118:119], v[120:121], v[118:119], v[122:123] neg_lo:[0,0,1] neg_hi:[0,0,1]
	v_mov_b32_e32 v119, v125
	s_cbranch_execz .LBB56_379
	s_branch .LBB56_380
.LBB56_378:
                                        ; implicit-def: $vgpr118_vgpr119
.LBB56_379:
	ds_load_b64 v[118:119], v1
.LBB56_380:
	s_and_saveexec_b32 s15, s1
	s_cbranch_execz .LBB56_384
; %bb.381:
	v_subrev_nc_u32_e32 v120, 19, v0
	s_movk_i32 s1, 0x98
	s_movk_i32 s17, 0x268
	s_mov_b32 s16, 0
.LBB56_382:                             ; =>This Inner Loop Header: Depth=1
	scratch_load_b64 v[122:123], off, s1
	v_dual_mov_b32 v121, s17 :: v_dual_add_nc_u32 v120, -1, v120
	s_add_co_i32 s17, s17, 8
	s_wait_xcnt 0x0
	s_add_co_i32 s1, s1, 8
	ds_load_b64 v[124:125], v121
	v_cmp_eq_u32_e32 vcc_lo, 0, v120
	s_or_b32 s16, vcc_lo, s16
	s_wait_loadcnt_dscnt 0x0
	v_pk_mul_f32 v[126:127], v[124:125], v[122:123] op_sel:[1,1] op_sel_hi:[0,1]
	s_delay_alu instid0(VALU_DEP_1) | instskip(SKIP_1) | instid1(VALU_DEP_2)
	v_pk_fma_f32 v[128:129], v[124:125], v[122:123], v[126:127] op_sel_hi:[1,0,1]
	v_pk_fma_f32 v[122:123], v[124:125], v[122:123], v[126:127] neg_lo:[0,0,1] neg_hi:[0,0,1]
	v_mov_b32_e32 v123, v129
	s_delay_alu instid0(VALU_DEP_1)
	v_pk_add_f32 v[118:119], v[118:119], v[122:123]
	s_and_not1_b32 exec_lo, exec_lo, s16
	s_cbranch_execnz .LBB56_382
; %bb.383:
	s_or_b32 exec_lo, exec_lo, s16
.LBB56_384:
	s_delay_alu instid0(SALU_CYCLE_1) | instskip(SKIP_4) | instid1(VALU_DEP_1)
	s_or_b32 exec_lo, exec_lo, s15
	v_mov_b32_e32 v120, 0
	ds_load_b64 v[120:121], v120 offset:144
	s_wait_dscnt 0x0
	v_pk_mul_f32 v[122:123], v[118:119], v[120:121] op_sel:[1,1] op_sel_hi:[0,1]
	v_pk_fma_f32 v[124:125], v[118:119], v[120:121], v[122:123] op_sel_hi:[1,0,1]
	v_pk_fma_f32 v[118:119], v[118:119], v[120:121], v[122:123] neg_lo:[0,0,1] neg_hi:[0,0,1]
	s_delay_alu instid0(VALU_DEP_2)
	v_mov_b32_e32 v119, v125
	scratch_store_b64 off, v[118:119], off offset:144
.LBB56_385:
	s_wait_xcnt 0x0
	s_or_b32 exec_lo, exec_lo, s2
	scratch_load_b64 v[118:119], off, off offset:136
	v_cmp_lt_u32_e64 s1, 17, v0
	s_wait_loadcnt 0x0
	ds_store_b64 v1, v[118:119]
	s_wait_storecnt_dscnt 0x0
	s_barrier_signal -1
	s_barrier_wait -1
	s_wait_xcnt 0x0
	s_and_saveexec_b32 s2, s1
	s_cbranch_execz .LBB56_395
; %bb.386:
	s_and_not1_b32 vcc_lo, exec_lo, s3
	s_cbranch_vccnz .LBB56_388
; %bb.387:
	scratch_load_b64 v[118:119], v49, off
	ds_load_b64 v[120:121], v1
	s_wait_loadcnt_dscnt 0x0
	v_pk_mul_f32 v[122:123], v[120:121], v[118:119] op_sel:[1,1] op_sel_hi:[0,1]
	s_delay_alu instid0(VALU_DEP_1) | instskip(SKIP_1) | instid1(VALU_DEP_2)
	v_pk_fma_f32 v[124:125], v[120:121], v[118:119], v[122:123] op_sel_hi:[1,0,1]
	v_pk_fma_f32 v[118:119], v[120:121], v[118:119], v[122:123] neg_lo:[0,0,1] neg_hi:[0,0,1]
	v_mov_b32_e32 v119, v125
	s_cbranch_execz .LBB56_389
	s_branch .LBB56_390
.LBB56_388:
                                        ; implicit-def: $vgpr118_vgpr119
.LBB56_389:
	ds_load_b64 v[118:119], v1
.LBB56_390:
	s_and_saveexec_b32 s15, s0
	s_cbranch_execz .LBB56_394
; %bb.391:
	v_subrev_nc_u32_e32 v120, 18, v0
	s_movk_i32 s16, 0x260
	s_mov_b32 s0, 0
.LBB56_392:                             ; =>This Inner Loop Header: Depth=1
	scratch_load_b64 v[122:123], off, s14
	v_dual_mov_b32 v121, s16 :: v_dual_add_nc_u32 v120, -1, v120
	s_add_co_i32 s16, s16, 8
	s_wait_xcnt 0x0
	s_add_co_i32 s14, s14, 8
	ds_load_b64 v[124:125], v121
	v_cmp_eq_u32_e32 vcc_lo, 0, v120
	s_or_b32 s0, vcc_lo, s0
	s_wait_loadcnt_dscnt 0x0
	v_pk_mul_f32 v[126:127], v[124:125], v[122:123] op_sel:[1,1] op_sel_hi:[0,1]
	s_delay_alu instid0(VALU_DEP_1) | instskip(SKIP_1) | instid1(VALU_DEP_2)
	v_pk_fma_f32 v[128:129], v[124:125], v[122:123], v[126:127] op_sel_hi:[1,0,1]
	v_pk_fma_f32 v[122:123], v[124:125], v[122:123], v[126:127] neg_lo:[0,0,1] neg_hi:[0,0,1]
	v_mov_b32_e32 v123, v129
	s_delay_alu instid0(VALU_DEP_1)
	v_pk_add_f32 v[118:119], v[118:119], v[122:123]
	s_and_not1_b32 exec_lo, exec_lo, s0
	s_cbranch_execnz .LBB56_392
; %bb.393:
	s_or_b32 exec_lo, exec_lo, s0
.LBB56_394:
	s_delay_alu instid0(SALU_CYCLE_1) | instskip(SKIP_4) | instid1(VALU_DEP_1)
	s_or_b32 exec_lo, exec_lo, s15
	v_mov_b32_e32 v120, 0
	ds_load_b64 v[120:121], v120 offset:136
	s_wait_dscnt 0x0
	v_pk_mul_f32 v[122:123], v[118:119], v[120:121] op_sel:[1,1] op_sel_hi:[0,1]
	v_pk_fma_f32 v[124:125], v[118:119], v[120:121], v[122:123] op_sel_hi:[1,0,1]
	v_pk_fma_f32 v[118:119], v[118:119], v[120:121], v[122:123] neg_lo:[0,0,1] neg_hi:[0,0,1]
	s_delay_alu instid0(VALU_DEP_2)
	v_mov_b32_e32 v119, v125
	scratch_store_b64 off, v[118:119], off offset:136
.LBB56_395:
	s_wait_xcnt 0x0
	s_or_b32 exec_lo, exec_lo, s2
	scratch_load_b64 v[118:119], off, off offset:128
	v_cmp_lt_u32_e64 s0, 16, v0
	s_wait_loadcnt 0x0
	ds_store_b64 v1, v[118:119]
	s_wait_storecnt_dscnt 0x0
	s_barrier_signal -1
	s_barrier_wait -1
	s_wait_xcnt 0x0
	s_and_saveexec_b32 s2, s0
	s_cbranch_execz .LBB56_405
; %bb.396:
	s_and_not1_b32 vcc_lo, exec_lo, s3
	s_cbranch_vccnz .LBB56_398
; %bb.397:
	scratch_load_b64 v[118:119], v49, off
	ds_load_b64 v[120:121], v1
	s_wait_loadcnt_dscnt 0x0
	v_pk_mul_f32 v[122:123], v[120:121], v[118:119] op_sel:[1,1] op_sel_hi:[0,1]
	s_delay_alu instid0(VALU_DEP_1) | instskip(SKIP_1) | instid1(VALU_DEP_2)
	v_pk_fma_f32 v[124:125], v[120:121], v[118:119], v[122:123] op_sel_hi:[1,0,1]
	v_pk_fma_f32 v[118:119], v[120:121], v[118:119], v[122:123] neg_lo:[0,0,1] neg_hi:[0,0,1]
	v_mov_b32_e32 v119, v125
	s_cbranch_execz .LBB56_399
	s_branch .LBB56_400
.LBB56_398:
                                        ; implicit-def: $vgpr118_vgpr119
.LBB56_399:
	ds_load_b64 v[118:119], v1
.LBB56_400:
	s_and_saveexec_b32 s14, s1
	s_cbranch_execz .LBB56_404
; %bb.401:
	v_subrev_nc_u32_e32 v120, 17, v0
	s_movk_i32 s1, 0x88
	s_movk_i32 s16, 0x258
	s_mov_b32 s15, 0
.LBB56_402:                             ; =>This Inner Loop Header: Depth=1
	scratch_load_b64 v[122:123], off, s1
	v_dual_mov_b32 v121, s16 :: v_dual_add_nc_u32 v120, -1, v120
	s_add_co_i32 s16, s16, 8
	s_wait_xcnt 0x0
	s_add_co_i32 s1, s1, 8
	ds_load_b64 v[124:125], v121
	v_cmp_eq_u32_e32 vcc_lo, 0, v120
	s_or_b32 s15, vcc_lo, s15
	s_wait_loadcnt_dscnt 0x0
	v_pk_mul_f32 v[126:127], v[124:125], v[122:123] op_sel:[1,1] op_sel_hi:[0,1]
	s_delay_alu instid0(VALU_DEP_1) | instskip(SKIP_1) | instid1(VALU_DEP_2)
	v_pk_fma_f32 v[128:129], v[124:125], v[122:123], v[126:127] op_sel_hi:[1,0,1]
	v_pk_fma_f32 v[122:123], v[124:125], v[122:123], v[126:127] neg_lo:[0,0,1] neg_hi:[0,0,1]
	v_mov_b32_e32 v123, v129
	s_delay_alu instid0(VALU_DEP_1)
	v_pk_add_f32 v[118:119], v[118:119], v[122:123]
	s_and_not1_b32 exec_lo, exec_lo, s15
	s_cbranch_execnz .LBB56_402
; %bb.403:
	s_or_b32 exec_lo, exec_lo, s15
.LBB56_404:
	s_delay_alu instid0(SALU_CYCLE_1) | instskip(SKIP_4) | instid1(VALU_DEP_1)
	s_or_b32 exec_lo, exec_lo, s14
	v_mov_b32_e32 v120, 0
	ds_load_b64 v[120:121], v120 offset:128
	s_wait_dscnt 0x0
	v_pk_mul_f32 v[122:123], v[118:119], v[120:121] op_sel:[1,1] op_sel_hi:[0,1]
	v_pk_fma_f32 v[124:125], v[118:119], v[120:121], v[122:123] op_sel_hi:[1,0,1]
	v_pk_fma_f32 v[118:119], v[118:119], v[120:121], v[122:123] neg_lo:[0,0,1] neg_hi:[0,0,1]
	s_delay_alu instid0(VALU_DEP_2)
	v_mov_b32_e32 v119, v125
	scratch_store_b64 off, v[118:119], off offset:128
.LBB56_405:
	s_wait_xcnt 0x0
	s_or_b32 exec_lo, exec_lo, s2
	scratch_load_b64 v[118:119], off, off offset:120
	v_cmp_lt_u32_e64 s1, 15, v0
	s_wait_loadcnt 0x0
	ds_store_b64 v1, v[118:119]
	s_wait_storecnt_dscnt 0x0
	s_barrier_signal -1
	s_barrier_wait -1
	s_wait_xcnt 0x0
	s_and_saveexec_b32 s2, s1
	s_cbranch_execz .LBB56_415
; %bb.406:
	s_and_not1_b32 vcc_lo, exec_lo, s3
	s_cbranch_vccnz .LBB56_408
; %bb.407:
	scratch_load_b64 v[118:119], v49, off
	ds_load_b64 v[120:121], v1
	s_wait_loadcnt_dscnt 0x0
	v_pk_mul_f32 v[122:123], v[120:121], v[118:119] op_sel:[1,1] op_sel_hi:[0,1]
	s_delay_alu instid0(VALU_DEP_1) | instskip(SKIP_1) | instid1(VALU_DEP_2)
	v_pk_fma_f32 v[124:125], v[120:121], v[118:119], v[122:123] op_sel_hi:[1,0,1]
	v_pk_fma_f32 v[118:119], v[120:121], v[118:119], v[122:123] neg_lo:[0,0,1] neg_hi:[0,0,1]
	v_mov_b32_e32 v119, v125
	s_cbranch_execz .LBB56_409
	s_branch .LBB56_410
.LBB56_408:
                                        ; implicit-def: $vgpr118_vgpr119
.LBB56_409:
	ds_load_b64 v[118:119], v1
.LBB56_410:
	s_and_saveexec_b32 s14, s0
	s_cbranch_execz .LBB56_414
; %bb.411:
	v_add_nc_u32_e32 v120, -16, v0
	s_movk_i32 s15, 0x250
	s_mov_b32 s0, 0
.LBB56_412:                             ; =>This Inner Loop Header: Depth=1
	scratch_load_b64 v[122:123], off, s13
	v_dual_mov_b32 v121, s15 :: v_dual_add_nc_u32 v120, -1, v120
	s_add_co_i32 s15, s15, 8
	s_wait_xcnt 0x0
	s_add_co_i32 s13, s13, 8
	ds_load_b64 v[124:125], v121
	v_cmp_eq_u32_e32 vcc_lo, 0, v120
	s_or_b32 s0, vcc_lo, s0
	s_wait_loadcnt_dscnt 0x0
	v_pk_mul_f32 v[126:127], v[124:125], v[122:123] op_sel:[1,1] op_sel_hi:[0,1]
	s_delay_alu instid0(VALU_DEP_1) | instskip(SKIP_1) | instid1(VALU_DEP_2)
	v_pk_fma_f32 v[128:129], v[124:125], v[122:123], v[126:127] op_sel_hi:[1,0,1]
	v_pk_fma_f32 v[122:123], v[124:125], v[122:123], v[126:127] neg_lo:[0,0,1] neg_hi:[0,0,1]
	v_mov_b32_e32 v123, v129
	s_delay_alu instid0(VALU_DEP_1)
	v_pk_add_f32 v[118:119], v[118:119], v[122:123]
	s_and_not1_b32 exec_lo, exec_lo, s0
	s_cbranch_execnz .LBB56_412
; %bb.413:
	s_or_b32 exec_lo, exec_lo, s0
.LBB56_414:
	s_delay_alu instid0(SALU_CYCLE_1) | instskip(SKIP_4) | instid1(VALU_DEP_1)
	s_or_b32 exec_lo, exec_lo, s14
	v_mov_b32_e32 v120, 0
	ds_load_b64 v[120:121], v120 offset:120
	s_wait_dscnt 0x0
	v_pk_mul_f32 v[122:123], v[118:119], v[120:121] op_sel:[1,1] op_sel_hi:[0,1]
	v_pk_fma_f32 v[124:125], v[118:119], v[120:121], v[122:123] op_sel_hi:[1,0,1]
	v_pk_fma_f32 v[118:119], v[118:119], v[120:121], v[122:123] neg_lo:[0,0,1] neg_hi:[0,0,1]
	s_delay_alu instid0(VALU_DEP_2)
	v_mov_b32_e32 v119, v125
	scratch_store_b64 off, v[118:119], off offset:120
.LBB56_415:
	s_wait_xcnt 0x0
	s_or_b32 exec_lo, exec_lo, s2
	scratch_load_b64 v[118:119], off, off offset:112
	v_cmp_lt_u32_e64 s0, 14, v0
	s_wait_loadcnt 0x0
	ds_store_b64 v1, v[118:119]
	s_wait_storecnt_dscnt 0x0
	s_barrier_signal -1
	s_barrier_wait -1
	s_wait_xcnt 0x0
	s_and_saveexec_b32 s2, s0
	s_cbranch_execz .LBB56_425
; %bb.416:
	s_and_not1_b32 vcc_lo, exec_lo, s3
	s_cbranch_vccnz .LBB56_418
; %bb.417:
	scratch_load_b64 v[118:119], v49, off
	ds_load_b64 v[120:121], v1
	s_wait_loadcnt_dscnt 0x0
	v_pk_mul_f32 v[122:123], v[120:121], v[118:119] op_sel:[1,1] op_sel_hi:[0,1]
	s_delay_alu instid0(VALU_DEP_1) | instskip(SKIP_1) | instid1(VALU_DEP_2)
	v_pk_fma_f32 v[124:125], v[120:121], v[118:119], v[122:123] op_sel_hi:[1,0,1]
	v_pk_fma_f32 v[118:119], v[120:121], v[118:119], v[122:123] neg_lo:[0,0,1] neg_hi:[0,0,1]
	v_mov_b32_e32 v119, v125
	s_cbranch_execz .LBB56_419
	s_branch .LBB56_420
.LBB56_418:
                                        ; implicit-def: $vgpr118_vgpr119
.LBB56_419:
	ds_load_b64 v[118:119], v1
.LBB56_420:
	s_and_saveexec_b32 s13, s1
	s_cbranch_execz .LBB56_424
; %bb.421:
	v_add_nc_u32_e32 v120, -15, v0
	s_movk_i32 s1, 0x78
	s_movk_i32 s15, 0x248
	s_mov_b32 s14, 0
.LBB56_422:                             ; =>This Inner Loop Header: Depth=1
	scratch_load_b64 v[122:123], off, s1
	v_dual_mov_b32 v121, s15 :: v_dual_add_nc_u32 v120, -1, v120
	s_add_co_i32 s15, s15, 8
	s_wait_xcnt 0x0
	s_add_co_i32 s1, s1, 8
	ds_load_b64 v[124:125], v121
	v_cmp_eq_u32_e32 vcc_lo, 0, v120
	s_or_b32 s14, vcc_lo, s14
	s_wait_loadcnt_dscnt 0x0
	v_pk_mul_f32 v[126:127], v[124:125], v[122:123] op_sel:[1,1] op_sel_hi:[0,1]
	s_delay_alu instid0(VALU_DEP_1) | instskip(SKIP_1) | instid1(VALU_DEP_2)
	v_pk_fma_f32 v[128:129], v[124:125], v[122:123], v[126:127] op_sel_hi:[1,0,1]
	v_pk_fma_f32 v[122:123], v[124:125], v[122:123], v[126:127] neg_lo:[0,0,1] neg_hi:[0,0,1]
	v_mov_b32_e32 v123, v129
	s_delay_alu instid0(VALU_DEP_1)
	v_pk_add_f32 v[118:119], v[118:119], v[122:123]
	s_and_not1_b32 exec_lo, exec_lo, s14
	s_cbranch_execnz .LBB56_422
; %bb.423:
	s_or_b32 exec_lo, exec_lo, s14
.LBB56_424:
	s_delay_alu instid0(SALU_CYCLE_1) | instskip(SKIP_4) | instid1(VALU_DEP_1)
	s_or_b32 exec_lo, exec_lo, s13
	v_mov_b32_e32 v120, 0
	ds_load_b64 v[120:121], v120 offset:112
	s_wait_dscnt 0x0
	v_pk_mul_f32 v[122:123], v[118:119], v[120:121] op_sel:[1,1] op_sel_hi:[0,1]
	v_pk_fma_f32 v[124:125], v[118:119], v[120:121], v[122:123] op_sel_hi:[1,0,1]
	v_pk_fma_f32 v[118:119], v[118:119], v[120:121], v[122:123] neg_lo:[0,0,1] neg_hi:[0,0,1]
	s_delay_alu instid0(VALU_DEP_2)
	v_mov_b32_e32 v119, v125
	scratch_store_b64 off, v[118:119], off offset:112
.LBB56_425:
	s_wait_xcnt 0x0
	s_or_b32 exec_lo, exec_lo, s2
	scratch_load_b64 v[118:119], off, off offset:104
	v_cmp_lt_u32_e64 s1, 13, v0
	s_wait_loadcnt 0x0
	ds_store_b64 v1, v[118:119]
	s_wait_storecnt_dscnt 0x0
	s_barrier_signal -1
	s_barrier_wait -1
	s_wait_xcnt 0x0
	s_and_saveexec_b32 s2, s1
	s_cbranch_execz .LBB56_435
; %bb.426:
	s_and_not1_b32 vcc_lo, exec_lo, s3
	s_cbranch_vccnz .LBB56_428
; %bb.427:
	scratch_load_b64 v[118:119], v49, off
	ds_load_b64 v[120:121], v1
	s_wait_loadcnt_dscnt 0x0
	v_pk_mul_f32 v[122:123], v[120:121], v[118:119] op_sel:[1,1] op_sel_hi:[0,1]
	s_delay_alu instid0(VALU_DEP_1) | instskip(SKIP_1) | instid1(VALU_DEP_2)
	v_pk_fma_f32 v[124:125], v[120:121], v[118:119], v[122:123] op_sel_hi:[1,0,1]
	v_pk_fma_f32 v[118:119], v[120:121], v[118:119], v[122:123] neg_lo:[0,0,1] neg_hi:[0,0,1]
	v_mov_b32_e32 v119, v125
	s_cbranch_execz .LBB56_429
	s_branch .LBB56_430
.LBB56_428:
                                        ; implicit-def: $vgpr118_vgpr119
.LBB56_429:
	ds_load_b64 v[118:119], v1
.LBB56_430:
	s_and_saveexec_b32 s13, s0
	s_cbranch_execz .LBB56_434
; %bb.431:
	v_add_nc_u32_e32 v120, -14, v0
	s_movk_i32 s14, 0x240
	s_mov_b32 s0, 0
.LBB56_432:                             ; =>This Inner Loop Header: Depth=1
	scratch_load_b64 v[122:123], off, s12
	v_dual_mov_b32 v121, s14 :: v_dual_add_nc_u32 v120, -1, v120
	s_add_co_i32 s14, s14, 8
	s_wait_xcnt 0x0
	s_add_co_i32 s12, s12, 8
	ds_load_b64 v[124:125], v121
	v_cmp_eq_u32_e32 vcc_lo, 0, v120
	s_or_b32 s0, vcc_lo, s0
	s_wait_loadcnt_dscnt 0x0
	v_pk_mul_f32 v[126:127], v[124:125], v[122:123] op_sel:[1,1] op_sel_hi:[0,1]
	s_delay_alu instid0(VALU_DEP_1) | instskip(SKIP_1) | instid1(VALU_DEP_2)
	v_pk_fma_f32 v[128:129], v[124:125], v[122:123], v[126:127] op_sel_hi:[1,0,1]
	v_pk_fma_f32 v[122:123], v[124:125], v[122:123], v[126:127] neg_lo:[0,0,1] neg_hi:[0,0,1]
	v_mov_b32_e32 v123, v129
	s_delay_alu instid0(VALU_DEP_1)
	v_pk_add_f32 v[118:119], v[118:119], v[122:123]
	s_and_not1_b32 exec_lo, exec_lo, s0
	s_cbranch_execnz .LBB56_432
; %bb.433:
	s_or_b32 exec_lo, exec_lo, s0
.LBB56_434:
	s_delay_alu instid0(SALU_CYCLE_1) | instskip(SKIP_4) | instid1(VALU_DEP_1)
	s_or_b32 exec_lo, exec_lo, s13
	v_mov_b32_e32 v120, 0
	ds_load_b64 v[120:121], v120 offset:104
	s_wait_dscnt 0x0
	v_pk_mul_f32 v[122:123], v[118:119], v[120:121] op_sel:[1,1] op_sel_hi:[0,1]
	v_pk_fma_f32 v[124:125], v[118:119], v[120:121], v[122:123] op_sel_hi:[1,0,1]
	v_pk_fma_f32 v[118:119], v[118:119], v[120:121], v[122:123] neg_lo:[0,0,1] neg_hi:[0,0,1]
	s_delay_alu instid0(VALU_DEP_2)
	v_mov_b32_e32 v119, v125
	scratch_store_b64 off, v[118:119], off offset:104
.LBB56_435:
	s_wait_xcnt 0x0
	s_or_b32 exec_lo, exec_lo, s2
	scratch_load_b64 v[118:119], off, off offset:96
	v_cmp_lt_u32_e64 s0, 12, v0
	s_wait_loadcnt 0x0
	ds_store_b64 v1, v[118:119]
	s_wait_storecnt_dscnt 0x0
	s_barrier_signal -1
	s_barrier_wait -1
	s_wait_xcnt 0x0
	s_and_saveexec_b32 s2, s0
	s_cbranch_execz .LBB56_445
; %bb.436:
	s_and_not1_b32 vcc_lo, exec_lo, s3
	s_cbranch_vccnz .LBB56_438
; %bb.437:
	scratch_load_b64 v[118:119], v49, off
	ds_load_b64 v[120:121], v1
	s_wait_loadcnt_dscnt 0x0
	v_pk_mul_f32 v[122:123], v[120:121], v[118:119] op_sel:[1,1] op_sel_hi:[0,1]
	s_delay_alu instid0(VALU_DEP_1) | instskip(SKIP_1) | instid1(VALU_DEP_2)
	v_pk_fma_f32 v[124:125], v[120:121], v[118:119], v[122:123] op_sel_hi:[1,0,1]
	v_pk_fma_f32 v[118:119], v[120:121], v[118:119], v[122:123] neg_lo:[0,0,1] neg_hi:[0,0,1]
	v_mov_b32_e32 v119, v125
	s_cbranch_execz .LBB56_439
	s_branch .LBB56_440
.LBB56_438:
                                        ; implicit-def: $vgpr118_vgpr119
.LBB56_439:
	ds_load_b64 v[118:119], v1
.LBB56_440:
	s_and_saveexec_b32 s12, s1
	s_cbranch_execz .LBB56_444
; %bb.441:
	v_add_nc_u32_e32 v120, -13, v0
	s_movk_i32 s1, 0x68
	s_movk_i32 s14, 0x238
	s_mov_b32 s13, 0
.LBB56_442:                             ; =>This Inner Loop Header: Depth=1
	scratch_load_b64 v[122:123], off, s1
	v_dual_mov_b32 v121, s14 :: v_dual_add_nc_u32 v120, -1, v120
	s_add_co_i32 s14, s14, 8
	s_wait_xcnt 0x0
	s_add_co_i32 s1, s1, 8
	ds_load_b64 v[124:125], v121
	v_cmp_eq_u32_e32 vcc_lo, 0, v120
	s_or_b32 s13, vcc_lo, s13
	s_wait_loadcnt_dscnt 0x0
	v_pk_mul_f32 v[126:127], v[124:125], v[122:123] op_sel:[1,1] op_sel_hi:[0,1]
	s_delay_alu instid0(VALU_DEP_1) | instskip(SKIP_1) | instid1(VALU_DEP_2)
	v_pk_fma_f32 v[128:129], v[124:125], v[122:123], v[126:127] op_sel_hi:[1,0,1]
	v_pk_fma_f32 v[122:123], v[124:125], v[122:123], v[126:127] neg_lo:[0,0,1] neg_hi:[0,0,1]
	v_mov_b32_e32 v123, v129
	s_delay_alu instid0(VALU_DEP_1)
	v_pk_add_f32 v[118:119], v[118:119], v[122:123]
	s_and_not1_b32 exec_lo, exec_lo, s13
	s_cbranch_execnz .LBB56_442
; %bb.443:
	s_or_b32 exec_lo, exec_lo, s13
.LBB56_444:
	s_delay_alu instid0(SALU_CYCLE_1) | instskip(SKIP_4) | instid1(VALU_DEP_1)
	s_or_b32 exec_lo, exec_lo, s12
	v_mov_b32_e32 v120, 0
	ds_load_b64 v[120:121], v120 offset:96
	s_wait_dscnt 0x0
	v_pk_mul_f32 v[122:123], v[118:119], v[120:121] op_sel:[1,1] op_sel_hi:[0,1]
	v_pk_fma_f32 v[124:125], v[118:119], v[120:121], v[122:123] op_sel_hi:[1,0,1]
	v_pk_fma_f32 v[118:119], v[118:119], v[120:121], v[122:123] neg_lo:[0,0,1] neg_hi:[0,0,1]
	s_delay_alu instid0(VALU_DEP_2)
	v_mov_b32_e32 v119, v125
	scratch_store_b64 off, v[118:119], off offset:96
.LBB56_445:
	s_wait_xcnt 0x0
	s_or_b32 exec_lo, exec_lo, s2
	scratch_load_b64 v[118:119], off, off offset:88
	v_cmp_lt_u32_e64 s1, 11, v0
	s_wait_loadcnt 0x0
	ds_store_b64 v1, v[118:119]
	s_wait_storecnt_dscnt 0x0
	s_barrier_signal -1
	s_barrier_wait -1
	s_wait_xcnt 0x0
	s_and_saveexec_b32 s2, s1
	s_cbranch_execz .LBB56_455
; %bb.446:
	s_and_not1_b32 vcc_lo, exec_lo, s3
	s_cbranch_vccnz .LBB56_448
; %bb.447:
	scratch_load_b64 v[118:119], v49, off
	ds_load_b64 v[120:121], v1
	s_wait_loadcnt_dscnt 0x0
	v_pk_mul_f32 v[122:123], v[120:121], v[118:119] op_sel:[1,1] op_sel_hi:[0,1]
	s_delay_alu instid0(VALU_DEP_1) | instskip(SKIP_1) | instid1(VALU_DEP_2)
	v_pk_fma_f32 v[124:125], v[120:121], v[118:119], v[122:123] op_sel_hi:[1,0,1]
	v_pk_fma_f32 v[118:119], v[120:121], v[118:119], v[122:123] neg_lo:[0,0,1] neg_hi:[0,0,1]
	v_mov_b32_e32 v119, v125
	s_cbranch_execz .LBB56_449
	s_branch .LBB56_450
.LBB56_448:
                                        ; implicit-def: $vgpr118_vgpr119
.LBB56_449:
	ds_load_b64 v[118:119], v1
.LBB56_450:
	s_and_saveexec_b32 s12, s0
	s_cbranch_execz .LBB56_454
; %bb.451:
	v_add_nc_u32_e32 v120, -12, v0
	s_movk_i32 s13, 0x230
	s_mov_b32 s0, 0
.LBB56_452:                             ; =>This Inner Loop Header: Depth=1
	scratch_load_b64 v[122:123], off, s11
	v_dual_mov_b32 v121, s13 :: v_dual_add_nc_u32 v120, -1, v120
	s_add_co_i32 s13, s13, 8
	s_wait_xcnt 0x0
	s_add_co_i32 s11, s11, 8
	ds_load_b64 v[124:125], v121
	v_cmp_eq_u32_e32 vcc_lo, 0, v120
	s_or_b32 s0, vcc_lo, s0
	s_wait_loadcnt_dscnt 0x0
	v_pk_mul_f32 v[126:127], v[124:125], v[122:123] op_sel:[1,1] op_sel_hi:[0,1]
	s_delay_alu instid0(VALU_DEP_1) | instskip(SKIP_1) | instid1(VALU_DEP_2)
	v_pk_fma_f32 v[128:129], v[124:125], v[122:123], v[126:127] op_sel_hi:[1,0,1]
	v_pk_fma_f32 v[122:123], v[124:125], v[122:123], v[126:127] neg_lo:[0,0,1] neg_hi:[0,0,1]
	v_mov_b32_e32 v123, v129
	s_delay_alu instid0(VALU_DEP_1)
	v_pk_add_f32 v[118:119], v[118:119], v[122:123]
	s_and_not1_b32 exec_lo, exec_lo, s0
	s_cbranch_execnz .LBB56_452
; %bb.453:
	s_or_b32 exec_lo, exec_lo, s0
.LBB56_454:
	s_delay_alu instid0(SALU_CYCLE_1) | instskip(SKIP_4) | instid1(VALU_DEP_1)
	s_or_b32 exec_lo, exec_lo, s12
	v_mov_b32_e32 v120, 0
	ds_load_b64 v[120:121], v120 offset:88
	s_wait_dscnt 0x0
	v_pk_mul_f32 v[122:123], v[118:119], v[120:121] op_sel:[1,1] op_sel_hi:[0,1]
	v_pk_fma_f32 v[124:125], v[118:119], v[120:121], v[122:123] op_sel_hi:[1,0,1]
	v_pk_fma_f32 v[118:119], v[118:119], v[120:121], v[122:123] neg_lo:[0,0,1] neg_hi:[0,0,1]
	s_delay_alu instid0(VALU_DEP_2)
	v_mov_b32_e32 v119, v125
	scratch_store_b64 off, v[118:119], off offset:88
.LBB56_455:
	s_wait_xcnt 0x0
	s_or_b32 exec_lo, exec_lo, s2
	scratch_load_b64 v[118:119], off, off offset:80
	v_cmp_lt_u32_e64 s0, 10, v0
	s_wait_loadcnt 0x0
	ds_store_b64 v1, v[118:119]
	s_wait_storecnt_dscnt 0x0
	s_barrier_signal -1
	s_barrier_wait -1
	s_wait_xcnt 0x0
	s_and_saveexec_b32 s2, s0
	s_cbranch_execz .LBB56_465
; %bb.456:
	s_and_not1_b32 vcc_lo, exec_lo, s3
	s_cbranch_vccnz .LBB56_458
; %bb.457:
	scratch_load_b64 v[118:119], v49, off
	ds_load_b64 v[120:121], v1
	s_wait_loadcnt_dscnt 0x0
	v_pk_mul_f32 v[122:123], v[120:121], v[118:119] op_sel:[1,1] op_sel_hi:[0,1]
	s_delay_alu instid0(VALU_DEP_1) | instskip(SKIP_1) | instid1(VALU_DEP_2)
	v_pk_fma_f32 v[124:125], v[120:121], v[118:119], v[122:123] op_sel_hi:[1,0,1]
	v_pk_fma_f32 v[118:119], v[120:121], v[118:119], v[122:123] neg_lo:[0,0,1] neg_hi:[0,0,1]
	v_mov_b32_e32 v119, v125
	s_cbranch_execz .LBB56_459
	s_branch .LBB56_460
.LBB56_458:
                                        ; implicit-def: $vgpr118_vgpr119
.LBB56_459:
	ds_load_b64 v[118:119], v1
.LBB56_460:
	s_and_saveexec_b32 s11, s1
	s_cbranch_execz .LBB56_464
; %bb.461:
	v_add_nc_u32_e32 v120, -11, v0
	s_movk_i32 s1, 0x58
	s_movk_i32 s13, 0x228
	s_mov_b32 s12, 0
.LBB56_462:                             ; =>This Inner Loop Header: Depth=1
	scratch_load_b64 v[122:123], off, s1
	v_dual_mov_b32 v121, s13 :: v_dual_add_nc_u32 v120, -1, v120
	s_add_co_i32 s13, s13, 8
	s_wait_xcnt 0x0
	s_add_co_i32 s1, s1, 8
	ds_load_b64 v[124:125], v121
	v_cmp_eq_u32_e32 vcc_lo, 0, v120
	s_or_b32 s12, vcc_lo, s12
	s_wait_loadcnt_dscnt 0x0
	v_pk_mul_f32 v[126:127], v[124:125], v[122:123] op_sel:[1,1] op_sel_hi:[0,1]
	s_delay_alu instid0(VALU_DEP_1) | instskip(SKIP_1) | instid1(VALU_DEP_2)
	v_pk_fma_f32 v[128:129], v[124:125], v[122:123], v[126:127] op_sel_hi:[1,0,1]
	v_pk_fma_f32 v[122:123], v[124:125], v[122:123], v[126:127] neg_lo:[0,0,1] neg_hi:[0,0,1]
	v_mov_b32_e32 v123, v129
	s_delay_alu instid0(VALU_DEP_1)
	v_pk_add_f32 v[118:119], v[118:119], v[122:123]
	s_and_not1_b32 exec_lo, exec_lo, s12
	s_cbranch_execnz .LBB56_462
; %bb.463:
	s_or_b32 exec_lo, exec_lo, s12
.LBB56_464:
	s_delay_alu instid0(SALU_CYCLE_1) | instskip(SKIP_4) | instid1(VALU_DEP_1)
	s_or_b32 exec_lo, exec_lo, s11
	v_mov_b32_e32 v120, 0
	ds_load_b64 v[120:121], v120 offset:80
	s_wait_dscnt 0x0
	v_pk_mul_f32 v[122:123], v[118:119], v[120:121] op_sel:[1,1] op_sel_hi:[0,1]
	v_pk_fma_f32 v[124:125], v[118:119], v[120:121], v[122:123] op_sel_hi:[1,0,1]
	v_pk_fma_f32 v[118:119], v[118:119], v[120:121], v[122:123] neg_lo:[0,0,1] neg_hi:[0,0,1]
	s_delay_alu instid0(VALU_DEP_2)
	v_mov_b32_e32 v119, v125
	scratch_store_b64 off, v[118:119], off offset:80
.LBB56_465:
	s_wait_xcnt 0x0
	s_or_b32 exec_lo, exec_lo, s2
	scratch_load_b64 v[118:119], off, off offset:72
	v_cmp_lt_u32_e64 s1, 9, v0
	s_wait_loadcnt 0x0
	ds_store_b64 v1, v[118:119]
	s_wait_storecnt_dscnt 0x0
	s_barrier_signal -1
	s_barrier_wait -1
	s_wait_xcnt 0x0
	s_and_saveexec_b32 s2, s1
	s_cbranch_execz .LBB56_475
; %bb.466:
	s_and_not1_b32 vcc_lo, exec_lo, s3
	s_cbranch_vccnz .LBB56_468
; %bb.467:
	scratch_load_b64 v[118:119], v49, off
	ds_load_b64 v[120:121], v1
	s_wait_loadcnt_dscnt 0x0
	v_pk_mul_f32 v[122:123], v[120:121], v[118:119] op_sel:[1,1] op_sel_hi:[0,1]
	s_delay_alu instid0(VALU_DEP_1) | instskip(SKIP_1) | instid1(VALU_DEP_2)
	v_pk_fma_f32 v[124:125], v[120:121], v[118:119], v[122:123] op_sel_hi:[1,0,1]
	v_pk_fma_f32 v[118:119], v[120:121], v[118:119], v[122:123] neg_lo:[0,0,1] neg_hi:[0,0,1]
	v_mov_b32_e32 v119, v125
	s_cbranch_execz .LBB56_469
	s_branch .LBB56_470
.LBB56_468:
                                        ; implicit-def: $vgpr118_vgpr119
.LBB56_469:
	ds_load_b64 v[118:119], v1
.LBB56_470:
	s_and_saveexec_b32 s11, s0
	s_cbranch_execz .LBB56_474
; %bb.471:
	v_add_nc_u32_e32 v120, -10, v0
	s_movk_i32 s12, 0x220
	s_mov_b32 s0, 0
.LBB56_472:                             ; =>This Inner Loop Header: Depth=1
	scratch_load_b64 v[122:123], off, s10
	v_dual_mov_b32 v121, s12 :: v_dual_add_nc_u32 v120, -1, v120
	s_add_co_i32 s12, s12, 8
	s_wait_xcnt 0x0
	s_add_co_i32 s10, s10, 8
	ds_load_b64 v[124:125], v121
	v_cmp_eq_u32_e32 vcc_lo, 0, v120
	s_or_b32 s0, vcc_lo, s0
	s_wait_loadcnt_dscnt 0x0
	v_pk_mul_f32 v[126:127], v[124:125], v[122:123] op_sel:[1,1] op_sel_hi:[0,1]
	s_delay_alu instid0(VALU_DEP_1) | instskip(SKIP_1) | instid1(VALU_DEP_2)
	v_pk_fma_f32 v[128:129], v[124:125], v[122:123], v[126:127] op_sel_hi:[1,0,1]
	v_pk_fma_f32 v[122:123], v[124:125], v[122:123], v[126:127] neg_lo:[0,0,1] neg_hi:[0,0,1]
	v_mov_b32_e32 v123, v129
	s_delay_alu instid0(VALU_DEP_1)
	v_pk_add_f32 v[118:119], v[118:119], v[122:123]
	s_and_not1_b32 exec_lo, exec_lo, s0
	s_cbranch_execnz .LBB56_472
; %bb.473:
	s_or_b32 exec_lo, exec_lo, s0
.LBB56_474:
	s_delay_alu instid0(SALU_CYCLE_1) | instskip(SKIP_4) | instid1(VALU_DEP_1)
	s_or_b32 exec_lo, exec_lo, s11
	v_mov_b32_e32 v120, 0
	ds_load_b64 v[120:121], v120 offset:72
	s_wait_dscnt 0x0
	v_pk_mul_f32 v[122:123], v[118:119], v[120:121] op_sel:[1,1] op_sel_hi:[0,1]
	v_pk_fma_f32 v[124:125], v[118:119], v[120:121], v[122:123] op_sel_hi:[1,0,1]
	v_pk_fma_f32 v[118:119], v[118:119], v[120:121], v[122:123] neg_lo:[0,0,1] neg_hi:[0,0,1]
	s_delay_alu instid0(VALU_DEP_2)
	v_mov_b32_e32 v119, v125
	scratch_store_b64 off, v[118:119], off offset:72
.LBB56_475:
	s_wait_xcnt 0x0
	s_or_b32 exec_lo, exec_lo, s2
	scratch_load_b64 v[118:119], off, off offset:64
	v_cmp_lt_u32_e64 s0, 8, v0
	s_wait_loadcnt 0x0
	ds_store_b64 v1, v[118:119]
	s_wait_storecnt_dscnt 0x0
	s_barrier_signal -1
	s_barrier_wait -1
	s_wait_xcnt 0x0
	s_and_saveexec_b32 s2, s0
	s_cbranch_execz .LBB56_485
; %bb.476:
	s_and_not1_b32 vcc_lo, exec_lo, s3
	s_cbranch_vccnz .LBB56_478
; %bb.477:
	scratch_load_b64 v[118:119], v49, off
	ds_load_b64 v[120:121], v1
	s_wait_loadcnt_dscnt 0x0
	v_pk_mul_f32 v[122:123], v[120:121], v[118:119] op_sel:[1,1] op_sel_hi:[0,1]
	s_delay_alu instid0(VALU_DEP_1) | instskip(SKIP_1) | instid1(VALU_DEP_2)
	v_pk_fma_f32 v[124:125], v[120:121], v[118:119], v[122:123] op_sel_hi:[1,0,1]
	v_pk_fma_f32 v[118:119], v[120:121], v[118:119], v[122:123] neg_lo:[0,0,1] neg_hi:[0,0,1]
	v_mov_b32_e32 v119, v125
	s_cbranch_execz .LBB56_479
	s_branch .LBB56_480
.LBB56_478:
                                        ; implicit-def: $vgpr118_vgpr119
.LBB56_479:
	ds_load_b64 v[118:119], v1
.LBB56_480:
	s_and_saveexec_b32 s10, s1
	s_cbranch_execz .LBB56_484
; %bb.481:
	v_add_nc_u32_e32 v120, -9, v0
	s_movk_i32 s1, 0x48
	s_movk_i32 s12, 0x218
	s_mov_b32 s11, 0
.LBB56_482:                             ; =>This Inner Loop Header: Depth=1
	scratch_load_b64 v[122:123], off, s1
	v_dual_mov_b32 v121, s12 :: v_dual_add_nc_u32 v120, -1, v120
	s_add_co_i32 s12, s12, 8
	s_wait_xcnt 0x0
	s_add_co_i32 s1, s1, 8
	ds_load_b64 v[124:125], v121
	v_cmp_eq_u32_e32 vcc_lo, 0, v120
	s_or_b32 s11, vcc_lo, s11
	s_wait_loadcnt_dscnt 0x0
	v_pk_mul_f32 v[126:127], v[124:125], v[122:123] op_sel:[1,1] op_sel_hi:[0,1]
	s_delay_alu instid0(VALU_DEP_1) | instskip(SKIP_1) | instid1(VALU_DEP_2)
	v_pk_fma_f32 v[128:129], v[124:125], v[122:123], v[126:127] op_sel_hi:[1,0,1]
	v_pk_fma_f32 v[122:123], v[124:125], v[122:123], v[126:127] neg_lo:[0,0,1] neg_hi:[0,0,1]
	v_mov_b32_e32 v123, v129
	s_delay_alu instid0(VALU_DEP_1)
	v_pk_add_f32 v[118:119], v[118:119], v[122:123]
	s_and_not1_b32 exec_lo, exec_lo, s11
	s_cbranch_execnz .LBB56_482
; %bb.483:
	s_or_b32 exec_lo, exec_lo, s11
.LBB56_484:
	s_delay_alu instid0(SALU_CYCLE_1) | instskip(SKIP_4) | instid1(VALU_DEP_1)
	s_or_b32 exec_lo, exec_lo, s10
	v_mov_b32_e32 v120, 0
	ds_load_b64 v[120:121], v120 offset:64
	s_wait_dscnt 0x0
	v_pk_mul_f32 v[122:123], v[118:119], v[120:121] op_sel:[1,1] op_sel_hi:[0,1]
	v_pk_fma_f32 v[124:125], v[118:119], v[120:121], v[122:123] op_sel_hi:[1,0,1]
	v_pk_fma_f32 v[118:119], v[118:119], v[120:121], v[122:123] neg_lo:[0,0,1] neg_hi:[0,0,1]
	s_delay_alu instid0(VALU_DEP_2)
	v_mov_b32_e32 v119, v125
	scratch_store_b64 off, v[118:119], off offset:64
.LBB56_485:
	s_wait_xcnt 0x0
	s_or_b32 exec_lo, exec_lo, s2
	scratch_load_b64 v[118:119], off, off offset:56
	v_cmp_lt_u32_e64 s1, 7, v0
	s_wait_loadcnt 0x0
	ds_store_b64 v1, v[118:119]
	s_wait_storecnt_dscnt 0x0
	s_barrier_signal -1
	s_barrier_wait -1
	s_wait_xcnt 0x0
	s_and_saveexec_b32 s2, s1
	s_cbranch_execz .LBB56_495
; %bb.486:
	s_and_not1_b32 vcc_lo, exec_lo, s3
	s_cbranch_vccnz .LBB56_488
; %bb.487:
	scratch_load_b64 v[118:119], v49, off
	ds_load_b64 v[120:121], v1
	s_wait_loadcnt_dscnt 0x0
	v_pk_mul_f32 v[122:123], v[120:121], v[118:119] op_sel:[1,1] op_sel_hi:[0,1]
	s_delay_alu instid0(VALU_DEP_1) | instskip(SKIP_1) | instid1(VALU_DEP_2)
	v_pk_fma_f32 v[124:125], v[120:121], v[118:119], v[122:123] op_sel_hi:[1,0,1]
	v_pk_fma_f32 v[118:119], v[120:121], v[118:119], v[122:123] neg_lo:[0,0,1] neg_hi:[0,0,1]
	v_mov_b32_e32 v119, v125
	s_cbranch_execz .LBB56_489
	s_branch .LBB56_490
.LBB56_488:
                                        ; implicit-def: $vgpr118_vgpr119
.LBB56_489:
	ds_load_b64 v[118:119], v1
.LBB56_490:
	s_and_saveexec_b32 s10, s0
	s_cbranch_execz .LBB56_494
; %bb.491:
	v_add_nc_u32_e32 v120, -8, v0
	s_movk_i32 s11, 0x210
	s_mov_b32 s0, 0
.LBB56_492:                             ; =>This Inner Loop Header: Depth=1
	scratch_load_b64 v[122:123], off, s9
	v_dual_mov_b32 v121, s11 :: v_dual_add_nc_u32 v120, -1, v120
	s_add_co_i32 s11, s11, 8
	s_wait_xcnt 0x0
	s_add_co_i32 s9, s9, 8
	ds_load_b64 v[124:125], v121
	v_cmp_eq_u32_e32 vcc_lo, 0, v120
	s_or_b32 s0, vcc_lo, s0
	s_wait_loadcnt_dscnt 0x0
	v_pk_mul_f32 v[126:127], v[124:125], v[122:123] op_sel:[1,1] op_sel_hi:[0,1]
	s_delay_alu instid0(VALU_DEP_1) | instskip(SKIP_1) | instid1(VALU_DEP_2)
	v_pk_fma_f32 v[128:129], v[124:125], v[122:123], v[126:127] op_sel_hi:[1,0,1]
	v_pk_fma_f32 v[122:123], v[124:125], v[122:123], v[126:127] neg_lo:[0,0,1] neg_hi:[0,0,1]
	v_mov_b32_e32 v123, v129
	s_delay_alu instid0(VALU_DEP_1)
	v_pk_add_f32 v[118:119], v[118:119], v[122:123]
	s_and_not1_b32 exec_lo, exec_lo, s0
	s_cbranch_execnz .LBB56_492
; %bb.493:
	s_or_b32 exec_lo, exec_lo, s0
.LBB56_494:
	s_delay_alu instid0(SALU_CYCLE_1) | instskip(SKIP_4) | instid1(VALU_DEP_1)
	s_or_b32 exec_lo, exec_lo, s10
	v_mov_b32_e32 v120, 0
	ds_load_b64 v[120:121], v120 offset:56
	s_wait_dscnt 0x0
	v_pk_mul_f32 v[122:123], v[118:119], v[120:121] op_sel:[1,1] op_sel_hi:[0,1]
	v_pk_fma_f32 v[124:125], v[118:119], v[120:121], v[122:123] op_sel_hi:[1,0,1]
	v_pk_fma_f32 v[118:119], v[118:119], v[120:121], v[122:123] neg_lo:[0,0,1] neg_hi:[0,0,1]
	s_delay_alu instid0(VALU_DEP_2)
	v_mov_b32_e32 v119, v125
	scratch_store_b64 off, v[118:119], off offset:56
.LBB56_495:
	s_wait_xcnt 0x0
	s_or_b32 exec_lo, exec_lo, s2
	scratch_load_b64 v[118:119], off, off offset:48
	v_cmp_lt_u32_e64 s0, 6, v0
	s_wait_loadcnt 0x0
	ds_store_b64 v1, v[118:119]
	s_wait_storecnt_dscnt 0x0
	s_barrier_signal -1
	s_barrier_wait -1
	s_wait_xcnt 0x0
	s_and_saveexec_b32 s2, s0
	s_cbranch_execz .LBB56_505
; %bb.496:
	s_and_not1_b32 vcc_lo, exec_lo, s3
	s_cbranch_vccnz .LBB56_498
; %bb.497:
	scratch_load_b64 v[118:119], v49, off
	ds_load_b64 v[120:121], v1
	s_wait_loadcnt_dscnt 0x0
	v_pk_mul_f32 v[122:123], v[120:121], v[118:119] op_sel:[1,1] op_sel_hi:[0,1]
	s_delay_alu instid0(VALU_DEP_1) | instskip(SKIP_1) | instid1(VALU_DEP_2)
	v_pk_fma_f32 v[124:125], v[120:121], v[118:119], v[122:123] op_sel_hi:[1,0,1]
	v_pk_fma_f32 v[118:119], v[120:121], v[118:119], v[122:123] neg_lo:[0,0,1] neg_hi:[0,0,1]
	v_mov_b32_e32 v119, v125
	s_cbranch_execz .LBB56_499
	s_branch .LBB56_500
.LBB56_498:
                                        ; implicit-def: $vgpr118_vgpr119
.LBB56_499:
	ds_load_b64 v[118:119], v1
.LBB56_500:
	s_and_saveexec_b32 s9, s1
	s_cbranch_execz .LBB56_504
; %bb.501:
	v_add_nc_u32_e32 v120, -7, v0
	s_mov_b32 s1, 56
	s_movk_i32 s11, 0x208
	s_mov_b32 s10, 0
.LBB56_502:                             ; =>This Inner Loop Header: Depth=1
	scratch_load_b64 v[122:123], off, s1
	v_dual_mov_b32 v121, s11 :: v_dual_add_nc_u32 v120, -1, v120
	s_add_co_i32 s11, s11, 8
	s_wait_xcnt 0x0
	s_add_co_i32 s1, s1, 8
	ds_load_b64 v[124:125], v121
	v_cmp_eq_u32_e32 vcc_lo, 0, v120
	s_or_b32 s10, vcc_lo, s10
	s_wait_loadcnt_dscnt 0x0
	v_pk_mul_f32 v[126:127], v[124:125], v[122:123] op_sel:[1,1] op_sel_hi:[0,1]
	s_delay_alu instid0(VALU_DEP_1) | instskip(SKIP_1) | instid1(VALU_DEP_2)
	v_pk_fma_f32 v[128:129], v[124:125], v[122:123], v[126:127] op_sel_hi:[1,0,1]
	v_pk_fma_f32 v[122:123], v[124:125], v[122:123], v[126:127] neg_lo:[0,0,1] neg_hi:[0,0,1]
	v_mov_b32_e32 v123, v129
	s_delay_alu instid0(VALU_DEP_1)
	v_pk_add_f32 v[118:119], v[118:119], v[122:123]
	s_and_not1_b32 exec_lo, exec_lo, s10
	s_cbranch_execnz .LBB56_502
; %bb.503:
	s_or_b32 exec_lo, exec_lo, s10
.LBB56_504:
	s_delay_alu instid0(SALU_CYCLE_1) | instskip(SKIP_4) | instid1(VALU_DEP_1)
	s_or_b32 exec_lo, exec_lo, s9
	v_mov_b32_e32 v120, 0
	ds_load_b64 v[120:121], v120 offset:48
	s_wait_dscnt 0x0
	v_pk_mul_f32 v[122:123], v[118:119], v[120:121] op_sel:[1,1] op_sel_hi:[0,1]
	v_pk_fma_f32 v[124:125], v[118:119], v[120:121], v[122:123] op_sel_hi:[1,0,1]
	v_pk_fma_f32 v[118:119], v[118:119], v[120:121], v[122:123] neg_lo:[0,0,1] neg_hi:[0,0,1]
	s_delay_alu instid0(VALU_DEP_2)
	v_mov_b32_e32 v119, v125
	scratch_store_b64 off, v[118:119], off offset:48
.LBB56_505:
	s_wait_xcnt 0x0
	s_or_b32 exec_lo, exec_lo, s2
	scratch_load_b64 v[118:119], off, off offset:40
	v_cmp_lt_u32_e64 s1, 5, v0
	s_wait_loadcnt 0x0
	ds_store_b64 v1, v[118:119]
	s_wait_storecnt_dscnt 0x0
	s_barrier_signal -1
	s_barrier_wait -1
	s_wait_xcnt 0x0
	s_and_saveexec_b32 s2, s1
	s_cbranch_execz .LBB56_515
; %bb.506:
	s_and_not1_b32 vcc_lo, exec_lo, s3
	s_cbranch_vccnz .LBB56_508
; %bb.507:
	scratch_load_b64 v[118:119], v49, off
	ds_load_b64 v[120:121], v1
	s_wait_loadcnt_dscnt 0x0
	v_pk_mul_f32 v[122:123], v[120:121], v[118:119] op_sel:[1,1] op_sel_hi:[0,1]
	s_delay_alu instid0(VALU_DEP_1) | instskip(SKIP_1) | instid1(VALU_DEP_2)
	v_pk_fma_f32 v[124:125], v[120:121], v[118:119], v[122:123] op_sel_hi:[1,0,1]
	v_pk_fma_f32 v[118:119], v[120:121], v[118:119], v[122:123] neg_lo:[0,0,1] neg_hi:[0,0,1]
	v_mov_b32_e32 v119, v125
	s_cbranch_execz .LBB56_509
	s_branch .LBB56_510
.LBB56_508:
                                        ; implicit-def: $vgpr118_vgpr119
.LBB56_509:
	ds_load_b64 v[118:119], v1
.LBB56_510:
	s_and_saveexec_b32 s9, s0
	s_cbranch_execz .LBB56_514
; %bb.511:
	v_add_nc_u32_e32 v120, -6, v0
	s_movk_i32 s10, 0x200
	s_mov_b32 s0, 0
.LBB56_512:                             ; =>This Inner Loop Header: Depth=1
	scratch_load_b64 v[122:123], off, s8
	v_dual_mov_b32 v121, s10 :: v_dual_add_nc_u32 v120, -1, v120
	s_add_co_i32 s10, s10, 8
	s_wait_xcnt 0x0
	s_add_co_i32 s8, s8, 8
	ds_load_b64 v[124:125], v121
	v_cmp_eq_u32_e32 vcc_lo, 0, v120
	s_or_b32 s0, vcc_lo, s0
	s_wait_loadcnt_dscnt 0x0
	v_pk_mul_f32 v[126:127], v[124:125], v[122:123] op_sel:[1,1] op_sel_hi:[0,1]
	s_delay_alu instid0(VALU_DEP_1) | instskip(SKIP_1) | instid1(VALU_DEP_2)
	v_pk_fma_f32 v[128:129], v[124:125], v[122:123], v[126:127] op_sel_hi:[1,0,1]
	v_pk_fma_f32 v[122:123], v[124:125], v[122:123], v[126:127] neg_lo:[0,0,1] neg_hi:[0,0,1]
	v_mov_b32_e32 v123, v129
	s_delay_alu instid0(VALU_DEP_1)
	v_pk_add_f32 v[118:119], v[118:119], v[122:123]
	s_and_not1_b32 exec_lo, exec_lo, s0
	s_cbranch_execnz .LBB56_512
; %bb.513:
	s_or_b32 exec_lo, exec_lo, s0
.LBB56_514:
	s_delay_alu instid0(SALU_CYCLE_1) | instskip(SKIP_4) | instid1(VALU_DEP_1)
	s_or_b32 exec_lo, exec_lo, s9
	v_mov_b32_e32 v120, 0
	ds_load_b64 v[120:121], v120 offset:40
	s_wait_dscnt 0x0
	v_pk_mul_f32 v[122:123], v[118:119], v[120:121] op_sel:[1,1] op_sel_hi:[0,1]
	v_pk_fma_f32 v[124:125], v[118:119], v[120:121], v[122:123] op_sel_hi:[1,0,1]
	v_pk_fma_f32 v[118:119], v[118:119], v[120:121], v[122:123] neg_lo:[0,0,1] neg_hi:[0,0,1]
	s_delay_alu instid0(VALU_DEP_2)
	v_mov_b32_e32 v119, v125
	scratch_store_b64 off, v[118:119], off offset:40
.LBB56_515:
	s_wait_xcnt 0x0
	s_or_b32 exec_lo, exec_lo, s2
	scratch_load_b64 v[118:119], off, off offset:32
	v_cmp_lt_u32_e64 s0, 4, v0
	s_wait_loadcnt 0x0
	ds_store_b64 v1, v[118:119]
	s_wait_storecnt_dscnt 0x0
	s_barrier_signal -1
	s_barrier_wait -1
	s_wait_xcnt 0x0
	s_and_saveexec_b32 s2, s0
	s_cbranch_execz .LBB56_525
; %bb.516:
	s_and_not1_b32 vcc_lo, exec_lo, s3
	s_cbranch_vccnz .LBB56_518
; %bb.517:
	scratch_load_b64 v[118:119], v49, off
	ds_load_b64 v[120:121], v1
	s_wait_loadcnt_dscnt 0x0
	v_pk_mul_f32 v[122:123], v[120:121], v[118:119] op_sel:[1,1] op_sel_hi:[0,1]
	s_delay_alu instid0(VALU_DEP_1) | instskip(SKIP_1) | instid1(VALU_DEP_2)
	v_pk_fma_f32 v[124:125], v[120:121], v[118:119], v[122:123] op_sel_hi:[1,0,1]
	v_pk_fma_f32 v[118:119], v[120:121], v[118:119], v[122:123] neg_lo:[0,0,1] neg_hi:[0,0,1]
	v_mov_b32_e32 v119, v125
	s_cbranch_execz .LBB56_519
	s_branch .LBB56_520
.LBB56_518:
                                        ; implicit-def: $vgpr118_vgpr119
.LBB56_519:
	ds_load_b64 v[118:119], v1
.LBB56_520:
	s_and_saveexec_b32 s8, s1
	s_cbranch_execz .LBB56_524
; %bb.521:
	v_add_nc_u32_e32 v120, -5, v0
	s_mov_b32 s1, 40
	s_movk_i32 s10, 0x1f8
	s_mov_b32 s9, 0
.LBB56_522:                             ; =>This Inner Loop Header: Depth=1
	scratch_load_b64 v[122:123], off, s1
	v_dual_mov_b32 v121, s10 :: v_dual_add_nc_u32 v120, -1, v120
	s_add_co_i32 s10, s10, 8
	s_wait_xcnt 0x0
	s_add_co_i32 s1, s1, 8
	ds_load_b64 v[124:125], v121
	v_cmp_eq_u32_e32 vcc_lo, 0, v120
	s_or_b32 s9, vcc_lo, s9
	s_wait_loadcnt_dscnt 0x0
	v_pk_mul_f32 v[126:127], v[124:125], v[122:123] op_sel:[1,1] op_sel_hi:[0,1]
	s_delay_alu instid0(VALU_DEP_1) | instskip(SKIP_1) | instid1(VALU_DEP_2)
	v_pk_fma_f32 v[128:129], v[124:125], v[122:123], v[126:127] op_sel_hi:[1,0,1]
	v_pk_fma_f32 v[122:123], v[124:125], v[122:123], v[126:127] neg_lo:[0,0,1] neg_hi:[0,0,1]
	v_mov_b32_e32 v123, v129
	s_delay_alu instid0(VALU_DEP_1)
	v_pk_add_f32 v[118:119], v[118:119], v[122:123]
	s_and_not1_b32 exec_lo, exec_lo, s9
	s_cbranch_execnz .LBB56_522
; %bb.523:
	s_or_b32 exec_lo, exec_lo, s9
.LBB56_524:
	s_delay_alu instid0(SALU_CYCLE_1) | instskip(SKIP_4) | instid1(VALU_DEP_1)
	s_or_b32 exec_lo, exec_lo, s8
	v_mov_b32_e32 v120, 0
	ds_load_b64 v[120:121], v120 offset:32
	s_wait_dscnt 0x0
	v_pk_mul_f32 v[122:123], v[118:119], v[120:121] op_sel:[1,1] op_sel_hi:[0,1]
	v_pk_fma_f32 v[124:125], v[118:119], v[120:121], v[122:123] op_sel_hi:[1,0,1]
	v_pk_fma_f32 v[118:119], v[118:119], v[120:121], v[122:123] neg_lo:[0,0,1] neg_hi:[0,0,1]
	s_delay_alu instid0(VALU_DEP_2)
	v_mov_b32_e32 v119, v125
	scratch_store_b64 off, v[118:119], off offset:32
.LBB56_525:
	s_wait_xcnt 0x0
	s_or_b32 exec_lo, exec_lo, s2
	scratch_load_b64 v[118:119], off, off offset:24
	v_cmp_lt_u32_e64 s2, 3, v0
	s_wait_loadcnt 0x0
	ds_store_b64 v1, v[118:119]
	s_wait_storecnt_dscnt 0x0
	s_barrier_signal -1
	s_barrier_wait -1
	s_wait_xcnt 0x0
	s_and_saveexec_b32 s1, s2
	s_cbranch_execz .LBB56_535
; %bb.526:
	s_and_not1_b32 vcc_lo, exec_lo, s3
	s_cbranch_vccnz .LBB56_528
; %bb.527:
	scratch_load_b64 v[118:119], v49, off
	ds_load_b64 v[120:121], v1
	s_wait_loadcnt_dscnt 0x0
	v_pk_mul_f32 v[122:123], v[120:121], v[118:119] op_sel:[1,1] op_sel_hi:[0,1]
	s_delay_alu instid0(VALU_DEP_1) | instskip(SKIP_1) | instid1(VALU_DEP_2)
	v_pk_fma_f32 v[124:125], v[120:121], v[118:119], v[122:123] op_sel_hi:[1,0,1]
	v_pk_fma_f32 v[118:119], v[120:121], v[118:119], v[122:123] neg_lo:[0,0,1] neg_hi:[0,0,1]
	v_mov_b32_e32 v119, v125
	s_cbranch_execz .LBB56_529
	s_branch .LBB56_530
.LBB56_528:
                                        ; implicit-def: $vgpr118_vgpr119
.LBB56_529:
	ds_load_b64 v[118:119], v1
.LBB56_530:
	s_and_saveexec_b32 s8, s0
	s_cbranch_execz .LBB56_534
; %bb.531:
	v_add_nc_u32_e32 v120, -4, v0
	s_movk_i32 s9, 0x1f0
	s_mov_b32 s0, 0
.LBB56_532:                             ; =>This Inner Loop Header: Depth=1
	scratch_load_b64 v[122:123], off, s5
	v_dual_mov_b32 v121, s9 :: v_dual_add_nc_u32 v120, -1, v120
	s_add_co_i32 s9, s9, 8
	s_wait_xcnt 0x0
	s_add_co_i32 s5, s5, 8
	ds_load_b64 v[124:125], v121
	v_cmp_eq_u32_e32 vcc_lo, 0, v120
	s_or_b32 s0, vcc_lo, s0
	s_wait_loadcnt_dscnt 0x0
	v_pk_mul_f32 v[126:127], v[124:125], v[122:123] op_sel:[1,1] op_sel_hi:[0,1]
	s_delay_alu instid0(VALU_DEP_1) | instskip(SKIP_1) | instid1(VALU_DEP_2)
	v_pk_fma_f32 v[128:129], v[124:125], v[122:123], v[126:127] op_sel_hi:[1,0,1]
	v_pk_fma_f32 v[122:123], v[124:125], v[122:123], v[126:127] neg_lo:[0,0,1] neg_hi:[0,0,1]
	v_mov_b32_e32 v123, v129
	s_delay_alu instid0(VALU_DEP_1)
	v_pk_add_f32 v[118:119], v[118:119], v[122:123]
	s_and_not1_b32 exec_lo, exec_lo, s0
	s_cbranch_execnz .LBB56_532
; %bb.533:
	s_or_b32 exec_lo, exec_lo, s0
.LBB56_534:
	s_delay_alu instid0(SALU_CYCLE_1) | instskip(SKIP_4) | instid1(VALU_DEP_1)
	s_or_b32 exec_lo, exec_lo, s8
	v_mov_b32_e32 v120, 0
	ds_load_b64 v[120:121], v120 offset:24
	s_wait_dscnt 0x0
	v_pk_mul_f32 v[122:123], v[118:119], v[120:121] op_sel:[1,1] op_sel_hi:[0,1]
	v_pk_fma_f32 v[124:125], v[118:119], v[120:121], v[122:123] op_sel_hi:[1,0,1]
	v_pk_fma_f32 v[118:119], v[118:119], v[120:121], v[122:123] neg_lo:[0,0,1] neg_hi:[0,0,1]
	s_delay_alu instid0(VALU_DEP_2)
	v_mov_b32_e32 v119, v125
	scratch_store_b64 off, v[118:119], off offset:24
.LBB56_535:
	s_wait_xcnt 0x0
	s_or_b32 exec_lo, exec_lo, s1
	scratch_load_b64 v[118:119], off, off offset:16
	v_cmp_lt_u32_e64 s1, 2, v0
	s_wait_loadcnt 0x0
	ds_store_b64 v1, v[118:119]
	s_wait_storecnt_dscnt 0x0
	s_barrier_signal -1
	s_barrier_wait -1
	s_wait_xcnt 0x0
	s_and_saveexec_b32 s0, s1
	s_cbranch_execz .LBB56_545
; %bb.536:
	s_and_not1_b32 vcc_lo, exec_lo, s3
	s_cbranch_vccnz .LBB56_538
; %bb.537:
	scratch_load_b64 v[118:119], v49, off
	ds_load_b64 v[120:121], v1
	s_wait_loadcnt_dscnt 0x0
	v_pk_mul_f32 v[122:123], v[120:121], v[118:119] op_sel:[1,1] op_sel_hi:[0,1]
	s_delay_alu instid0(VALU_DEP_1) | instskip(SKIP_1) | instid1(VALU_DEP_2)
	v_pk_fma_f32 v[124:125], v[120:121], v[118:119], v[122:123] op_sel_hi:[1,0,1]
	v_pk_fma_f32 v[118:119], v[120:121], v[118:119], v[122:123] neg_lo:[0,0,1] neg_hi:[0,0,1]
	v_mov_b32_e32 v119, v125
	s_cbranch_execz .LBB56_539
	s_branch .LBB56_540
.LBB56_538:
                                        ; implicit-def: $vgpr118_vgpr119
.LBB56_539:
	ds_load_b64 v[118:119], v1
.LBB56_540:
	s_and_saveexec_b32 s5, s2
	s_cbranch_execz .LBB56_544
; %bb.541:
	v_add_nc_u32_e32 v120, -3, v0
	s_mov_b32 s2, 24
	s_movk_i32 s9, 0x1e8
	s_mov_b32 s8, 0
.LBB56_542:                             ; =>This Inner Loop Header: Depth=1
	scratch_load_b64 v[122:123], off, s2
	v_dual_mov_b32 v121, s9 :: v_dual_add_nc_u32 v120, -1, v120
	s_add_co_i32 s9, s9, 8
	s_wait_xcnt 0x0
	s_add_co_i32 s2, s2, 8
	ds_load_b64 v[124:125], v121
	v_cmp_eq_u32_e32 vcc_lo, 0, v120
	s_or_b32 s8, vcc_lo, s8
	s_wait_loadcnt_dscnt 0x0
	v_pk_mul_f32 v[126:127], v[124:125], v[122:123] op_sel:[1,1] op_sel_hi:[0,1]
	s_delay_alu instid0(VALU_DEP_1) | instskip(SKIP_1) | instid1(VALU_DEP_2)
	v_pk_fma_f32 v[128:129], v[124:125], v[122:123], v[126:127] op_sel_hi:[1,0,1]
	v_pk_fma_f32 v[122:123], v[124:125], v[122:123], v[126:127] neg_lo:[0,0,1] neg_hi:[0,0,1]
	v_mov_b32_e32 v123, v129
	s_delay_alu instid0(VALU_DEP_1)
	v_pk_add_f32 v[118:119], v[118:119], v[122:123]
	s_and_not1_b32 exec_lo, exec_lo, s8
	s_cbranch_execnz .LBB56_542
; %bb.543:
	s_or_b32 exec_lo, exec_lo, s8
.LBB56_544:
	s_delay_alu instid0(SALU_CYCLE_1) | instskip(SKIP_4) | instid1(VALU_DEP_1)
	s_or_b32 exec_lo, exec_lo, s5
	v_mov_b32_e32 v120, 0
	ds_load_b64 v[120:121], v120 offset:16
	s_wait_dscnt 0x0
	v_pk_mul_f32 v[122:123], v[118:119], v[120:121] op_sel:[1,1] op_sel_hi:[0,1]
	v_pk_fma_f32 v[124:125], v[118:119], v[120:121], v[122:123] op_sel_hi:[1,0,1]
	v_pk_fma_f32 v[118:119], v[118:119], v[120:121], v[122:123] neg_lo:[0,0,1] neg_hi:[0,0,1]
	s_delay_alu instid0(VALU_DEP_2)
	v_mov_b32_e32 v119, v125
	scratch_store_b64 off, v[118:119], off offset:16
.LBB56_545:
	s_wait_xcnt 0x0
	s_or_b32 exec_lo, exec_lo, s0
	scratch_load_b64 v[118:119], off, off offset:8
	v_cmp_lt_u32_e64 s0, 1, v0
	s_wait_loadcnt 0x0
	ds_store_b64 v1, v[118:119]
	s_wait_storecnt_dscnt 0x0
	s_barrier_signal -1
	s_barrier_wait -1
	s_wait_xcnt 0x0
	s_and_saveexec_b32 s2, s0
	s_cbranch_execz .LBB56_555
; %bb.546:
	s_and_not1_b32 vcc_lo, exec_lo, s3
	s_cbranch_vccnz .LBB56_548
; %bb.547:
	scratch_load_b64 v[118:119], v49, off
	ds_load_b64 v[120:121], v1
	s_wait_loadcnt_dscnt 0x0
	v_pk_mul_f32 v[122:123], v[120:121], v[118:119] op_sel:[1,1] op_sel_hi:[0,1]
	s_delay_alu instid0(VALU_DEP_1) | instskip(SKIP_1) | instid1(VALU_DEP_2)
	v_pk_fma_f32 v[124:125], v[120:121], v[118:119], v[122:123] op_sel_hi:[1,0,1]
	v_pk_fma_f32 v[118:119], v[120:121], v[118:119], v[122:123] neg_lo:[0,0,1] neg_hi:[0,0,1]
	v_mov_b32_e32 v119, v125
	s_cbranch_execz .LBB56_549
	s_branch .LBB56_550
.LBB56_548:
                                        ; implicit-def: $vgpr118_vgpr119
.LBB56_549:
	ds_load_b64 v[118:119], v1
.LBB56_550:
	s_and_saveexec_b32 s5, s1
	s_cbranch_execz .LBB56_554
; %bb.551:
	v_add_nc_u32_e32 v120, -2, v0
	s_movk_i32 s8, 0x1e0
	s_mov_b32 s1, 0
.LBB56_552:                             ; =>This Inner Loop Header: Depth=1
	scratch_load_b64 v[122:123], off, s4
	v_dual_mov_b32 v121, s8 :: v_dual_add_nc_u32 v120, -1, v120
	s_add_co_i32 s8, s8, 8
	s_wait_xcnt 0x0
	s_add_co_i32 s4, s4, 8
	ds_load_b64 v[124:125], v121
	v_cmp_eq_u32_e32 vcc_lo, 0, v120
	s_or_b32 s1, vcc_lo, s1
	s_wait_loadcnt_dscnt 0x0
	v_pk_mul_f32 v[126:127], v[124:125], v[122:123] op_sel:[1,1] op_sel_hi:[0,1]
	s_delay_alu instid0(VALU_DEP_1) | instskip(SKIP_1) | instid1(VALU_DEP_2)
	v_pk_fma_f32 v[128:129], v[124:125], v[122:123], v[126:127] op_sel_hi:[1,0,1]
	v_pk_fma_f32 v[122:123], v[124:125], v[122:123], v[126:127] neg_lo:[0,0,1] neg_hi:[0,0,1]
	v_mov_b32_e32 v123, v129
	s_delay_alu instid0(VALU_DEP_1)
	v_pk_add_f32 v[118:119], v[118:119], v[122:123]
	s_and_not1_b32 exec_lo, exec_lo, s1
	s_cbranch_execnz .LBB56_552
; %bb.553:
	s_or_b32 exec_lo, exec_lo, s1
.LBB56_554:
	s_delay_alu instid0(SALU_CYCLE_1) | instskip(SKIP_4) | instid1(VALU_DEP_1)
	s_or_b32 exec_lo, exec_lo, s5
	v_mov_b32_e32 v120, 0
	ds_load_b64 v[120:121], v120 offset:8
	s_wait_dscnt 0x0
	v_pk_mul_f32 v[122:123], v[118:119], v[120:121] op_sel:[1,1] op_sel_hi:[0,1]
	v_pk_fma_f32 v[124:125], v[118:119], v[120:121], v[122:123] op_sel_hi:[1,0,1]
	v_pk_fma_f32 v[118:119], v[118:119], v[120:121], v[122:123] neg_lo:[0,0,1] neg_hi:[0,0,1]
	s_delay_alu instid0(VALU_DEP_2)
	v_mov_b32_e32 v119, v125
	scratch_store_b64 off, v[118:119], off offset:8
.LBB56_555:
	s_wait_xcnt 0x0
	s_or_b32 exec_lo, exec_lo, s2
	scratch_load_b64 v[118:119], off, off
	s_mov_b32 s2, 0
	s_mov_b32 s1, 0
	s_mov_b32 s5, exec_lo
                                        ; implicit-def: $vgpr158
                                        ; implicit-def: $sgpr4
	s_wait_loadcnt 0x0
	ds_store_b64 v1, v[118:119]
	s_wait_storecnt_dscnt 0x0
	s_barrier_signal -1
	s_barrier_wait -1
	s_wait_xcnt 0x0
	v_cmpx_ne_u32_e32 0, v0
	s_cbranch_execz .LBB56_565
; %bb.556:
	s_and_not1_b32 vcc_lo, exec_lo, s3
	s_cbranch_vccnz .LBB56_558
; %bb.557:
	scratch_load_b64 v[120:121], v49, off
	ds_load_b64 v[122:123], v1
	s_wait_loadcnt_dscnt 0x0
	v_dual_mul_f32 v118, v123, v121 :: v_dual_mul_f32 v119, v122, v121
	s_delay_alu instid0(VALU_DEP_1)
	v_dual_fma_f32 v118, v122, v120, -v118 :: v_dual_fmac_f32 v119, v123, v120
	s_and_not1_b32 vcc_lo, exec_lo, s1
	s_cbranch_vccz .LBB56_559
	s_branch .LBB56_560
.LBB56_558:
                                        ; implicit-def: $vgpr118
.LBB56_559:
	ds_load_b64 v[118:119], v1
.LBB56_560:
	s_and_saveexec_b32 s1, s0
	s_cbranch_execz .LBB56_564
; %bb.561:
	v_add_nc_u32_e32 v120, -1, v0
	s_or_b32 s0, 0, 8
	s_movk_i32 s8, 0x1d8
	s_mov_b32 s4, 0
.LBB56_562:                             ; =>This Inner Loop Header: Depth=1
	scratch_load_b64 v[122:123], off, s0
	v_mov_b32_e32 v121, s8
	s_add_co_i32 s8, s8, 8
	s_wait_xcnt 0x0
	s_add_co_i32 s0, s0, 8
	v_add_nc_u32_e32 v120, -1, v120
	ds_load_b64 v[124:125], v121
	v_cmp_eq_u32_e32 vcc_lo, 0, v120
	s_or_b32 s4, vcc_lo, s4
	s_wait_loadcnt_dscnt 0x0
	v_dual_mul_f32 v121, v125, v123 :: v_dual_mul_f32 v123, v124, v123
	s_delay_alu instid0(VALU_DEP_1) | instskip(NEXT) | instid1(VALU_DEP_1)
	v_dual_fma_f32 v121, v124, v122, -v121 :: v_dual_fmac_f32 v123, v125, v122
	v_dual_add_f32 v118, v118, v121 :: v_dual_add_f32 v119, v119, v123
	s_and_not1_b32 exec_lo, exec_lo, s4
	s_cbranch_execnz .LBB56_562
; %bb.563:
	s_or_b32 exec_lo, exec_lo, s4
.LBB56_564:
	s_delay_alu instid0(SALU_CYCLE_1)
	s_or_b32 exec_lo, exec_lo, s1
	v_mov_b32_e32 v120, 0
	s_mov_b32 s1, exec_lo
	s_or_b32 s4, 0, 4
	ds_load_b64 v[120:121], v120
	s_wait_dscnt 0x0
	v_dual_mul_f32 v122, v119, v121 :: v_dual_mul_f32 v158, v118, v121
	s_delay_alu instid0(VALU_DEP_1) | instskip(NEXT) | instid1(VALU_DEP_2)
	v_fma_f32 v118, v118, v120, -v122
	v_fmac_f32_e32 v158, v119, v120
	scratch_store_b32 off, v118, off
.LBB56_565:
	s_wait_xcnt 0x0
	s_or_b32 exec_lo, exec_lo, s5
	s_delay_alu instid0(SALU_CYCLE_1)
	s_and_b32 vcc_lo, exec_lo, s2
	s_cbranch_vccz .LBB56_1121
.LBB56_566:
	scratch_load_b64 v[118:119], off, off offset:8
	v_cmp_eq_u32_e64 s0, 0, v0
	s_wait_loadcnt 0x0
	ds_store_b64 v1, v[118:119]
	s_wait_storecnt_dscnt 0x0
	s_barrier_signal -1
	s_barrier_wait -1
	s_wait_xcnt 0x0
	s_and_saveexec_b32 s2, s0
	s_cbranch_execz .LBB56_572
; %bb.567:
	s_and_b32 vcc_lo, exec_lo, s3
	s_cbranch_vccz .LBB56_569
; %bb.568:
	scratch_load_b64 v[118:119], v49, off
	ds_load_b64 v[120:121], v1
	s_wait_loadcnt_dscnt 0x0
	v_pk_mul_f32 v[122:123], v[120:121], v[118:119] op_sel:[1,1] op_sel_hi:[0,1]
	v_pk_mul_f32 v[124:125], v[120:121], v[118:119] op_sel_hi:[1,0]
	s_delay_alu instid0(VALU_DEP_2) | instskip(NEXT) | instid1(VALU_DEP_2)
	v_pk_fma_f32 v[118:119], v[120:121], v[118:119], v[122:123] op_sel_hi:[1,0,1]
	v_sub_f32_e32 v118, v124, v122
	s_cbranch_execz .LBB56_570
	s_branch .LBB56_571
.LBB56_569:
                                        ; implicit-def: $vgpr119
.LBB56_570:
	ds_load_b64 v[118:119], v1
.LBB56_571:
	s_wait_dscnt 0x0
	v_dual_mov_b32 v120, 0 :: v_dual_mov_b32 v122, v119
	v_mov_b32_e32 v123, v118
	ds_load_b64 v[120:121], v120 offset:8
	s_wait_dscnt 0x0
	v_pk_mul_f32 v[122:123], v[122:123], v[120:121] op_sel:[0,1]
	s_delay_alu instid0(VALU_DEP_1) | instskip(SKIP_1) | instid1(VALU_DEP_2)
	v_pk_fma_f32 v[124:125], v[118:119], v[120:121], v[122:123] op_sel_hi:[1,0,1]
	v_pk_fma_f32 v[118:119], v[118:119], v[120:121], v[122:123] neg_lo:[0,0,1] neg_hi:[0,0,1]
	v_mov_b32_e32 v119, v125
	scratch_store_b64 off, v[118:119], off offset:8
.LBB56_572:
	s_wait_xcnt 0x0
	s_or_b32 exec_lo, exec_lo, s2
	scratch_load_b64 v[118:119], off, off offset:16
	v_cndmask_b32_e64 v120, 0, 1, s3
	s_mov_b32 s2, exec_lo
	s_wait_loadcnt 0x0
	ds_store_b64 v1, v[118:119]
	s_wait_storecnt_dscnt 0x0
	s_barrier_signal -1
	s_barrier_wait -1
	s_wait_xcnt 0x0
	v_cmpx_gt_u32_e32 2, v0
	s_cbranch_execz .LBB56_580
; %bb.573:
	s_and_not1_b32 vcc_lo, exec_lo, s3
	s_cbranch_vccnz .LBB56_575
; %bb.574:
	scratch_load_b64 v[118:119], v49, off
	ds_load_b64 v[122:123], v1
	s_wait_loadcnt_dscnt 0x0
	v_pk_mul_f32 v[124:125], v[122:123], v[118:119] op_sel:[1,1] op_sel_hi:[0,1]
	s_delay_alu instid0(VALU_DEP_1) | instskip(SKIP_1) | instid1(VALU_DEP_2)
	v_pk_fma_f32 v[126:127], v[122:123], v[118:119], v[124:125] op_sel_hi:[1,0,1]
	v_pk_fma_f32 v[118:119], v[122:123], v[118:119], v[124:125] neg_lo:[0,0,1] neg_hi:[0,0,1]
	v_mov_b32_e32 v119, v127
	s_cbranch_execz .LBB56_576
	s_branch .LBB56_577
.LBB56_575:
                                        ; implicit-def: $vgpr118_vgpr119
.LBB56_576:
	ds_load_b64 v[118:119], v1
.LBB56_577:
	s_and_saveexec_b32 s3, s0
	s_cbranch_execz .LBB56_579
; %bb.578:
	scratch_load_b64 v[122:123], off, off offset:8
	v_mov_b32_e32 v121, 0
	ds_load_b64 v[124:125], v121 offset:472
	s_wait_loadcnt_dscnt 0x0
	v_pk_mul_f32 v[126:127], v[124:125], v[122:123] op_sel:[1,1] op_sel_hi:[0,1]
	s_delay_alu instid0(VALU_DEP_1) | instskip(SKIP_1) | instid1(VALU_DEP_2)
	v_pk_fma_f32 v[128:129], v[124:125], v[122:123], v[126:127] op_sel_hi:[1,0,1]
	v_pk_fma_f32 v[122:123], v[124:125], v[122:123], v[126:127] neg_lo:[0,0,1] neg_hi:[0,0,1]
	v_mov_b32_e32 v123, v129
	s_delay_alu instid0(VALU_DEP_1)
	v_pk_add_f32 v[118:119], v[118:119], v[122:123]
.LBB56_579:
	s_or_b32 exec_lo, exec_lo, s3
	v_mov_b32_e32 v121, 0
	ds_load_b64 v[122:123], v121 offset:16
	s_wait_dscnt 0x0
	v_pk_mul_f32 v[124:125], v[118:119], v[122:123] op_sel:[1,1] op_sel_hi:[0,1]
	s_delay_alu instid0(VALU_DEP_1) | instskip(SKIP_1) | instid1(VALU_DEP_2)
	v_pk_fma_f32 v[126:127], v[118:119], v[122:123], v[124:125] op_sel_hi:[1,0,1]
	v_pk_fma_f32 v[118:119], v[118:119], v[122:123], v[124:125] neg_lo:[0,0,1] neg_hi:[0,0,1]
	v_mov_b32_e32 v119, v127
	scratch_store_b64 off, v[118:119], off offset:16
.LBB56_580:
	s_wait_xcnt 0x0
	s_or_b32 exec_lo, exec_lo, s2
	scratch_load_b64 v[118:119], off, off offset:24
	s_mov_b32 s2, exec_lo
	s_wait_loadcnt 0x0
	ds_store_b64 v1, v[118:119]
	s_wait_storecnt_dscnt 0x0
	s_barrier_signal -1
	s_barrier_wait -1
	s_wait_xcnt 0x0
	v_cmpx_gt_u32_e32 3, v0
	s_cbranch_execz .LBB56_590
; %bb.581:
	v_cmp_ne_u32_e32 vcc_lo, 1, v120
	s_cbranch_vccnz .LBB56_583
; %bb.582:
	scratch_load_b64 v[118:119], v49, off
	ds_load_b64 v[122:123], v1
	s_wait_loadcnt_dscnt 0x0
	v_pk_mul_f32 v[124:125], v[122:123], v[118:119] op_sel:[1,1] op_sel_hi:[0,1]
	s_delay_alu instid0(VALU_DEP_1) | instskip(SKIP_1) | instid1(VALU_DEP_2)
	v_pk_fma_f32 v[126:127], v[122:123], v[118:119], v[124:125] op_sel_hi:[1,0,1]
	v_pk_fma_f32 v[118:119], v[122:123], v[118:119], v[124:125] neg_lo:[0,0,1] neg_hi:[0,0,1]
	v_mov_b32_e32 v119, v127
	s_cbranch_execz .LBB56_584
	s_branch .LBB56_585
.LBB56_583:
                                        ; implicit-def: $vgpr118_vgpr119
.LBB56_584:
	ds_load_b64 v[118:119], v1
.LBB56_585:
	s_mov_b32 s3, exec_lo
	v_cmpx_ne_u32_e32 2, v0
	s_cbranch_execz .LBB56_589
; %bb.586:
	scratch_load_b64 v[122:123], v49, off offset:8
	ds_load_b64 v[124:125], v1 offset:8
	s_wait_loadcnt_dscnt 0x0
	v_pk_mul_f32 v[126:127], v[124:125], v[122:123] op_sel:[1,1] op_sel_hi:[0,1]
	s_delay_alu instid0(VALU_DEP_1) | instskip(SKIP_1) | instid1(VALU_DEP_2)
	v_pk_fma_f32 v[128:129], v[124:125], v[122:123], v[126:127] op_sel_hi:[1,0,1]
	v_pk_fma_f32 v[122:123], v[124:125], v[122:123], v[126:127] neg_lo:[0,0,1] neg_hi:[0,0,1]
	v_mov_b32_e32 v123, v129
	s_delay_alu instid0(VALU_DEP_1)
	v_pk_add_f32 v[118:119], v[118:119], v[122:123]
	s_and_saveexec_b32 s4, s0
	s_cbranch_execz .LBB56_588
; %bb.587:
	scratch_load_b64 v[122:123], off, off offset:16
	v_mov_b32_e32 v121, 0
	ds_load_b64 v[124:125], v121 offset:480
	s_wait_loadcnt_dscnt 0x0
	v_pk_mul_f32 v[126:127], v[124:125], v[122:123] op_sel:[1,1] op_sel_hi:[0,1]
	s_delay_alu instid0(VALU_DEP_1) | instskip(SKIP_1) | instid1(VALU_DEP_2)
	v_pk_fma_f32 v[128:129], v[124:125], v[122:123], v[126:127] op_sel_hi:[1,0,1]
	v_pk_fma_f32 v[122:123], v[124:125], v[122:123], v[126:127] neg_lo:[0,0,1] neg_hi:[0,0,1]
	v_mov_b32_e32 v123, v129
	s_delay_alu instid0(VALU_DEP_1)
	v_pk_add_f32 v[118:119], v[118:119], v[122:123]
.LBB56_588:
	s_or_b32 exec_lo, exec_lo, s4
.LBB56_589:
	s_delay_alu instid0(SALU_CYCLE_1) | instskip(SKIP_4) | instid1(VALU_DEP_1)
	s_or_b32 exec_lo, exec_lo, s3
	v_mov_b32_e32 v121, 0
	ds_load_b64 v[122:123], v121 offset:24
	s_wait_dscnt 0x0
	v_pk_mul_f32 v[124:125], v[118:119], v[122:123] op_sel:[1,1] op_sel_hi:[0,1]
	v_pk_fma_f32 v[126:127], v[118:119], v[122:123], v[124:125] op_sel_hi:[1,0,1]
	v_pk_fma_f32 v[118:119], v[118:119], v[122:123], v[124:125] neg_lo:[0,0,1] neg_hi:[0,0,1]
	s_delay_alu instid0(VALU_DEP_2)
	v_mov_b32_e32 v119, v127
	scratch_store_b64 off, v[118:119], off offset:24
.LBB56_590:
	s_wait_xcnt 0x0
	s_or_b32 exec_lo, exec_lo, s2
	scratch_load_b64 v[118:119], off, off offset:32
	s_mov_b32 s0, exec_lo
	s_wait_loadcnt 0x0
	ds_store_b64 v1, v[118:119]
	s_wait_storecnt_dscnt 0x0
	s_barrier_signal -1
	s_barrier_wait -1
	s_wait_xcnt 0x0
	v_cmpx_gt_u32_e32 4, v0
	s_cbranch_execz .LBB56_600
; %bb.591:
	v_cmp_ne_u32_e32 vcc_lo, 1, v120
	s_cbranch_vccnz .LBB56_593
; %bb.592:
	scratch_load_b64 v[118:119], v49, off
	ds_load_b64 v[122:123], v1
	s_wait_loadcnt_dscnt 0x0
	v_pk_mul_f32 v[124:125], v[122:123], v[118:119] op_sel:[1,1] op_sel_hi:[0,1]
	s_delay_alu instid0(VALU_DEP_1) | instskip(SKIP_1) | instid1(VALU_DEP_2)
	v_pk_fma_f32 v[126:127], v[122:123], v[118:119], v[124:125] op_sel_hi:[1,0,1]
	v_pk_fma_f32 v[118:119], v[122:123], v[118:119], v[124:125] neg_lo:[0,0,1] neg_hi:[0,0,1]
	v_mov_b32_e32 v119, v127
	s_cbranch_execz .LBB56_594
	s_branch .LBB56_595
.LBB56_593:
                                        ; implicit-def: $vgpr118_vgpr119
.LBB56_594:
	ds_load_b64 v[118:119], v1
.LBB56_595:
	s_mov_b32 s2, exec_lo
	v_cmpx_ne_u32_e32 3, v0
	s_cbranch_execz .LBB56_599
; %bb.596:
	v_add_nc_u32_e32 v121, 0x1d8, v48
	v_add3_u32 v122, 0, v48, 8
	v_mov_b32_e32 v123, v0
	s_mov_b32 s3, 0
.LBB56_597:                             ; =>This Inner Loop Header: Depth=1
	scratch_load_b64 v[124:125], v122, off
	ds_load_b64 v[126:127], v121
	s_wait_xcnt 0x0
	v_dual_add_nc_u32 v121, 8, v121 :: v_dual_add_nc_u32 v122, 8, v122
	s_wait_loadcnt_dscnt 0x0
	v_pk_mul_f32 v[128:129], v[126:127], v[124:125] op_sel:[1,1] op_sel_hi:[0,1]
	s_delay_alu instid0(VALU_DEP_1) | instskip(SKIP_2) | instid1(VALU_DEP_3)
	v_pk_fma_f32 v[130:131], v[126:127], v[124:125], v[128:129] op_sel_hi:[1,0,1]
	v_add_nc_u32_e32 v123, 1, v123
	v_pk_fma_f32 v[124:125], v[126:127], v[124:125], v[128:129] neg_lo:[0,0,1] neg_hi:[0,0,1]
	v_mov_b32_e32 v125, v131
	s_delay_alu instid0(VALU_DEP_3) | instskip(NEXT) | instid1(VALU_DEP_2)
	v_cmp_lt_u32_e32 vcc_lo, 2, v123
	v_pk_add_f32 v[118:119], v[118:119], v[124:125]
	s_or_b32 s3, vcc_lo, s3
	s_delay_alu instid0(SALU_CYCLE_1)
	s_and_not1_b32 exec_lo, exec_lo, s3
	s_cbranch_execnz .LBB56_597
; %bb.598:
	s_or_b32 exec_lo, exec_lo, s3
.LBB56_599:
	s_delay_alu instid0(SALU_CYCLE_1) | instskip(SKIP_4) | instid1(VALU_DEP_1)
	s_or_b32 exec_lo, exec_lo, s2
	v_mov_b32_e32 v121, 0
	ds_load_b64 v[122:123], v121 offset:32
	s_wait_dscnt 0x0
	v_pk_mul_f32 v[124:125], v[118:119], v[122:123] op_sel:[1,1] op_sel_hi:[0,1]
	v_pk_fma_f32 v[126:127], v[118:119], v[122:123], v[124:125] op_sel_hi:[1,0,1]
	v_pk_fma_f32 v[118:119], v[118:119], v[122:123], v[124:125] neg_lo:[0,0,1] neg_hi:[0,0,1]
	s_delay_alu instid0(VALU_DEP_2)
	v_mov_b32_e32 v119, v127
	scratch_store_b64 off, v[118:119], off offset:32
.LBB56_600:
	s_wait_xcnt 0x0
	s_or_b32 exec_lo, exec_lo, s0
	scratch_load_b64 v[118:119], off, off offset:40
	s_mov_b32 s0, exec_lo
	s_wait_loadcnt 0x0
	ds_store_b64 v1, v[118:119]
	s_wait_storecnt_dscnt 0x0
	s_barrier_signal -1
	s_barrier_wait -1
	s_wait_xcnt 0x0
	v_cmpx_gt_u32_e32 5, v0
	s_cbranch_execz .LBB56_610
; %bb.601:
	v_cmp_ne_u32_e32 vcc_lo, 1, v120
	s_cbranch_vccnz .LBB56_603
; %bb.602:
	scratch_load_b64 v[118:119], v49, off
	ds_load_b64 v[122:123], v1
	s_wait_loadcnt_dscnt 0x0
	v_pk_mul_f32 v[124:125], v[122:123], v[118:119] op_sel:[1,1] op_sel_hi:[0,1]
	s_delay_alu instid0(VALU_DEP_1) | instskip(SKIP_1) | instid1(VALU_DEP_2)
	v_pk_fma_f32 v[126:127], v[122:123], v[118:119], v[124:125] op_sel_hi:[1,0,1]
	v_pk_fma_f32 v[118:119], v[122:123], v[118:119], v[124:125] neg_lo:[0,0,1] neg_hi:[0,0,1]
	v_mov_b32_e32 v119, v127
	s_cbranch_execz .LBB56_604
	s_branch .LBB56_605
.LBB56_603:
                                        ; implicit-def: $vgpr118_vgpr119
.LBB56_604:
	ds_load_b64 v[118:119], v1
.LBB56_605:
	s_mov_b32 s2, exec_lo
	v_cmpx_ne_u32_e32 4, v0
	s_cbranch_execz .LBB56_609
; %bb.606:
	v_add_nc_u32_e32 v121, 0x1d8, v48
	v_add3_u32 v122, 0, v48, 8
	v_mov_b32_e32 v123, v0
	s_mov_b32 s3, 0
.LBB56_607:                             ; =>This Inner Loop Header: Depth=1
	scratch_load_b64 v[124:125], v122, off
	ds_load_b64 v[126:127], v121
	s_wait_xcnt 0x0
	v_dual_add_nc_u32 v121, 8, v121 :: v_dual_add_nc_u32 v122, 8, v122
	s_wait_loadcnt_dscnt 0x0
	v_pk_mul_f32 v[128:129], v[126:127], v[124:125] op_sel:[1,1] op_sel_hi:[0,1]
	s_delay_alu instid0(VALU_DEP_1) | instskip(SKIP_2) | instid1(VALU_DEP_3)
	v_pk_fma_f32 v[130:131], v[126:127], v[124:125], v[128:129] op_sel_hi:[1,0,1]
	v_add_nc_u32_e32 v123, 1, v123
	v_pk_fma_f32 v[124:125], v[126:127], v[124:125], v[128:129] neg_lo:[0,0,1] neg_hi:[0,0,1]
	v_mov_b32_e32 v125, v131
	s_delay_alu instid0(VALU_DEP_3) | instskip(NEXT) | instid1(VALU_DEP_2)
	v_cmp_lt_u32_e32 vcc_lo, 3, v123
	v_pk_add_f32 v[118:119], v[118:119], v[124:125]
	s_or_b32 s3, vcc_lo, s3
	s_delay_alu instid0(SALU_CYCLE_1)
	s_and_not1_b32 exec_lo, exec_lo, s3
	s_cbranch_execnz .LBB56_607
; %bb.608:
	s_or_b32 exec_lo, exec_lo, s3
.LBB56_609:
	s_delay_alu instid0(SALU_CYCLE_1) | instskip(SKIP_4) | instid1(VALU_DEP_1)
	s_or_b32 exec_lo, exec_lo, s2
	v_mov_b32_e32 v121, 0
	ds_load_b64 v[122:123], v121 offset:40
	s_wait_dscnt 0x0
	v_pk_mul_f32 v[124:125], v[118:119], v[122:123] op_sel:[1,1] op_sel_hi:[0,1]
	v_pk_fma_f32 v[126:127], v[118:119], v[122:123], v[124:125] op_sel_hi:[1,0,1]
	v_pk_fma_f32 v[118:119], v[118:119], v[122:123], v[124:125] neg_lo:[0,0,1] neg_hi:[0,0,1]
	s_delay_alu instid0(VALU_DEP_2)
	v_mov_b32_e32 v119, v127
	scratch_store_b64 off, v[118:119], off offset:40
.LBB56_610:
	s_wait_xcnt 0x0
	s_or_b32 exec_lo, exec_lo, s0
	scratch_load_b64 v[118:119], off, off offset:48
	s_mov_b32 s0, exec_lo
	s_wait_loadcnt 0x0
	ds_store_b64 v1, v[118:119]
	s_wait_storecnt_dscnt 0x0
	s_barrier_signal -1
	s_barrier_wait -1
	s_wait_xcnt 0x0
	v_cmpx_gt_u32_e32 6, v0
	s_cbranch_execz .LBB56_620
; %bb.611:
	v_cmp_ne_u32_e32 vcc_lo, 1, v120
	s_cbranch_vccnz .LBB56_613
; %bb.612:
	scratch_load_b64 v[118:119], v49, off
	ds_load_b64 v[122:123], v1
	s_wait_loadcnt_dscnt 0x0
	v_pk_mul_f32 v[124:125], v[122:123], v[118:119] op_sel:[1,1] op_sel_hi:[0,1]
	s_delay_alu instid0(VALU_DEP_1) | instskip(SKIP_1) | instid1(VALU_DEP_2)
	v_pk_fma_f32 v[126:127], v[122:123], v[118:119], v[124:125] op_sel_hi:[1,0,1]
	v_pk_fma_f32 v[118:119], v[122:123], v[118:119], v[124:125] neg_lo:[0,0,1] neg_hi:[0,0,1]
	v_mov_b32_e32 v119, v127
	s_cbranch_execz .LBB56_614
	s_branch .LBB56_615
.LBB56_613:
                                        ; implicit-def: $vgpr118_vgpr119
.LBB56_614:
	ds_load_b64 v[118:119], v1
.LBB56_615:
	s_mov_b32 s2, exec_lo
	v_cmpx_ne_u32_e32 5, v0
	s_cbranch_execz .LBB56_619
; %bb.616:
	v_add_nc_u32_e32 v121, 0x1d8, v48
	v_add3_u32 v122, 0, v48, 8
	v_mov_b32_e32 v123, v0
	s_mov_b32 s3, 0
.LBB56_617:                             ; =>This Inner Loop Header: Depth=1
	scratch_load_b64 v[124:125], v122, off
	ds_load_b64 v[126:127], v121
	s_wait_xcnt 0x0
	v_dual_add_nc_u32 v121, 8, v121 :: v_dual_add_nc_u32 v122, 8, v122
	s_wait_loadcnt_dscnt 0x0
	v_pk_mul_f32 v[128:129], v[126:127], v[124:125] op_sel:[1,1] op_sel_hi:[0,1]
	s_delay_alu instid0(VALU_DEP_1) | instskip(SKIP_2) | instid1(VALU_DEP_3)
	v_pk_fma_f32 v[130:131], v[126:127], v[124:125], v[128:129] op_sel_hi:[1,0,1]
	v_add_nc_u32_e32 v123, 1, v123
	v_pk_fma_f32 v[124:125], v[126:127], v[124:125], v[128:129] neg_lo:[0,0,1] neg_hi:[0,0,1]
	v_mov_b32_e32 v125, v131
	s_delay_alu instid0(VALU_DEP_3) | instskip(NEXT) | instid1(VALU_DEP_2)
	v_cmp_lt_u32_e32 vcc_lo, 4, v123
	v_pk_add_f32 v[118:119], v[118:119], v[124:125]
	s_or_b32 s3, vcc_lo, s3
	s_delay_alu instid0(SALU_CYCLE_1)
	s_and_not1_b32 exec_lo, exec_lo, s3
	s_cbranch_execnz .LBB56_617
; %bb.618:
	s_or_b32 exec_lo, exec_lo, s3
.LBB56_619:
	s_delay_alu instid0(SALU_CYCLE_1) | instskip(SKIP_4) | instid1(VALU_DEP_1)
	s_or_b32 exec_lo, exec_lo, s2
	v_mov_b32_e32 v121, 0
	ds_load_b64 v[122:123], v121 offset:48
	s_wait_dscnt 0x0
	v_pk_mul_f32 v[124:125], v[118:119], v[122:123] op_sel:[1,1] op_sel_hi:[0,1]
	v_pk_fma_f32 v[126:127], v[118:119], v[122:123], v[124:125] op_sel_hi:[1,0,1]
	v_pk_fma_f32 v[118:119], v[118:119], v[122:123], v[124:125] neg_lo:[0,0,1] neg_hi:[0,0,1]
	s_delay_alu instid0(VALU_DEP_2)
	v_mov_b32_e32 v119, v127
	scratch_store_b64 off, v[118:119], off offset:48
.LBB56_620:
	s_wait_xcnt 0x0
	s_or_b32 exec_lo, exec_lo, s0
	scratch_load_b64 v[118:119], off, off offset:56
	s_mov_b32 s0, exec_lo
	s_wait_loadcnt 0x0
	ds_store_b64 v1, v[118:119]
	s_wait_storecnt_dscnt 0x0
	s_barrier_signal -1
	s_barrier_wait -1
	s_wait_xcnt 0x0
	v_cmpx_gt_u32_e32 7, v0
	s_cbranch_execz .LBB56_630
; %bb.621:
	v_cmp_ne_u32_e32 vcc_lo, 1, v120
	s_cbranch_vccnz .LBB56_623
; %bb.622:
	scratch_load_b64 v[118:119], v49, off
	ds_load_b64 v[122:123], v1
	s_wait_loadcnt_dscnt 0x0
	v_pk_mul_f32 v[124:125], v[122:123], v[118:119] op_sel:[1,1] op_sel_hi:[0,1]
	s_delay_alu instid0(VALU_DEP_1) | instskip(SKIP_1) | instid1(VALU_DEP_2)
	v_pk_fma_f32 v[126:127], v[122:123], v[118:119], v[124:125] op_sel_hi:[1,0,1]
	v_pk_fma_f32 v[118:119], v[122:123], v[118:119], v[124:125] neg_lo:[0,0,1] neg_hi:[0,0,1]
	v_mov_b32_e32 v119, v127
	s_cbranch_execz .LBB56_624
	s_branch .LBB56_625
.LBB56_623:
                                        ; implicit-def: $vgpr118_vgpr119
.LBB56_624:
	ds_load_b64 v[118:119], v1
.LBB56_625:
	s_mov_b32 s2, exec_lo
	v_cmpx_ne_u32_e32 6, v0
	s_cbranch_execz .LBB56_629
; %bb.626:
	v_add_nc_u32_e32 v121, 0x1d8, v48
	v_add3_u32 v122, 0, v48, 8
	v_mov_b32_e32 v123, v0
	s_mov_b32 s3, 0
.LBB56_627:                             ; =>This Inner Loop Header: Depth=1
	scratch_load_b64 v[124:125], v122, off
	ds_load_b64 v[126:127], v121
	s_wait_xcnt 0x0
	v_dual_add_nc_u32 v121, 8, v121 :: v_dual_add_nc_u32 v122, 8, v122
	s_wait_loadcnt_dscnt 0x0
	v_pk_mul_f32 v[128:129], v[126:127], v[124:125] op_sel:[1,1] op_sel_hi:[0,1]
	s_delay_alu instid0(VALU_DEP_1) | instskip(SKIP_2) | instid1(VALU_DEP_3)
	v_pk_fma_f32 v[130:131], v[126:127], v[124:125], v[128:129] op_sel_hi:[1,0,1]
	v_add_nc_u32_e32 v123, 1, v123
	v_pk_fma_f32 v[124:125], v[126:127], v[124:125], v[128:129] neg_lo:[0,0,1] neg_hi:[0,0,1]
	v_mov_b32_e32 v125, v131
	s_delay_alu instid0(VALU_DEP_3) | instskip(NEXT) | instid1(VALU_DEP_2)
	v_cmp_lt_u32_e32 vcc_lo, 5, v123
	v_pk_add_f32 v[118:119], v[118:119], v[124:125]
	s_or_b32 s3, vcc_lo, s3
	s_delay_alu instid0(SALU_CYCLE_1)
	s_and_not1_b32 exec_lo, exec_lo, s3
	s_cbranch_execnz .LBB56_627
; %bb.628:
	s_or_b32 exec_lo, exec_lo, s3
.LBB56_629:
	s_delay_alu instid0(SALU_CYCLE_1) | instskip(SKIP_4) | instid1(VALU_DEP_1)
	s_or_b32 exec_lo, exec_lo, s2
	v_mov_b32_e32 v121, 0
	ds_load_b64 v[122:123], v121 offset:56
	s_wait_dscnt 0x0
	v_pk_mul_f32 v[124:125], v[118:119], v[122:123] op_sel:[1,1] op_sel_hi:[0,1]
	v_pk_fma_f32 v[126:127], v[118:119], v[122:123], v[124:125] op_sel_hi:[1,0,1]
	v_pk_fma_f32 v[118:119], v[118:119], v[122:123], v[124:125] neg_lo:[0,0,1] neg_hi:[0,0,1]
	s_delay_alu instid0(VALU_DEP_2)
	v_mov_b32_e32 v119, v127
	scratch_store_b64 off, v[118:119], off offset:56
.LBB56_630:
	s_wait_xcnt 0x0
	s_or_b32 exec_lo, exec_lo, s0
	scratch_load_b64 v[118:119], off, off offset:64
	s_mov_b32 s0, exec_lo
	s_wait_loadcnt 0x0
	ds_store_b64 v1, v[118:119]
	s_wait_storecnt_dscnt 0x0
	s_barrier_signal -1
	s_barrier_wait -1
	s_wait_xcnt 0x0
	v_cmpx_gt_u32_e32 8, v0
	s_cbranch_execz .LBB56_640
; %bb.631:
	v_cmp_ne_u32_e32 vcc_lo, 1, v120
	s_cbranch_vccnz .LBB56_633
; %bb.632:
	scratch_load_b64 v[118:119], v49, off
	ds_load_b64 v[122:123], v1
	s_wait_loadcnt_dscnt 0x0
	v_pk_mul_f32 v[124:125], v[122:123], v[118:119] op_sel:[1,1] op_sel_hi:[0,1]
	s_delay_alu instid0(VALU_DEP_1) | instskip(SKIP_1) | instid1(VALU_DEP_2)
	v_pk_fma_f32 v[126:127], v[122:123], v[118:119], v[124:125] op_sel_hi:[1,0,1]
	v_pk_fma_f32 v[118:119], v[122:123], v[118:119], v[124:125] neg_lo:[0,0,1] neg_hi:[0,0,1]
	v_mov_b32_e32 v119, v127
	s_cbranch_execz .LBB56_634
	s_branch .LBB56_635
.LBB56_633:
                                        ; implicit-def: $vgpr118_vgpr119
.LBB56_634:
	ds_load_b64 v[118:119], v1
.LBB56_635:
	s_mov_b32 s2, exec_lo
	v_cmpx_ne_u32_e32 7, v0
	s_cbranch_execz .LBB56_639
; %bb.636:
	v_add_nc_u32_e32 v121, 0x1d8, v48
	v_add3_u32 v122, 0, v48, 8
	v_mov_b32_e32 v123, v0
	s_mov_b32 s3, 0
.LBB56_637:                             ; =>This Inner Loop Header: Depth=1
	scratch_load_b64 v[124:125], v122, off
	ds_load_b64 v[126:127], v121
	s_wait_xcnt 0x0
	v_dual_add_nc_u32 v121, 8, v121 :: v_dual_add_nc_u32 v122, 8, v122
	s_wait_loadcnt_dscnt 0x0
	v_pk_mul_f32 v[128:129], v[126:127], v[124:125] op_sel:[1,1] op_sel_hi:[0,1]
	s_delay_alu instid0(VALU_DEP_1) | instskip(SKIP_2) | instid1(VALU_DEP_3)
	v_pk_fma_f32 v[130:131], v[126:127], v[124:125], v[128:129] op_sel_hi:[1,0,1]
	v_add_nc_u32_e32 v123, 1, v123
	v_pk_fma_f32 v[124:125], v[126:127], v[124:125], v[128:129] neg_lo:[0,0,1] neg_hi:[0,0,1]
	v_mov_b32_e32 v125, v131
	s_delay_alu instid0(VALU_DEP_3) | instskip(NEXT) | instid1(VALU_DEP_2)
	v_cmp_lt_u32_e32 vcc_lo, 6, v123
	v_pk_add_f32 v[118:119], v[118:119], v[124:125]
	s_or_b32 s3, vcc_lo, s3
	s_delay_alu instid0(SALU_CYCLE_1)
	s_and_not1_b32 exec_lo, exec_lo, s3
	s_cbranch_execnz .LBB56_637
; %bb.638:
	s_or_b32 exec_lo, exec_lo, s3
.LBB56_639:
	s_delay_alu instid0(SALU_CYCLE_1) | instskip(SKIP_4) | instid1(VALU_DEP_1)
	s_or_b32 exec_lo, exec_lo, s2
	v_mov_b32_e32 v121, 0
	ds_load_b64 v[122:123], v121 offset:64
	s_wait_dscnt 0x0
	v_pk_mul_f32 v[124:125], v[118:119], v[122:123] op_sel:[1,1] op_sel_hi:[0,1]
	v_pk_fma_f32 v[126:127], v[118:119], v[122:123], v[124:125] op_sel_hi:[1,0,1]
	v_pk_fma_f32 v[118:119], v[118:119], v[122:123], v[124:125] neg_lo:[0,0,1] neg_hi:[0,0,1]
	s_delay_alu instid0(VALU_DEP_2)
	v_mov_b32_e32 v119, v127
	scratch_store_b64 off, v[118:119], off offset:64
.LBB56_640:
	s_wait_xcnt 0x0
	s_or_b32 exec_lo, exec_lo, s0
	scratch_load_b64 v[118:119], off, off offset:72
	s_mov_b32 s0, exec_lo
	s_wait_loadcnt 0x0
	ds_store_b64 v1, v[118:119]
	s_wait_storecnt_dscnt 0x0
	s_barrier_signal -1
	s_barrier_wait -1
	s_wait_xcnt 0x0
	v_cmpx_gt_u32_e32 9, v0
	s_cbranch_execz .LBB56_650
; %bb.641:
	v_cmp_ne_u32_e32 vcc_lo, 1, v120
	s_cbranch_vccnz .LBB56_643
; %bb.642:
	scratch_load_b64 v[118:119], v49, off
	ds_load_b64 v[122:123], v1
	s_wait_loadcnt_dscnt 0x0
	v_pk_mul_f32 v[124:125], v[122:123], v[118:119] op_sel:[1,1] op_sel_hi:[0,1]
	s_delay_alu instid0(VALU_DEP_1) | instskip(SKIP_1) | instid1(VALU_DEP_2)
	v_pk_fma_f32 v[126:127], v[122:123], v[118:119], v[124:125] op_sel_hi:[1,0,1]
	v_pk_fma_f32 v[118:119], v[122:123], v[118:119], v[124:125] neg_lo:[0,0,1] neg_hi:[0,0,1]
	v_mov_b32_e32 v119, v127
	s_cbranch_execz .LBB56_644
	s_branch .LBB56_645
.LBB56_643:
                                        ; implicit-def: $vgpr118_vgpr119
.LBB56_644:
	ds_load_b64 v[118:119], v1
.LBB56_645:
	s_mov_b32 s2, exec_lo
	v_cmpx_ne_u32_e32 8, v0
	s_cbranch_execz .LBB56_649
; %bb.646:
	v_add_nc_u32_e32 v121, 0x1d8, v48
	v_add3_u32 v122, 0, v48, 8
	v_mov_b32_e32 v123, v0
	s_mov_b32 s3, 0
.LBB56_647:                             ; =>This Inner Loop Header: Depth=1
	scratch_load_b64 v[124:125], v122, off
	ds_load_b64 v[126:127], v121
	s_wait_xcnt 0x0
	v_dual_add_nc_u32 v121, 8, v121 :: v_dual_add_nc_u32 v122, 8, v122
	s_wait_loadcnt_dscnt 0x0
	v_pk_mul_f32 v[128:129], v[126:127], v[124:125] op_sel:[1,1] op_sel_hi:[0,1]
	s_delay_alu instid0(VALU_DEP_1) | instskip(SKIP_2) | instid1(VALU_DEP_3)
	v_pk_fma_f32 v[130:131], v[126:127], v[124:125], v[128:129] op_sel_hi:[1,0,1]
	v_add_nc_u32_e32 v123, 1, v123
	v_pk_fma_f32 v[124:125], v[126:127], v[124:125], v[128:129] neg_lo:[0,0,1] neg_hi:[0,0,1]
	v_mov_b32_e32 v125, v131
	s_delay_alu instid0(VALU_DEP_3) | instskip(NEXT) | instid1(VALU_DEP_2)
	v_cmp_lt_u32_e32 vcc_lo, 7, v123
	v_pk_add_f32 v[118:119], v[118:119], v[124:125]
	s_or_b32 s3, vcc_lo, s3
	s_delay_alu instid0(SALU_CYCLE_1)
	s_and_not1_b32 exec_lo, exec_lo, s3
	s_cbranch_execnz .LBB56_647
; %bb.648:
	s_or_b32 exec_lo, exec_lo, s3
.LBB56_649:
	s_delay_alu instid0(SALU_CYCLE_1) | instskip(SKIP_4) | instid1(VALU_DEP_1)
	s_or_b32 exec_lo, exec_lo, s2
	v_mov_b32_e32 v121, 0
	ds_load_b64 v[122:123], v121 offset:72
	s_wait_dscnt 0x0
	v_pk_mul_f32 v[124:125], v[118:119], v[122:123] op_sel:[1,1] op_sel_hi:[0,1]
	v_pk_fma_f32 v[126:127], v[118:119], v[122:123], v[124:125] op_sel_hi:[1,0,1]
	v_pk_fma_f32 v[118:119], v[118:119], v[122:123], v[124:125] neg_lo:[0,0,1] neg_hi:[0,0,1]
	s_delay_alu instid0(VALU_DEP_2)
	v_mov_b32_e32 v119, v127
	scratch_store_b64 off, v[118:119], off offset:72
.LBB56_650:
	s_wait_xcnt 0x0
	s_or_b32 exec_lo, exec_lo, s0
	scratch_load_b64 v[118:119], off, off offset:80
	s_mov_b32 s0, exec_lo
	s_wait_loadcnt 0x0
	ds_store_b64 v1, v[118:119]
	s_wait_storecnt_dscnt 0x0
	s_barrier_signal -1
	s_barrier_wait -1
	s_wait_xcnt 0x0
	v_cmpx_gt_u32_e32 10, v0
	s_cbranch_execz .LBB56_660
; %bb.651:
	v_cmp_ne_u32_e32 vcc_lo, 1, v120
	s_cbranch_vccnz .LBB56_653
; %bb.652:
	scratch_load_b64 v[118:119], v49, off
	ds_load_b64 v[122:123], v1
	s_wait_loadcnt_dscnt 0x0
	v_pk_mul_f32 v[124:125], v[122:123], v[118:119] op_sel:[1,1] op_sel_hi:[0,1]
	s_delay_alu instid0(VALU_DEP_1) | instskip(SKIP_1) | instid1(VALU_DEP_2)
	v_pk_fma_f32 v[126:127], v[122:123], v[118:119], v[124:125] op_sel_hi:[1,0,1]
	v_pk_fma_f32 v[118:119], v[122:123], v[118:119], v[124:125] neg_lo:[0,0,1] neg_hi:[0,0,1]
	v_mov_b32_e32 v119, v127
	s_cbranch_execz .LBB56_654
	s_branch .LBB56_655
.LBB56_653:
                                        ; implicit-def: $vgpr118_vgpr119
.LBB56_654:
	ds_load_b64 v[118:119], v1
.LBB56_655:
	s_mov_b32 s2, exec_lo
	v_cmpx_ne_u32_e32 9, v0
	s_cbranch_execz .LBB56_659
; %bb.656:
	v_add_nc_u32_e32 v121, 0x1d8, v48
	v_add3_u32 v122, 0, v48, 8
	v_mov_b32_e32 v123, v0
	s_mov_b32 s3, 0
.LBB56_657:                             ; =>This Inner Loop Header: Depth=1
	scratch_load_b64 v[124:125], v122, off
	ds_load_b64 v[126:127], v121
	s_wait_xcnt 0x0
	v_dual_add_nc_u32 v121, 8, v121 :: v_dual_add_nc_u32 v122, 8, v122
	s_wait_loadcnt_dscnt 0x0
	v_pk_mul_f32 v[128:129], v[126:127], v[124:125] op_sel:[1,1] op_sel_hi:[0,1]
	s_delay_alu instid0(VALU_DEP_1) | instskip(SKIP_2) | instid1(VALU_DEP_3)
	v_pk_fma_f32 v[130:131], v[126:127], v[124:125], v[128:129] op_sel_hi:[1,0,1]
	v_add_nc_u32_e32 v123, 1, v123
	v_pk_fma_f32 v[124:125], v[126:127], v[124:125], v[128:129] neg_lo:[0,0,1] neg_hi:[0,0,1]
	v_mov_b32_e32 v125, v131
	s_delay_alu instid0(VALU_DEP_3) | instskip(NEXT) | instid1(VALU_DEP_2)
	v_cmp_lt_u32_e32 vcc_lo, 8, v123
	v_pk_add_f32 v[118:119], v[118:119], v[124:125]
	s_or_b32 s3, vcc_lo, s3
	s_delay_alu instid0(SALU_CYCLE_1)
	s_and_not1_b32 exec_lo, exec_lo, s3
	s_cbranch_execnz .LBB56_657
; %bb.658:
	s_or_b32 exec_lo, exec_lo, s3
.LBB56_659:
	s_delay_alu instid0(SALU_CYCLE_1) | instskip(SKIP_4) | instid1(VALU_DEP_1)
	s_or_b32 exec_lo, exec_lo, s2
	v_mov_b32_e32 v121, 0
	ds_load_b64 v[122:123], v121 offset:80
	s_wait_dscnt 0x0
	v_pk_mul_f32 v[124:125], v[118:119], v[122:123] op_sel:[1,1] op_sel_hi:[0,1]
	v_pk_fma_f32 v[126:127], v[118:119], v[122:123], v[124:125] op_sel_hi:[1,0,1]
	v_pk_fma_f32 v[118:119], v[118:119], v[122:123], v[124:125] neg_lo:[0,0,1] neg_hi:[0,0,1]
	s_delay_alu instid0(VALU_DEP_2)
	v_mov_b32_e32 v119, v127
	scratch_store_b64 off, v[118:119], off offset:80
.LBB56_660:
	s_wait_xcnt 0x0
	s_or_b32 exec_lo, exec_lo, s0
	scratch_load_b64 v[118:119], off, off offset:88
	s_mov_b32 s0, exec_lo
	s_wait_loadcnt 0x0
	ds_store_b64 v1, v[118:119]
	s_wait_storecnt_dscnt 0x0
	s_barrier_signal -1
	s_barrier_wait -1
	s_wait_xcnt 0x0
	v_cmpx_gt_u32_e32 11, v0
	s_cbranch_execz .LBB56_670
; %bb.661:
	v_cmp_ne_u32_e32 vcc_lo, 1, v120
	s_cbranch_vccnz .LBB56_663
; %bb.662:
	scratch_load_b64 v[118:119], v49, off
	ds_load_b64 v[122:123], v1
	s_wait_loadcnt_dscnt 0x0
	v_pk_mul_f32 v[124:125], v[122:123], v[118:119] op_sel:[1,1] op_sel_hi:[0,1]
	s_delay_alu instid0(VALU_DEP_1) | instskip(SKIP_1) | instid1(VALU_DEP_2)
	v_pk_fma_f32 v[126:127], v[122:123], v[118:119], v[124:125] op_sel_hi:[1,0,1]
	v_pk_fma_f32 v[118:119], v[122:123], v[118:119], v[124:125] neg_lo:[0,0,1] neg_hi:[0,0,1]
	v_mov_b32_e32 v119, v127
	s_cbranch_execz .LBB56_664
	s_branch .LBB56_665
.LBB56_663:
                                        ; implicit-def: $vgpr118_vgpr119
.LBB56_664:
	ds_load_b64 v[118:119], v1
.LBB56_665:
	s_mov_b32 s2, exec_lo
	v_cmpx_ne_u32_e32 10, v0
	s_cbranch_execz .LBB56_669
; %bb.666:
	v_add_nc_u32_e32 v121, 0x1d8, v48
	v_add3_u32 v122, 0, v48, 8
	v_mov_b32_e32 v123, v0
	s_mov_b32 s3, 0
.LBB56_667:                             ; =>This Inner Loop Header: Depth=1
	scratch_load_b64 v[124:125], v122, off
	ds_load_b64 v[126:127], v121
	s_wait_xcnt 0x0
	v_dual_add_nc_u32 v121, 8, v121 :: v_dual_add_nc_u32 v122, 8, v122
	s_wait_loadcnt_dscnt 0x0
	v_pk_mul_f32 v[128:129], v[126:127], v[124:125] op_sel:[1,1] op_sel_hi:[0,1]
	s_delay_alu instid0(VALU_DEP_1) | instskip(SKIP_2) | instid1(VALU_DEP_3)
	v_pk_fma_f32 v[130:131], v[126:127], v[124:125], v[128:129] op_sel_hi:[1,0,1]
	v_add_nc_u32_e32 v123, 1, v123
	v_pk_fma_f32 v[124:125], v[126:127], v[124:125], v[128:129] neg_lo:[0,0,1] neg_hi:[0,0,1]
	v_mov_b32_e32 v125, v131
	s_delay_alu instid0(VALU_DEP_3) | instskip(NEXT) | instid1(VALU_DEP_2)
	v_cmp_lt_u32_e32 vcc_lo, 9, v123
	v_pk_add_f32 v[118:119], v[118:119], v[124:125]
	s_or_b32 s3, vcc_lo, s3
	s_delay_alu instid0(SALU_CYCLE_1)
	s_and_not1_b32 exec_lo, exec_lo, s3
	s_cbranch_execnz .LBB56_667
; %bb.668:
	s_or_b32 exec_lo, exec_lo, s3
.LBB56_669:
	s_delay_alu instid0(SALU_CYCLE_1) | instskip(SKIP_4) | instid1(VALU_DEP_1)
	s_or_b32 exec_lo, exec_lo, s2
	v_mov_b32_e32 v121, 0
	ds_load_b64 v[122:123], v121 offset:88
	s_wait_dscnt 0x0
	v_pk_mul_f32 v[124:125], v[118:119], v[122:123] op_sel:[1,1] op_sel_hi:[0,1]
	v_pk_fma_f32 v[126:127], v[118:119], v[122:123], v[124:125] op_sel_hi:[1,0,1]
	v_pk_fma_f32 v[118:119], v[118:119], v[122:123], v[124:125] neg_lo:[0,0,1] neg_hi:[0,0,1]
	s_delay_alu instid0(VALU_DEP_2)
	v_mov_b32_e32 v119, v127
	scratch_store_b64 off, v[118:119], off offset:88
.LBB56_670:
	s_wait_xcnt 0x0
	s_or_b32 exec_lo, exec_lo, s0
	scratch_load_b64 v[118:119], off, off offset:96
	s_mov_b32 s0, exec_lo
	s_wait_loadcnt 0x0
	ds_store_b64 v1, v[118:119]
	s_wait_storecnt_dscnt 0x0
	s_barrier_signal -1
	s_barrier_wait -1
	s_wait_xcnt 0x0
	v_cmpx_gt_u32_e32 12, v0
	s_cbranch_execz .LBB56_680
; %bb.671:
	v_cmp_ne_u32_e32 vcc_lo, 1, v120
	s_cbranch_vccnz .LBB56_673
; %bb.672:
	scratch_load_b64 v[118:119], v49, off
	ds_load_b64 v[122:123], v1
	s_wait_loadcnt_dscnt 0x0
	v_pk_mul_f32 v[124:125], v[122:123], v[118:119] op_sel:[1,1] op_sel_hi:[0,1]
	s_delay_alu instid0(VALU_DEP_1) | instskip(SKIP_1) | instid1(VALU_DEP_2)
	v_pk_fma_f32 v[126:127], v[122:123], v[118:119], v[124:125] op_sel_hi:[1,0,1]
	v_pk_fma_f32 v[118:119], v[122:123], v[118:119], v[124:125] neg_lo:[0,0,1] neg_hi:[0,0,1]
	v_mov_b32_e32 v119, v127
	s_cbranch_execz .LBB56_674
	s_branch .LBB56_675
.LBB56_673:
                                        ; implicit-def: $vgpr118_vgpr119
.LBB56_674:
	ds_load_b64 v[118:119], v1
.LBB56_675:
	s_mov_b32 s2, exec_lo
	v_cmpx_ne_u32_e32 11, v0
	s_cbranch_execz .LBB56_679
; %bb.676:
	v_add_nc_u32_e32 v121, 0x1d8, v48
	v_add3_u32 v122, 0, v48, 8
	v_mov_b32_e32 v123, v0
	s_mov_b32 s3, 0
.LBB56_677:                             ; =>This Inner Loop Header: Depth=1
	scratch_load_b64 v[124:125], v122, off
	ds_load_b64 v[126:127], v121
	s_wait_xcnt 0x0
	v_dual_add_nc_u32 v121, 8, v121 :: v_dual_add_nc_u32 v122, 8, v122
	s_wait_loadcnt_dscnt 0x0
	v_pk_mul_f32 v[128:129], v[126:127], v[124:125] op_sel:[1,1] op_sel_hi:[0,1]
	s_delay_alu instid0(VALU_DEP_1) | instskip(SKIP_2) | instid1(VALU_DEP_3)
	v_pk_fma_f32 v[130:131], v[126:127], v[124:125], v[128:129] op_sel_hi:[1,0,1]
	v_add_nc_u32_e32 v123, 1, v123
	v_pk_fma_f32 v[124:125], v[126:127], v[124:125], v[128:129] neg_lo:[0,0,1] neg_hi:[0,0,1]
	v_mov_b32_e32 v125, v131
	s_delay_alu instid0(VALU_DEP_3) | instskip(NEXT) | instid1(VALU_DEP_2)
	v_cmp_lt_u32_e32 vcc_lo, 10, v123
	v_pk_add_f32 v[118:119], v[118:119], v[124:125]
	s_or_b32 s3, vcc_lo, s3
	s_delay_alu instid0(SALU_CYCLE_1)
	s_and_not1_b32 exec_lo, exec_lo, s3
	s_cbranch_execnz .LBB56_677
; %bb.678:
	s_or_b32 exec_lo, exec_lo, s3
.LBB56_679:
	s_delay_alu instid0(SALU_CYCLE_1) | instskip(SKIP_4) | instid1(VALU_DEP_1)
	s_or_b32 exec_lo, exec_lo, s2
	v_mov_b32_e32 v121, 0
	ds_load_b64 v[122:123], v121 offset:96
	s_wait_dscnt 0x0
	v_pk_mul_f32 v[124:125], v[118:119], v[122:123] op_sel:[1,1] op_sel_hi:[0,1]
	v_pk_fma_f32 v[126:127], v[118:119], v[122:123], v[124:125] op_sel_hi:[1,0,1]
	v_pk_fma_f32 v[118:119], v[118:119], v[122:123], v[124:125] neg_lo:[0,0,1] neg_hi:[0,0,1]
	s_delay_alu instid0(VALU_DEP_2)
	v_mov_b32_e32 v119, v127
	scratch_store_b64 off, v[118:119], off offset:96
.LBB56_680:
	s_wait_xcnt 0x0
	s_or_b32 exec_lo, exec_lo, s0
	scratch_load_b64 v[118:119], off, off offset:104
	s_mov_b32 s0, exec_lo
	s_wait_loadcnt 0x0
	ds_store_b64 v1, v[118:119]
	s_wait_storecnt_dscnt 0x0
	s_barrier_signal -1
	s_barrier_wait -1
	s_wait_xcnt 0x0
	v_cmpx_gt_u32_e32 13, v0
	s_cbranch_execz .LBB56_690
; %bb.681:
	v_cmp_ne_u32_e32 vcc_lo, 1, v120
	s_cbranch_vccnz .LBB56_683
; %bb.682:
	scratch_load_b64 v[118:119], v49, off
	ds_load_b64 v[122:123], v1
	s_wait_loadcnt_dscnt 0x0
	v_pk_mul_f32 v[124:125], v[122:123], v[118:119] op_sel:[1,1] op_sel_hi:[0,1]
	s_delay_alu instid0(VALU_DEP_1) | instskip(SKIP_1) | instid1(VALU_DEP_2)
	v_pk_fma_f32 v[126:127], v[122:123], v[118:119], v[124:125] op_sel_hi:[1,0,1]
	v_pk_fma_f32 v[118:119], v[122:123], v[118:119], v[124:125] neg_lo:[0,0,1] neg_hi:[0,0,1]
	v_mov_b32_e32 v119, v127
	s_cbranch_execz .LBB56_684
	s_branch .LBB56_685
.LBB56_683:
                                        ; implicit-def: $vgpr118_vgpr119
.LBB56_684:
	ds_load_b64 v[118:119], v1
.LBB56_685:
	s_mov_b32 s2, exec_lo
	v_cmpx_ne_u32_e32 12, v0
	s_cbranch_execz .LBB56_689
; %bb.686:
	v_add_nc_u32_e32 v121, 0x1d8, v48
	v_add3_u32 v122, 0, v48, 8
	v_mov_b32_e32 v123, v0
	s_mov_b32 s3, 0
.LBB56_687:                             ; =>This Inner Loop Header: Depth=1
	scratch_load_b64 v[124:125], v122, off
	ds_load_b64 v[126:127], v121
	s_wait_xcnt 0x0
	v_dual_add_nc_u32 v121, 8, v121 :: v_dual_add_nc_u32 v122, 8, v122
	s_wait_loadcnt_dscnt 0x0
	v_pk_mul_f32 v[128:129], v[126:127], v[124:125] op_sel:[1,1] op_sel_hi:[0,1]
	s_delay_alu instid0(VALU_DEP_1) | instskip(SKIP_2) | instid1(VALU_DEP_3)
	v_pk_fma_f32 v[130:131], v[126:127], v[124:125], v[128:129] op_sel_hi:[1,0,1]
	v_add_nc_u32_e32 v123, 1, v123
	v_pk_fma_f32 v[124:125], v[126:127], v[124:125], v[128:129] neg_lo:[0,0,1] neg_hi:[0,0,1]
	v_mov_b32_e32 v125, v131
	s_delay_alu instid0(VALU_DEP_3) | instskip(NEXT) | instid1(VALU_DEP_2)
	v_cmp_lt_u32_e32 vcc_lo, 11, v123
	v_pk_add_f32 v[118:119], v[118:119], v[124:125]
	s_or_b32 s3, vcc_lo, s3
	s_delay_alu instid0(SALU_CYCLE_1)
	s_and_not1_b32 exec_lo, exec_lo, s3
	s_cbranch_execnz .LBB56_687
; %bb.688:
	s_or_b32 exec_lo, exec_lo, s3
.LBB56_689:
	s_delay_alu instid0(SALU_CYCLE_1) | instskip(SKIP_4) | instid1(VALU_DEP_1)
	s_or_b32 exec_lo, exec_lo, s2
	v_mov_b32_e32 v121, 0
	ds_load_b64 v[122:123], v121 offset:104
	s_wait_dscnt 0x0
	v_pk_mul_f32 v[124:125], v[118:119], v[122:123] op_sel:[1,1] op_sel_hi:[0,1]
	v_pk_fma_f32 v[126:127], v[118:119], v[122:123], v[124:125] op_sel_hi:[1,0,1]
	v_pk_fma_f32 v[118:119], v[118:119], v[122:123], v[124:125] neg_lo:[0,0,1] neg_hi:[0,0,1]
	s_delay_alu instid0(VALU_DEP_2)
	v_mov_b32_e32 v119, v127
	scratch_store_b64 off, v[118:119], off offset:104
.LBB56_690:
	s_wait_xcnt 0x0
	s_or_b32 exec_lo, exec_lo, s0
	scratch_load_b64 v[118:119], off, off offset:112
	s_mov_b32 s0, exec_lo
	s_wait_loadcnt 0x0
	ds_store_b64 v1, v[118:119]
	s_wait_storecnt_dscnt 0x0
	s_barrier_signal -1
	s_barrier_wait -1
	s_wait_xcnt 0x0
	v_cmpx_gt_u32_e32 14, v0
	s_cbranch_execz .LBB56_700
; %bb.691:
	v_cmp_ne_u32_e32 vcc_lo, 1, v120
	s_cbranch_vccnz .LBB56_693
; %bb.692:
	scratch_load_b64 v[118:119], v49, off
	ds_load_b64 v[122:123], v1
	s_wait_loadcnt_dscnt 0x0
	v_pk_mul_f32 v[124:125], v[122:123], v[118:119] op_sel:[1,1] op_sel_hi:[0,1]
	s_delay_alu instid0(VALU_DEP_1) | instskip(SKIP_1) | instid1(VALU_DEP_2)
	v_pk_fma_f32 v[126:127], v[122:123], v[118:119], v[124:125] op_sel_hi:[1,0,1]
	v_pk_fma_f32 v[118:119], v[122:123], v[118:119], v[124:125] neg_lo:[0,0,1] neg_hi:[0,0,1]
	v_mov_b32_e32 v119, v127
	s_cbranch_execz .LBB56_694
	s_branch .LBB56_695
.LBB56_693:
                                        ; implicit-def: $vgpr118_vgpr119
.LBB56_694:
	ds_load_b64 v[118:119], v1
.LBB56_695:
	s_mov_b32 s2, exec_lo
	v_cmpx_ne_u32_e32 13, v0
	s_cbranch_execz .LBB56_699
; %bb.696:
	v_add_nc_u32_e32 v121, 0x1d8, v48
	v_add3_u32 v122, 0, v48, 8
	v_mov_b32_e32 v123, v0
	s_mov_b32 s3, 0
.LBB56_697:                             ; =>This Inner Loop Header: Depth=1
	scratch_load_b64 v[124:125], v122, off
	ds_load_b64 v[126:127], v121
	s_wait_xcnt 0x0
	v_dual_add_nc_u32 v121, 8, v121 :: v_dual_add_nc_u32 v122, 8, v122
	s_wait_loadcnt_dscnt 0x0
	v_pk_mul_f32 v[128:129], v[126:127], v[124:125] op_sel:[1,1] op_sel_hi:[0,1]
	s_delay_alu instid0(VALU_DEP_1) | instskip(SKIP_2) | instid1(VALU_DEP_3)
	v_pk_fma_f32 v[130:131], v[126:127], v[124:125], v[128:129] op_sel_hi:[1,0,1]
	v_add_nc_u32_e32 v123, 1, v123
	v_pk_fma_f32 v[124:125], v[126:127], v[124:125], v[128:129] neg_lo:[0,0,1] neg_hi:[0,0,1]
	v_mov_b32_e32 v125, v131
	s_delay_alu instid0(VALU_DEP_3) | instskip(NEXT) | instid1(VALU_DEP_2)
	v_cmp_lt_u32_e32 vcc_lo, 12, v123
	v_pk_add_f32 v[118:119], v[118:119], v[124:125]
	s_or_b32 s3, vcc_lo, s3
	s_delay_alu instid0(SALU_CYCLE_1)
	s_and_not1_b32 exec_lo, exec_lo, s3
	s_cbranch_execnz .LBB56_697
; %bb.698:
	s_or_b32 exec_lo, exec_lo, s3
.LBB56_699:
	s_delay_alu instid0(SALU_CYCLE_1) | instskip(SKIP_4) | instid1(VALU_DEP_1)
	s_or_b32 exec_lo, exec_lo, s2
	v_mov_b32_e32 v121, 0
	ds_load_b64 v[122:123], v121 offset:112
	s_wait_dscnt 0x0
	v_pk_mul_f32 v[124:125], v[118:119], v[122:123] op_sel:[1,1] op_sel_hi:[0,1]
	v_pk_fma_f32 v[126:127], v[118:119], v[122:123], v[124:125] op_sel_hi:[1,0,1]
	v_pk_fma_f32 v[118:119], v[118:119], v[122:123], v[124:125] neg_lo:[0,0,1] neg_hi:[0,0,1]
	s_delay_alu instid0(VALU_DEP_2)
	v_mov_b32_e32 v119, v127
	scratch_store_b64 off, v[118:119], off offset:112
.LBB56_700:
	s_wait_xcnt 0x0
	s_or_b32 exec_lo, exec_lo, s0
	scratch_load_b64 v[118:119], off, off offset:120
	s_mov_b32 s0, exec_lo
	s_wait_loadcnt 0x0
	ds_store_b64 v1, v[118:119]
	s_wait_storecnt_dscnt 0x0
	s_barrier_signal -1
	s_barrier_wait -1
	s_wait_xcnt 0x0
	v_cmpx_gt_u32_e32 15, v0
	s_cbranch_execz .LBB56_710
; %bb.701:
	v_cmp_ne_u32_e32 vcc_lo, 1, v120
	s_cbranch_vccnz .LBB56_703
; %bb.702:
	scratch_load_b64 v[118:119], v49, off
	ds_load_b64 v[122:123], v1
	s_wait_loadcnt_dscnt 0x0
	v_pk_mul_f32 v[124:125], v[122:123], v[118:119] op_sel:[1,1] op_sel_hi:[0,1]
	s_delay_alu instid0(VALU_DEP_1) | instskip(SKIP_1) | instid1(VALU_DEP_2)
	v_pk_fma_f32 v[126:127], v[122:123], v[118:119], v[124:125] op_sel_hi:[1,0,1]
	v_pk_fma_f32 v[118:119], v[122:123], v[118:119], v[124:125] neg_lo:[0,0,1] neg_hi:[0,0,1]
	v_mov_b32_e32 v119, v127
	s_cbranch_execz .LBB56_704
	s_branch .LBB56_705
.LBB56_703:
                                        ; implicit-def: $vgpr118_vgpr119
.LBB56_704:
	ds_load_b64 v[118:119], v1
.LBB56_705:
	s_mov_b32 s2, exec_lo
	v_cmpx_ne_u32_e32 14, v0
	s_cbranch_execz .LBB56_709
; %bb.706:
	v_add_nc_u32_e32 v121, 0x1d8, v48
	v_add3_u32 v122, 0, v48, 8
	v_mov_b32_e32 v123, v0
	s_mov_b32 s3, 0
.LBB56_707:                             ; =>This Inner Loop Header: Depth=1
	scratch_load_b64 v[124:125], v122, off
	ds_load_b64 v[126:127], v121
	s_wait_xcnt 0x0
	v_dual_add_nc_u32 v121, 8, v121 :: v_dual_add_nc_u32 v122, 8, v122
	s_wait_loadcnt_dscnt 0x0
	v_pk_mul_f32 v[128:129], v[126:127], v[124:125] op_sel:[1,1] op_sel_hi:[0,1]
	s_delay_alu instid0(VALU_DEP_1) | instskip(SKIP_2) | instid1(VALU_DEP_3)
	v_pk_fma_f32 v[130:131], v[126:127], v[124:125], v[128:129] op_sel_hi:[1,0,1]
	v_add_nc_u32_e32 v123, 1, v123
	v_pk_fma_f32 v[124:125], v[126:127], v[124:125], v[128:129] neg_lo:[0,0,1] neg_hi:[0,0,1]
	v_mov_b32_e32 v125, v131
	s_delay_alu instid0(VALU_DEP_3) | instskip(NEXT) | instid1(VALU_DEP_2)
	v_cmp_lt_u32_e32 vcc_lo, 13, v123
	v_pk_add_f32 v[118:119], v[118:119], v[124:125]
	s_or_b32 s3, vcc_lo, s3
	s_delay_alu instid0(SALU_CYCLE_1)
	s_and_not1_b32 exec_lo, exec_lo, s3
	s_cbranch_execnz .LBB56_707
; %bb.708:
	s_or_b32 exec_lo, exec_lo, s3
.LBB56_709:
	s_delay_alu instid0(SALU_CYCLE_1) | instskip(SKIP_4) | instid1(VALU_DEP_1)
	s_or_b32 exec_lo, exec_lo, s2
	v_mov_b32_e32 v121, 0
	ds_load_b64 v[122:123], v121 offset:120
	s_wait_dscnt 0x0
	v_pk_mul_f32 v[124:125], v[118:119], v[122:123] op_sel:[1,1] op_sel_hi:[0,1]
	v_pk_fma_f32 v[126:127], v[118:119], v[122:123], v[124:125] op_sel_hi:[1,0,1]
	v_pk_fma_f32 v[118:119], v[118:119], v[122:123], v[124:125] neg_lo:[0,0,1] neg_hi:[0,0,1]
	s_delay_alu instid0(VALU_DEP_2)
	v_mov_b32_e32 v119, v127
	scratch_store_b64 off, v[118:119], off offset:120
.LBB56_710:
	s_wait_xcnt 0x0
	s_or_b32 exec_lo, exec_lo, s0
	scratch_load_b64 v[118:119], off, off offset:128
	s_mov_b32 s0, exec_lo
	s_wait_loadcnt 0x0
	ds_store_b64 v1, v[118:119]
	s_wait_storecnt_dscnt 0x0
	s_barrier_signal -1
	s_barrier_wait -1
	s_wait_xcnt 0x0
	v_cmpx_gt_u32_e32 16, v0
	s_cbranch_execz .LBB56_720
; %bb.711:
	v_cmp_ne_u32_e32 vcc_lo, 1, v120
	s_cbranch_vccnz .LBB56_713
; %bb.712:
	scratch_load_b64 v[118:119], v49, off
	ds_load_b64 v[122:123], v1
	s_wait_loadcnt_dscnt 0x0
	v_pk_mul_f32 v[124:125], v[122:123], v[118:119] op_sel:[1,1] op_sel_hi:[0,1]
	s_delay_alu instid0(VALU_DEP_1) | instskip(SKIP_1) | instid1(VALU_DEP_2)
	v_pk_fma_f32 v[126:127], v[122:123], v[118:119], v[124:125] op_sel_hi:[1,0,1]
	v_pk_fma_f32 v[118:119], v[122:123], v[118:119], v[124:125] neg_lo:[0,0,1] neg_hi:[0,0,1]
	v_mov_b32_e32 v119, v127
	s_cbranch_execz .LBB56_714
	s_branch .LBB56_715
.LBB56_713:
                                        ; implicit-def: $vgpr118_vgpr119
.LBB56_714:
	ds_load_b64 v[118:119], v1
.LBB56_715:
	s_mov_b32 s2, exec_lo
	v_cmpx_ne_u32_e32 15, v0
	s_cbranch_execz .LBB56_719
; %bb.716:
	v_add_nc_u32_e32 v121, 0x1d8, v48
	v_add3_u32 v122, 0, v48, 8
	v_mov_b32_e32 v123, v0
	s_mov_b32 s3, 0
.LBB56_717:                             ; =>This Inner Loop Header: Depth=1
	scratch_load_b64 v[124:125], v122, off
	ds_load_b64 v[126:127], v121
	s_wait_xcnt 0x0
	v_dual_add_nc_u32 v121, 8, v121 :: v_dual_add_nc_u32 v122, 8, v122
	s_wait_loadcnt_dscnt 0x0
	v_pk_mul_f32 v[128:129], v[126:127], v[124:125] op_sel:[1,1] op_sel_hi:[0,1]
	s_delay_alu instid0(VALU_DEP_1) | instskip(SKIP_2) | instid1(VALU_DEP_3)
	v_pk_fma_f32 v[130:131], v[126:127], v[124:125], v[128:129] op_sel_hi:[1,0,1]
	v_add_nc_u32_e32 v123, 1, v123
	v_pk_fma_f32 v[124:125], v[126:127], v[124:125], v[128:129] neg_lo:[0,0,1] neg_hi:[0,0,1]
	v_mov_b32_e32 v125, v131
	s_delay_alu instid0(VALU_DEP_3) | instskip(NEXT) | instid1(VALU_DEP_2)
	v_cmp_lt_u32_e32 vcc_lo, 14, v123
	v_pk_add_f32 v[118:119], v[118:119], v[124:125]
	s_or_b32 s3, vcc_lo, s3
	s_delay_alu instid0(SALU_CYCLE_1)
	s_and_not1_b32 exec_lo, exec_lo, s3
	s_cbranch_execnz .LBB56_717
; %bb.718:
	s_or_b32 exec_lo, exec_lo, s3
.LBB56_719:
	s_delay_alu instid0(SALU_CYCLE_1) | instskip(SKIP_4) | instid1(VALU_DEP_1)
	s_or_b32 exec_lo, exec_lo, s2
	v_mov_b32_e32 v121, 0
	ds_load_b64 v[122:123], v121 offset:128
	s_wait_dscnt 0x0
	v_pk_mul_f32 v[124:125], v[118:119], v[122:123] op_sel:[1,1] op_sel_hi:[0,1]
	v_pk_fma_f32 v[126:127], v[118:119], v[122:123], v[124:125] op_sel_hi:[1,0,1]
	v_pk_fma_f32 v[118:119], v[118:119], v[122:123], v[124:125] neg_lo:[0,0,1] neg_hi:[0,0,1]
	s_delay_alu instid0(VALU_DEP_2)
	v_mov_b32_e32 v119, v127
	scratch_store_b64 off, v[118:119], off offset:128
.LBB56_720:
	s_wait_xcnt 0x0
	s_or_b32 exec_lo, exec_lo, s0
	scratch_load_b64 v[118:119], off, off offset:136
	s_mov_b32 s0, exec_lo
	s_wait_loadcnt 0x0
	ds_store_b64 v1, v[118:119]
	s_wait_storecnt_dscnt 0x0
	s_barrier_signal -1
	s_barrier_wait -1
	s_wait_xcnt 0x0
	v_cmpx_gt_u32_e32 17, v0
	s_cbranch_execz .LBB56_730
; %bb.721:
	v_cmp_ne_u32_e32 vcc_lo, 1, v120
	s_cbranch_vccnz .LBB56_723
; %bb.722:
	scratch_load_b64 v[118:119], v49, off
	ds_load_b64 v[122:123], v1
	s_wait_loadcnt_dscnt 0x0
	v_pk_mul_f32 v[124:125], v[122:123], v[118:119] op_sel:[1,1] op_sel_hi:[0,1]
	s_delay_alu instid0(VALU_DEP_1) | instskip(SKIP_1) | instid1(VALU_DEP_2)
	v_pk_fma_f32 v[126:127], v[122:123], v[118:119], v[124:125] op_sel_hi:[1,0,1]
	v_pk_fma_f32 v[118:119], v[122:123], v[118:119], v[124:125] neg_lo:[0,0,1] neg_hi:[0,0,1]
	v_mov_b32_e32 v119, v127
	s_cbranch_execz .LBB56_724
	s_branch .LBB56_725
.LBB56_723:
                                        ; implicit-def: $vgpr118_vgpr119
.LBB56_724:
	ds_load_b64 v[118:119], v1
.LBB56_725:
	s_mov_b32 s2, exec_lo
	v_cmpx_ne_u32_e32 16, v0
	s_cbranch_execz .LBB56_729
; %bb.726:
	v_add_nc_u32_e32 v121, 0x1d8, v48
	v_add3_u32 v122, 0, v48, 8
	v_mov_b32_e32 v123, v0
	s_mov_b32 s3, 0
.LBB56_727:                             ; =>This Inner Loop Header: Depth=1
	scratch_load_b64 v[124:125], v122, off
	ds_load_b64 v[126:127], v121
	s_wait_xcnt 0x0
	v_dual_add_nc_u32 v121, 8, v121 :: v_dual_add_nc_u32 v122, 8, v122
	s_wait_loadcnt_dscnt 0x0
	v_pk_mul_f32 v[128:129], v[126:127], v[124:125] op_sel:[1,1] op_sel_hi:[0,1]
	s_delay_alu instid0(VALU_DEP_1) | instskip(SKIP_2) | instid1(VALU_DEP_3)
	v_pk_fma_f32 v[130:131], v[126:127], v[124:125], v[128:129] op_sel_hi:[1,0,1]
	v_add_nc_u32_e32 v123, 1, v123
	v_pk_fma_f32 v[124:125], v[126:127], v[124:125], v[128:129] neg_lo:[0,0,1] neg_hi:[0,0,1]
	v_mov_b32_e32 v125, v131
	s_delay_alu instid0(VALU_DEP_3) | instskip(NEXT) | instid1(VALU_DEP_2)
	v_cmp_lt_u32_e32 vcc_lo, 15, v123
	v_pk_add_f32 v[118:119], v[118:119], v[124:125]
	s_or_b32 s3, vcc_lo, s3
	s_delay_alu instid0(SALU_CYCLE_1)
	s_and_not1_b32 exec_lo, exec_lo, s3
	s_cbranch_execnz .LBB56_727
; %bb.728:
	s_or_b32 exec_lo, exec_lo, s3
.LBB56_729:
	s_delay_alu instid0(SALU_CYCLE_1) | instskip(SKIP_4) | instid1(VALU_DEP_1)
	s_or_b32 exec_lo, exec_lo, s2
	v_mov_b32_e32 v121, 0
	ds_load_b64 v[122:123], v121 offset:136
	s_wait_dscnt 0x0
	v_pk_mul_f32 v[124:125], v[118:119], v[122:123] op_sel:[1,1] op_sel_hi:[0,1]
	v_pk_fma_f32 v[126:127], v[118:119], v[122:123], v[124:125] op_sel_hi:[1,0,1]
	v_pk_fma_f32 v[118:119], v[118:119], v[122:123], v[124:125] neg_lo:[0,0,1] neg_hi:[0,0,1]
	s_delay_alu instid0(VALU_DEP_2)
	v_mov_b32_e32 v119, v127
	scratch_store_b64 off, v[118:119], off offset:136
.LBB56_730:
	s_wait_xcnt 0x0
	s_or_b32 exec_lo, exec_lo, s0
	scratch_load_b64 v[118:119], off, off offset:144
	s_mov_b32 s0, exec_lo
	s_wait_loadcnt 0x0
	ds_store_b64 v1, v[118:119]
	s_wait_storecnt_dscnt 0x0
	s_barrier_signal -1
	s_barrier_wait -1
	s_wait_xcnt 0x0
	v_cmpx_gt_u32_e32 18, v0
	s_cbranch_execz .LBB56_740
; %bb.731:
	v_cmp_ne_u32_e32 vcc_lo, 1, v120
	s_cbranch_vccnz .LBB56_733
; %bb.732:
	scratch_load_b64 v[118:119], v49, off
	ds_load_b64 v[122:123], v1
	s_wait_loadcnt_dscnt 0x0
	v_pk_mul_f32 v[124:125], v[122:123], v[118:119] op_sel:[1,1] op_sel_hi:[0,1]
	s_delay_alu instid0(VALU_DEP_1) | instskip(SKIP_1) | instid1(VALU_DEP_2)
	v_pk_fma_f32 v[126:127], v[122:123], v[118:119], v[124:125] op_sel_hi:[1,0,1]
	v_pk_fma_f32 v[118:119], v[122:123], v[118:119], v[124:125] neg_lo:[0,0,1] neg_hi:[0,0,1]
	v_mov_b32_e32 v119, v127
	s_cbranch_execz .LBB56_734
	s_branch .LBB56_735
.LBB56_733:
                                        ; implicit-def: $vgpr118_vgpr119
.LBB56_734:
	ds_load_b64 v[118:119], v1
.LBB56_735:
	s_mov_b32 s2, exec_lo
	v_cmpx_ne_u32_e32 17, v0
	s_cbranch_execz .LBB56_739
; %bb.736:
	v_add_nc_u32_e32 v121, 0x1d8, v48
	v_add3_u32 v122, 0, v48, 8
	v_mov_b32_e32 v123, v0
	s_mov_b32 s3, 0
.LBB56_737:                             ; =>This Inner Loop Header: Depth=1
	scratch_load_b64 v[124:125], v122, off
	ds_load_b64 v[126:127], v121
	s_wait_xcnt 0x0
	v_dual_add_nc_u32 v121, 8, v121 :: v_dual_add_nc_u32 v122, 8, v122
	s_wait_loadcnt_dscnt 0x0
	v_pk_mul_f32 v[128:129], v[126:127], v[124:125] op_sel:[1,1] op_sel_hi:[0,1]
	s_delay_alu instid0(VALU_DEP_1) | instskip(SKIP_2) | instid1(VALU_DEP_3)
	v_pk_fma_f32 v[130:131], v[126:127], v[124:125], v[128:129] op_sel_hi:[1,0,1]
	v_add_nc_u32_e32 v123, 1, v123
	v_pk_fma_f32 v[124:125], v[126:127], v[124:125], v[128:129] neg_lo:[0,0,1] neg_hi:[0,0,1]
	v_mov_b32_e32 v125, v131
	s_delay_alu instid0(VALU_DEP_3) | instskip(NEXT) | instid1(VALU_DEP_2)
	v_cmp_lt_u32_e32 vcc_lo, 16, v123
	v_pk_add_f32 v[118:119], v[118:119], v[124:125]
	s_or_b32 s3, vcc_lo, s3
	s_delay_alu instid0(SALU_CYCLE_1)
	s_and_not1_b32 exec_lo, exec_lo, s3
	s_cbranch_execnz .LBB56_737
; %bb.738:
	s_or_b32 exec_lo, exec_lo, s3
.LBB56_739:
	s_delay_alu instid0(SALU_CYCLE_1) | instskip(SKIP_4) | instid1(VALU_DEP_1)
	s_or_b32 exec_lo, exec_lo, s2
	v_mov_b32_e32 v121, 0
	ds_load_b64 v[122:123], v121 offset:144
	s_wait_dscnt 0x0
	v_pk_mul_f32 v[124:125], v[118:119], v[122:123] op_sel:[1,1] op_sel_hi:[0,1]
	v_pk_fma_f32 v[126:127], v[118:119], v[122:123], v[124:125] op_sel_hi:[1,0,1]
	v_pk_fma_f32 v[118:119], v[118:119], v[122:123], v[124:125] neg_lo:[0,0,1] neg_hi:[0,0,1]
	s_delay_alu instid0(VALU_DEP_2)
	v_mov_b32_e32 v119, v127
	scratch_store_b64 off, v[118:119], off offset:144
.LBB56_740:
	s_wait_xcnt 0x0
	s_or_b32 exec_lo, exec_lo, s0
	scratch_load_b64 v[118:119], off, off offset:152
	s_mov_b32 s0, exec_lo
	s_wait_loadcnt 0x0
	ds_store_b64 v1, v[118:119]
	s_wait_storecnt_dscnt 0x0
	s_barrier_signal -1
	s_barrier_wait -1
	s_wait_xcnt 0x0
	v_cmpx_gt_u32_e32 19, v0
	s_cbranch_execz .LBB56_750
; %bb.741:
	v_cmp_ne_u32_e32 vcc_lo, 1, v120
	s_cbranch_vccnz .LBB56_743
; %bb.742:
	scratch_load_b64 v[118:119], v49, off
	ds_load_b64 v[122:123], v1
	s_wait_loadcnt_dscnt 0x0
	v_pk_mul_f32 v[124:125], v[122:123], v[118:119] op_sel:[1,1] op_sel_hi:[0,1]
	s_delay_alu instid0(VALU_DEP_1) | instskip(SKIP_1) | instid1(VALU_DEP_2)
	v_pk_fma_f32 v[126:127], v[122:123], v[118:119], v[124:125] op_sel_hi:[1,0,1]
	v_pk_fma_f32 v[118:119], v[122:123], v[118:119], v[124:125] neg_lo:[0,0,1] neg_hi:[0,0,1]
	v_mov_b32_e32 v119, v127
	s_cbranch_execz .LBB56_744
	s_branch .LBB56_745
.LBB56_743:
                                        ; implicit-def: $vgpr118_vgpr119
.LBB56_744:
	ds_load_b64 v[118:119], v1
.LBB56_745:
	s_mov_b32 s2, exec_lo
	v_cmpx_ne_u32_e32 18, v0
	s_cbranch_execz .LBB56_749
; %bb.746:
	v_add_nc_u32_e32 v121, 0x1d8, v48
	v_add3_u32 v122, 0, v48, 8
	v_mov_b32_e32 v123, v0
	s_mov_b32 s3, 0
.LBB56_747:                             ; =>This Inner Loop Header: Depth=1
	scratch_load_b64 v[124:125], v122, off
	ds_load_b64 v[126:127], v121
	s_wait_xcnt 0x0
	v_dual_add_nc_u32 v121, 8, v121 :: v_dual_add_nc_u32 v122, 8, v122
	s_wait_loadcnt_dscnt 0x0
	v_pk_mul_f32 v[128:129], v[126:127], v[124:125] op_sel:[1,1] op_sel_hi:[0,1]
	s_delay_alu instid0(VALU_DEP_1) | instskip(SKIP_2) | instid1(VALU_DEP_3)
	v_pk_fma_f32 v[130:131], v[126:127], v[124:125], v[128:129] op_sel_hi:[1,0,1]
	v_add_nc_u32_e32 v123, 1, v123
	v_pk_fma_f32 v[124:125], v[126:127], v[124:125], v[128:129] neg_lo:[0,0,1] neg_hi:[0,0,1]
	v_mov_b32_e32 v125, v131
	s_delay_alu instid0(VALU_DEP_3) | instskip(NEXT) | instid1(VALU_DEP_2)
	v_cmp_lt_u32_e32 vcc_lo, 17, v123
	v_pk_add_f32 v[118:119], v[118:119], v[124:125]
	s_or_b32 s3, vcc_lo, s3
	s_delay_alu instid0(SALU_CYCLE_1)
	s_and_not1_b32 exec_lo, exec_lo, s3
	s_cbranch_execnz .LBB56_747
; %bb.748:
	s_or_b32 exec_lo, exec_lo, s3
.LBB56_749:
	s_delay_alu instid0(SALU_CYCLE_1) | instskip(SKIP_4) | instid1(VALU_DEP_1)
	s_or_b32 exec_lo, exec_lo, s2
	v_mov_b32_e32 v121, 0
	ds_load_b64 v[122:123], v121 offset:152
	s_wait_dscnt 0x0
	v_pk_mul_f32 v[124:125], v[118:119], v[122:123] op_sel:[1,1] op_sel_hi:[0,1]
	v_pk_fma_f32 v[126:127], v[118:119], v[122:123], v[124:125] op_sel_hi:[1,0,1]
	v_pk_fma_f32 v[118:119], v[118:119], v[122:123], v[124:125] neg_lo:[0,0,1] neg_hi:[0,0,1]
	s_delay_alu instid0(VALU_DEP_2)
	v_mov_b32_e32 v119, v127
	scratch_store_b64 off, v[118:119], off offset:152
.LBB56_750:
	s_wait_xcnt 0x0
	s_or_b32 exec_lo, exec_lo, s0
	scratch_load_b64 v[118:119], off, off offset:160
	s_mov_b32 s0, exec_lo
	s_wait_loadcnt 0x0
	ds_store_b64 v1, v[118:119]
	s_wait_storecnt_dscnt 0x0
	s_barrier_signal -1
	s_barrier_wait -1
	s_wait_xcnt 0x0
	v_cmpx_gt_u32_e32 20, v0
	s_cbranch_execz .LBB56_760
; %bb.751:
	v_cmp_ne_u32_e32 vcc_lo, 1, v120
	s_cbranch_vccnz .LBB56_753
; %bb.752:
	scratch_load_b64 v[118:119], v49, off
	ds_load_b64 v[122:123], v1
	s_wait_loadcnt_dscnt 0x0
	v_pk_mul_f32 v[124:125], v[122:123], v[118:119] op_sel:[1,1] op_sel_hi:[0,1]
	s_delay_alu instid0(VALU_DEP_1) | instskip(SKIP_1) | instid1(VALU_DEP_2)
	v_pk_fma_f32 v[126:127], v[122:123], v[118:119], v[124:125] op_sel_hi:[1,0,1]
	v_pk_fma_f32 v[118:119], v[122:123], v[118:119], v[124:125] neg_lo:[0,0,1] neg_hi:[0,0,1]
	v_mov_b32_e32 v119, v127
	s_cbranch_execz .LBB56_754
	s_branch .LBB56_755
.LBB56_753:
                                        ; implicit-def: $vgpr118_vgpr119
.LBB56_754:
	ds_load_b64 v[118:119], v1
.LBB56_755:
	s_mov_b32 s2, exec_lo
	v_cmpx_ne_u32_e32 19, v0
	s_cbranch_execz .LBB56_759
; %bb.756:
	v_add_nc_u32_e32 v121, 0x1d8, v48
	v_add3_u32 v122, 0, v48, 8
	v_mov_b32_e32 v123, v0
	s_mov_b32 s3, 0
.LBB56_757:                             ; =>This Inner Loop Header: Depth=1
	scratch_load_b64 v[124:125], v122, off
	ds_load_b64 v[126:127], v121
	s_wait_xcnt 0x0
	v_dual_add_nc_u32 v121, 8, v121 :: v_dual_add_nc_u32 v122, 8, v122
	s_wait_loadcnt_dscnt 0x0
	v_pk_mul_f32 v[128:129], v[126:127], v[124:125] op_sel:[1,1] op_sel_hi:[0,1]
	s_delay_alu instid0(VALU_DEP_1) | instskip(SKIP_2) | instid1(VALU_DEP_3)
	v_pk_fma_f32 v[130:131], v[126:127], v[124:125], v[128:129] op_sel_hi:[1,0,1]
	v_add_nc_u32_e32 v123, 1, v123
	v_pk_fma_f32 v[124:125], v[126:127], v[124:125], v[128:129] neg_lo:[0,0,1] neg_hi:[0,0,1]
	v_mov_b32_e32 v125, v131
	s_delay_alu instid0(VALU_DEP_3) | instskip(NEXT) | instid1(VALU_DEP_2)
	v_cmp_lt_u32_e32 vcc_lo, 18, v123
	v_pk_add_f32 v[118:119], v[118:119], v[124:125]
	s_or_b32 s3, vcc_lo, s3
	s_delay_alu instid0(SALU_CYCLE_1)
	s_and_not1_b32 exec_lo, exec_lo, s3
	s_cbranch_execnz .LBB56_757
; %bb.758:
	s_or_b32 exec_lo, exec_lo, s3
.LBB56_759:
	s_delay_alu instid0(SALU_CYCLE_1) | instskip(SKIP_4) | instid1(VALU_DEP_1)
	s_or_b32 exec_lo, exec_lo, s2
	v_mov_b32_e32 v121, 0
	ds_load_b64 v[122:123], v121 offset:160
	s_wait_dscnt 0x0
	v_pk_mul_f32 v[124:125], v[118:119], v[122:123] op_sel:[1,1] op_sel_hi:[0,1]
	v_pk_fma_f32 v[126:127], v[118:119], v[122:123], v[124:125] op_sel_hi:[1,0,1]
	v_pk_fma_f32 v[118:119], v[118:119], v[122:123], v[124:125] neg_lo:[0,0,1] neg_hi:[0,0,1]
	s_delay_alu instid0(VALU_DEP_2)
	v_mov_b32_e32 v119, v127
	scratch_store_b64 off, v[118:119], off offset:160
.LBB56_760:
	s_wait_xcnt 0x0
	s_or_b32 exec_lo, exec_lo, s0
	scratch_load_b64 v[118:119], off, off offset:168
	s_mov_b32 s0, exec_lo
	s_wait_loadcnt 0x0
	ds_store_b64 v1, v[118:119]
	s_wait_storecnt_dscnt 0x0
	s_barrier_signal -1
	s_barrier_wait -1
	s_wait_xcnt 0x0
	v_cmpx_gt_u32_e32 21, v0
	s_cbranch_execz .LBB56_770
; %bb.761:
	v_cmp_ne_u32_e32 vcc_lo, 1, v120
	s_cbranch_vccnz .LBB56_763
; %bb.762:
	scratch_load_b64 v[118:119], v49, off
	ds_load_b64 v[122:123], v1
	s_wait_loadcnt_dscnt 0x0
	v_pk_mul_f32 v[124:125], v[122:123], v[118:119] op_sel:[1,1] op_sel_hi:[0,1]
	s_delay_alu instid0(VALU_DEP_1) | instskip(SKIP_1) | instid1(VALU_DEP_2)
	v_pk_fma_f32 v[126:127], v[122:123], v[118:119], v[124:125] op_sel_hi:[1,0,1]
	v_pk_fma_f32 v[118:119], v[122:123], v[118:119], v[124:125] neg_lo:[0,0,1] neg_hi:[0,0,1]
	v_mov_b32_e32 v119, v127
	s_cbranch_execz .LBB56_764
	s_branch .LBB56_765
.LBB56_763:
                                        ; implicit-def: $vgpr118_vgpr119
.LBB56_764:
	ds_load_b64 v[118:119], v1
.LBB56_765:
	s_mov_b32 s2, exec_lo
	v_cmpx_ne_u32_e32 20, v0
	s_cbranch_execz .LBB56_769
; %bb.766:
	v_add_nc_u32_e32 v121, 0x1d8, v48
	v_add3_u32 v122, 0, v48, 8
	v_mov_b32_e32 v123, v0
	s_mov_b32 s3, 0
.LBB56_767:                             ; =>This Inner Loop Header: Depth=1
	scratch_load_b64 v[124:125], v122, off
	ds_load_b64 v[126:127], v121
	s_wait_xcnt 0x0
	v_dual_add_nc_u32 v121, 8, v121 :: v_dual_add_nc_u32 v122, 8, v122
	s_wait_loadcnt_dscnt 0x0
	v_pk_mul_f32 v[128:129], v[126:127], v[124:125] op_sel:[1,1] op_sel_hi:[0,1]
	s_delay_alu instid0(VALU_DEP_1) | instskip(SKIP_2) | instid1(VALU_DEP_3)
	v_pk_fma_f32 v[130:131], v[126:127], v[124:125], v[128:129] op_sel_hi:[1,0,1]
	v_add_nc_u32_e32 v123, 1, v123
	v_pk_fma_f32 v[124:125], v[126:127], v[124:125], v[128:129] neg_lo:[0,0,1] neg_hi:[0,0,1]
	v_mov_b32_e32 v125, v131
	s_delay_alu instid0(VALU_DEP_3) | instskip(NEXT) | instid1(VALU_DEP_2)
	v_cmp_lt_u32_e32 vcc_lo, 19, v123
	v_pk_add_f32 v[118:119], v[118:119], v[124:125]
	s_or_b32 s3, vcc_lo, s3
	s_delay_alu instid0(SALU_CYCLE_1)
	s_and_not1_b32 exec_lo, exec_lo, s3
	s_cbranch_execnz .LBB56_767
; %bb.768:
	s_or_b32 exec_lo, exec_lo, s3
.LBB56_769:
	s_delay_alu instid0(SALU_CYCLE_1) | instskip(SKIP_4) | instid1(VALU_DEP_1)
	s_or_b32 exec_lo, exec_lo, s2
	v_mov_b32_e32 v121, 0
	ds_load_b64 v[122:123], v121 offset:168
	s_wait_dscnt 0x0
	v_pk_mul_f32 v[124:125], v[118:119], v[122:123] op_sel:[1,1] op_sel_hi:[0,1]
	v_pk_fma_f32 v[126:127], v[118:119], v[122:123], v[124:125] op_sel_hi:[1,0,1]
	v_pk_fma_f32 v[118:119], v[118:119], v[122:123], v[124:125] neg_lo:[0,0,1] neg_hi:[0,0,1]
	s_delay_alu instid0(VALU_DEP_2)
	v_mov_b32_e32 v119, v127
	scratch_store_b64 off, v[118:119], off offset:168
.LBB56_770:
	s_wait_xcnt 0x0
	s_or_b32 exec_lo, exec_lo, s0
	scratch_load_b64 v[118:119], off, off offset:176
	s_mov_b32 s0, exec_lo
	s_wait_loadcnt 0x0
	ds_store_b64 v1, v[118:119]
	s_wait_storecnt_dscnt 0x0
	s_barrier_signal -1
	s_barrier_wait -1
	s_wait_xcnt 0x0
	v_cmpx_gt_u32_e32 22, v0
	s_cbranch_execz .LBB56_780
; %bb.771:
	v_cmp_ne_u32_e32 vcc_lo, 1, v120
	s_cbranch_vccnz .LBB56_773
; %bb.772:
	scratch_load_b64 v[118:119], v49, off
	ds_load_b64 v[122:123], v1
	s_wait_loadcnt_dscnt 0x0
	v_pk_mul_f32 v[124:125], v[122:123], v[118:119] op_sel:[1,1] op_sel_hi:[0,1]
	s_delay_alu instid0(VALU_DEP_1) | instskip(SKIP_1) | instid1(VALU_DEP_2)
	v_pk_fma_f32 v[126:127], v[122:123], v[118:119], v[124:125] op_sel_hi:[1,0,1]
	v_pk_fma_f32 v[118:119], v[122:123], v[118:119], v[124:125] neg_lo:[0,0,1] neg_hi:[0,0,1]
	v_mov_b32_e32 v119, v127
	s_cbranch_execz .LBB56_774
	s_branch .LBB56_775
.LBB56_773:
                                        ; implicit-def: $vgpr118_vgpr119
.LBB56_774:
	ds_load_b64 v[118:119], v1
.LBB56_775:
	s_mov_b32 s2, exec_lo
	v_cmpx_ne_u32_e32 21, v0
	s_cbranch_execz .LBB56_779
; %bb.776:
	v_add_nc_u32_e32 v121, 0x1d8, v48
	v_add3_u32 v122, 0, v48, 8
	v_mov_b32_e32 v123, v0
	s_mov_b32 s3, 0
.LBB56_777:                             ; =>This Inner Loop Header: Depth=1
	scratch_load_b64 v[124:125], v122, off
	ds_load_b64 v[126:127], v121
	s_wait_xcnt 0x0
	v_dual_add_nc_u32 v121, 8, v121 :: v_dual_add_nc_u32 v122, 8, v122
	s_wait_loadcnt_dscnt 0x0
	v_pk_mul_f32 v[128:129], v[126:127], v[124:125] op_sel:[1,1] op_sel_hi:[0,1]
	s_delay_alu instid0(VALU_DEP_1) | instskip(SKIP_2) | instid1(VALU_DEP_3)
	v_pk_fma_f32 v[130:131], v[126:127], v[124:125], v[128:129] op_sel_hi:[1,0,1]
	v_add_nc_u32_e32 v123, 1, v123
	v_pk_fma_f32 v[124:125], v[126:127], v[124:125], v[128:129] neg_lo:[0,0,1] neg_hi:[0,0,1]
	v_mov_b32_e32 v125, v131
	s_delay_alu instid0(VALU_DEP_3) | instskip(NEXT) | instid1(VALU_DEP_2)
	v_cmp_lt_u32_e32 vcc_lo, 20, v123
	v_pk_add_f32 v[118:119], v[118:119], v[124:125]
	s_or_b32 s3, vcc_lo, s3
	s_delay_alu instid0(SALU_CYCLE_1)
	s_and_not1_b32 exec_lo, exec_lo, s3
	s_cbranch_execnz .LBB56_777
; %bb.778:
	s_or_b32 exec_lo, exec_lo, s3
.LBB56_779:
	s_delay_alu instid0(SALU_CYCLE_1) | instskip(SKIP_4) | instid1(VALU_DEP_1)
	s_or_b32 exec_lo, exec_lo, s2
	v_mov_b32_e32 v121, 0
	ds_load_b64 v[122:123], v121 offset:176
	s_wait_dscnt 0x0
	v_pk_mul_f32 v[124:125], v[118:119], v[122:123] op_sel:[1,1] op_sel_hi:[0,1]
	v_pk_fma_f32 v[126:127], v[118:119], v[122:123], v[124:125] op_sel_hi:[1,0,1]
	v_pk_fma_f32 v[118:119], v[118:119], v[122:123], v[124:125] neg_lo:[0,0,1] neg_hi:[0,0,1]
	s_delay_alu instid0(VALU_DEP_2)
	v_mov_b32_e32 v119, v127
	scratch_store_b64 off, v[118:119], off offset:176
.LBB56_780:
	s_wait_xcnt 0x0
	s_or_b32 exec_lo, exec_lo, s0
	scratch_load_b64 v[118:119], off, off offset:184
	s_mov_b32 s0, exec_lo
	s_wait_loadcnt 0x0
	ds_store_b64 v1, v[118:119]
	s_wait_storecnt_dscnt 0x0
	s_barrier_signal -1
	s_barrier_wait -1
	s_wait_xcnt 0x0
	v_cmpx_gt_u32_e32 23, v0
	s_cbranch_execz .LBB56_790
; %bb.781:
	v_cmp_ne_u32_e32 vcc_lo, 1, v120
	s_cbranch_vccnz .LBB56_783
; %bb.782:
	scratch_load_b64 v[118:119], v49, off
	ds_load_b64 v[122:123], v1
	s_wait_loadcnt_dscnt 0x0
	v_pk_mul_f32 v[124:125], v[122:123], v[118:119] op_sel:[1,1] op_sel_hi:[0,1]
	s_delay_alu instid0(VALU_DEP_1) | instskip(SKIP_1) | instid1(VALU_DEP_2)
	v_pk_fma_f32 v[126:127], v[122:123], v[118:119], v[124:125] op_sel_hi:[1,0,1]
	v_pk_fma_f32 v[118:119], v[122:123], v[118:119], v[124:125] neg_lo:[0,0,1] neg_hi:[0,0,1]
	v_mov_b32_e32 v119, v127
	s_cbranch_execz .LBB56_784
	s_branch .LBB56_785
.LBB56_783:
                                        ; implicit-def: $vgpr118_vgpr119
.LBB56_784:
	ds_load_b64 v[118:119], v1
.LBB56_785:
	s_mov_b32 s2, exec_lo
	v_cmpx_ne_u32_e32 22, v0
	s_cbranch_execz .LBB56_789
; %bb.786:
	v_add_nc_u32_e32 v121, 0x1d8, v48
	v_add3_u32 v122, 0, v48, 8
	v_mov_b32_e32 v123, v0
	s_mov_b32 s3, 0
.LBB56_787:                             ; =>This Inner Loop Header: Depth=1
	scratch_load_b64 v[124:125], v122, off
	ds_load_b64 v[126:127], v121
	s_wait_xcnt 0x0
	v_dual_add_nc_u32 v121, 8, v121 :: v_dual_add_nc_u32 v122, 8, v122
	s_wait_loadcnt_dscnt 0x0
	v_pk_mul_f32 v[128:129], v[126:127], v[124:125] op_sel:[1,1] op_sel_hi:[0,1]
	s_delay_alu instid0(VALU_DEP_1) | instskip(SKIP_2) | instid1(VALU_DEP_3)
	v_pk_fma_f32 v[130:131], v[126:127], v[124:125], v[128:129] op_sel_hi:[1,0,1]
	v_add_nc_u32_e32 v123, 1, v123
	v_pk_fma_f32 v[124:125], v[126:127], v[124:125], v[128:129] neg_lo:[0,0,1] neg_hi:[0,0,1]
	v_mov_b32_e32 v125, v131
	s_delay_alu instid0(VALU_DEP_3) | instskip(NEXT) | instid1(VALU_DEP_2)
	v_cmp_lt_u32_e32 vcc_lo, 21, v123
	v_pk_add_f32 v[118:119], v[118:119], v[124:125]
	s_or_b32 s3, vcc_lo, s3
	s_delay_alu instid0(SALU_CYCLE_1)
	s_and_not1_b32 exec_lo, exec_lo, s3
	s_cbranch_execnz .LBB56_787
; %bb.788:
	s_or_b32 exec_lo, exec_lo, s3
.LBB56_789:
	s_delay_alu instid0(SALU_CYCLE_1) | instskip(SKIP_4) | instid1(VALU_DEP_1)
	s_or_b32 exec_lo, exec_lo, s2
	v_mov_b32_e32 v121, 0
	ds_load_b64 v[122:123], v121 offset:184
	s_wait_dscnt 0x0
	v_pk_mul_f32 v[124:125], v[118:119], v[122:123] op_sel:[1,1] op_sel_hi:[0,1]
	v_pk_fma_f32 v[126:127], v[118:119], v[122:123], v[124:125] op_sel_hi:[1,0,1]
	v_pk_fma_f32 v[118:119], v[118:119], v[122:123], v[124:125] neg_lo:[0,0,1] neg_hi:[0,0,1]
	s_delay_alu instid0(VALU_DEP_2)
	v_mov_b32_e32 v119, v127
	scratch_store_b64 off, v[118:119], off offset:184
.LBB56_790:
	s_wait_xcnt 0x0
	s_or_b32 exec_lo, exec_lo, s0
	scratch_load_b64 v[118:119], off, off offset:192
	s_mov_b32 s0, exec_lo
	s_wait_loadcnt 0x0
	ds_store_b64 v1, v[118:119]
	s_wait_storecnt_dscnt 0x0
	s_barrier_signal -1
	s_barrier_wait -1
	s_wait_xcnt 0x0
	v_cmpx_gt_u32_e32 24, v0
	s_cbranch_execz .LBB56_800
; %bb.791:
	v_cmp_ne_u32_e32 vcc_lo, 1, v120
	s_cbranch_vccnz .LBB56_793
; %bb.792:
	scratch_load_b64 v[118:119], v49, off
	ds_load_b64 v[122:123], v1
	s_wait_loadcnt_dscnt 0x0
	v_pk_mul_f32 v[124:125], v[122:123], v[118:119] op_sel:[1,1] op_sel_hi:[0,1]
	s_delay_alu instid0(VALU_DEP_1) | instskip(SKIP_1) | instid1(VALU_DEP_2)
	v_pk_fma_f32 v[126:127], v[122:123], v[118:119], v[124:125] op_sel_hi:[1,0,1]
	v_pk_fma_f32 v[118:119], v[122:123], v[118:119], v[124:125] neg_lo:[0,0,1] neg_hi:[0,0,1]
	v_mov_b32_e32 v119, v127
	s_cbranch_execz .LBB56_794
	s_branch .LBB56_795
.LBB56_793:
                                        ; implicit-def: $vgpr118_vgpr119
.LBB56_794:
	ds_load_b64 v[118:119], v1
.LBB56_795:
	s_mov_b32 s2, exec_lo
	v_cmpx_ne_u32_e32 23, v0
	s_cbranch_execz .LBB56_799
; %bb.796:
	v_add_nc_u32_e32 v121, 0x1d8, v48
	v_add3_u32 v122, 0, v48, 8
	v_mov_b32_e32 v123, v0
	s_mov_b32 s3, 0
.LBB56_797:                             ; =>This Inner Loop Header: Depth=1
	scratch_load_b64 v[124:125], v122, off
	ds_load_b64 v[126:127], v121
	s_wait_xcnt 0x0
	v_dual_add_nc_u32 v121, 8, v121 :: v_dual_add_nc_u32 v122, 8, v122
	s_wait_loadcnt_dscnt 0x0
	v_pk_mul_f32 v[128:129], v[126:127], v[124:125] op_sel:[1,1] op_sel_hi:[0,1]
	s_delay_alu instid0(VALU_DEP_1) | instskip(SKIP_2) | instid1(VALU_DEP_3)
	v_pk_fma_f32 v[130:131], v[126:127], v[124:125], v[128:129] op_sel_hi:[1,0,1]
	v_add_nc_u32_e32 v123, 1, v123
	v_pk_fma_f32 v[124:125], v[126:127], v[124:125], v[128:129] neg_lo:[0,0,1] neg_hi:[0,0,1]
	v_mov_b32_e32 v125, v131
	s_delay_alu instid0(VALU_DEP_3) | instskip(NEXT) | instid1(VALU_DEP_2)
	v_cmp_lt_u32_e32 vcc_lo, 22, v123
	v_pk_add_f32 v[118:119], v[118:119], v[124:125]
	s_or_b32 s3, vcc_lo, s3
	s_delay_alu instid0(SALU_CYCLE_1)
	s_and_not1_b32 exec_lo, exec_lo, s3
	s_cbranch_execnz .LBB56_797
; %bb.798:
	s_or_b32 exec_lo, exec_lo, s3
.LBB56_799:
	s_delay_alu instid0(SALU_CYCLE_1) | instskip(SKIP_4) | instid1(VALU_DEP_1)
	s_or_b32 exec_lo, exec_lo, s2
	v_mov_b32_e32 v121, 0
	ds_load_b64 v[122:123], v121 offset:192
	s_wait_dscnt 0x0
	v_pk_mul_f32 v[124:125], v[118:119], v[122:123] op_sel:[1,1] op_sel_hi:[0,1]
	v_pk_fma_f32 v[126:127], v[118:119], v[122:123], v[124:125] op_sel_hi:[1,0,1]
	v_pk_fma_f32 v[118:119], v[118:119], v[122:123], v[124:125] neg_lo:[0,0,1] neg_hi:[0,0,1]
	s_delay_alu instid0(VALU_DEP_2)
	v_mov_b32_e32 v119, v127
	scratch_store_b64 off, v[118:119], off offset:192
.LBB56_800:
	s_wait_xcnt 0x0
	s_or_b32 exec_lo, exec_lo, s0
	scratch_load_b64 v[118:119], off, off offset:200
	s_mov_b32 s0, exec_lo
	s_wait_loadcnt 0x0
	ds_store_b64 v1, v[118:119]
	s_wait_storecnt_dscnt 0x0
	s_barrier_signal -1
	s_barrier_wait -1
	s_wait_xcnt 0x0
	v_cmpx_gt_u32_e32 25, v0
	s_cbranch_execz .LBB56_810
; %bb.801:
	v_cmp_ne_u32_e32 vcc_lo, 1, v120
	s_cbranch_vccnz .LBB56_803
; %bb.802:
	scratch_load_b64 v[118:119], v49, off
	ds_load_b64 v[122:123], v1
	s_wait_loadcnt_dscnt 0x0
	v_pk_mul_f32 v[124:125], v[122:123], v[118:119] op_sel:[1,1] op_sel_hi:[0,1]
	s_delay_alu instid0(VALU_DEP_1) | instskip(SKIP_1) | instid1(VALU_DEP_2)
	v_pk_fma_f32 v[126:127], v[122:123], v[118:119], v[124:125] op_sel_hi:[1,0,1]
	v_pk_fma_f32 v[118:119], v[122:123], v[118:119], v[124:125] neg_lo:[0,0,1] neg_hi:[0,0,1]
	v_mov_b32_e32 v119, v127
	s_cbranch_execz .LBB56_804
	s_branch .LBB56_805
.LBB56_803:
                                        ; implicit-def: $vgpr118_vgpr119
.LBB56_804:
	ds_load_b64 v[118:119], v1
.LBB56_805:
	s_mov_b32 s2, exec_lo
	v_cmpx_ne_u32_e32 24, v0
	s_cbranch_execz .LBB56_809
; %bb.806:
	v_add_nc_u32_e32 v121, 0x1d8, v48
	v_add3_u32 v122, 0, v48, 8
	v_mov_b32_e32 v123, v0
	s_mov_b32 s3, 0
.LBB56_807:                             ; =>This Inner Loop Header: Depth=1
	scratch_load_b64 v[124:125], v122, off
	ds_load_b64 v[126:127], v121
	s_wait_xcnt 0x0
	v_dual_add_nc_u32 v121, 8, v121 :: v_dual_add_nc_u32 v122, 8, v122
	s_wait_loadcnt_dscnt 0x0
	v_pk_mul_f32 v[128:129], v[126:127], v[124:125] op_sel:[1,1] op_sel_hi:[0,1]
	s_delay_alu instid0(VALU_DEP_1) | instskip(SKIP_2) | instid1(VALU_DEP_3)
	v_pk_fma_f32 v[130:131], v[126:127], v[124:125], v[128:129] op_sel_hi:[1,0,1]
	v_add_nc_u32_e32 v123, 1, v123
	v_pk_fma_f32 v[124:125], v[126:127], v[124:125], v[128:129] neg_lo:[0,0,1] neg_hi:[0,0,1]
	v_mov_b32_e32 v125, v131
	s_delay_alu instid0(VALU_DEP_3) | instskip(NEXT) | instid1(VALU_DEP_2)
	v_cmp_lt_u32_e32 vcc_lo, 23, v123
	v_pk_add_f32 v[118:119], v[118:119], v[124:125]
	s_or_b32 s3, vcc_lo, s3
	s_delay_alu instid0(SALU_CYCLE_1)
	s_and_not1_b32 exec_lo, exec_lo, s3
	s_cbranch_execnz .LBB56_807
; %bb.808:
	s_or_b32 exec_lo, exec_lo, s3
.LBB56_809:
	s_delay_alu instid0(SALU_CYCLE_1) | instskip(SKIP_4) | instid1(VALU_DEP_1)
	s_or_b32 exec_lo, exec_lo, s2
	v_mov_b32_e32 v121, 0
	ds_load_b64 v[122:123], v121 offset:200
	s_wait_dscnt 0x0
	v_pk_mul_f32 v[124:125], v[118:119], v[122:123] op_sel:[1,1] op_sel_hi:[0,1]
	v_pk_fma_f32 v[126:127], v[118:119], v[122:123], v[124:125] op_sel_hi:[1,0,1]
	v_pk_fma_f32 v[118:119], v[118:119], v[122:123], v[124:125] neg_lo:[0,0,1] neg_hi:[0,0,1]
	s_delay_alu instid0(VALU_DEP_2)
	v_mov_b32_e32 v119, v127
	scratch_store_b64 off, v[118:119], off offset:200
.LBB56_810:
	s_wait_xcnt 0x0
	s_or_b32 exec_lo, exec_lo, s0
	scratch_load_b64 v[118:119], off, off offset:208
	s_mov_b32 s0, exec_lo
	s_wait_loadcnt 0x0
	ds_store_b64 v1, v[118:119]
	s_wait_storecnt_dscnt 0x0
	s_barrier_signal -1
	s_barrier_wait -1
	s_wait_xcnt 0x0
	v_cmpx_gt_u32_e32 26, v0
	s_cbranch_execz .LBB56_820
; %bb.811:
	v_cmp_ne_u32_e32 vcc_lo, 1, v120
	s_cbranch_vccnz .LBB56_813
; %bb.812:
	scratch_load_b64 v[118:119], v49, off
	ds_load_b64 v[122:123], v1
	s_wait_loadcnt_dscnt 0x0
	v_pk_mul_f32 v[124:125], v[122:123], v[118:119] op_sel:[1,1] op_sel_hi:[0,1]
	s_delay_alu instid0(VALU_DEP_1) | instskip(SKIP_1) | instid1(VALU_DEP_2)
	v_pk_fma_f32 v[126:127], v[122:123], v[118:119], v[124:125] op_sel_hi:[1,0,1]
	v_pk_fma_f32 v[118:119], v[122:123], v[118:119], v[124:125] neg_lo:[0,0,1] neg_hi:[0,0,1]
	v_mov_b32_e32 v119, v127
	s_cbranch_execz .LBB56_814
	s_branch .LBB56_815
.LBB56_813:
                                        ; implicit-def: $vgpr118_vgpr119
.LBB56_814:
	ds_load_b64 v[118:119], v1
.LBB56_815:
	s_mov_b32 s2, exec_lo
	v_cmpx_ne_u32_e32 25, v0
	s_cbranch_execz .LBB56_819
; %bb.816:
	v_add_nc_u32_e32 v121, 0x1d8, v48
	v_add3_u32 v122, 0, v48, 8
	v_mov_b32_e32 v123, v0
	s_mov_b32 s3, 0
.LBB56_817:                             ; =>This Inner Loop Header: Depth=1
	scratch_load_b64 v[124:125], v122, off
	ds_load_b64 v[126:127], v121
	s_wait_xcnt 0x0
	v_dual_add_nc_u32 v121, 8, v121 :: v_dual_add_nc_u32 v122, 8, v122
	s_wait_loadcnt_dscnt 0x0
	v_pk_mul_f32 v[128:129], v[126:127], v[124:125] op_sel:[1,1] op_sel_hi:[0,1]
	s_delay_alu instid0(VALU_DEP_1) | instskip(SKIP_2) | instid1(VALU_DEP_3)
	v_pk_fma_f32 v[130:131], v[126:127], v[124:125], v[128:129] op_sel_hi:[1,0,1]
	v_add_nc_u32_e32 v123, 1, v123
	v_pk_fma_f32 v[124:125], v[126:127], v[124:125], v[128:129] neg_lo:[0,0,1] neg_hi:[0,0,1]
	v_mov_b32_e32 v125, v131
	s_delay_alu instid0(VALU_DEP_3) | instskip(NEXT) | instid1(VALU_DEP_2)
	v_cmp_lt_u32_e32 vcc_lo, 24, v123
	v_pk_add_f32 v[118:119], v[118:119], v[124:125]
	s_or_b32 s3, vcc_lo, s3
	s_delay_alu instid0(SALU_CYCLE_1)
	s_and_not1_b32 exec_lo, exec_lo, s3
	s_cbranch_execnz .LBB56_817
; %bb.818:
	s_or_b32 exec_lo, exec_lo, s3
.LBB56_819:
	s_delay_alu instid0(SALU_CYCLE_1) | instskip(SKIP_4) | instid1(VALU_DEP_1)
	s_or_b32 exec_lo, exec_lo, s2
	v_mov_b32_e32 v121, 0
	ds_load_b64 v[122:123], v121 offset:208
	s_wait_dscnt 0x0
	v_pk_mul_f32 v[124:125], v[118:119], v[122:123] op_sel:[1,1] op_sel_hi:[0,1]
	v_pk_fma_f32 v[126:127], v[118:119], v[122:123], v[124:125] op_sel_hi:[1,0,1]
	v_pk_fma_f32 v[118:119], v[118:119], v[122:123], v[124:125] neg_lo:[0,0,1] neg_hi:[0,0,1]
	s_delay_alu instid0(VALU_DEP_2)
	v_mov_b32_e32 v119, v127
	scratch_store_b64 off, v[118:119], off offset:208
.LBB56_820:
	s_wait_xcnt 0x0
	s_or_b32 exec_lo, exec_lo, s0
	scratch_load_b64 v[118:119], off, off offset:216
	s_mov_b32 s0, exec_lo
	s_wait_loadcnt 0x0
	ds_store_b64 v1, v[118:119]
	s_wait_storecnt_dscnt 0x0
	s_barrier_signal -1
	s_barrier_wait -1
	s_wait_xcnt 0x0
	v_cmpx_gt_u32_e32 27, v0
	s_cbranch_execz .LBB56_830
; %bb.821:
	v_cmp_ne_u32_e32 vcc_lo, 1, v120
	s_cbranch_vccnz .LBB56_823
; %bb.822:
	scratch_load_b64 v[118:119], v49, off
	ds_load_b64 v[122:123], v1
	s_wait_loadcnt_dscnt 0x0
	v_pk_mul_f32 v[124:125], v[122:123], v[118:119] op_sel:[1,1] op_sel_hi:[0,1]
	s_delay_alu instid0(VALU_DEP_1) | instskip(SKIP_1) | instid1(VALU_DEP_2)
	v_pk_fma_f32 v[126:127], v[122:123], v[118:119], v[124:125] op_sel_hi:[1,0,1]
	v_pk_fma_f32 v[118:119], v[122:123], v[118:119], v[124:125] neg_lo:[0,0,1] neg_hi:[0,0,1]
	v_mov_b32_e32 v119, v127
	s_cbranch_execz .LBB56_824
	s_branch .LBB56_825
.LBB56_823:
                                        ; implicit-def: $vgpr118_vgpr119
.LBB56_824:
	ds_load_b64 v[118:119], v1
.LBB56_825:
	s_mov_b32 s2, exec_lo
	v_cmpx_ne_u32_e32 26, v0
	s_cbranch_execz .LBB56_829
; %bb.826:
	v_add_nc_u32_e32 v121, 0x1d8, v48
	v_add3_u32 v122, 0, v48, 8
	v_mov_b32_e32 v123, v0
	s_mov_b32 s3, 0
.LBB56_827:                             ; =>This Inner Loop Header: Depth=1
	scratch_load_b64 v[124:125], v122, off
	ds_load_b64 v[126:127], v121
	s_wait_xcnt 0x0
	v_dual_add_nc_u32 v121, 8, v121 :: v_dual_add_nc_u32 v122, 8, v122
	s_wait_loadcnt_dscnt 0x0
	v_pk_mul_f32 v[128:129], v[126:127], v[124:125] op_sel:[1,1] op_sel_hi:[0,1]
	s_delay_alu instid0(VALU_DEP_1) | instskip(SKIP_2) | instid1(VALU_DEP_3)
	v_pk_fma_f32 v[130:131], v[126:127], v[124:125], v[128:129] op_sel_hi:[1,0,1]
	v_add_nc_u32_e32 v123, 1, v123
	v_pk_fma_f32 v[124:125], v[126:127], v[124:125], v[128:129] neg_lo:[0,0,1] neg_hi:[0,0,1]
	v_mov_b32_e32 v125, v131
	s_delay_alu instid0(VALU_DEP_3) | instskip(NEXT) | instid1(VALU_DEP_2)
	v_cmp_lt_u32_e32 vcc_lo, 25, v123
	v_pk_add_f32 v[118:119], v[118:119], v[124:125]
	s_or_b32 s3, vcc_lo, s3
	s_delay_alu instid0(SALU_CYCLE_1)
	s_and_not1_b32 exec_lo, exec_lo, s3
	s_cbranch_execnz .LBB56_827
; %bb.828:
	s_or_b32 exec_lo, exec_lo, s3
.LBB56_829:
	s_delay_alu instid0(SALU_CYCLE_1) | instskip(SKIP_4) | instid1(VALU_DEP_1)
	s_or_b32 exec_lo, exec_lo, s2
	v_mov_b32_e32 v121, 0
	ds_load_b64 v[122:123], v121 offset:216
	s_wait_dscnt 0x0
	v_pk_mul_f32 v[124:125], v[118:119], v[122:123] op_sel:[1,1] op_sel_hi:[0,1]
	v_pk_fma_f32 v[126:127], v[118:119], v[122:123], v[124:125] op_sel_hi:[1,0,1]
	v_pk_fma_f32 v[118:119], v[118:119], v[122:123], v[124:125] neg_lo:[0,0,1] neg_hi:[0,0,1]
	s_delay_alu instid0(VALU_DEP_2)
	v_mov_b32_e32 v119, v127
	scratch_store_b64 off, v[118:119], off offset:216
.LBB56_830:
	s_wait_xcnt 0x0
	s_or_b32 exec_lo, exec_lo, s0
	scratch_load_b64 v[118:119], off, off offset:224
	s_mov_b32 s0, exec_lo
	s_wait_loadcnt 0x0
	ds_store_b64 v1, v[118:119]
	s_wait_storecnt_dscnt 0x0
	s_barrier_signal -1
	s_barrier_wait -1
	s_wait_xcnt 0x0
	v_cmpx_gt_u32_e32 28, v0
	s_cbranch_execz .LBB56_840
; %bb.831:
	v_cmp_ne_u32_e32 vcc_lo, 1, v120
	s_cbranch_vccnz .LBB56_833
; %bb.832:
	scratch_load_b64 v[118:119], v49, off
	ds_load_b64 v[122:123], v1
	s_wait_loadcnt_dscnt 0x0
	v_pk_mul_f32 v[124:125], v[122:123], v[118:119] op_sel:[1,1] op_sel_hi:[0,1]
	s_delay_alu instid0(VALU_DEP_1) | instskip(SKIP_1) | instid1(VALU_DEP_2)
	v_pk_fma_f32 v[126:127], v[122:123], v[118:119], v[124:125] op_sel_hi:[1,0,1]
	v_pk_fma_f32 v[118:119], v[122:123], v[118:119], v[124:125] neg_lo:[0,0,1] neg_hi:[0,0,1]
	v_mov_b32_e32 v119, v127
	s_cbranch_execz .LBB56_834
	s_branch .LBB56_835
.LBB56_833:
                                        ; implicit-def: $vgpr118_vgpr119
.LBB56_834:
	ds_load_b64 v[118:119], v1
.LBB56_835:
	s_mov_b32 s2, exec_lo
	v_cmpx_ne_u32_e32 27, v0
	s_cbranch_execz .LBB56_839
; %bb.836:
	v_add_nc_u32_e32 v121, 0x1d8, v48
	v_add3_u32 v122, 0, v48, 8
	v_mov_b32_e32 v123, v0
	s_mov_b32 s3, 0
.LBB56_837:                             ; =>This Inner Loop Header: Depth=1
	scratch_load_b64 v[124:125], v122, off
	ds_load_b64 v[126:127], v121
	s_wait_xcnt 0x0
	v_dual_add_nc_u32 v121, 8, v121 :: v_dual_add_nc_u32 v122, 8, v122
	s_wait_loadcnt_dscnt 0x0
	v_pk_mul_f32 v[128:129], v[126:127], v[124:125] op_sel:[1,1] op_sel_hi:[0,1]
	s_delay_alu instid0(VALU_DEP_1) | instskip(SKIP_2) | instid1(VALU_DEP_3)
	v_pk_fma_f32 v[130:131], v[126:127], v[124:125], v[128:129] op_sel_hi:[1,0,1]
	v_add_nc_u32_e32 v123, 1, v123
	v_pk_fma_f32 v[124:125], v[126:127], v[124:125], v[128:129] neg_lo:[0,0,1] neg_hi:[0,0,1]
	v_mov_b32_e32 v125, v131
	s_delay_alu instid0(VALU_DEP_3) | instskip(NEXT) | instid1(VALU_DEP_2)
	v_cmp_lt_u32_e32 vcc_lo, 26, v123
	v_pk_add_f32 v[118:119], v[118:119], v[124:125]
	s_or_b32 s3, vcc_lo, s3
	s_delay_alu instid0(SALU_CYCLE_1)
	s_and_not1_b32 exec_lo, exec_lo, s3
	s_cbranch_execnz .LBB56_837
; %bb.838:
	s_or_b32 exec_lo, exec_lo, s3
.LBB56_839:
	s_delay_alu instid0(SALU_CYCLE_1) | instskip(SKIP_4) | instid1(VALU_DEP_1)
	s_or_b32 exec_lo, exec_lo, s2
	v_mov_b32_e32 v121, 0
	ds_load_b64 v[122:123], v121 offset:224
	s_wait_dscnt 0x0
	v_pk_mul_f32 v[124:125], v[118:119], v[122:123] op_sel:[1,1] op_sel_hi:[0,1]
	v_pk_fma_f32 v[126:127], v[118:119], v[122:123], v[124:125] op_sel_hi:[1,0,1]
	v_pk_fma_f32 v[118:119], v[118:119], v[122:123], v[124:125] neg_lo:[0,0,1] neg_hi:[0,0,1]
	s_delay_alu instid0(VALU_DEP_2)
	v_mov_b32_e32 v119, v127
	scratch_store_b64 off, v[118:119], off offset:224
.LBB56_840:
	s_wait_xcnt 0x0
	s_or_b32 exec_lo, exec_lo, s0
	scratch_load_b64 v[118:119], off, off offset:232
	s_mov_b32 s0, exec_lo
	s_wait_loadcnt 0x0
	ds_store_b64 v1, v[118:119]
	s_wait_storecnt_dscnt 0x0
	s_barrier_signal -1
	s_barrier_wait -1
	s_wait_xcnt 0x0
	v_cmpx_gt_u32_e32 29, v0
	s_cbranch_execz .LBB56_850
; %bb.841:
	v_cmp_ne_u32_e32 vcc_lo, 1, v120
	s_cbranch_vccnz .LBB56_843
; %bb.842:
	scratch_load_b64 v[118:119], v49, off
	ds_load_b64 v[122:123], v1
	s_wait_loadcnt_dscnt 0x0
	v_pk_mul_f32 v[124:125], v[122:123], v[118:119] op_sel:[1,1] op_sel_hi:[0,1]
	s_delay_alu instid0(VALU_DEP_1) | instskip(SKIP_1) | instid1(VALU_DEP_2)
	v_pk_fma_f32 v[126:127], v[122:123], v[118:119], v[124:125] op_sel_hi:[1,0,1]
	v_pk_fma_f32 v[118:119], v[122:123], v[118:119], v[124:125] neg_lo:[0,0,1] neg_hi:[0,0,1]
	v_mov_b32_e32 v119, v127
	s_cbranch_execz .LBB56_844
	s_branch .LBB56_845
.LBB56_843:
                                        ; implicit-def: $vgpr118_vgpr119
.LBB56_844:
	ds_load_b64 v[118:119], v1
.LBB56_845:
	s_mov_b32 s2, exec_lo
	v_cmpx_ne_u32_e32 28, v0
	s_cbranch_execz .LBB56_849
; %bb.846:
	v_add_nc_u32_e32 v121, 0x1d8, v48
	v_add3_u32 v122, 0, v48, 8
	v_mov_b32_e32 v123, v0
	s_mov_b32 s3, 0
.LBB56_847:                             ; =>This Inner Loop Header: Depth=1
	scratch_load_b64 v[124:125], v122, off
	ds_load_b64 v[126:127], v121
	s_wait_xcnt 0x0
	v_dual_add_nc_u32 v121, 8, v121 :: v_dual_add_nc_u32 v122, 8, v122
	s_wait_loadcnt_dscnt 0x0
	v_pk_mul_f32 v[128:129], v[126:127], v[124:125] op_sel:[1,1] op_sel_hi:[0,1]
	s_delay_alu instid0(VALU_DEP_1) | instskip(SKIP_2) | instid1(VALU_DEP_3)
	v_pk_fma_f32 v[130:131], v[126:127], v[124:125], v[128:129] op_sel_hi:[1,0,1]
	v_add_nc_u32_e32 v123, 1, v123
	v_pk_fma_f32 v[124:125], v[126:127], v[124:125], v[128:129] neg_lo:[0,0,1] neg_hi:[0,0,1]
	v_mov_b32_e32 v125, v131
	s_delay_alu instid0(VALU_DEP_3) | instskip(NEXT) | instid1(VALU_DEP_2)
	v_cmp_lt_u32_e32 vcc_lo, 27, v123
	v_pk_add_f32 v[118:119], v[118:119], v[124:125]
	s_or_b32 s3, vcc_lo, s3
	s_delay_alu instid0(SALU_CYCLE_1)
	s_and_not1_b32 exec_lo, exec_lo, s3
	s_cbranch_execnz .LBB56_847
; %bb.848:
	s_or_b32 exec_lo, exec_lo, s3
.LBB56_849:
	s_delay_alu instid0(SALU_CYCLE_1) | instskip(SKIP_4) | instid1(VALU_DEP_1)
	s_or_b32 exec_lo, exec_lo, s2
	v_mov_b32_e32 v121, 0
	ds_load_b64 v[122:123], v121 offset:232
	s_wait_dscnt 0x0
	v_pk_mul_f32 v[124:125], v[118:119], v[122:123] op_sel:[1,1] op_sel_hi:[0,1]
	v_pk_fma_f32 v[126:127], v[118:119], v[122:123], v[124:125] op_sel_hi:[1,0,1]
	v_pk_fma_f32 v[118:119], v[118:119], v[122:123], v[124:125] neg_lo:[0,0,1] neg_hi:[0,0,1]
	s_delay_alu instid0(VALU_DEP_2)
	v_mov_b32_e32 v119, v127
	scratch_store_b64 off, v[118:119], off offset:232
.LBB56_850:
	s_wait_xcnt 0x0
	s_or_b32 exec_lo, exec_lo, s0
	scratch_load_b64 v[118:119], off, off offset:240
	s_mov_b32 s0, exec_lo
	s_wait_loadcnt 0x0
	ds_store_b64 v1, v[118:119]
	s_wait_storecnt_dscnt 0x0
	s_barrier_signal -1
	s_barrier_wait -1
	s_wait_xcnt 0x0
	v_cmpx_gt_u32_e32 30, v0
	s_cbranch_execz .LBB56_860
; %bb.851:
	v_cmp_ne_u32_e32 vcc_lo, 1, v120
	s_cbranch_vccnz .LBB56_853
; %bb.852:
	scratch_load_b64 v[118:119], v49, off
	ds_load_b64 v[122:123], v1
	s_wait_loadcnt_dscnt 0x0
	v_pk_mul_f32 v[124:125], v[122:123], v[118:119] op_sel:[1,1] op_sel_hi:[0,1]
	s_delay_alu instid0(VALU_DEP_1) | instskip(SKIP_1) | instid1(VALU_DEP_2)
	v_pk_fma_f32 v[126:127], v[122:123], v[118:119], v[124:125] op_sel_hi:[1,0,1]
	v_pk_fma_f32 v[118:119], v[122:123], v[118:119], v[124:125] neg_lo:[0,0,1] neg_hi:[0,0,1]
	v_mov_b32_e32 v119, v127
	s_cbranch_execz .LBB56_854
	s_branch .LBB56_855
.LBB56_853:
                                        ; implicit-def: $vgpr118_vgpr119
.LBB56_854:
	ds_load_b64 v[118:119], v1
.LBB56_855:
	s_mov_b32 s2, exec_lo
	v_cmpx_ne_u32_e32 29, v0
	s_cbranch_execz .LBB56_859
; %bb.856:
	v_add_nc_u32_e32 v121, 0x1d8, v48
	v_add3_u32 v122, 0, v48, 8
	v_mov_b32_e32 v123, v0
	s_mov_b32 s3, 0
.LBB56_857:                             ; =>This Inner Loop Header: Depth=1
	scratch_load_b64 v[124:125], v122, off
	ds_load_b64 v[126:127], v121
	s_wait_xcnt 0x0
	v_dual_add_nc_u32 v121, 8, v121 :: v_dual_add_nc_u32 v122, 8, v122
	s_wait_loadcnt_dscnt 0x0
	v_pk_mul_f32 v[128:129], v[126:127], v[124:125] op_sel:[1,1] op_sel_hi:[0,1]
	s_delay_alu instid0(VALU_DEP_1) | instskip(SKIP_2) | instid1(VALU_DEP_3)
	v_pk_fma_f32 v[130:131], v[126:127], v[124:125], v[128:129] op_sel_hi:[1,0,1]
	v_add_nc_u32_e32 v123, 1, v123
	v_pk_fma_f32 v[124:125], v[126:127], v[124:125], v[128:129] neg_lo:[0,0,1] neg_hi:[0,0,1]
	v_mov_b32_e32 v125, v131
	s_delay_alu instid0(VALU_DEP_3) | instskip(NEXT) | instid1(VALU_DEP_2)
	v_cmp_lt_u32_e32 vcc_lo, 28, v123
	v_pk_add_f32 v[118:119], v[118:119], v[124:125]
	s_or_b32 s3, vcc_lo, s3
	s_delay_alu instid0(SALU_CYCLE_1)
	s_and_not1_b32 exec_lo, exec_lo, s3
	s_cbranch_execnz .LBB56_857
; %bb.858:
	s_or_b32 exec_lo, exec_lo, s3
.LBB56_859:
	s_delay_alu instid0(SALU_CYCLE_1) | instskip(SKIP_4) | instid1(VALU_DEP_1)
	s_or_b32 exec_lo, exec_lo, s2
	v_mov_b32_e32 v121, 0
	ds_load_b64 v[122:123], v121 offset:240
	s_wait_dscnt 0x0
	v_pk_mul_f32 v[124:125], v[118:119], v[122:123] op_sel:[1,1] op_sel_hi:[0,1]
	v_pk_fma_f32 v[126:127], v[118:119], v[122:123], v[124:125] op_sel_hi:[1,0,1]
	v_pk_fma_f32 v[118:119], v[118:119], v[122:123], v[124:125] neg_lo:[0,0,1] neg_hi:[0,0,1]
	s_delay_alu instid0(VALU_DEP_2)
	v_mov_b32_e32 v119, v127
	scratch_store_b64 off, v[118:119], off offset:240
.LBB56_860:
	s_wait_xcnt 0x0
	s_or_b32 exec_lo, exec_lo, s0
	scratch_load_b64 v[118:119], off, off offset:248
	s_mov_b32 s0, exec_lo
	s_wait_loadcnt 0x0
	ds_store_b64 v1, v[118:119]
	s_wait_storecnt_dscnt 0x0
	s_barrier_signal -1
	s_barrier_wait -1
	s_wait_xcnt 0x0
	v_cmpx_gt_u32_e32 31, v0
	s_cbranch_execz .LBB56_870
; %bb.861:
	v_cmp_ne_u32_e32 vcc_lo, 1, v120
	s_cbranch_vccnz .LBB56_863
; %bb.862:
	scratch_load_b64 v[118:119], v49, off
	ds_load_b64 v[122:123], v1
	s_wait_loadcnt_dscnt 0x0
	v_pk_mul_f32 v[124:125], v[122:123], v[118:119] op_sel:[1,1] op_sel_hi:[0,1]
	s_delay_alu instid0(VALU_DEP_1) | instskip(SKIP_1) | instid1(VALU_DEP_2)
	v_pk_fma_f32 v[126:127], v[122:123], v[118:119], v[124:125] op_sel_hi:[1,0,1]
	v_pk_fma_f32 v[118:119], v[122:123], v[118:119], v[124:125] neg_lo:[0,0,1] neg_hi:[0,0,1]
	v_mov_b32_e32 v119, v127
	s_cbranch_execz .LBB56_864
	s_branch .LBB56_865
.LBB56_863:
                                        ; implicit-def: $vgpr118_vgpr119
.LBB56_864:
	ds_load_b64 v[118:119], v1
.LBB56_865:
	s_mov_b32 s2, exec_lo
	v_cmpx_ne_u32_e32 30, v0
	s_cbranch_execz .LBB56_869
; %bb.866:
	v_add_nc_u32_e32 v121, 0x1d8, v48
	v_add3_u32 v122, 0, v48, 8
	v_mov_b32_e32 v123, v0
	s_mov_b32 s3, 0
.LBB56_867:                             ; =>This Inner Loop Header: Depth=1
	scratch_load_b64 v[124:125], v122, off
	ds_load_b64 v[126:127], v121
	s_wait_xcnt 0x0
	v_dual_add_nc_u32 v121, 8, v121 :: v_dual_add_nc_u32 v122, 8, v122
	s_wait_loadcnt_dscnt 0x0
	v_pk_mul_f32 v[128:129], v[126:127], v[124:125] op_sel:[1,1] op_sel_hi:[0,1]
	s_delay_alu instid0(VALU_DEP_1) | instskip(SKIP_2) | instid1(VALU_DEP_3)
	v_pk_fma_f32 v[130:131], v[126:127], v[124:125], v[128:129] op_sel_hi:[1,0,1]
	v_add_nc_u32_e32 v123, 1, v123
	v_pk_fma_f32 v[124:125], v[126:127], v[124:125], v[128:129] neg_lo:[0,0,1] neg_hi:[0,0,1]
	v_mov_b32_e32 v125, v131
	s_delay_alu instid0(VALU_DEP_3) | instskip(NEXT) | instid1(VALU_DEP_2)
	v_cmp_lt_u32_e32 vcc_lo, 29, v123
	v_pk_add_f32 v[118:119], v[118:119], v[124:125]
	s_or_b32 s3, vcc_lo, s3
	s_delay_alu instid0(SALU_CYCLE_1)
	s_and_not1_b32 exec_lo, exec_lo, s3
	s_cbranch_execnz .LBB56_867
; %bb.868:
	s_or_b32 exec_lo, exec_lo, s3
.LBB56_869:
	s_delay_alu instid0(SALU_CYCLE_1) | instskip(SKIP_4) | instid1(VALU_DEP_1)
	s_or_b32 exec_lo, exec_lo, s2
	v_mov_b32_e32 v121, 0
	ds_load_b64 v[122:123], v121 offset:248
	s_wait_dscnt 0x0
	v_pk_mul_f32 v[124:125], v[118:119], v[122:123] op_sel:[1,1] op_sel_hi:[0,1]
	v_pk_fma_f32 v[126:127], v[118:119], v[122:123], v[124:125] op_sel_hi:[1,0,1]
	v_pk_fma_f32 v[118:119], v[118:119], v[122:123], v[124:125] neg_lo:[0,0,1] neg_hi:[0,0,1]
	s_delay_alu instid0(VALU_DEP_2)
	v_mov_b32_e32 v119, v127
	scratch_store_b64 off, v[118:119], off offset:248
.LBB56_870:
	s_wait_xcnt 0x0
	s_or_b32 exec_lo, exec_lo, s0
	scratch_load_b64 v[118:119], off, off offset:256
	s_mov_b32 s0, exec_lo
	s_wait_loadcnt 0x0
	ds_store_b64 v1, v[118:119]
	s_wait_storecnt_dscnt 0x0
	s_barrier_signal -1
	s_barrier_wait -1
	s_wait_xcnt 0x0
	v_cmpx_gt_u32_e32 32, v0
	s_cbranch_execz .LBB56_880
; %bb.871:
	v_cmp_ne_u32_e32 vcc_lo, 1, v120
	s_cbranch_vccnz .LBB56_873
; %bb.872:
	scratch_load_b64 v[118:119], v49, off
	ds_load_b64 v[122:123], v1
	s_wait_loadcnt_dscnt 0x0
	v_pk_mul_f32 v[124:125], v[122:123], v[118:119] op_sel:[1,1] op_sel_hi:[0,1]
	s_delay_alu instid0(VALU_DEP_1) | instskip(SKIP_1) | instid1(VALU_DEP_2)
	v_pk_fma_f32 v[126:127], v[122:123], v[118:119], v[124:125] op_sel_hi:[1,0,1]
	v_pk_fma_f32 v[118:119], v[122:123], v[118:119], v[124:125] neg_lo:[0,0,1] neg_hi:[0,0,1]
	v_mov_b32_e32 v119, v127
	s_cbranch_execz .LBB56_874
	s_branch .LBB56_875
.LBB56_873:
                                        ; implicit-def: $vgpr118_vgpr119
.LBB56_874:
	ds_load_b64 v[118:119], v1
.LBB56_875:
	s_mov_b32 s2, exec_lo
	v_cmpx_ne_u32_e32 31, v0
	s_cbranch_execz .LBB56_879
; %bb.876:
	v_add_nc_u32_e32 v121, 0x1d8, v48
	v_add3_u32 v122, 0, v48, 8
	v_mov_b32_e32 v123, v0
	s_mov_b32 s3, 0
.LBB56_877:                             ; =>This Inner Loop Header: Depth=1
	scratch_load_b64 v[124:125], v122, off
	ds_load_b64 v[126:127], v121
	s_wait_xcnt 0x0
	v_dual_add_nc_u32 v121, 8, v121 :: v_dual_add_nc_u32 v122, 8, v122
	s_wait_loadcnt_dscnt 0x0
	v_pk_mul_f32 v[128:129], v[126:127], v[124:125] op_sel:[1,1] op_sel_hi:[0,1]
	s_delay_alu instid0(VALU_DEP_1) | instskip(SKIP_2) | instid1(VALU_DEP_3)
	v_pk_fma_f32 v[130:131], v[126:127], v[124:125], v[128:129] op_sel_hi:[1,0,1]
	v_add_nc_u32_e32 v123, 1, v123
	v_pk_fma_f32 v[124:125], v[126:127], v[124:125], v[128:129] neg_lo:[0,0,1] neg_hi:[0,0,1]
	v_mov_b32_e32 v125, v131
	s_delay_alu instid0(VALU_DEP_3) | instskip(NEXT) | instid1(VALU_DEP_2)
	v_cmp_lt_u32_e32 vcc_lo, 30, v123
	v_pk_add_f32 v[118:119], v[118:119], v[124:125]
	s_or_b32 s3, vcc_lo, s3
	s_delay_alu instid0(SALU_CYCLE_1)
	s_and_not1_b32 exec_lo, exec_lo, s3
	s_cbranch_execnz .LBB56_877
; %bb.878:
	s_or_b32 exec_lo, exec_lo, s3
.LBB56_879:
	s_delay_alu instid0(SALU_CYCLE_1) | instskip(SKIP_4) | instid1(VALU_DEP_1)
	s_or_b32 exec_lo, exec_lo, s2
	v_mov_b32_e32 v121, 0
	ds_load_b64 v[122:123], v121 offset:256
	s_wait_dscnt 0x0
	v_pk_mul_f32 v[124:125], v[118:119], v[122:123] op_sel:[1,1] op_sel_hi:[0,1]
	v_pk_fma_f32 v[126:127], v[118:119], v[122:123], v[124:125] op_sel_hi:[1,0,1]
	v_pk_fma_f32 v[118:119], v[118:119], v[122:123], v[124:125] neg_lo:[0,0,1] neg_hi:[0,0,1]
	s_delay_alu instid0(VALU_DEP_2)
	v_mov_b32_e32 v119, v127
	scratch_store_b64 off, v[118:119], off offset:256
.LBB56_880:
	s_wait_xcnt 0x0
	s_or_b32 exec_lo, exec_lo, s0
	scratch_load_b64 v[118:119], off, off offset:264
	s_mov_b32 s0, exec_lo
	s_wait_loadcnt 0x0
	ds_store_b64 v1, v[118:119]
	s_wait_storecnt_dscnt 0x0
	s_barrier_signal -1
	s_barrier_wait -1
	s_wait_xcnt 0x0
	v_cmpx_gt_u32_e32 33, v0
	s_cbranch_execz .LBB56_890
; %bb.881:
	v_cmp_ne_u32_e32 vcc_lo, 1, v120
	s_cbranch_vccnz .LBB56_883
; %bb.882:
	scratch_load_b64 v[118:119], v49, off
	ds_load_b64 v[122:123], v1
	s_wait_loadcnt_dscnt 0x0
	v_pk_mul_f32 v[124:125], v[122:123], v[118:119] op_sel:[1,1] op_sel_hi:[0,1]
	s_delay_alu instid0(VALU_DEP_1) | instskip(SKIP_1) | instid1(VALU_DEP_2)
	v_pk_fma_f32 v[126:127], v[122:123], v[118:119], v[124:125] op_sel_hi:[1,0,1]
	v_pk_fma_f32 v[118:119], v[122:123], v[118:119], v[124:125] neg_lo:[0,0,1] neg_hi:[0,0,1]
	v_mov_b32_e32 v119, v127
	s_cbranch_execz .LBB56_884
	s_branch .LBB56_885
.LBB56_883:
                                        ; implicit-def: $vgpr118_vgpr119
.LBB56_884:
	ds_load_b64 v[118:119], v1
.LBB56_885:
	s_mov_b32 s2, exec_lo
	v_cmpx_ne_u32_e32 32, v0
	s_cbranch_execz .LBB56_889
; %bb.886:
	v_add_nc_u32_e32 v121, 0x1d8, v48
	v_add3_u32 v122, 0, v48, 8
	v_mov_b32_e32 v123, v0
	s_mov_b32 s3, 0
.LBB56_887:                             ; =>This Inner Loop Header: Depth=1
	scratch_load_b64 v[124:125], v122, off
	ds_load_b64 v[126:127], v121
	s_wait_xcnt 0x0
	v_dual_add_nc_u32 v121, 8, v121 :: v_dual_add_nc_u32 v122, 8, v122
	s_wait_loadcnt_dscnt 0x0
	v_pk_mul_f32 v[128:129], v[126:127], v[124:125] op_sel:[1,1] op_sel_hi:[0,1]
	s_delay_alu instid0(VALU_DEP_1) | instskip(SKIP_2) | instid1(VALU_DEP_3)
	v_pk_fma_f32 v[130:131], v[126:127], v[124:125], v[128:129] op_sel_hi:[1,0,1]
	v_add_nc_u32_e32 v123, 1, v123
	v_pk_fma_f32 v[124:125], v[126:127], v[124:125], v[128:129] neg_lo:[0,0,1] neg_hi:[0,0,1]
	v_mov_b32_e32 v125, v131
	s_delay_alu instid0(VALU_DEP_3) | instskip(NEXT) | instid1(VALU_DEP_2)
	v_cmp_lt_u32_e32 vcc_lo, 31, v123
	v_pk_add_f32 v[118:119], v[118:119], v[124:125]
	s_or_b32 s3, vcc_lo, s3
	s_delay_alu instid0(SALU_CYCLE_1)
	s_and_not1_b32 exec_lo, exec_lo, s3
	s_cbranch_execnz .LBB56_887
; %bb.888:
	s_or_b32 exec_lo, exec_lo, s3
.LBB56_889:
	s_delay_alu instid0(SALU_CYCLE_1) | instskip(SKIP_4) | instid1(VALU_DEP_1)
	s_or_b32 exec_lo, exec_lo, s2
	v_mov_b32_e32 v121, 0
	ds_load_b64 v[122:123], v121 offset:264
	s_wait_dscnt 0x0
	v_pk_mul_f32 v[124:125], v[118:119], v[122:123] op_sel:[1,1] op_sel_hi:[0,1]
	v_pk_fma_f32 v[126:127], v[118:119], v[122:123], v[124:125] op_sel_hi:[1,0,1]
	v_pk_fma_f32 v[118:119], v[118:119], v[122:123], v[124:125] neg_lo:[0,0,1] neg_hi:[0,0,1]
	s_delay_alu instid0(VALU_DEP_2)
	v_mov_b32_e32 v119, v127
	scratch_store_b64 off, v[118:119], off offset:264
.LBB56_890:
	s_wait_xcnt 0x0
	s_or_b32 exec_lo, exec_lo, s0
	scratch_load_b64 v[118:119], off, off offset:272
	s_mov_b32 s0, exec_lo
	s_wait_loadcnt 0x0
	ds_store_b64 v1, v[118:119]
	s_wait_storecnt_dscnt 0x0
	s_barrier_signal -1
	s_barrier_wait -1
	s_wait_xcnt 0x0
	v_cmpx_gt_u32_e32 34, v0
	s_cbranch_execz .LBB56_900
; %bb.891:
	v_cmp_ne_u32_e32 vcc_lo, 1, v120
	s_cbranch_vccnz .LBB56_893
; %bb.892:
	scratch_load_b64 v[118:119], v49, off
	ds_load_b64 v[122:123], v1
	s_wait_loadcnt_dscnt 0x0
	v_pk_mul_f32 v[124:125], v[122:123], v[118:119] op_sel:[1,1] op_sel_hi:[0,1]
	s_delay_alu instid0(VALU_DEP_1) | instskip(SKIP_1) | instid1(VALU_DEP_2)
	v_pk_fma_f32 v[126:127], v[122:123], v[118:119], v[124:125] op_sel_hi:[1,0,1]
	v_pk_fma_f32 v[118:119], v[122:123], v[118:119], v[124:125] neg_lo:[0,0,1] neg_hi:[0,0,1]
	v_mov_b32_e32 v119, v127
	s_cbranch_execz .LBB56_894
	s_branch .LBB56_895
.LBB56_893:
                                        ; implicit-def: $vgpr118_vgpr119
.LBB56_894:
	ds_load_b64 v[118:119], v1
.LBB56_895:
	s_mov_b32 s2, exec_lo
	v_cmpx_ne_u32_e32 33, v0
	s_cbranch_execz .LBB56_899
; %bb.896:
	v_add_nc_u32_e32 v121, 0x1d8, v48
	v_add3_u32 v122, 0, v48, 8
	v_mov_b32_e32 v123, v0
	s_mov_b32 s3, 0
.LBB56_897:                             ; =>This Inner Loop Header: Depth=1
	scratch_load_b64 v[124:125], v122, off
	ds_load_b64 v[126:127], v121
	s_wait_xcnt 0x0
	v_dual_add_nc_u32 v121, 8, v121 :: v_dual_add_nc_u32 v122, 8, v122
	s_wait_loadcnt_dscnt 0x0
	v_pk_mul_f32 v[128:129], v[126:127], v[124:125] op_sel:[1,1] op_sel_hi:[0,1]
	s_delay_alu instid0(VALU_DEP_1) | instskip(SKIP_2) | instid1(VALU_DEP_3)
	v_pk_fma_f32 v[130:131], v[126:127], v[124:125], v[128:129] op_sel_hi:[1,0,1]
	v_add_nc_u32_e32 v123, 1, v123
	v_pk_fma_f32 v[124:125], v[126:127], v[124:125], v[128:129] neg_lo:[0,0,1] neg_hi:[0,0,1]
	v_mov_b32_e32 v125, v131
	s_delay_alu instid0(VALU_DEP_3) | instskip(NEXT) | instid1(VALU_DEP_2)
	v_cmp_lt_u32_e32 vcc_lo, 32, v123
	v_pk_add_f32 v[118:119], v[118:119], v[124:125]
	s_or_b32 s3, vcc_lo, s3
	s_delay_alu instid0(SALU_CYCLE_1)
	s_and_not1_b32 exec_lo, exec_lo, s3
	s_cbranch_execnz .LBB56_897
; %bb.898:
	s_or_b32 exec_lo, exec_lo, s3
.LBB56_899:
	s_delay_alu instid0(SALU_CYCLE_1) | instskip(SKIP_4) | instid1(VALU_DEP_1)
	s_or_b32 exec_lo, exec_lo, s2
	v_mov_b32_e32 v121, 0
	ds_load_b64 v[122:123], v121 offset:272
	s_wait_dscnt 0x0
	v_pk_mul_f32 v[124:125], v[118:119], v[122:123] op_sel:[1,1] op_sel_hi:[0,1]
	v_pk_fma_f32 v[126:127], v[118:119], v[122:123], v[124:125] op_sel_hi:[1,0,1]
	v_pk_fma_f32 v[118:119], v[118:119], v[122:123], v[124:125] neg_lo:[0,0,1] neg_hi:[0,0,1]
	s_delay_alu instid0(VALU_DEP_2)
	v_mov_b32_e32 v119, v127
	scratch_store_b64 off, v[118:119], off offset:272
.LBB56_900:
	s_wait_xcnt 0x0
	s_or_b32 exec_lo, exec_lo, s0
	scratch_load_b64 v[118:119], off, off offset:280
	s_mov_b32 s0, exec_lo
	s_wait_loadcnt 0x0
	ds_store_b64 v1, v[118:119]
	s_wait_storecnt_dscnt 0x0
	s_barrier_signal -1
	s_barrier_wait -1
	s_wait_xcnt 0x0
	v_cmpx_gt_u32_e32 35, v0
	s_cbranch_execz .LBB56_910
; %bb.901:
	v_cmp_ne_u32_e32 vcc_lo, 1, v120
	s_cbranch_vccnz .LBB56_903
; %bb.902:
	scratch_load_b64 v[118:119], v49, off
	ds_load_b64 v[122:123], v1
	s_wait_loadcnt_dscnt 0x0
	v_pk_mul_f32 v[124:125], v[122:123], v[118:119] op_sel:[1,1] op_sel_hi:[0,1]
	s_delay_alu instid0(VALU_DEP_1) | instskip(SKIP_1) | instid1(VALU_DEP_2)
	v_pk_fma_f32 v[126:127], v[122:123], v[118:119], v[124:125] op_sel_hi:[1,0,1]
	v_pk_fma_f32 v[118:119], v[122:123], v[118:119], v[124:125] neg_lo:[0,0,1] neg_hi:[0,0,1]
	v_mov_b32_e32 v119, v127
	s_cbranch_execz .LBB56_904
	s_branch .LBB56_905
.LBB56_903:
                                        ; implicit-def: $vgpr118_vgpr119
.LBB56_904:
	ds_load_b64 v[118:119], v1
.LBB56_905:
	s_mov_b32 s2, exec_lo
	v_cmpx_ne_u32_e32 34, v0
	s_cbranch_execz .LBB56_909
; %bb.906:
	v_add_nc_u32_e32 v121, 0x1d8, v48
	v_add3_u32 v122, 0, v48, 8
	v_mov_b32_e32 v123, v0
	s_mov_b32 s3, 0
.LBB56_907:                             ; =>This Inner Loop Header: Depth=1
	scratch_load_b64 v[124:125], v122, off
	ds_load_b64 v[126:127], v121
	s_wait_xcnt 0x0
	v_dual_add_nc_u32 v121, 8, v121 :: v_dual_add_nc_u32 v122, 8, v122
	s_wait_loadcnt_dscnt 0x0
	v_pk_mul_f32 v[128:129], v[126:127], v[124:125] op_sel:[1,1] op_sel_hi:[0,1]
	s_delay_alu instid0(VALU_DEP_1) | instskip(SKIP_2) | instid1(VALU_DEP_3)
	v_pk_fma_f32 v[130:131], v[126:127], v[124:125], v[128:129] op_sel_hi:[1,0,1]
	v_add_nc_u32_e32 v123, 1, v123
	v_pk_fma_f32 v[124:125], v[126:127], v[124:125], v[128:129] neg_lo:[0,0,1] neg_hi:[0,0,1]
	v_mov_b32_e32 v125, v131
	s_delay_alu instid0(VALU_DEP_3) | instskip(NEXT) | instid1(VALU_DEP_2)
	v_cmp_lt_u32_e32 vcc_lo, 33, v123
	v_pk_add_f32 v[118:119], v[118:119], v[124:125]
	s_or_b32 s3, vcc_lo, s3
	s_delay_alu instid0(SALU_CYCLE_1)
	s_and_not1_b32 exec_lo, exec_lo, s3
	s_cbranch_execnz .LBB56_907
; %bb.908:
	s_or_b32 exec_lo, exec_lo, s3
.LBB56_909:
	s_delay_alu instid0(SALU_CYCLE_1) | instskip(SKIP_4) | instid1(VALU_DEP_1)
	s_or_b32 exec_lo, exec_lo, s2
	v_mov_b32_e32 v121, 0
	ds_load_b64 v[122:123], v121 offset:280
	s_wait_dscnt 0x0
	v_pk_mul_f32 v[124:125], v[118:119], v[122:123] op_sel:[1,1] op_sel_hi:[0,1]
	v_pk_fma_f32 v[126:127], v[118:119], v[122:123], v[124:125] op_sel_hi:[1,0,1]
	v_pk_fma_f32 v[118:119], v[118:119], v[122:123], v[124:125] neg_lo:[0,0,1] neg_hi:[0,0,1]
	s_delay_alu instid0(VALU_DEP_2)
	v_mov_b32_e32 v119, v127
	scratch_store_b64 off, v[118:119], off offset:280
.LBB56_910:
	s_wait_xcnt 0x0
	s_or_b32 exec_lo, exec_lo, s0
	scratch_load_b64 v[118:119], off, off offset:288
	s_mov_b32 s0, exec_lo
	s_wait_loadcnt 0x0
	ds_store_b64 v1, v[118:119]
	s_wait_storecnt_dscnt 0x0
	s_barrier_signal -1
	s_barrier_wait -1
	s_wait_xcnt 0x0
	v_cmpx_gt_u32_e32 36, v0
	s_cbranch_execz .LBB56_920
; %bb.911:
	v_cmp_ne_u32_e32 vcc_lo, 1, v120
	s_cbranch_vccnz .LBB56_913
; %bb.912:
	scratch_load_b64 v[118:119], v49, off
	ds_load_b64 v[122:123], v1
	s_wait_loadcnt_dscnt 0x0
	v_pk_mul_f32 v[124:125], v[122:123], v[118:119] op_sel:[1,1] op_sel_hi:[0,1]
	s_delay_alu instid0(VALU_DEP_1) | instskip(SKIP_1) | instid1(VALU_DEP_2)
	v_pk_fma_f32 v[126:127], v[122:123], v[118:119], v[124:125] op_sel_hi:[1,0,1]
	v_pk_fma_f32 v[118:119], v[122:123], v[118:119], v[124:125] neg_lo:[0,0,1] neg_hi:[0,0,1]
	v_mov_b32_e32 v119, v127
	s_cbranch_execz .LBB56_914
	s_branch .LBB56_915
.LBB56_913:
                                        ; implicit-def: $vgpr118_vgpr119
.LBB56_914:
	ds_load_b64 v[118:119], v1
.LBB56_915:
	s_mov_b32 s2, exec_lo
	v_cmpx_ne_u32_e32 35, v0
	s_cbranch_execz .LBB56_919
; %bb.916:
	v_add_nc_u32_e32 v121, 0x1d8, v48
	v_add3_u32 v122, 0, v48, 8
	v_mov_b32_e32 v123, v0
	s_mov_b32 s3, 0
.LBB56_917:                             ; =>This Inner Loop Header: Depth=1
	scratch_load_b64 v[124:125], v122, off
	ds_load_b64 v[126:127], v121
	s_wait_xcnt 0x0
	v_dual_add_nc_u32 v121, 8, v121 :: v_dual_add_nc_u32 v122, 8, v122
	s_wait_loadcnt_dscnt 0x0
	v_pk_mul_f32 v[128:129], v[126:127], v[124:125] op_sel:[1,1] op_sel_hi:[0,1]
	s_delay_alu instid0(VALU_DEP_1) | instskip(SKIP_2) | instid1(VALU_DEP_3)
	v_pk_fma_f32 v[130:131], v[126:127], v[124:125], v[128:129] op_sel_hi:[1,0,1]
	v_add_nc_u32_e32 v123, 1, v123
	v_pk_fma_f32 v[124:125], v[126:127], v[124:125], v[128:129] neg_lo:[0,0,1] neg_hi:[0,0,1]
	v_mov_b32_e32 v125, v131
	s_delay_alu instid0(VALU_DEP_3) | instskip(NEXT) | instid1(VALU_DEP_2)
	v_cmp_lt_u32_e32 vcc_lo, 34, v123
	v_pk_add_f32 v[118:119], v[118:119], v[124:125]
	s_or_b32 s3, vcc_lo, s3
	s_delay_alu instid0(SALU_CYCLE_1)
	s_and_not1_b32 exec_lo, exec_lo, s3
	s_cbranch_execnz .LBB56_917
; %bb.918:
	s_or_b32 exec_lo, exec_lo, s3
.LBB56_919:
	s_delay_alu instid0(SALU_CYCLE_1) | instskip(SKIP_4) | instid1(VALU_DEP_1)
	s_or_b32 exec_lo, exec_lo, s2
	v_mov_b32_e32 v121, 0
	ds_load_b64 v[122:123], v121 offset:288
	s_wait_dscnt 0x0
	v_pk_mul_f32 v[124:125], v[118:119], v[122:123] op_sel:[1,1] op_sel_hi:[0,1]
	v_pk_fma_f32 v[126:127], v[118:119], v[122:123], v[124:125] op_sel_hi:[1,0,1]
	v_pk_fma_f32 v[118:119], v[118:119], v[122:123], v[124:125] neg_lo:[0,0,1] neg_hi:[0,0,1]
	s_delay_alu instid0(VALU_DEP_2)
	v_mov_b32_e32 v119, v127
	scratch_store_b64 off, v[118:119], off offset:288
.LBB56_920:
	s_wait_xcnt 0x0
	s_or_b32 exec_lo, exec_lo, s0
	scratch_load_b64 v[118:119], off, off offset:296
	s_mov_b32 s0, exec_lo
	s_wait_loadcnt 0x0
	ds_store_b64 v1, v[118:119]
	s_wait_storecnt_dscnt 0x0
	s_barrier_signal -1
	s_barrier_wait -1
	s_wait_xcnt 0x0
	v_cmpx_gt_u32_e32 37, v0
	s_cbranch_execz .LBB56_930
; %bb.921:
	v_cmp_ne_u32_e32 vcc_lo, 1, v120
	s_cbranch_vccnz .LBB56_923
; %bb.922:
	scratch_load_b64 v[118:119], v49, off
	ds_load_b64 v[122:123], v1
	s_wait_loadcnt_dscnt 0x0
	v_pk_mul_f32 v[124:125], v[122:123], v[118:119] op_sel:[1,1] op_sel_hi:[0,1]
	s_delay_alu instid0(VALU_DEP_1) | instskip(SKIP_1) | instid1(VALU_DEP_2)
	v_pk_fma_f32 v[126:127], v[122:123], v[118:119], v[124:125] op_sel_hi:[1,0,1]
	v_pk_fma_f32 v[118:119], v[122:123], v[118:119], v[124:125] neg_lo:[0,0,1] neg_hi:[0,0,1]
	v_mov_b32_e32 v119, v127
	s_cbranch_execz .LBB56_924
	s_branch .LBB56_925
.LBB56_923:
                                        ; implicit-def: $vgpr118_vgpr119
.LBB56_924:
	ds_load_b64 v[118:119], v1
.LBB56_925:
	s_mov_b32 s2, exec_lo
	v_cmpx_ne_u32_e32 36, v0
	s_cbranch_execz .LBB56_929
; %bb.926:
	v_add_nc_u32_e32 v121, 0x1d8, v48
	v_add3_u32 v122, 0, v48, 8
	v_mov_b32_e32 v123, v0
	s_mov_b32 s3, 0
.LBB56_927:                             ; =>This Inner Loop Header: Depth=1
	scratch_load_b64 v[124:125], v122, off
	ds_load_b64 v[126:127], v121
	s_wait_xcnt 0x0
	v_dual_add_nc_u32 v121, 8, v121 :: v_dual_add_nc_u32 v122, 8, v122
	s_wait_loadcnt_dscnt 0x0
	v_pk_mul_f32 v[128:129], v[126:127], v[124:125] op_sel:[1,1] op_sel_hi:[0,1]
	s_delay_alu instid0(VALU_DEP_1) | instskip(SKIP_2) | instid1(VALU_DEP_3)
	v_pk_fma_f32 v[130:131], v[126:127], v[124:125], v[128:129] op_sel_hi:[1,0,1]
	v_add_nc_u32_e32 v123, 1, v123
	v_pk_fma_f32 v[124:125], v[126:127], v[124:125], v[128:129] neg_lo:[0,0,1] neg_hi:[0,0,1]
	v_mov_b32_e32 v125, v131
	s_delay_alu instid0(VALU_DEP_3) | instskip(NEXT) | instid1(VALU_DEP_2)
	v_cmp_lt_u32_e32 vcc_lo, 35, v123
	v_pk_add_f32 v[118:119], v[118:119], v[124:125]
	s_or_b32 s3, vcc_lo, s3
	s_delay_alu instid0(SALU_CYCLE_1)
	s_and_not1_b32 exec_lo, exec_lo, s3
	s_cbranch_execnz .LBB56_927
; %bb.928:
	s_or_b32 exec_lo, exec_lo, s3
.LBB56_929:
	s_delay_alu instid0(SALU_CYCLE_1) | instskip(SKIP_4) | instid1(VALU_DEP_1)
	s_or_b32 exec_lo, exec_lo, s2
	v_mov_b32_e32 v121, 0
	ds_load_b64 v[122:123], v121 offset:296
	s_wait_dscnt 0x0
	v_pk_mul_f32 v[124:125], v[118:119], v[122:123] op_sel:[1,1] op_sel_hi:[0,1]
	v_pk_fma_f32 v[126:127], v[118:119], v[122:123], v[124:125] op_sel_hi:[1,0,1]
	v_pk_fma_f32 v[118:119], v[118:119], v[122:123], v[124:125] neg_lo:[0,0,1] neg_hi:[0,0,1]
	s_delay_alu instid0(VALU_DEP_2)
	v_mov_b32_e32 v119, v127
	scratch_store_b64 off, v[118:119], off offset:296
.LBB56_930:
	s_wait_xcnt 0x0
	s_or_b32 exec_lo, exec_lo, s0
	scratch_load_b64 v[118:119], off, off offset:304
	s_mov_b32 s0, exec_lo
	s_wait_loadcnt 0x0
	ds_store_b64 v1, v[118:119]
	s_wait_storecnt_dscnt 0x0
	s_barrier_signal -1
	s_barrier_wait -1
	s_wait_xcnt 0x0
	v_cmpx_gt_u32_e32 38, v0
	s_cbranch_execz .LBB56_940
; %bb.931:
	v_cmp_ne_u32_e32 vcc_lo, 1, v120
	s_cbranch_vccnz .LBB56_933
; %bb.932:
	scratch_load_b64 v[118:119], v49, off
	ds_load_b64 v[122:123], v1
	s_wait_loadcnt_dscnt 0x0
	v_pk_mul_f32 v[124:125], v[122:123], v[118:119] op_sel:[1,1] op_sel_hi:[0,1]
	s_delay_alu instid0(VALU_DEP_1) | instskip(SKIP_1) | instid1(VALU_DEP_2)
	v_pk_fma_f32 v[126:127], v[122:123], v[118:119], v[124:125] op_sel_hi:[1,0,1]
	v_pk_fma_f32 v[118:119], v[122:123], v[118:119], v[124:125] neg_lo:[0,0,1] neg_hi:[0,0,1]
	v_mov_b32_e32 v119, v127
	s_cbranch_execz .LBB56_934
	s_branch .LBB56_935
.LBB56_933:
                                        ; implicit-def: $vgpr118_vgpr119
.LBB56_934:
	ds_load_b64 v[118:119], v1
.LBB56_935:
	s_mov_b32 s2, exec_lo
	v_cmpx_ne_u32_e32 37, v0
	s_cbranch_execz .LBB56_939
; %bb.936:
	v_add_nc_u32_e32 v121, 0x1d8, v48
	v_add3_u32 v122, 0, v48, 8
	v_mov_b32_e32 v123, v0
	s_mov_b32 s3, 0
.LBB56_937:                             ; =>This Inner Loop Header: Depth=1
	scratch_load_b64 v[124:125], v122, off
	ds_load_b64 v[126:127], v121
	s_wait_xcnt 0x0
	v_dual_add_nc_u32 v121, 8, v121 :: v_dual_add_nc_u32 v122, 8, v122
	s_wait_loadcnt_dscnt 0x0
	v_pk_mul_f32 v[128:129], v[126:127], v[124:125] op_sel:[1,1] op_sel_hi:[0,1]
	s_delay_alu instid0(VALU_DEP_1) | instskip(SKIP_2) | instid1(VALU_DEP_3)
	v_pk_fma_f32 v[130:131], v[126:127], v[124:125], v[128:129] op_sel_hi:[1,0,1]
	v_add_nc_u32_e32 v123, 1, v123
	v_pk_fma_f32 v[124:125], v[126:127], v[124:125], v[128:129] neg_lo:[0,0,1] neg_hi:[0,0,1]
	v_mov_b32_e32 v125, v131
	s_delay_alu instid0(VALU_DEP_3) | instskip(NEXT) | instid1(VALU_DEP_2)
	v_cmp_lt_u32_e32 vcc_lo, 36, v123
	v_pk_add_f32 v[118:119], v[118:119], v[124:125]
	s_or_b32 s3, vcc_lo, s3
	s_delay_alu instid0(SALU_CYCLE_1)
	s_and_not1_b32 exec_lo, exec_lo, s3
	s_cbranch_execnz .LBB56_937
; %bb.938:
	s_or_b32 exec_lo, exec_lo, s3
.LBB56_939:
	s_delay_alu instid0(SALU_CYCLE_1) | instskip(SKIP_4) | instid1(VALU_DEP_1)
	s_or_b32 exec_lo, exec_lo, s2
	v_mov_b32_e32 v121, 0
	ds_load_b64 v[122:123], v121 offset:304
	s_wait_dscnt 0x0
	v_pk_mul_f32 v[124:125], v[118:119], v[122:123] op_sel:[1,1] op_sel_hi:[0,1]
	v_pk_fma_f32 v[126:127], v[118:119], v[122:123], v[124:125] op_sel_hi:[1,0,1]
	v_pk_fma_f32 v[118:119], v[118:119], v[122:123], v[124:125] neg_lo:[0,0,1] neg_hi:[0,0,1]
	s_delay_alu instid0(VALU_DEP_2)
	v_mov_b32_e32 v119, v127
	scratch_store_b64 off, v[118:119], off offset:304
.LBB56_940:
	s_wait_xcnt 0x0
	s_or_b32 exec_lo, exec_lo, s0
	scratch_load_b64 v[118:119], off, off offset:312
	s_mov_b32 s0, exec_lo
	s_wait_loadcnt 0x0
	ds_store_b64 v1, v[118:119]
	s_wait_storecnt_dscnt 0x0
	s_barrier_signal -1
	s_barrier_wait -1
	s_wait_xcnt 0x0
	v_cmpx_gt_u32_e32 39, v0
	s_cbranch_execz .LBB56_950
; %bb.941:
	v_cmp_ne_u32_e32 vcc_lo, 1, v120
	s_cbranch_vccnz .LBB56_943
; %bb.942:
	scratch_load_b64 v[118:119], v49, off
	ds_load_b64 v[122:123], v1
	s_wait_loadcnt_dscnt 0x0
	v_pk_mul_f32 v[124:125], v[122:123], v[118:119] op_sel:[1,1] op_sel_hi:[0,1]
	s_delay_alu instid0(VALU_DEP_1) | instskip(SKIP_1) | instid1(VALU_DEP_2)
	v_pk_fma_f32 v[126:127], v[122:123], v[118:119], v[124:125] op_sel_hi:[1,0,1]
	v_pk_fma_f32 v[118:119], v[122:123], v[118:119], v[124:125] neg_lo:[0,0,1] neg_hi:[0,0,1]
	v_mov_b32_e32 v119, v127
	s_cbranch_execz .LBB56_944
	s_branch .LBB56_945
.LBB56_943:
                                        ; implicit-def: $vgpr118_vgpr119
.LBB56_944:
	ds_load_b64 v[118:119], v1
.LBB56_945:
	s_mov_b32 s2, exec_lo
	v_cmpx_ne_u32_e32 38, v0
	s_cbranch_execz .LBB56_949
; %bb.946:
	v_add_nc_u32_e32 v121, 0x1d8, v48
	v_add3_u32 v122, 0, v48, 8
	v_mov_b32_e32 v123, v0
	s_mov_b32 s3, 0
.LBB56_947:                             ; =>This Inner Loop Header: Depth=1
	scratch_load_b64 v[124:125], v122, off
	ds_load_b64 v[126:127], v121
	s_wait_xcnt 0x0
	v_dual_add_nc_u32 v121, 8, v121 :: v_dual_add_nc_u32 v122, 8, v122
	s_wait_loadcnt_dscnt 0x0
	v_pk_mul_f32 v[128:129], v[126:127], v[124:125] op_sel:[1,1] op_sel_hi:[0,1]
	s_delay_alu instid0(VALU_DEP_1) | instskip(SKIP_2) | instid1(VALU_DEP_3)
	v_pk_fma_f32 v[130:131], v[126:127], v[124:125], v[128:129] op_sel_hi:[1,0,1]
	v_add_nc_u32_e32 v123, 1, v123
	v_pk_fma_f32 v[124:125], v[126:127], v[124:125], v[128:129] neg_lo:[0,0,1] neg_hi:[0,0,1]
	v_mov_b32_e32 v125, v131
	s_delay_alu instid0(VALU_DEP_3) | instskip(NEXT) | instid1(VALU_DEP_2)
	v_cmp_lt_u32_e32 vcc_lo, 37, v123
	v_pk_add_f32 v[118:119], v[118:119], v[124:125]
	s_or_b32 s3, vcc_lo, s3
	s_delay_alu instid0(SALU_CYCLE_1)
	s_and_not1_b32 exec_lo, exec_lo, s3
	s_cbranch_execnz .LBB56_947
; %bb.948:
	s_or_b32 exec_lo, exec_lo, s3
.LBB56_949:
	s_delay_alu instid0(SALU_CYCLE_1) | instskip(SKIP_4) | instid1(VALU_DEP_1)
	s_or_b32 exec_lo, exec_lo, s2
	v_mov_b32_e32 v121, 0
	ds_load_b64 v[122:123], v121 offset:312
	s_wait_dscnt 0x0
	v_pk_mul_f32 v[124:125], v[118:119], v[122:123] op_sel:[1,1] op_sel_hi:[0,1]
	v_pk_fma_f32 v[126:127], v[118:119], v[122:123], v[124:125] op_sel_hi:[1,0,1]
	v_pk_fma_f32 v[118:119], v[118:119], v[122:123], v[124:125] neg_lo:[0,0,1] neg_hi:[0,0,1]
	s_delay_alu instid0(VALU_DEP_2)
	v_mov_b32_e32 v119, v127
	scratch_store_b64 off, v[118:119], off offset:312
.LBB56_950:
	s_wait_xcnt 0x0
	s_or_b32 exec_lo, exec_lo, s0
	scratch_load_b64 v[118:119], off, off offset:320
	s_mov_b32 s0, exec_lo
	s_wait_loadcnt 0x0
	ds_store_b64 v1, v[118:119]
	s_wait_storecnt_dscnt 0x0
	s_barrier_signal -1
	s_barrier_wait -1
	s_wait_xcnt 0x0
	v_cmpx_gt_u32_e32 40, v0
	s_cbranch_execz .LBB56_960
; %bb.951:
	v_cmp_ne_u32_e32 vcc_lo, 1, v120
	s_cbranch_vccnz .LBB56_953
; %bb.952:
	scratch_load_b64 v[118:119], v49, off
	ds_load_b64 v[122:123], v1
	s_wait_loadcnt_dscnt 0x0
	v_pk_mul_f32 v[124:125], v[122:123], v[118:119] op_sel:[1,1] op_sel_hi:[0,1]
	s_delay_alu instid0(VALU_DEP_1) | instskip(SKIP_1) | instid1(VALU_DEP_2)
	v_pk_fma_f32 v[126:127], v[122:123], v[118:119], v[124:125] op_sel_hi:[1,0,1]
	v_pk_fma_f32 v[118:119], v[122:123], v[118:119], v[124:125] neg_lo:[0,0,1] neg_hi:[0,0,1]
	v_mov_b32_e32 v119, v127
	s_cbranch_execz .LBB56_954
	s_branch .LBB56_955
.LBB56_953:
                                        ; implicit-def: $vgpr118_vgpr119
.LBB56_954:
	ds_load_b64 v[118:119], v1
.LBB56_955:
	s_mov_b32 s2, exec_lo
	v_cmpx_ne_u32_e32 39, v0
	s_cbranch_execz .LBB56_959
; %bb.956:
	v_add_nc_u32_e32 v121, 0x1d8, v48
	v_add3_u32 v122, 0, v48, 8
	v_mov_b32_e32 v123, v0
	s_mov_b32 s3, 0
.LBB56_957:                             ; =>This Inner Loop Header: Depth=1
	scratch_load_b64 v[124:125], v122, off
	ds_load_b64 v[126:127], v121
	s_wait_xcnt 0x0
	v_dual_add_nc_u32 v121, 8, v121 :: v_dual_add_nc_u32 v122, 8, v122
	s_wait_loadcnt_dscnt 0x0
	v_pk_mul_f32 v[128:129], v[126:127], v[124:125] op_sel:[1,1] op_sel_hi:[0,1]
	s_delay_alu instid0(VALU_DEP_1) | instskip(SKIP_2) | instid1(VALU_DEP_3)
	v_pk_fma_f32 v[130:131], v[126:127], v[124:125], v[128:129] op_sel_hi:[1,0,1]
	v_add_nc_u32_e32 v123, 1, v123
	v_pk_fma_f32 v[124:125], v[126:127], v[124:125], v[128:129] neg_lo:[0,0,1] neg_hi:[0,0,1]
	v_mov_b32_e32 v125, v131
	s_delay_alu instid0(VALU_DEP_3) | instskip(NEXT) | instid1(VALU_DEP_2)
	v_cmp_lt_u32_e32 vcc_lo, 38, v123
	v_pk_add_f32 v[118:119], v[118:119], v[124:125]
	s_or_b32 s3, vcc_lo, s3
	s_delay_alu instid0(SALU_CYCLE_1)
	s_and_not1_b32 exec_lo, exec_lo, s3
	s_cbranch_execnz .LBB56_957
; %bb.958:
	s_or_b32 exec_lo, exec_lo, s3
.LBB56_959:
	s_delay_alu instid0(SALU_CYCLE_1) | instskip(SKIP_4) | instid1(VALU_DEP_1)
	s_or_b32 exec_lo, exec_lo, s2
	v_mov_b32_e32 v121, 0
	ds_load_b64 v[122:123], v121 offset:320
	s_wait_dscnt 0x0
	v_pk_mul_f32 v[124:125], v[118:119], v[122:123] op_sel:[1,1] op_sel_hi:[0,1]
	v_pk_fma_f32 v[126:127], v[118:119], v[122:123], v[124:125] op_sel_hi:[1,0,1]
	v_pk_fma_f32 v[118:119], v[118:119], v[122:123], v[124:125] neg_lo:[0,0,1] neg_hi:[0,0,1]
	s_delay_alu instid0(VALU_DEP_2)
	v_mov_b32_e32 v119, v127
	scratch_store_b64 off, v[118:119], off offset:320
.LBB56_960:
	s_wait_xcnt 0x0
	s_or_b32 exec_lo, exec_lo, s0
	scratch_load_b64 v[118:119], off, off offset:328
	s_mov_b32 s0, exec_lo
	s_wait_loadcnt 0x0
	ds_store_b64 v1, v[118:119]
	s_wait_storecnt_dscnt 0x0
	s_barrier_signal -1
	s_barrier_wait -1
	s_wait_xcnt 0x0
	v_cmpx_gt_u32_e32 41, v0
	s_cbranch_execz .LBB56_970
; %bb.961:
	v_cmp_ne_u32_e32 vcc_lo, 1, v120
	s_cbranch_vccnz .LBB56_963
; %bb.962:
	scratch_load_b64 v[118:119], v49, off
	ds_load_b64 v[122:123], v1
	s_wait_loadcnt_dscnt 0x0
	v_pk_mul_f32 v[124:125], v[122:123], v[118:119] op_sel:[1,1] op_sel_hi:[0,1]
	s_delay_alu instid0(VALU_DEP_1) | instskip(SKIP_1) | instid1(VALU_DEP_2)
	v_pk_fma_f32 v[126:127], v[122:123], v[118:119], v[124:125] op_sel_hi:[1,0,1]
	v_pk_fma_f32 v[118:119], v[122:123], v[118:119], v[124:125] neg_lo:[0,0,1] neg_hi:[0,0,1]
	v_mov_b32_e32 v119, v127
	s_cbranch_execz .LBB56_964
	s_branch .LBB56_965
.LBB56_963:
                                        ; implicit-def: $vgpr118_vgpr119
.LBB56_964:
	ds_load_b64 v[118:119], v1
.LBB56_965:
	s_mov_b32 s2, exec_lo
	v_cmpx_ne_u32_e32 40, v0
	s_cbranch_execz .LBB56_969
; %bb.966:
	v_add_nc_u32_e32 v121, 0x1d8, v48
	v_add3_u32 v122, 0, v48, 8
	v_mov_b32_e32 v123, v0
	s_mov_b32 s3, 0
.LBB56_967:                             ; =>This Inner Loop Header: Depth=1
	scratch_load_b64 v[124:125], v122, off
	ds_load_b64 v[126:127], v121
	s_wait_xcnt 0x0
	v_dual_add_nc_u32 v121, 8, v121 :: v_dual_add_nc_u32 v122, 8, v122
	s_wait_loadcnt_dscnt 0x0
	v_pk_mul_f32 v[128:129], v[126:127], v[124:125] op_sel:[1,1] op_sel_hi:[0,1]
	s_delay_alu instid0(VALU_DEP_1) | instskip(SKIP_2) | instid1(VALU_DEP_3)
	v_pk_fma_f32 v[130:131], v[126:127], v[124:125], v[128:129] op_sel_hi:[1,0,1]
	v_add_nc_u32_e32 v123, 1, v123
	v_pk_fma_f32 v[124:125], v[126:127], v[124:125], v[128:129] neg_lo:[0,0,1] neg_hi:[0,0,1]
	v_mov_b32_e32 v125, v131
	s_delay_alu instid0(VALU_DEP_3) | instskip(NEXT) | instid1(VALU_DEP_2)
	v_cmp_lt_u32_e32 vcc_lo, 39, v123
	v_pk_add_f32 v[118:119], v[118:119], v[124:125]
	s_or_b32 s3, vcc_lo, s3
	s_delay_alu instid0(SALU_CYCLE_1)
	s_and_not1_b32 exec_lo, exec_lo, s3
	s_cbranch_execnz .LBB56_967
; %bb.968:
	s_or_b32 exec_lo, exec_lo, s3
.LBB56_969:
	s_delay_alu instid0(SALU_CYCLE_1) | instskip(SKIP_4) | instid1(VALU_DEP_1)
	s_or_b32 exec_lo, exec_lo, s2
	v_mov_b32_e32 v121, 0
	ds_load_b64 v[122:123], v121 offset:328
	s_wait_dscnt 0x0
	v_pk_mul_f32 v[124:125], v[118:119], v[122:123] op_sel:[1,1] op_sel_hi:[0,1]
	v_pk_fma_f32 v[126:127], v[118:119], v[122:123], v[124:125] op_sel_hi:[1,0,1]
	v_pk_fma_f32 v[118:119], v[118:119], v[122:123], v[124:125] neg_lo:[0,0,1] neg_hi:[0,0,1]
	s_delay_alu instid0(VALU_DEP_2)
	v_mov_b32_e32 v119, v127
	scratch_store_b64 off, v[118:119], off offset:328
.LBB56_970:
	s_wait_xcnt 0x0
	s_or_b32 exec_lo, exec_lo, s0
	scratch_load_b64 v[118:119], off, off offset:336
	s_mov_b32 s0, exec_lo
	s_wait_loadcnt 0x0
	ds_store_b64 v1, v[118:119]
	s_wait_storecnt_dscnt 0x0
	s_barrier_signal -1
	s_barrier_wait -1
	s_wait_xcnt 0x0
	v_cmpx_gt_u32_e32 42, v0
	s_cbranch_execz .LBB56_980
; %bb.971:
	v_cmp_ne_u32_e32 vcc_lo, 1, v120
	s_cbranch_vccnz .LBB56_973
; %bb.972:
	scratch_load_b64 v[118:119], v49, off
	ds_load_b64 v[122:123], v1
	s_wait_loadcnt_dscnt 0x0
	v_pk_mul_f32 v[124:125], v[122:123], v[118:119] op_sel:[1,1] op_sel_hi:[0,1]
	s_delay_alu instid0(VALU_DEP_1) | instskip(SKIP_1) | instid1(VALU_DEP_2)
	v_pk_fma_f32 v[126:127], v[122:123], v[118:119], v[124:125] op_sel_hi:[1,0,1]
	v_pk_fma_f32 v[118:119], v[122:123], v[118:119], v[124:125] neg_lo:[0,0,1] neg_hi:[0,0,1]
	v_mov_b32_e32 v119, v127
	s_cbranch_execz .LBB56_974
	s_branch .LBB56_975
.LBB56_973:
                                        ; implicit-def: $vgpr118_vgpr119
.LBB56_974:
	ds_load_b64 v[118:119], v1
.LBB56_975:
	s_mov_b32 s2, exec_lo
	v_cmpx_ne_u32_e32 41, v0
	s_cbranch_execz .LBB56_979
; %bb.976:
	v_add_nc_u32_e32 v121, 0x1d8, v48
	v_add3_u32 v122, 0, v48, 8
	v_mov_b32_e32 v123, v0
	s_mov_b32 s3, 0
.LBB56_977:                             ; =>This Inner Loop Header: Depth=1
	scratch_load_b64 v[124:125], v122, off
	ds_load_b64 v[126:127], v121
	s_wait_xcnt 0x0
	v_dual_add_nc_u32 v121, 8, v121 :: v_dual_add_nc_u32 v122, 8, v122
	s_wait_loadcnt_dscnt 0x0
	v_pk_mul_f32 v[128:129], v[126:127], v[124:125] op_sel:[1,1] op_sel_hi:[0,1]
	s_delay_alu instid0(VALU_DEP_1) | instskip(SKIP_2) | instid1(VALU_DEP_3)
	v_pk_fma_f32 v[130:131], v[126:127], v[124:125], v[128:129] op_sel_hi:[1,0,1]
	v_add_nc_u32_e32 v123, 1, v123
	v_pk_fma_f32 v[124:125], v[126:127], v[124:125], v[128:129] neg_lo:[0,0,1] neg_hi:[0,0,1]
	v_mov_b32_e32 v125, v131
	s_delay_alu instid0(VALU_DEP_3) | instskip(NEXT) | instid1(VALU_DEP_2)
	v_cmp_lt_u32_e32 vcc_lo, 40, v123
	v_pk_add_f32 v[118:119], v[118:119], v[124:125]
	s_or_b32 s3, vcc_lo, s3
	s_delay_alu instid0(SALU_CYCLE_1)
	s_and_not1_b32 exec_lo, exec_lo, s3
	s_cbranch_execnz .LBB56_977
; %bb.978:
	s_or_b32 exec_lo, exec_lo, s3
.LBB56_979:
	s_delay_alu instid0(SALU_CYCLE_1) | instskip(SKIP_4) | instid1(VALU_DEP_1)
	s_or_b32 exec_lo, exec_lo, s2
	v_mov_b32_e32 v121, 0
	ds_load_b64 v[122:123], v121 offset:336
	s_wait_dscnt 0x0
	v_pk_mul_f32 v[124:125], v[118:119], v[122:123] op_sel:[1,1] op_sel_hi:[0,1]
	v_pk_fma_f32 v[126:127], v[118:119], v[122:123], v[124:125] op_sel_hi:[1,0,1]
	v_pk_fma_f32 v[118:119], v[118:119], v[122:123], v[124:125] neg_lo:[0,0,1] neg_hi:[0,0,1]
	s_delay_alu instid0(VALU_DEP_2)
	v_mov_b32_e32 v119, v127
	scratch_store_b64 off, v[118:119], off offset:336
.LBB56_980:
	s_wait_xcnt 0x0
	s_or_b32 exec_lo, exec_lo, s0
	scratch_load_b64 v[118:119], off, off offset:344
	s_mov_b32 s0, exec_lo
	s_wait_loadcnt 0x0
	ds_store_b64 v1, v[118:119]
	s_wait_storecnt_dscnt 0x0
	s_barrier_signal -1
	s_barrier_wait -1
	s_wait_xcnt 0x0
	v_cmpx_gt_u32_e32 43, v0
	s_cbranch_execz .LBB56_990
; %bb.981:
	v_cmp_ne_u32_e32 vcc_lo, 1, v120
	s_cbranch_vccnz .LBB56_983
; %bb.982:
	scratch_load_b64 v[118:119], v49, off
	ds_load_b64 v[122:123], v1
	s_wait_loadcnt_dscnt 0x0
	v_pk_mul_f32 v[124:125], v[122:123], v[118:119] op_sel:[1,1] op_sel_hi:[0,1]
	s_delay_alu instid0(VALU_DEP_1) | instskip(SKIP_1) | instid1(VALU_DEP_2)
	v_pk_fma_f32 v[126:127], v[122:123], v[118:119], v[124:125] op_sel_hi:[1,0,1]
	v_pk_fma_f32 v[118:119], v[122:123], v[118:119], v[124:125] neg_lo:[0,0,1] neg_hi:[0,0,1]
	v_mov_b32_e32 v119, v127
	s_cbranch_execz .LBB56_984
	s_branch .LBB56_985
.LBB56_983:
                                        ; implicit-def: $vgpr118_vgpr119
.LBB56_984:
	ds_load_b64 v[118:119], v1
.LBB56_985:
	s_mov_b32 s2, exec_lo
	v_cmpx_ne_u32_e32 42, v0
	s_cbranch_execz .LBB56_989
; %bb.986:
	v_add_nc_u32_e32 v121, 0x1d8, v48
	v_add3_u32 v122, 0, v48, 8
	v_mov_b32_e32 v123, v0
	s_mov_b32 s3, 0
.LBB56_987:                             ; =>This Inner Loop Header: Depth=1
	scratch_load_b64 v[124:125], v122, off
	ds_load_b64 v[126:127], v121
	s_wait_xcnt 0x0
	v_dual_add_nc_u32 v121, 8, v121 :: v_dual_add_nc_u32 v122, 8, v122
	s_wait_loadcnt_dscnt 0x0
	v_pk_mul_f32 v[128:129], v[126:127], v[124:125] op_sel:[1,1] op_sel_hi:[0,1]
	s_delay_alu instid0(VALU_DEP_1) | instskip(SKIP_2) | instid1(VALU_DEP_3)
	v_pk_fma_f32 v[130:131], v[126:127], v[124:125], v[128:129] op_sel_hi:[1,0,1]
	v_add_nc_u32_e32 v123, 1, v123
	v_pk_fma_f32 v[124:125], v[126:127], v[124:125], v[128:129] neg_lo:[0,0,1] neg_hi:[0,0,1]
	v_mov_b32_e32 v125, v131
	s_delay_alu instid0(VALU_DEP_3) | instskip(NEXT) | instid1(VALU_DEP_2)
	v_cmp_lt_u32_e32 vcc_lo, 41, v123
	v_pk_add_f32 v[118:119], v[118:119], v[124:125]
	s_or_b32 s3, vcc_lo, s3
	s_delay_alu instid0(SALU_CYCLE_1)
	s_and_not1_b32 exec_lo, exec_lo, s3
	s_cbranch_execnz .LBB56_987
; %bb.988:
	s_or_b32 exec_lo, exec_lo, s3
.LBB56_989:
	s_delay_alu instid0(SALU_CYCLE_1) | instskip(SKIP_4) | instid1(VALU_DEP_1)
	s_or_b32 exec_lo, exec_lo, s2
	v_mov_b32_e32 v121, 0
	ds_load_b64 v[122:123], v121 offset:344
	s_wait_dscnt 0x0
	v_pk_mul_f32 v[124:125], v[118:119], v[122:123] op_sel:[1,1] op_sel_hi:[0,1]
	v_pk_fma_f32 v[126:127], v[118:119], v[122:123], v[124:125] op_sel_hi:[1,0,1]
	v_pk_fma_f32 v[118:119], v[118:119], v[122:123], v[124:125] neg_lo:[0,0,1] neg_hi:[0,0,1]
	s_delay_alu instid0(VALU_DEP_2)
	v_mov_b32_e32 v119, v127
	scratch_store_b64 off, v[118:119], off offset:344
.LBB56_990:
	s_wait_xcnt 0x0
	s_or_b32 exec_lo, exec_lo, s0
	scratch_load_b64 v[118:119], off, off offset:352
	s_mov_b32 s0, exec_lo
	s_wait_loadcnt 0x0
	ds_store_b64 v1, v[118:119]
	s_wait_storecnt_dscnt 0x0
	s_barrier_signal -1
	s_barrier_wait -1
	s_wait_xcnt 0x0
	v_cmpx_gt_u32_e32 44, v0
	s_cbranch_execz .LBB56_1000
; %bb.991:
	v_cmp_ne_u32_e32 vcc_lo, 1, v120
	s_cbranch_vccnz .LBB56_993
; %bb.992:
	scratch_load_b64 v[118:119], v49, off
	ds_load_b64 v[122:123], v1
	s_wait_loadcnt_dscnt 0x0
	v_pk_mul_f32 v[124:125], v[122:123], v[118:119] op_sel:[1,1] op_sel_hi:[0,1]
	s_delay_alu instid0(VALU_DEP_1) | instskip(SKIP_1) | instid1(VALU_DEP_2)
	v_pk_fma_f32 v[126:127], v[122:123], v[118:119], v[124:125] op_sel_hi:[1,0,1]
	v_pk_fma_f32 v[118:119], v[122:123], v[118:119], v[124:125] neg_lo:[0,0,1] neg_hi:[0,0,1]
	v_mov_b32_e32 v119, v127
	s_cbranch_execz .LBB56_994
	s_branch .LBB56_995
.LBB56_993:
                                        ; implicit-def: $vgpr118_vgpr119
.LBB56_994:
	ds_load_b64 v[118:119], v1
.LBB56_995:
	s_mov_b32 s2, exec_lo
	v_cmpx_ne_u32_e32 43, v0
	s_cbranch_execz .LBB56_999
; %bb.996:
	v_add_nc_u32_e32 v121, 0x1d8, v48
	v_add3_u32 v122, 0, v48, 8
	v_mov_b32_e32 v123, v0
	s_mov_b32 s3, 0
.LBB56_997:                             ; =>This Inner Loop Header: Depth=1
	scratch_load_b64 v[124:125], v122, off
	ds_load_b64 v[126:127], v121
	s_wait_xcnt 0x0
	v_dual_add_nc_u32 v121, 8, v121 :: v_dual_add_nc_u32 v122, 8, v122
	s_wait_loadcnt_dscnt 0x0
	v_pk_mul_f32 v[128:129], v[126:127], v[124:125] op_sel:[1,1] op_sel_hi:[0,1]
	s_delay_alu instid0(VALU_DEP_1) | instskip(SKIP_2) | instid1(VALU_DEP_3)
	v_pk_fma_f32 v[130:131], v[126:127], v[124:125], v[128:129] op_sel_hi:[1,0,1]
	v_add_nc_u32_e32 v123, 1, v123
	v_pk_fma_f32 v[124:125], v[126:127], v[124:125], v[128:129] neg_lo:[0,0,1] neg_hi:[0,0,1]
	v_mov_b32_e32 v125, v131
	s_delay_alu instid0(VALU_DEP_3) | instskip(NEXT) | instid1(VALU_DEP_2)
	v_cmp_lt_u32_e32 vcc_lo, 42, v123
	v_pk_add_f32 v[118:119], v[118:119], v[124:125]
	s_or_b32 s3, vcc_lo, s3
	s_delay_alu instid0(SALU_CYCLE_1)
	s_and_not1_b32 exec_lo, exec_lo, s3
	s_cbranch_execnz .LBB56_997
; %bb.998:
	s_or_b32 exec_lo, exec_lo, s3
.LBB56_999:
	s_delay_alu instid0(SALU_CYCLE_1) | instskip(SKIP_4) | instid1(VALU_DEP_1)
	s_or_b32 exec_lo, exec_lo, s2
	v_mov_b32_e32 v121, 0
	ds_load_b64 v[122:123], v121 offset:352
	s_wait_dscnt 0x0
	v_pk_mul_f32 v[124:125], v[118:119], v[122:123] op_sel:[1,1] op_sel_hi:[0,1]
	v_pk_fma_f32 v[126:127], v[118:119], v[122:123], v[124:125] op_sel_hi:[1,0,1]
	v_pk_fma_f32 v[118:119], v[118:119], v[122:123], v[124:125] neg_lo:[0,0,1] neg_hi:[0,0,1]
	s_delay_alu instid0(VALU_DEP_2)
	v_mov_b32_e32 v119, v127
	scratch_store_b64 off, v[118:119], off offset:352
.LBB56_1000:
	s_wait_xcnt 0x0
	s_or_b32 exec_lo, exec_lo, s0
	scratch_load_b64 v[118:119], off, off offset:360
	s_mov_b32 s0, exec_lo
	s_wait_loadcnt 0x0
	ds_store_b64 v1, v[118:119]
	s_wait_storecnt_dscnt 0x0
	s_barrier_signal -1
	s_barrier_wait -1
	s_wait_xcnt 0x0
	v_cmpx_gt_u32_e32 45, v0
	s_cbranch_execz .LBB56_1010
; %bb.1001:
	v_cmp_ne_u32_e32 vcc_lo, 1, v120
	s_cbranch_vccnz .LBB56_1003
; %bb.1002:
	scratch_load_b64 v[118:119], v49, off
	ds_load_b64 v[122:123], v1
	s_wait_loadcnt_dscnt 0x0
	v_pk_mul_f32 v[124:125], v[122:123], v[118:119] op_sel:[1,1] op_sel_hi:[0,1]
	s_delay_alu instid0(VALU_DEP_1) | instskip(SKIP_1) | instid1(VALU_DEP_2)
	v_pk_fma_f32 v[126:127], v[122:123], v[118:119], v[124:125] op_sel_hi:[1,0,1]
	v_pk_fma_f32 v[118:119], v[122:123], v[118:119], v[124:125] neg_lo:[0,0,1] neg_hi:[0,0,1]
	v_mov_b32_e32 v119, v127
	s_cbranch_execz .LBB56_1004
	s_branch .LBB56_1005
.LBB56_1003:
                                        ; implicit-def: $vgpr118_vgpr119
.LBB56_1004:
	ds_load_b64 v[118:119], v1
.LBB56_1005:
	s_mov_b32 s2, exec_lo
	v_cmpx_ne_u32_e32 44, v0
	s_cbranch_execz .LBB56_1009
; %bb.1006:
	v_add_nc_u32_e32 v121, 0x1d8, v48
	v_add3_u32 v122, 0, v48, 8
	v_mov_b32_e32 v123, v0
	s_mov_b32 s3, 0
.LBB56_1007:                            ; =>This Inner Loop Header: Depth=1
	scratch_load_b64 v[124:125], v122, off
	ds_load_b64 v[126:127], v121
	s_wait_xcnt 0x0
	v_dual_add_nc_u32 v121, 8, v121 :: v_dual_add_nc_u32 v122, 8, v122
	s_wait_loadcnt_dscnt 0x0
	v_pk_mul_f32 v[128:129], v[126:127], v[124:125] op_sel:[1,1] op_sel_hi:[0,1]
	s_delay_alu instid0(VALU_DEP_1) | instskip(SKIP_2) | instid1(VALU_DEP_3)
	v_pk_fma_f32 v[130:131], v[126:127], v[124:125], v[128:129] op_sel_hi:[1,0,1]
	v_add_nc_u32_e32 v123, 1, v123
	v_pk_fma_f32 v[124:125], v[126:127], v[124:125], v[128:129] neg_lo:[0,0,1] neg_hi:[0,0,1]
	v_mov_b32_e32 v125, v131
	s_delay_alu instid0(VALU_DEP_3) | instskip(NEXT) | instid1(VALU_DEP_2)
	v_cmp_lt_u32_e32 vcc_lo, 43, v123
	v_pk_add_f32 v[118:119], v[118:119], v[124:125]
	s_or_b32 s3, vcc_lo, s3
	s_delay_alu instid0(SALU_CYCLE_1)
	s_and_not1_b32 exec_lo, exec_lo, s3
	s_cbranch_execnz .LBB56_1007
; %bb.1008:
	s_or_b32 exec_lo, exec_lo, s3
.LBB56_1009:
	s_delay_alu instid0(SALU_CYCLE_1) | instskip(SKIP_4) | instid1(VALU_DEP_1)
	s_or_b32 exec_lo, exec_lo, s2
	v_mov_b32_e32 v121, 0
	ds_load_b64 v[122:123], v121 offset:360
	s_wait_dscnt 0x0
	v_pk_mul_f32 v[124:125], v[118:119], v[122:123] op_sel:[1,1] op_sel_hi:[0,1]
	v_pk_fma_f32 v[126:127], v[118:119], v[122:123], v[124:125] op_sel_hi:[1,0,1]
	v_pk_fma_f32 v[118:119], v[118:119], v[122:123], v[124:125] neg_lo:[0,0,1] neg_hi:[0,0,1]
	s_delay_alu instid0(VALU_DEP_2)
	v_mov_b32_e32 v119, v127
	scratch_store_b64 off, v[118:119], off offset:360
.LBB56_1010:
	s_wait_xcnt 0x0
	s_or_b32 exec_lo, exec_lo, s0
	scratch_load_b64 v[118:119], off, off offset:368
	s_mov_b32 s0, exec_lo
	s_wait_loadcnt 0x0
	ds_store_b64 v1, v[118:119]
	s_wait_storecnt_dscnt 0x0
	s_barrier_signal -1
	s_barrier_wait -1
	s_wait_xcnt 0x0
	v_cmpx_gt_u32_e32 46, v0
	s_cbranch_execz .LBB56_1020
; %bb.1011:
	v_cmp_ne_u32_e32 vcc_lo, 1, v120
	s_cbranch_vccnz .LBB56_1013
; %bb.1012:
	scratch_load_b64 v[118:119], v49, off
	ds_load_b64 v[122:123], v1
	s_wait_loadcnt_dscnt 0x0
	v_pk_mul_f32 v[124:125], v[122:123], v[118:119] op_sel:[1,1] op_sel_hi:[0,1]
	s_delay_alu instid0(VALU_DEP_1) | instskip(SKIP_1) | instid1(VALU_DEP_2)
	v_pk_fma_f32 v[126:127], v[122:123], v[118:119], v[124:125] op_sel_hi:[1,0,1]
	v_pk_fma_f32 v[118:119], v[122:123], v[118:119], v[124:125] neg_lo:[0,0,1] neg_hi:[0,0,1]
	v_mov_b32_e32 v119, v127
	s_cbranch_execz .LBB56_1014
	s_branch .LBB56_1015
.LBB56_1013:
                                        ; implicit-def: $vgpr118_vgpr119
.LBB56_1014:
	ds_load_b64 v[118:119], v1
.LBB56_1015:
	s_mov_b32 s2, exec_lo
	v_cmpx_ne_u32_e32 45, v0
	s_cbranch_execz .LBB56_1019
; %bb.1016:
	v_add_nc_u32_e32 v121, 0x1d8, v48
	v_add3_u32 v122, 0, v48, 8
	v_mov_b32_e32 v123, v0
	s_mov_b32 s3, 0
.LBB56_1017:                            ; =>This Inner Loop Header: Depth=1
	scratch_load_b64 v[124:125], v122, off
	ds_load_b64 v[126:127], v121
	s_wait_xcnt 0x0
	v_dual_add_nc_u32 v121, 8, v121 :: v_dual_add_nc_u32 v122, 8, v122
	s_wait_loadcnt_dscnt 0x0
	v_pk_mul_f32 v[128:129], v[126:127], v[124:125] op_sel:[1,1] op_sel_hi:[0,1]
	s_delay_alu instid0(VALU_DEP_1) | instskip(SKIP_2) | instid1(VALU_DEP_3)
	v_pk_fma_f32 v[130:131], v[126:127], v[124:125], v[128:129] op_sel_hi:[1,0,1]
	v_add_nc_u32_e32 v123, 1, v123
	v_pk_fma_f32 v[124:125], v[126:127], v[124:125], v[128:129] neg_lo:[0,0,1] neg_hi:[0,0,1]
	v_mov_b32_e32 v125, v131
	s_delay_alu instid0(VALU_DEP_3) | instskip(NEXT) | instid1(VALU_DEP_2)
	v_cmp_lt_u32_e32 vcc_lo, 44, v123
	v_pk_add_f32 v[118:119], v[118:119], v[124:125]
	s_or_b32 s3, vcc_lo, s3
	s_delay_alu instid0(SALU_CYCLE_1)
	s_and_not1_b32 exec_lo, exec_lo, s3
	s_cbranch_execnz .LBB56_1017
; %bb.1018:
	s_or_b32 exec_lo, exec_lo, s3
.LBB56_1019:
	s_delay_alu instid0(SALU_CYCLE_1) | instskip(SKIP_4) | instid1(VALU_DEP_1)
	s_or_b32 exec_lo, exec_lo, s2
	v_mov_b32_e32 v121, 0
	ds_load_b64 v[122:123], v121 offset:368
	s_wait_dscnt 0x0
	v_pk_mul_f32 v[124:125], v[118:119], v[122:123] op_sel:[1,1] op_sel_hi:[0,1]
	v_pk_fma_f32 v[126:127], v[118:119], v[122:123], v[124:125] op_sel_hi:[1,0,1]
	v_pk_fma_f32 v[118:119], v[118:119], v[122:123], v[124:125] neg_lo:[0,0,1] neg_hi:[0,0,1]
	s_delay_alu instid0(VALU_DEP_2)
	v_mov_b32_e32 v119, v127
	scratch_store_b64 off, v[118:119], off offset:368
.LBB56_1020:
	s_wait_xcnt 0x0
	s_or_b32 exec_lo, exec_lo, s0
	scratch_load_b64 v[118:119], off, off offset:376
	s_mov_b32 s0, exec_lo
	s_wait_loadcnt 0x0
	ds_store_b64 v1, v[118:119]
	s_wait_storecnt_dscnt 0x0
	s_barrier_signal -1
	s_barrier_wait -1
	s_wait_xcnt 0x0
	v_cmpx_gt_u32_e32 47, v0
	s_cbranch_execz .LBB56_1030
; %bb.1021:
	v_cmp_ne_u32_e32 vcc_lo, 1, v120
	s_cbranch_vccnz .LBB56_1023
; %bb.1022:
	scratch_load_b64 v[118:119], v49, off
	ds_load_b64 v[122:123], v1
	s_wait_loadcnt_dscnt 0x0
	v_pk_mul_f32 v[124:125], v[122:123], v[118:119] op_sel:[1,1] op_sel_hi:[0,1]
	s_delay_alu instid0(VALU_DEP_1) | instskip(SKIP_1) | instid1(VALU_DEP_2)
	v_pk_fma_f32 v[126:127], v[122:123], v[118:119], v[124:125] op_sel_hi:[1,0,1]
	v_pk_fma_f32 v[118:119], v[122:123], v[118:119], v[124:125] neg_lo:[0,0,1] neg_hi:[0,0,1]
	v_mov_b32_e32 v119, v127
	s_cbranch_execz .LBB56_1024
	s_branch .LBB56_1025
.LBB56_1023:
                                        ; implicit-def: $vgpr118_vgpr119
.LBB56_1024:
	ds_load_b64 v[118:119], v1
.LBB56_1025:
	s_mov_b32 s2, exec_lo
	v_cmpx_ne_u32_e32 46, v0
	s_cbranch_execz .LBB56_1029
; %bb.1026:
	v_add_nc_u32_e32 v121, 0x1d8, v48
	v_add3_u32 v122, 0, v48, 8
	v_mov_b32_e32 v123, v0
	s_mov_b32 s3, 0
.LBB56_1027:                            ; =>This Inner Loop Header: Depth=1
	scratch_load_b64 v[124:125], v122, off
	ds_load_b64 v[126:127], v121
	s_wait_xcnt 0x0
	v_dual_add_nc_u32 v121, 8, v121 :: v_dual_add_nc_u32 v122, 8, v122
	s_wait_loadcnt_dscnt 0x0
	v_pk_mul_f32 v[128:129], v[126:127], v[124:125] op_sel:[1,1] op_sel_hi:[0,1]
	s_delay_alu instid0(VALU_DEP_1) | instskip(SKIP_2) | instid1(VALU_DEP_3)
	v_pk_fma_f32 v[130:131], v[126:127], v[124:125], v[128:129] op_sel_hi:[1,0,1]
	v_add_nc_u32_e32 v123, 1, v123
	v_pk_fma_f32 v[124:125], v[126:127], v[124:125], v[128:129] neg_lo:[0,0,1] neg_hi:[0,0,1]
	v_mov_b32_e32 v125, v131
	s_delay_alu instid0(VALU_DEP_3) | instskip(NEXT) | instid1(VALU_DEP_2)
	v_cmp_lt_u32_e32 vcc_lo, 45, v123
	v_pk_add_f32 v[118:119], v[118:119], v[124:125]
	s_or_b32 s3, vcc_lo, s3
	s_delay_alu instid0(SALU_CYCLE_1)
	s_and_not1_b32 exec_lo, exec_lo, s3
	s_cbranch_execnz .LBB56_1027
; %bb.1028:
	s_or_b32 exec_lo, exec_lo, s3
.LBB56_1029:
	s_delay_alu instid0(SALU_CYCLE_1) | instskip(SKIP_4) | instid1(VALU_DEP_1)
	s_or_b32 exec_lo, exec_lo, s2
	v_mov_b32_e32 v121, 0
	ds_load_b64 v[122:123], v121 offset:376
	s_wait_dscnt 0x0
	v_pk_mul_f32 v[124:125], v[118:119], v[122:123] op_sel:[1,1] op_sel_hi:[0,1]
	v_pk_fma_f32 v[126:127], v[118:119], v[122:123], v[124:125] op_sel_hi:[1,0,1]
	v_pk_fma_f32 v[118:119], v[118:119], v[122:123], v[124:125] neg_lo:[0,0,1] neg_hi:[0,0,1]
	s_delay_alu instid0(VALU_DEP_2)
	v_mov_b32_e32 v119, v127
	scratch_store_b64 off, v[118:119], off offset:376
.LBB56_1030:
	s_wait_xcnt 0x0
	s_or_b32 exec_lo, exec_lo, s0
	scratch_load_b64 v[118:119], off, off offset:384
	s_mov_b32 s0, exec_lo
	s_wait_loadcnt 0x0
	ds_store_b64 v1, v[118:119]
	s_wait_storecnt_dscnt 0x0
	s_barrier_signal -1
	s_barrier_wait -1
	s_wait_xcnt 0x0
	v_cmpx_gt_u32_e32 48, v0
	s_cbranch_execz .LBB56_1040
; %bb.1031:
	v_cmp_ne_u32_e32 vcc_lo, 1, v120
	s_cbranch_vccnz .LBB56_1033
; %bb.1032:
	scratch_load_b64 v[118:119], v49, off
	ds_load_b64 v[122:123], v1
	s_wait_loadcnt_dscnt 0x0
	v_pk_mul_f32 v[124:125], v[122:123], v[118:119] op_sel:[1,1] op_sel_hi:[0,1]
	s_delay_alu instid0(VALU_DEP_1) | instskip(SKIP_1) | instid1(VALU_DEP_2)
	v_pk_fma_f32 v[126:127], v[122:123], v[118:119], v[124:125] op_sel_hi:[1,0,1]
	v_pk_fma_f32 v[118:119], v[122:123], v[118:119], v[124:125] neg_lo:[0,0,1] neg_hi:[0,0,1]
	v_mov_b32_e32 v119, v127
	s_cbranch_execz .LBB56_1034
	s_branch .LBB56_1035
.LBB56_1033:
                                        ; implicit-def: $vgpr118_vgpr119
.LBB56_1034:
	ds_load_b64 v[118:119], v1
.LBB56_1035:
	s_mov_b32 s2, exec_lo
	v_cmpx_ne_u32_e32 47, v0
	s_cbranch_execz .LBB56_1039
; %bb.1036:
	v_add_nc_u32_e32 v121, 0x1d8, v48
	v_add3_u32 v122, 0, v48, 8
	v_mov_b32_e32 v123, v0
	s_mov_b32 s3, 0
.LBB56_1037:                            ; =>This Inner Loop Header: Depth=1
	scratch_load_b64 v[124:125], v122, off
	ds_load_b64 v[126:127], v121
	s_wait_xcnt 0x0
	v_dual_add_nc_u32 v121, 8, v121 :: v_dual_add_nc_u32 v122, 8, v122
	s_wait_loadcnt_dscnt 0x0
	v_pk_mul_f32 v[128:129], v[126:127], v[124:125] op_sel:[1,1] op_sel_hi:[0,1]
	s_delay_alu instid0(VALU_DEP_1) | instskip(SKIP_2) | instid1(VALU_DEP_3)
	v_pk_fma_f32 v[130:131], v[126:127], v[124:125], v[128:129] op_sel_hi:[1,0,1]
	v_add_nc_u32_e32 v123, 1, v123
	v_pk_fma_f32 v[124:125], v[126:127], v[124:125], v[128:129] neg_lo:[0,0,1] neg_hi:[0,0,1]
	v_mov_b32_e32 v125, v131
	s_delay_alu instid0(VALU_DEP_3) | instskip(NEXT) | instid1(VALU_DEP_2)
	v_cmp_lt_u32_e32 vcc_lo, 46, v123
	v_pk_add_f32 v[118:119], v[118:119], v[124:125]
	s_or_b32 s3, vcc_lo, s3
	s_delay_alu instid0(SALU_CYCLE_1)
	s_and_not1_b32 exec_lo, exec_lo, s3
	s_cbranch_execnz .LBB56_1037
; %bb.1038:
	s_or_b32 exec_lo, exec_lo, s3
.LBB56_1039:
	s_delay_alu instid0(SALU_CYCLE_1) | instskip(SKIP_4) | instid1(VALU_DEP_1)
	s_or_b32 exec_lo, exec_lo, s2
	v_mov_b32_e32 v121, 0
	ds_load_b64 v[122:123], v121 offset:384
	s_wait_dscnt 0x0
	v_pk_mul_f32 v[124:125], v[118:119], v[122:123] op_sel:[1,1] op_sel_hi:[0,1]
	v_pk_fma_f32 v[126:127], v[118:119], v[122:123], v[124:125] op_sel_hi:[1,0,1]
	v_pk_fma_f32 v[118:119], v[118:119], v[122:123], v[124:125] neg_lo:[0,0,1] neg_hi:[0,0,1]
	s_delay_alu instid0(VALU_DEP_2)
	v_mov_b32_e32 v119, v127
	scratch_store_b64 off, v[118:119], off offset:384
.LBB56_1040:
	s_wait_xcnt 0x0
	s_or_b32 exec_lo, exec_lo, s0
	scratch_load_b64 v[118:119], off, off offset:392
	s_mov_b32 s0, exec_lo
	s_wait_loadcnt 0x0
	ds_store_b64 v1, v[118:119]
	s_wait_storecnt_dscnt 0x0
	s_barrier_signal -1
	s_barrier_wait -1
	s_wait_xcnt 0x0
	v_cmpx_gt_u32_e32 49, v0
	s_cbranch_execz .LBB56_1050
; %bb.1041:
	v_cmp_ne_u32_e32 vcc_lo, 1, v120
	s_cbranch_vccnz .LBB56_1043
; %bb.1042:
	scratch_load_b64 v[118:119], v49, off
	ds_load_b64 v[122:123], v1
	s_wait_loadcnt_dscnt 0x0
	v_pk_mul_f32 v[124:125], v[122:123], v[118:119] op_sel:[1,1] op_sel_hi:[0,1]
	s_delay_alu instid0(VALU_DEP_1) | instskip(SKIP_1) | instid1(VALU_DEP_2)
	v_pk_fma_f32 v[126:127], v[122:123], v[118:119], v[124:125] op_sel_hi:[1,0,1]
	v_pk_fma_f32 v[118:119], v[122:123], v[118:119], v[124:125] neg_lo:[0,0,1] neg_hi:[0,0,1]
	v_mov_b32_e32 v119, v127
	s_cbranch_execz .LBB56_1044
	s_branch .LBB56_1045
.LBB56_1043:
                                        ; implicit-def: $vgpr118_vgpr119
.LBB56_1044:
	ds_load_b64 v[118:119], v1
.LBB56_1045:
	s_mov_b32 s2, exec_lo
	v_cmpx_ne_u32_e32 48, v0
	s_cbranch_execz .LBB56_1049
; %bb.1046:
	v_add_nc_u32_e32 v121, 0x1d8, v48
	v_add3_u32 v122, 0, v48, 8
	v_mov_b32_e32 v123, v0
	s_mov_b32 s3, 0
.LBB56_1047:                            ; =>This Inner Loop Header: Depth=1
	scratch_load_b64 v[124:125], v122, off
	ds_load_b64 v[126:127], v121
	s_wait_xcnt 0x0
	v_dual_add_nc_u32 v121, 8, v121 :: v_dual_add_nc_u32 v122, 8, v122
	s_wait_loadcnt_dscnt 0x0
	v_pk_mul_f32 v[128:129], v[126:127], v[124:125] op_sel:[1,1] op_sel_hi:[0,1]
	s_delay_alu instid0(VALU_DEP_1) | instskip(SKIP_2) | instid1(VALU_DEP_3)
	v_pk_fma_f32 v[130:131], v[126:127], v[124:125], v[128:129] op_sel_hi:[1,0,1]
	v_add_nc_u32_e32 v123, 1, v123
	v_pk_fma_f32 v[124:125], v[126:127], v[124:125], v[128:129] neg_lo:[0,0,1] neg_hi:[0,0,1]
	v_mov_b32_e32 v125, v131
	s_delay_alu instid0(VALU_DEP_3) | instskip(NEXT) | instid1(VALU_DEP_2)
	v_cmp_lt_u32_e32 vcc_lo, 47, v123
	v_pk_add_f32 v[118:119], v[118:119], v[124:125]
	s_or_b32 s3, vcc_lo, s3
	s_delay_alu instid0(SALU_CYCLE_1)
	s_and_not1_b32 exec_lo, exec_lo, s3
	s_cbranch_execnz .LBB56_1047
; %bb.1048:
	s_or_b32 exec_lo, exec_lo, s3
.LBB56_1049:
	s_delay_alu instid0(SALU_CYCLE_1) | instskip(SKIP_4) | instid1(VALU_DEP_1)
	s_or_b32 exec_lo, exec_lo, s2
	v_mov_b32_e32 v121, 0
	ds_load_b64 v[122:123], v121 offset:392
	s_wait_dscnt 0x0
	v_pk_mul_f32 v[124:125], v[118:119], v[122:123] op_sel:[1,1] op_sel_hi:[0,1]
	v_pk_fma_f32 v[126:127], v[118:119], v[122:123], v[124:125] op_sel_hi:[1,0,1]
	v_pk_fma_f32 v[118:119], v[118:119], v[122:123], v[124:125] neg_lo:[0,0,1] neg_hi:[0,0,1]
	s_delay_alu instid0(VALU_DEP_2)
	v_mov_b32_e32 v119, v127
	scratch_store_b64 off, v[118:119], off offset:392
.LBB56_1050:
	s_wait_xcnt 0x0
	s_or_b32 exec_lo, exec_lo, s0
	scratch_load_b64 v[118:119], off, off offset:400
	s_mov_b32 s0, exec_lo
	s_wait_loadcnt 0x0
	ds_store_b64 v1, v[118:119]
	s_wait_storecnt_dscnt 0x0
	s_barrier_signal -1
	s_barrier_wait -1
	s_wait_xcnt 0x0
	v_cmpx_gt_u32_e32 50, v0
	s_cbranch_execz .LBB56_1060
; %bb.1051:
	v_cmp_ne_u32_e32 vcc_lo, 1, v120
	s_cbranch_vccnz .LBB56_1053
; %bb.1052:
	scratch_load_b64 v[118:119], v49, off
	ds_load_b64 v[122:123], v1
	s_wait_loadcnt_dscnt 0x0
	v_pk_mul_f32 v[124:125], v[122:123], v[118:119] op_sel:[1,1] op_sel_hi:[0,1]
	s_delay_alu instid0(VALU_DEP_1) | instskip(SKIP_1) | instid1(VALU_DEP_2)
	v_pk_fma_f32 v[126:127], v[122:123], v[118:119], v[124:125] op_sel_hi:[1,0,1]
	v_pk_fma_f32 v[118:119], v[122:123], v[118:119], v[124:125] neg_lo:[0,0,1] neg_hi:[0,0,1]
	v_mov_b32_e32 v119, v127
	s_cbranch_execz .LBB56_1054
	s_branch .LBB56_1055
.LBB56_1053:
                                        ; implicit-def: $vgpr118_vgpr119
.LBB56_1054:
	ds_load_b64 v[118:119], v1
.LBB56_1055:
	s_mov_b32 s2, exec_lo
	v_cmpx_ne_u32_e32 49, v0
	s_cbranch_execz .LBB56_1059
; %bb.1056:
	v_add_nc_u32_e32 v121, 0x1d8, v48
	v_add3_u32 v122, 0, v48, 8
	v_mov_b32_e32 v123, v0
	s_mov_b32 s3, 0
.LBB56_1057:                            ; =>This Inner Loop Header: Depth=1
	scratch_load_b64 v[124:125], v122, off
	ds_load_b64 v[126:127], v121
	s_wait_xcnt 0x0
	v_dual_add_nc_u32 v121, 8, v121 :: v_dual_add_nc_u32 v122, 8, v122
	s_wait_loadcnt_dscnt 0x0
	v_pk_mul_f32 v[128:129], v[126:127], v[124:125] op_sel:[1,1] op_sel_hi:[0,1]
	s_delay_alu instid0(VALU_DEP_1) | instskip(SKIP_2) | instid1(VALU_DEP_3)
	v_pk_fma_f32 v[130:131], v[126:127], v[124:125], v[128:129] op_sel_hi:[1,0,1]
	v_add_nc_u32_e32 v123, 1, v123
	v_pk_fma_f32 v[124:125], v[126:127], v[124:125], v[128:129] neg_lo:[0,0,1] neg_hi:[0,0,1]
	v_mov_b32_e32 v125, v131
	s_delay_alu instid0(VALU_DEP_3) | instskip(NEXT) | instid1(VALU_DEP_2)
	v_cmp_lt_u32_e32 vcc_lo, 48, v123
	v_pk_add_f32 v[118:119], v[118:119], v[124:125]
	s_or_b32 s3, vcc_lo, s3
	s_delay_alu instid0(SALU_CYCLE_1)
	s_and_not1_b32 exec_lo, exec_lo, s3
	s_cbranch_execnz .LBB56_1057
; %bb.1058:
	s_or_b32 exec_lo, exec_lo, s3
.LBB56_1059:
	s_delay_alu instid0(SALU_CYCLE_1) | instskip(SKIP_4) | instid1(VALU_DEP_1)
	s_or_b32 exec_lo, exec_lo, s2
	v_mov_b32_e32 v121, 0
	ds_load_b64 v[122:123], v121 offset:400
	s_wait_dscnt 0x0
	v_pk_mul_f32 v[124:125], v[118:119], v[122:123] op_sel:[1,1] op_sel_hi:[0,1]
	v_pk_fma_f32 v[126:127], v[118:119], v[122:123], v[124:125] op_sel_hi:[1,0,1]
	v_pk_fma_f32 v[118:119], v[118:119], v[122:123], v[124:125] neg_lo:[0,0,1] neg_hi:[0,0,1]
	s_delay_alu instid0(VALU_DEP_2)
	v_mov_b32_e32 v119, v127
	scratch_store_b64 off, v[118:119], off offset:400
.LBB56_1060:
	s_wait_xcnt 0x0
	s_or_b32 exec_lo, exec_lo, s0
	scratch_load_b64 v[118:119], off, off offset:408
	s_mov_b32 s0, exec_lo
	s_wait_loadcnt 0x0
	ds_store_b64 v1, v[118:119]
	s_wait_storecnt_dscnt 0x0
	s_barrier_signal -1
	s_barrier_wait -1
	s_wait_xcnt 0x0
	v_cmpx_gt_u32_e32 51, v0
	s_cbranch_execz .LBB56_1070
; %bb.1061:
	v_cmp_ne_u32_e32 vcc_lo, 1, v120
	s_cbranch_vccnz .LBB56_1063
; %bb.1062:
	scratch_load_b64 v[118:119], v49, off
	ds_load_b64 v[122:123], v1
	s_wait_loadcnt_dscnt 0x0
	v_pk_mul_f32 v[124:125], v[122:123], v[118:119] op_sel:[1,1] op_sel_hi:[0,1]
	s_delay_alu instid0(VALU_DEP_1) | instskip(SKIP_1) | instid1(VALU_DEP_2)
	v_pk_fma_f32 v[126:127], v[122:123], v[118:119], v[124:125] op_sel_hi:[1,0,1]
	v_pk_fma_f32 v[118:119], v[122:123], v[118:119], v[124:125] neg_lo:[0,0,1] neg_hi:[0,0,1]
	v_mov_b32_e32 v119, v127
	s_cbranch_execz .LBB56_1064
	s_branch .LBB56_1065
.LBB56_1063:
                                        ; implicit-def: $vgpr118_vgpr119
.LBB56_1064:
	ds_load_b64 v[118:119], v1
.LBB56_1065:
	s_mov_b32 s2, exec_lo
	v_cmpx_ne_u32_e32 50, v0
	s_cbranch_execz .LBB56_1069
; %bb.1066:
	v_add_nc_u32_e32 v121, 0x1d8, v48
	v_add3_u32 v122, 0, v48, 8
	v_mov_b32_e32 v123, v0
	s_mov_b32 s3, 0
.LBB56_1067:                            ; =>This Inner Loop Header: Depth=1
	scratch_load_b64 v[124:125], v122, off
	ds_load_b64 v[126:127], v121
	s_wait_xcnt 0x0
	v_dual_add_nc_u32 v121, 8, v121 :: v_dual_add_nc_u32 v122, 8, v122
	s_wait_loadcnt_dscnt 0x0
	v_pk_mul_f32 v[128:129], v[126:127], v[124:125] op_sel:[1,1] op_sel_hi:[0,1]
	s_delay_alu instid0(VALU_DEP_1) | instskip(SKIP_2) | instid1(VALU_DEP_3)
	v_pk_fma_f32 v[130:131], v[126:127], v[124:125], v[128:129] op_sel_hi:[1,0,1]
	v_add_nc_u32_e32 v123, 1, v123
	v_pk_fma_f32 v[124:125], v[126:127], v[124:125], v[128:129] neg_lo:[0,0,1] neg_hi:[0,0,1]
	v_mov_b32_e32 v125, v131
	s_delay_alu instid0(VALU_DEP_3) | instskip(NEXT) | instid1(VALU_DEP_2)
	v_cmp_lt_u32_e32 vcc_lo, 49, v123
	v_pk_add_f32 v[118:119], v[118:119], v[124:125]
	s_or_b32 s3, vcc_lo, s3
	s_delay_alu instid0(SALU_CYCLE_1)
	s_and_not1_b32 exec_lo, exec_lo, s3
	s_cbranch_execnz .LBB56_1067
; %bb.1068:
	s_or_b32 exec_lo, exec_lo, s3
.LBB56_1069:
	s_delay_alu instid0(SALU_CYCLE_1) | instskip(SKIP_4) | instid1(VALU_DEP_1)
	s_or_b32 exec_lo, exec_lo, s2
	v_mov_b32_e32 v121, 0
	ds_load_b64 v[122:123], v121 offset:408
	s_wait_dscnt 0x0
	v_pk_mul_f32 v[124:125], v[118:119], v[122:123] op_sel:[1,1] op_sel_hi:[0,1]
	v_pk_fma_f32 v[126:127], v[118:119], v[122:123], v[124:125] op_sel_hi:[1,0,1]
	v_pk_fma_f32 v[118:119], v[118:119], v[122:123], v[124:125] neg_lo:[0,0,1] neg_hi:[0,0,1]
	s_delay_alu instid0(VALU_DEP_2)
	v_mov_b32_e32 v119, v127
	scratch_store_b64 off, v[118:119], off offset:408
.LBB56_1070:
	s_wait_xcnt 0x0
	s_or_b32 exec_lo, exec_lo, s0
	scratch_load_b64 v[118:119], off, off offset:416
	s_mov_b32 s0, exec_lo
	s_wait_loadcnt 0x0
	ds_store_b64 v1, v[118:119]
	s_wait_storecnt_dscnt 0x0
	s_barrier_signal -1
	s_barrier_wait -1
	s_wait_xcnt 0x0
	v_cmpx_gt_u32_e32 52, v0
	s_cbranch_execz .LBB56_1080
; %bb.1071:
	v_cmp_ne_u32_e32 vcc_lo, 1, v120
	s_cbranch_vccnz .LBB56_1073
; %bb.1072:
	scratch_load_b64 v[118:119], v49, off
	ds_load_b64 v[122:123], v1
	s_wait_loadcnt_dscnt 0x0
	v_pk_mul_f32 v[124:125], v[122:123], v[118:119] op_sel:[1,1] op_sel_hi:[0,1]
	s_delay_alu instid0(VALU_DEP_1) | instskip(SKIP_1) | instid1(VALU_DEP_2)
	v_pk_fma_f32 v[126:127], v[122:123], v[118:119], v[124:125] op_sel_hi:[1,0,1]
	v_pk_fma_f32 v[118:119], v[122:123], v[118:119], v[124:125] neg_lo:[0,0,1] neg_hi:[0,0,1]
	v_mov_b32_e32 v119, v127
	s_cbranch_execz .LBB56_1074
	s_branch .LBB56_1075
.LBB56_1073:
                                        ; implicit-def: $vgpr118_vgpr119
.LBB56_1074:
	ds_load_b64 v[118:119], v1
.LBB56_1075:
	s_mov_b32 s2, exec_lo
	v_cmpx_ne_u32_e32 51, v0
	s_cbranch_execz .LBB56_1079
; %bb.1076:
	v_add_nc_u32_e32 v121, 0x1d8, v48
	v_add3_u32 v122, 0, v48, 8
	v_mov_b32_e32 v123, v0
	s_mov_b32 s3, 0
.LBB56_1077:                            ; =>This Inner Loop Header: Depth=1
	scratch_load_b64 v[124:125], v122, off
	ds_load_b64 v[126:127], v121
	s_wait_xcnt 0x0
	v_dual_add_nc_u32 v121, 8, v121 :: v_dual_add_nc_u32 v122, 8, v122
	s_wait_loadcnt_dscnt 0x0
	v_pk_mul_f32 v[128:129], v[126:127], v[124:125] op_sel:[1,1] op_sel_hi:[0,1]
	s_delay_alu instid0(VALU_DEP_1) | instskip(SKIP_2) | instid1(VALU_DEP_3)
	v_pk_fma_f32 v[130:131], v[126:127], v[124:125], v[128:129] op_sel_hi:[1,0,1]
	v_add_nc_u32_e32 v123, 1, v123
	v_pk_fma_f32 v[124:125], v[126:127], v[124:125], v[128:129] neg_lo:[0,0,1] neg_hi:[0,0,1]
	v_mov_b32_e32 v125, v131
	s_delay_alu instid0(VALU_DEP_3) | instskip(NEXT) | instid1(VALU_DEP_2)
	v_cmp_lt_u32_e32 vcc_lo, 50, v123
	v_pk_add_f32 v[118:119], v[118:119], v[124:125]
	s_or_b32 s3, vcc_lo, s3
	s_delay_alu instid0(SALU_CYCLE_1)
	s_and_not1_b32 exec_lo, exec_lo, s3
	s_cbranch_execnz .LBB56_1077
; %bb.1078:
	s_or_b32 exec_lo, exec_lo, s3
.LBB56_1079:
	s_delay_alu instid0(SALU_CYCLE_1) | instskip(SKIP_4) | instid1(VALU_DEP_1)
	s_or_b32 exec_lo, exec_lo, s2
	v_mov_b32_e32 v121, 0
	ds_load_b64 v[122:123], v121 offset:416
	s_wait_dscnt 0x0
	v_pk_mul_f32 v[124:125], v[118:119], v[122:123] op_sel:[1,1] op_sel_hi:[0,1]
	v_pk_fma_f32 v[126:127], v[118:119], v[122:123], v[124:125] op_sel_hi:[1,0,1]
	v_pk_fma_f32 v[118:119], v[118:119], v[122:123], v[124:125] neg_lo:[0,0,1] neg_hi:[0,0,1]
	s_delay_alu instid0(VALU_DEP_2)
	v_mov_b32_e32 v119, v127
	scratch_store_b64 off, v[118:119], off offset:416
.LBB56_1080:
	s_wait_xcnt 0x0
	s_or_b32 exec_lo, exec_lo, s0
	scratch_load_b64 v[118:119], off, off offset:424
	s_mov_b32 s0, exec_lo
	s_wait_loadcnt 0x0
	ds_store_b64 v1, v[118:119]
	s_wait_storecnt_dscnt 0x0
	s_barrier_signal -1
	s_barrier_wait -1
	s_wait_xcnt 0x0
	v_cmpx_gt_u32_e32 53, v0
	s_cbranch_execz .LBB56_1090
; %bb.1081:
	v_cmp_ne_u32_e32 vcc_lo, 1, v120
	s_cbranch_vccnz .LBB56_1083
; %bb.1082:
	scratch_load_b64 v[118:119], v49, off
	ds_load_b64 v[122:123], v1
	s_wait_loadcnt_dscnt 0x0
	v_pk_mul_f32 v[124:125], v[122:123], v[118:119] op_sel:[1,1] op_sel_hi:[0,1]
	s_delay_alu instid0(VALU_DEP_1) | instskip(SKIP_1) | instid1(VALU_DEP_2)
	v_pk_fma_f32 v[126:127], v[122:123], v[118:119], v[124:125] op_sel_hi:[1,0,1]
	v_pk_fma_f32 v[118:119], v[122:123], v[118:119], v[124:125] neg_lo:[0,0,1] neg_hi:[0,0,1]
	v_mov_b32_e32 v119, v127
	s_cbranch_execz .LBB56_1084
	s_branch .LBB56_1085
.LBB56_1083:
                                        ; implicit-def: $vgpr118_vgpr119
.LBB56_1084:
	ds_load_b64 v[118:119], v1
.LBB56_1085:
	s_mov_b32 s2, exec_lo
	v_cmpx_ne_u32_e32 52, v0
	s_cbranch_execz .LBB56_1089
; %bb.1086:
	v_add_nc_u32_e32 v121, 0x1d8, v48
	v_add3_u32 v122, 0, v48, 8
	v_mov_b32_e32 v123, v0
	s_mov_b32 s3, 0
.LBB56_1087:                            ; =>This Inner Loop Header: Depth=1
	scratch_load_b64 v[124:125], v122, off
	ds_load_b64 v[126:127], v121
	s_wait_xcnt 0x0
	v_dual_add_nc_u32 v121, 8, v121 :: v_dual_add_nc_u32 v122, 8, v122
	s_wait_loadcnt_dscnt 0x0
	v_pk_mul_f32 v[128:129], v[126:127], v[124:125] op_sel:[1,1] op_sel_hi:[0,1]
	s_delay_alu instid0(VALU_DEP_1) | instskip(SKIP_2) | instid1(VALU_DEP_3)
	v_pk_fma_f32 v[130:131], v[126:127], v[124:125], v[128:129] op_sel_hi:[1,0,1]
	v_add_nc_u32_e32 v123, 1, v123
	v_pk_fma_f32 v[124:125], v[126:127], v[124:125], v[128:129] neg_lo:[0,0,1] neg_hi:[0,0,1]
	v_mov_b32_e32 v125, v131
	s_delay_alu instid0(VALU_DEP_3) | instskip(NEXT) | instid1(VALU_DEP_2)
	v_cmp_lt_u32_e32 vcc_lo, 51, v123
	v_pk_add_f32 v[118:119], v[118:119], v[124:125]
	s_or_b32 s3, vcc_lo, s3
	s_delay_alu instid0(SALU_CYCLE_1)
	s_and_not1_b32 exec_lo, exec_lo, s3
	s_cbranch_execnz .LBB56_1087
; %bb.1088:
	s_or_b32 exec_lo, exec_lo, s3
.LBB56_1089:
	s_delay_alu instid0(SALU_CYCLE_1) | instskip(SKIP_4) | instid1(VALU_DEP_1)
	s_or_b32 exec_lo, exec_lo, s2
	v_mov_b32_e32 v121, 0
	ds_load_b64 v[122:123], v121 offset:424
	s_wait_dscnt 0x0
	v_pk_mul_f32 v[124:125], v[118:119], v[122:123] op_sel:[1,1] op_sel_hi:[0,1]
	v_pk_fma_f32 v[126:127], v[118:119], v[122:123], v[124:125] op_sel_hi:[1,0,1]
	v_pk_fma_f32 v[118:119], v[118:119], v[122:123], v[124:125] neg_lo:[0,0,1] neg_hi:[0,0,1]
	s_delay_alu instid0(VALU_DEP_2)
	v_mov_b32_e32 v119, v127
	scratch_store_b64 off, v[118:119], off offset:424
.LBB56_1090:
	s_wait_xcnt 0x0
	s_or_b32 exec_lo, exec_lo, s0
	scratch_load_b64 v[118:119], off, off offset:432
	s_mov_b32 s0, exec_lo
	s_wait_loadcnt 0x0
	ds_store_b64 v1, v[118:119]
	s_wait_storecnt_dscnt 0x0
	s_barrier_signal -1
	s_barrier_wait -1
	s_wait_xcnt 0x0
	v_cmpx_gt_u32_e32 54, v0
	s_cbranch_execz .LBB56_1100
; %bb.1091:
	v_cmp_ne_u32_e32 vcc_lo, 1, v120
	s_cbranch_vccnz .LBB56_1093
; %bb.1092:
	scratch_load_b64 v[118:119], v49, off
	ds_load_b64 v[122:123], v1
	s_wait_loadcnt_dscnt 0x0
	v_pk_mul_f32 v[124:125], v[122:123], v[118:119] op_sel:[1,1] op_sel_hi:[0,1]
	s_delay_alu instid0(VALU_DEP_1) | instskip(SKIP_1) | instid1(VALU_DEP_2)
	v_pk_fma_f32 v[126:127], v[122:123], v[118:119], v[124:125] op_sel_hi:[1,0,1]
	v_pk_fma_f32 v[118:119], v[122:123], v[118:119], v[124:125] neg_lo:[0,0,1] neg_hi:[0,0,1]
	v_mov_b32_e32 v119, v127
	s_cbranch_execz .LBB56_1094
	s_branch .LBB56_1095
.LBB56_1093:
                                        ; implicit-def: $vgpr118_vgpr119
.LBB56_1094:
	ds_load_b64 v[118:119], v1
.LBB56_1095:
	s_mov_b32 s2, exec_lo
	v_cmpx_ne_u32_e32 53, v0
	s_cbranch_execz .LBB56_1099
; %bb.1096:
	v_add_nc_u32_e32 v121, 0x1d8, v48
	v_add3_u32 v122, 0, v48, 8
	v_mov_b32_e32 v123, v0
	s_mov_b32 s3, 0
.LBB56_1097:                            ; =>This Inner Loop Header: Depth=1
	scratch_load_b64 v[124:125], v122, off
	ds_load_b64 v[126:127], v121
	s_wait_xcnt 0x0
	v_dual_add_nc_u32 v121, 8, v121 :: v_dual_add_nc_u32 v122, 8, v122
	s_wait_loadcnt_dscnt 0x0
	v_pk_mul_f32 v[128:129], v[126:127], v[124:125] op_sel:[1,1] op_sel_hi:[0,1]
	s_delay_alu instid0(VALU_DEP_1) | instskip(SKIP_2) | instid1(VALU_DEP_3)
	v_pk_fma_f32 v[130:131], v[126:127], v[124:125], v[128:129] op_sel_hi:[1,0,1]
	v_add_nc_u32_e32 v123, 1, v123
	v_pk_fma_f32 v[124:125], v[126:127], v[124:125], v[128:129] neg_lo:[0,0,1] neg_hi:[0,0,1]
	v_mov_b32_e32 v125, v131
	s_delay_alu instid0(VALU_DEP_3) | instskip(NEXT) | instid1(VALU_DEP_2)
	v_cmp_lt_u32_e32 vcc_lo, 52, v123
	v_pk_add_f32 v[118:119], v[118:119], v[124:125]
	s_or_b32 s3, vcc_lo, s3
	s_delay_alu instid0(SALU_CYCLE_1)
	s_and_not1_b32 exec_lo, exec_lo, s3
	s_cbranch_execnz .LBB56_1097
; %bb.1098:
	s_or_b32 exec_lo, exec_lo, s3
.LBB56_1099:
	s_delay_alu instid0(SALU_CYCLE_1) | instskip(SKIP_4) | instid1(VALU_DEP_1)
	s_or_b32 exec_lo, exec_lo, s2
	v_mov_b32_e32 v121, 0
	ds_load_b64 v[122:123], v121 offset:432
	s_wait_dscnt 0x0
	v_pk_mul_f32 v[124:125], v[118:119], v[122:123] op_sel:[1,1] op_sel_hi:[0,1]
	v_pk_fma_f32 v[126:127], v[118:119], v[122:123], v[124:125] op_sel_hi:[1,0,1]
	v_pk_fma_f32 v[118:119], v[118:119], v[122:123], v[124:125] neg_lo:[0,0,1] neg_hi:[0,0,1]
	s_delay_alu instid0(VALU_DEP_2)
	v_mov_b32_e32 v119, v127
	scratch_store_b64 off, v[118:119], off offset:432
.LBB56_1100:
	s_wait_xcnt 0x0
	s_or_b32 exec_lo, exec_lo, s0
	scratch_load_b64 v[118:119], off, off offset:440
	v_cmp_gt_u32_e64 s0, 55, v0
	s_wait_loadcnt 0x0
	ds_store_b64 v1, v[118:119]
	s_wait_storecnt_dscnt 0x0
	s_barrier_signal -1
	s_barrier_wait -1
	s_wait_xcnt 0x0
	s_and_saveexec_b32 s2, s0
	s_cbranch_execz .LBB56_1110
; %bb.1101:
	v_cmp_ne_u32_e32 vcc_lo, 1, v120
	s_cbranch_vccnz .LBB56_1103
; %bb.1102:
	scratch_load_b64 v[118:119], v49, off
	ds_load_b64 v[122:123], v1
	s_wait_loadcnt_dscnt 0x0
	v_pk_mul_f32 v[124:125], v[122:123], v[118:119] op_sel:[1,1] op_sel_hi:[0,1]
	s_delay_alu instid0(VALU_DEP_1) | instskip(SKIP_1) | instid1(VALU_DEP_2)
	v_pk_fma_f32 v[126:127], v[122:123], v[118:119], v[124:125] op_sel_hi:[1,0,1]
	v_pk_fma_f32 v[118:119], v[122:123], v[118:119], v[124:125] neg_lo:[0,0,1] neg_hi:[0,0,1]
	v_mov_b32_e32 v119, v127
	s_cbranch_execz .LBB56_1104
	s_branch .LBB56_1105
.LBB56_1103:
                                        ; implicit-def: $vgpr118_vgpr119
.LBB56_1104:
	ds_load_b64 v[118:119], v1
.LBB56_1105:
	s_mov_b32 s3, exec_lo
	v_cmpx_ne_u32_e32 54, v0
	s_cbranch_execz .LBB56_1109
; %bb.1106:
	v_add_nc_u32_e32 v121, 0x1d8, v48
	v_add3_u32 v122, 0, v48, 8
	v_mov_b32_e32 v123, v0
	s_mov_b32 s4, 0
.LBB56_1107:                            ; =>This Inner Loop Header: Depth=1
	scratch_load_b64 v[124:125], v122, off
	ds_load_b64 v[126:127], v121
	s_wait_xcnt 0x0
	v_dual_add_nc_u32 v121, 8, v121 :: v_dual_add_nc_u32 v122, 8, v122
	s_wait_loadcnt_dscnt 0x0
	v_pk_mul_f32 v[128:129], v[126:127], v[124:125] op_sel:[1,1] op_sel_hi:[0,1]
	s_delay_alu instid0(VALU_DEP_1) | instskip(SKIP_2) | instid1(VALU_DEP_3)
	v_pk_fma_f32 v[130:131], v[126:127], v[124:125], v[128:129] op_sel_hi:[1,0,1]
	v_add_nc_u32_e32 v123, 1, v123
	v_pk_fma_f32 v[124:125], v[126:127], v[124:125], v[128:129] neg_lo:[0,0,1] neg_hi:[0,0,1]
	v_mov_b32_e32 v125, v131
	s_delay_alu instid0(VALU_DEP_3) | instskip(NEXT) | instid1(VALU_DEP_2)
	v_cmp_lt_u32_e32 vcc_lo, 53, v123
	v_pk_add_f32 v[118:119], v[118:119], v[124:125]
	s_or_b32 s4, vcc_lo, s4
	s_delay_alu instid0(SALU_CYCLE_1)
	s_and_not1_b32 exec_lo, exec_lo, s4
	s_cbranch_execnz .LBB56_1107
; %bb.1108:
	s_or_b32 exec_lo, exec_lo, s4
.LBB56_1109:
	s_delay_alu instid0(SALU_CYCLE_1) | instskip(SKIP_4) | instid1(VALU_DEP_1)
	s_or_b32 exec_lo, exec_lo, s3
	v_mov_b32_e32 v121, 0
	ds_load_b64 v[122:123], v121 offset:440
	s_wait_dscnt 0x0
	v_pk_mul_f32 v[124:125], v[118:119], v[122:123] op_sel:[1,1] op_sel_hi:[0,1]
	v_pk_fma_f32 v[126:127], v[118:119], v[122:123], v[124:125] op_sel_hi:[1,0,1]
	v_pk_fma_f32 v[118:119], v[118:119], v[122:123], v[124:125] neg_lo:[0,0,1] neg_hi:[0,0,1]
	s_delay_alu instid0(VALU_DEP_2)
	v_mov_b32_e32 v119, v127
	scratch_store_b64 off, v[118:119], off offset:440
.LBB56_1110:
	s_wait_xcnt 0x0
	s_or_b32 exec_lo, exec_lo, s2
	scratch_load_b64 v[118:119], off, off offset:448
	s_mov_b32 s2, exec_lo
                                        ; implicit-def: $vgpr158
                                        ; implicit-def: $sgpr4
	s_wait_loadcnt 0x0
	ds_store_b64 v1, v[118:119]
	s_wait_storecnt_dscnt 0x0
	s_barrier_signal -1
	s_barrier_wait -1
	s_wait_xcnt 0x0
	v_cmpx_ne_u32_e32 56, v0
	s_cbranch_execz .LBB56_1120
; %bb.1111:
	v_cmp_ne_u32_e32 vcc_lo, 1, v120
	s_cbranch_vccnz .LBB56_1113
; %bb.1112:
	scratch_load_b64 v[120:121], v49, off
	ds_load_b64 v[122:123], v1
	s_wait_loadcnt_dscnt 0x0
	v_dual_mul_f32 v49, v123, v121 :: v_dual_mul_f32 v119, v122, v121
	s_delay_alu instid0(VALU_DEP_1)
	v_dual_fma_f32 v118, v122, v120, -v49 :: v_dual_fmac_f32 v119, v123, v120
	s_cbranch_execz .LBB56_1114
	s_branch .LBB56_1115
.LBB56_1113:
                                        ; implicit-def: $vgpr119
.LBB56_1114:
	ds_load_b64 v[118:119], v1
.LBB56_1115:
	s_and_saveexec_b32 s3, s0
	s_cbranch_execz .LBB56_1119
; %bb.1116:
	v_add_nc_u32_e32 v1, 0x1d8, v48
	v_add3_u32 v48, 0, v48, 8
	s_mov_b32 s0, 0
.LBB56_1117:                            ; =>This Inner Loop Header: Depth=1
	scratch_load_b64 v[120:121], v48, off
	ds_load_b64 v[122:123], v1
	v_dual_add_nc_u32 v0, 1, v0 :: v_dual_add_nc_u32 v1, 8, v1
	s_wait_xcnt 0x0
	v_add_nc_u32_e32 v48, 8, v48
	s_delay_alu instid0(VALU_DEP_2) | instskip(SKIP_3) | instid1(VALU_DEP_1)
	v_cmp_lt_u32_e32 vcc_lo, 54, v0
	s_or_b32 s0, vcc_lo, s0
	s_wait_loadcnt_dscnt 0x0
	v_dual_mul_f32 v49, v123, v121 :: v_dual_mul_f32 v121, v122, v121
	v_fmac_f32_e32 v121, v123, v120
	s_delay_alu instid0(VALU_DEP_1) | instskip(NEXT) | instid1(VALU_DEP_1)
	v_dual_fma_f32 v49, v122, v120, -v49 :: v_dual_add_f32 v119, v119, v121
	v_add_f32_e32 v118, v118, v49
	s_and_not1_b32 exec_lo, exec_lo, s0
	s_cbranch_execnz .LBB56_1117
; %bb.1118:
	s_or_b32 exec_lo, exec_lo, s0
.LBB56_1119:
	s_delay_alu instid0(SALU_CYCLE_1)
	s_or_b32 exec_lo, exec_lo, s3
	v_mov_b32_e32 v0, 0
	s_movk_i32 s4, 0x1c4
	s_or_b32 s1, s1, exec_lo
	ds_load_b64 v[0:1], v0 offset:448
	s_wait_dscnt 0x0
	v_dual_mul_f32 v48, v119, v1 :: v_dual_mul_f32 v158, v118, v1
	s_delay_alu instid0(VALU_DEP_1)
	v_dual_fma_f32 v1, v118, v0, -v48 :: v_dual_fmac_f32 v158, v119, v0
	scratch_store_b32 off, v1, off offset:448
.LBB56_1120:
	s_wait_xcnt 0x0
	s_or_b32 exec_lo, exec_lo, s2
.LBB56_1121:
	v_lshl_add_u64 v[156:157], v[2:3], 3, s[6:7]
	v_lshl_add_u64 v[154:155], v[4:5], 3, s[6:7]
	;; [unrolled: 1-line block ×55, first 2 shown]
	s_and_saveexec_b32 s0, s1
	s_cbranch_execz .LBB56_1123
; %bb.1122:
	scratch_store_b32 off, v158, s4
.LBB56_1123:
	s_wait_xcnt 0x0
	s_or_b32 exec_lo, exec_lo, s0
	s_clause 0xa
	scratch_load_b128 v[74:77], off, off
	scratch_load_b128 v[78:81], off, off offset:16
	scratch_load_b128 v[82:85], off, off offset:32
	scratch_load_b128 v[86:89], off, off offset:48
	scratch_load_b128 v[90:93], off, off offset:64
	scratch_load_b128 v[94:97], off, off offset:80
	scratch_load_b128 v[98:101], off, off offset:96
	scratch_load_b128 v[102:105], off, off offset:128
	scratch_load_b128 v[106:109], off, off offset:160
	scratch_load_b128 v[110:113], off, off offset:192
	scratch_load_b128 v[114:117], off, off offset:224
	s_wait_loadcnt 0xa
	s_clause 0x1
	global_store_b64 v[6:7], v[74:75], off
	global_store_b64 v[10:11], v[76:77], off
	scratch_load_b128 v[74:77], off, off offset:112
	s_wait_loadcnt 0xa
	s_clause 0x1
	global_store_b64 v[156:157], v[78:79], off
	global_store_b64 v[154:155], v[80:81], off
	scratch_load_b128 v[78:81], off, off offset:144
	;; [unrolled: 5-line block ×3, first 2 shown]
	s_wait_loadcnt 0xa
	s_clause 0x1
	global_store_b64 v[148:149], v[86:87], off
	global_store_b64 v[146:147], v[88:89], off
	s_wait_loadcnt 0x9
	s_clause 0x1
	global_store_b64 v[144:145], v[90:91], off
	global_store_b64 v[142:143], v[92:93], off
	;; [unrolled: 4-line block ×4, first 2 shown]
	s_clause 0x5
	scratch_load_b128 v[86:89], off, off offset:208
	scratch_load_b128 v[90:93], off, off offset:240
	;; [unrolled: 1-line block ×6, first 2 shown]
	s_wait_loadcnt 0x8
	s_clause 0x3
	global_store_b64 v[132:133], v[74:75], off
	global_store_b64 v[130:131], v[76:77], off
	;; [unrolled: 1-line block ×4, first 2 shown]
	s_wait_loadcnt 0x7
	s_clause 0x3
	global_store_b64 v[124:125], v[78:79], off
	global_store_b64 v[122:123], v[80:81], off
	;; [unrolled: 1-line block ×4, first 2 shown]
	s_clause 0x8
	scratch_load_b128 v[132:135], off, off offset:320
	scratch_load_b128 v[74:77], off, off offset:336
	;; [unrolled: 1-line block ×8, first 2 shown]
	scratch_load_b64 v[6:7], off, off offset:448
	s_wait_loadcnt 0xf
	s_clause 0x3
	global_store_b64 v[0:1], v[82:83], off
	global_store_b64 v[2:3], v[84:85], off
	;; [unrolled: 1-line block ×4, first 2 shown]
	s_wait_loadcnt 0xe
	s_clause 0x3
	global_store_b64 v[12:13], v[86:87], off
	global_store_b64 v[14:15], v[88:89], off
	;; [unrolled: 1-line block ×4, first 2 shown]
	s_wait_loadcnt 0xd
	s_clause 0x1
	global_store_b64 v[20:21], v[90:91], off
	global_store_b64 v[22:23], v[92:93], off
	s_wait_loadcnt 0xc
	s_clause 0x1
	global_store_b64 v[24:25], v[140:141], off
	global_store_b64 v[26:27], v[142:143], off
	;; [unrolled: 4-line block ×13, first 2 shown]
	s_wait_loadcnt 0x0
	global_store_b64 v[72:73], v[6:7], off
.LBB56_1124:
	s_sendmsg sendmsg(MSG_DEALLOC_VGPRS)
	s_endpgm
	.section	.rodata,"a",@progbits
	.p2align	6, 0x0
	.amdhsa_kernel _ZN9rocsolver6v33100L18trti2_kernel_smallILi57E19rocblas_complex_numIfEPS3_EEv13rocblas_fill_17rocblas_diagonal_T1_iil
		.amdhsa_group_segment_fixed_size 920
		.amdhsa_private_segment_fixed_size 464
		.amdhsa_kernarg_size 32
		.amdhsa_user_sgpr_count 2
		.amdhsa_user_sgpr_dispatch_ptr 0
		.amdhsa_user_sgpr_queue_ptr 0
		.amdhsa_user_sgpr_kernarg_segment_ptr 1
		.amdhsa_user_sgpr_dispatch_id 0
		.amdhsa_user_sgpr_kernarg_preload_length 0
		.amdhsa_user_sgpr_kernarg_preload_offset 0
		.amdhsa_user_sgpr_private_segment_size 0
		.amdhsa_wavefront_size32 1
		.amdhsa_uses_dynamic_stack 0
		.amdhsa_enable_private_segment 1
		.amdhsa_system_sgpr_workgroup_id_x 1
		.amdhsa_system_sgpr_workgroup_id_y 0
		.amdhsa_system_sgpr_workgroup_id_z 0
		.amdhsa_system_sgpr_workgroup_info 0
		.amdhsa_system_vgpr_workitem_id 0
		.amdhsa_next_free_vgpr 160
		.amdhsa_next_free_sgpr 36
		.amdhsa_named_barrier_count 0
		.amdhsa_reserve_vcc 1
		.amdhsa_float_round_mode_32 0
		.amdhsa_float_round_mode_16_64 0
		.amdhsa_float_denorm_mode_32 3
		.amdhsa_float_denorm_mode_16_64 3
		.amdhsa_fp16_overflow 0
		.amdhsa_memory_ordered 1
		.amdhsa_forward_progress 1
		.amdhsa_inst_pref_size 255
		.amdhsa_round_robin_scheduling 0
		.amdhsa_exception_fp_ieee_invalid_op 0
		.amdhsa_exception_fp_denorm_src 0
		.amdhsa_exception_fp_ieee_div_zero 0
		.amdhsa_exception_fp_ieee_overflow 0
		.amdhsa_exception_fp_ieee_underflow 0
		.amdhsa_exception_fp_ieee_inexact 0
		.amdhsa_exception_int_div_zero 0
	.end_amdhsa_kernel
	.section	.text._ZN9rocsolver6v33100L18trti2_kernel_smallILi57E19rocblas_complex_numIfEPS3_EEv13rocblas_fill_17rocblas_diagonal_T1_iil,"axG",@progbits,_ZN9rocsolver6v33100L18trti2_kernel_smallILi57E19rocblas_complex_numIfEPS3_EEv13rocblas_fill_17rocblas_diagonal_T1_iil,comdat
.Lfunc_end56:
	.size	_ZN9rocsolver6v33100L18trti2_kernel_smallILi57E19rocblas_complex_numIfEPS3_EEv13rocblas_fill_17rocblas_diagonal_T1_iil, .Lfunc_end56-_ZN9rocsolver6v33100L18trti2_kernel_smallILi57E19rocblas_complex_numIfEPS3_EEv13rocblas_fill_17rocblas_diagonal_T1_iil
                                        ; -- End function
	.set _ZN9rocsolver6v33100L18trti2_kernel_smallILi57E19rocblas_complex_numIfEPS3_EEv13rocblas_fill_17rocblas_diagonal_T1_iil.num_vgpr, 160
	.set _ZN9rocsolver6v33100L18trti2_kernel_smallILi57E19rocblas_complex_numIfEPS3_EEv13rocblas_fill_17rocblas_diagonal_T1_iil.num_agpr, 0
	.set _ZN9rocsolver6v33100L18trti2_kernel_smallILi57E19rocblas_complex_numIfEPS3_EEv13rocblas_fill_17rocblas_diagonal_T1_iil.numbered_sgpr, 36
	.set _ZN9rocsolver6v33100L18trti2_kernel_smallILi57E19rocblas_complex_numIfEPS3_EEv13rocblas_fill_17rocblas_diagonal_T1_iil.num_named_barrier, 0
	.set _ZN9rocsolver6v33100L18trti2_kernel_smallILi57E19rocblas_complex_numIfEPS3_EEv13rocblas_fill_17rocblas_diagonal_T1_iil.private_seg_size, 464
	.set _ZN9rocsolver6v33100L18trti2_kernel_smallILi57E19rocblas_complex_numIfEPS3_EEv13rocblas_fill_17rocblas_diagonal_T1_iil.uses_vcc, 1
	.set _ZN9rocsolver6v33100L18trti2_kernel_smallILi57E19rocblas_complex_numIfEPS3_EEv13rocblas_fill_17rocblas_diagonal_T1_iil.uses_flat_scratch, 1
	.set _ZN9rocsolver6v33100L18trti2_kernel_smallILi57E19rocblas_complex_numIfEPS3_EEv13rocblas_fill_17rocblas_diagonal_T1_iil.has_dyn_sized_stack, 0
	.set _ZN9rocsolver6v33100L18trti2_kernel_smallILi57E19rocblas_complex_numIfEPS3_EEv13rocblas_fill_17rocblas_diagonal_T1_iil.has_recursion, 0
	.set _ZN9rocsolver6v33100L18trti2_kernel_smallILi57E19rocblas_complex_numIfEPS3_EEv13rocblas_fill_17rocblas_diagonal_T1_iil.has_indirect_call, 0
	.section	.AMDGPU.csdata,"",@progbits
; Kernel info:
; codeLenInByte = 43180
; TotalNumSgprs: 38
; NumVgprs: 160
; ScratchSize: 464
; MemoryBound: 0
; FloatMode: 240
; IeeeMode: 1
; LDSByteSize: 920 bytes/workgroup (compile time only)
; SGPRBlocks: 0
; VGPRBlocks: 9
; NumSGPRsForWavesPerEU: 38
; NumVGPRsForWavesPerEU: 160
; NamedBarCnt: 0
; Occupancy: 6
; WaveLimiterHint : 0
; COMPUTE_PGM_RSRC2:SCRATCH_EN: 1
; COMPUTE_PGM_RSRC2:USER_SGPR: 2
; COMPUTE_PGM_RSRC2:TRAP_HANDLER: 0
; COMPUTE_PGM_RSRC2:TGID_X_EN: 1
; COMPUTE_PGM_RSRC2:TGID_Y_EN: 0
; COMPUTE_PGM_RSRC2:TGID_Z_EN: 0
; COMPUTE_PGM_RSRC2:TIDIG_COMP_CNT: 0
	.section	.text._ZN9rocsolver6v33100L18trti2_kernel_smallILi58E19rocblas_complex_numIfEPS3_EEv13rocblas_fill_17rocblas_diagonal_T1_iil,"axG",@progbits,_ZN9rocsolver6v33100L18trti2_kernel_smallILi58E19rocblas_complex_numIfEPS3_EEv13rocblas_fill_17rocblas_diagonal_T1_iil,comdat
	.globl	_ZN9rocsolver6v33100L18trti2_kernel_smallILi58E19rocblas_complex_numIfEPS3_EEv13rocblas_fill_17rocblas_diagonal_T1_iil ; -- Begin function _ZN9rocsolver6v33100L18trti2_kernel_smallILi58E19rocblas_complex_numIfEPS3_EEv13rocblas_fill_17rocblas_diagonal_T1_iil
	.p2align	8
	.type	_ZN9rocsolver6v33100L18trti2_kernel_smallILi58E19rocblas_complex_numIfEPS3_EEv13rocblas_fill_17rocblas_diagonal_T1_iil,@function
_ZN9rocsolver6v33100L18trti2_kernel_smallILi58E19rocblas_complex_numIfEPS3_EEv13rocblas_fill_17rocblas_diagonal_T1_iil: ; @_ZN9rocsolver6v33100L18trti2_kernel_smallILi58E19rocblas_complex_numIfEPS3_EEv13rocblas_fill_17rocblas_diagonal_T1_iil
; %bb.0:
	s_mov_b32 s2, exec_lo
	v_cmpx_gt_u32_e32 58, v0
	s_cbranch_execz .LBB57_1144
; %bb.1:
	s_load_b256 s[4:11], s[0:1], 0x0
	s_wait_xcnt 0x0
	s_bfe_u32 s0, ttmp6, 0x4000c
	s_and_b32 s1, ttmp6, 15
	s_add_co_i32 s0, s0, 1
	s_getreg_b32 s2, hwreg(HW_REG_IB_STS2, 6, 4)
	s_mul_i32 s0, ttmp9, s0
	v_lshlrev_b32_e32 v56, 3, v0
	s_add_co_i32 s0, s1, s0
	s_wait_kmcnt 0x0
	v_add3_u32 v2, s9, s9, v0
	s_ashr_i32 s1, s8, 31
	s_cmp_eq_u32 s2, 0
	s_cselect_b32 s2, ttmp9, s0
	s_delay_alu instid0(VALU_DEP_1)
	v_add_nc_u32_e32 v4, s9, v2
	s_ashr_i32 s3, s2, 31
	s_mov_b32 s0, s8
	s_mul_u64 s[2:3], s[10:11], s[2:3]
	s_lshl_b64 s[0:1], s[0:1], 3
	v_add_nc_u32_e32 v8, s9, v4
	s_lshl_b64 s[2:3], s[2:3], 3
	s_delay_alu instid0(SALU_CYCLE_1) | instskip(NEXT) | instid1(VALU_DEP_1)
	s_add_nc_u64 s[2:3], s[6:7], s[2:3]
	v_add_nc_u32_e32 v10, s9, v8
	s_add_nc_u64 s[6:7], s[2:3], s[0:1]
	s_mov_b32 s0, s9
	s_ashr_i32 s1, s9, 31
	s_cmp_lg_u32 s5, 0x84
	v_add_nc_u32_e32 v12, s9, v10
	s_clause 0x1
	global_load_b64 v[80:81], v8, s[6:7] scale_offset
	global_load_b64 v[82:83], v10, s[6:7] scale_offset
	s_cselect_b32 s3, -1, 0
	s_delay_alu instid0(SALU_CYCLE_1) | instskip(SKIP_1) | instid1(VALU_DEP_1)
	s_and_b32 vcc_lo, exec_lo, s3
	v_add_nc_u32_e32 v14, s9, v12
	v_add_nc_u32_e32 v18, s9, v14
	s_delay_alu instid0(VALU_DEP_1) | instskip(NEXT) | instid1(VALU_DEP_1)
	v_add_nc_u32_e32 v20, s9, v18
	v_add_nc_u32_e32 v22, s9, v20
	s_delay_alu instid0(VALU_DEP_1) | instskip(NEXT) | instid1(VALU_DEP_1)
	;; [unrolled: 3-line block ×4, first 2 shown]
	v_dual_mov_b32 v57, 0 :: v_dual_add_nc_u32 v32, s9, v30
	v_add_nc_u32_e32 v34, s9, v32
	s_delay_alu instid0(VALU_DEP_2) | instskip(NEXT) | instid1(VALU_DEP_2)
	v_add_nc_u64_e32 v[6:7], s[6:7], v[56:57]
	v_add_nc_u32_e32 v36, s9, v34
	s_delay_alu instid0(VALU_DEP_2) | instskip(SKIP_1) | instid1(VALU_DEP_2)
	v_lshl_add_u64 v[16:17], s[0:1], 3, v[6:7]
	s_mov_b32 s0, -1
	v_add_nc_u32_e32 v38, s9, v36
	s_clause 0x7
	global_load_b64 v[84:85], v0, s[6:7] scale_offset
	global_load_b64 v[86:87], v[16:17], off
	global_load_b64 v[88:89], v2, s[6:7] scale_offset
	global_load_b64 v[90:91], v4, s[6:7] scale_offset
	;; [unrolled: 1-line block ×6, first 2 shown]
	v_add_nc_u32_e32 v40, s9, v38
	s_clause 0x1
	global_load_b64 v[100:101], v22, s[6:7] scale_offset
	global_load_b64 v[102:103], v24, s[6:7] scale_offset
	v_add_nc_u32_e32 v42, s9, v40
	s_clause 0x5
	global_load_b64 v[104:105], v26, s[6:7] scale_offset
	global_load_b64 v[106:107], v28, s[6:7] scale_offset
	global_load_b64 v[108:109], v30, s[6:7] scale_offset
	global_load_b64 v[110:111], v32, s[6:7] scale_offset
	global_load_b64 v[112:113], v34, s[6:7] scale_offset
	global_load_b64 v[114:115], v36, s[6:7] scale_offset
	v_add_nc_u32_e32 v44, s9, v42
	s_delay_alu instid0(VALU_DEP_1) | instskip(SKIP_4) | instid1(VALU_DEP_1)
	v_add_nc_u32_e32 v46, s9, v44
	s_clause 0x1
	global_load_b64 v[116:117], v38, s[6:7] scale_offset
	global_load_b64 v[118:119], v40, s[6:7] scale_offset
	v_add_nc_u32_e32 v48, s9, v46
	v_add_nc_u32_e32 v50, s9, v48
	s_delay_alu instid0(VALU_DEP_1) | instskip(NEXT) | instid1(VALU_DEP_1)
	v_add_nc_u32_e32 v52, s9, v50
	v_add_nc_u32_e32 v54, s9, v52
	s_delay_alu instid0(VALU_DEP_1) | instskip(NEXT) | instid1(VALU_DEP_1)
	v_add_nc_u32_e32 v58, s9, v54
	v_add_nc_u32_e32 v60, s9, v58
	s_delay_alu instid0(VALU_DEP_1)
	v_add_nc_u32_e32 v62, s9, v60
	s_clause 0x7
	global_load_b64 v[120:121], v42, s[6:7] scale_offset
	global_load_b64 v[122:123], v44, s[6:7] scale_offset
	;; [unrolled: 1-line block ×8, first 2 shown]
	v_add_nc_u32_e32 v64, s9, v62
	s_delay_alu instid0(VALU_DEP_1) | instskip(SKIP_4) | instid1(VALU_DEP_1)
	v_add_nc_u32_e32 v66, s9, v64
	s_clause 0x1
	global_load_b64 v[136:137], v60, s[6:7] scale_offset
	global_load_b64 v[138:139], v62, s[6:7] scale_offset
	v_add_nc_u32_e32 v68, s9, v66
	v_add_nc_u32_e32 v70, s9, v68
	s_delay_alu instid0(VALU_DEP_1) | instskip(NEXT) | instid1(VALU_DEP_1)
	v_add_nc_u32_e32 v72, s9, v70
	v_add_nc_u32_e32 v74, s9, v72
	s_delay_alu instid0(VALU_DEP_1) | instskip(NEXT) | instid1(VALU_DEP_1)
	v_add_nc_u32_e32 v76, s9, v74
	v_add_nc_u32_e32 v78, s9, v76
	s_wait_loadcnt 0x1c
	scratch_store_b128 off, v[80:83], off offset:32
	s_wait_xcnt 0x0
	v_add_nc_u32_e32 v80, s9, v78
	s_delay_alu instid0(VALU_DEP_1)
	v_add_nc_u32_e32 v82, s9, v80
	s_wait_loadcnt 0x1a
	scratch_store_b128 off, v[84:87], off
	s_wait_xcnt 0x0
	v_add_nc_u32_e32 v84, s9, v82
	s_clause 0x1
	global_load_b64 v[140:141], v64, s[6:7] scale_offset
	global_load_b64 v[142:143], v66, s[6:7] scale_offset
	s_wait_loadcnt 0x1a
	scratch_store_b128 off, v[88:91], off offset:16
	s_wait_loadcnt 0x18
	scratch_store_b128 off, v[92:95], off offset:48
	s_clause 0x1
	global_load_b64 v[144:145], v68, s[6:7] scale_offset
	global_load_b64 v[146:147], v70, s[6:7] scale_offset
	v_add_nc_u32_e32 v86, s9, v84
	s_wait_loadcnt 0x18
	scratch_store_b128 off, v[96:99], off offset:64
	s_wait_loadcnt 0x16
	scratch_store_b128 off, v[100:103], off offset:80
	s_clause 0x1
	global_load_b64 v[148:149], v72, s[6:7] scale_offset
	global_load_b64 v[150:151], v74, s[6:7] scale_offset
	s_wait_loadcnt 0x16
	scratch_store_b128 off, v[104:107], off offset:96
	s_wait_xcnt 0x8
	v_add_nc_u32_e32 v88, s9, v86
	s_wait_loadcnt 0x14
	scratch_store_b128 off, v[108:111], off offset:112
	s_wait_loadcnt 0x12
	scratch_store_b128 off, v[112:115], off offset:128
	s_clause 0x3
	global_load_b64 v[152:153], v76, s[6:7] scale_offset
	global_load_b64 v[154:155], v78, s[6:7] scale_offset
	;; [unrolled: 1-line block ×4, first 2 shown]
	v_add_nc_u32_e32 v90, s9, v88
	s_wait_xcnt 0xd
	s_delay_alu instid0(VALU_DEP_1)
	v_add_nc_u32_e32 v92, s9, v90
	s_wait_loadcnt 0x14
	scratch_store_b128 off, v[116:119], off offset:144
	s_clause 0x1
	global_load_b64 v[160:161], v84, s[6:7] scale_offset
	global_load_b64 v[162:163], v86, s[6:7] scale_offset
	v_add_nc_u32_e32 v94, s9, v92
	s_wait_xcnt 0xd
	s_delay_alu instid0(VALU_DEP_1) | instskip(NEXT) | instid1(VALU_DEP_1)
	v_add_nc_u32_e32 v96, s9, v94
	v_add_nc_u32_e32 v98, s9, v96
	s_wait_xcnt 0xc
	s_delay_alu instid0(VALU_DEP_1) | instskip(NEXT) | instid1(VALU_DEP_1)
	v_add_nc_u32_e32 v100, s9, v98
	v_add_nc_u32_e32 v102, s9, v100
	s_wait_xcnt 0x9
	s_delay_alu instid0(VALU_DEP_1)
	v_add_nc_u32_e32 v104, s9, v102
	s_wait_loadcnt 0x14
	scratch_store_b128 off, v[120:123], off offset:160
	s_wait_loadcnt 0x12
	scratch_store_b128 off, v[124:127], off offset:176
	s_clause 0x1
	global_load_b64 v[120:121], v88, s[6:7] scale_offset
	global_load_b64 v[122:123], v90, s[6:7] scale_offset
	s_wait_loadcnt 0x12
	scratch_store_b128 off, v[128:131], off offset:192
	s_clause 0x1
	global_load_b64 v[124:125], v92, s[6:7] scale_offset
	global_load_b64 v[126:127], v94, s[6:7] scale_offset
	;; [unrolled: 5-line block ×3, first 2 shown]
	v_add_nc_u32_e32 v106, s9, v104
	s_delay_alu instid0(VALU_DEP_1) | instskip(SKIP_3) | instid1(VALU_DEP_1)
	v_add_nc_u32_e32 v108, s9, v106
	s_wait_loadcnt 0x12
	scratch_store_b128 off, v[136:139], off offset:224
	v_add_nc_u32_e32 v110, s9, v108
	v_add_nc_u32_e32 v112, s9, v110
	s_delay_alu instid0(VALU_DEP_1) | instskip(NEXT) | instid1(VALU_DEP_1)
	v_add_nc_u32_e32 v114, s9, v112
	v_add_nc_u32_e32 v116, s9, v114
	s_delay_alu instid0(VALU_DEP_1)
	v_add_nc_u32_e32 v118, s9, v116
	s_wait_loadcnt 0x10
	scratch_store_b128 off, v[140:143], off offset:240
	s_wait_loadcnt 0xe
	scratch_store_b128 off, v[144:147], off offset:256
	;; [unrolled: 2-line block ×6, first 2 shown]
	s_clause 0x3
	global_load_b64 v[132:133], v100, s[6:7] scale_offset
	global_load_b64 v[134:135], v102, s[6:7] scale_offset
	;; [unrolled: 1-line block ×4, first 2 shown]
	s_wait_loadcnt 0x8
	scratch_store_b128 off, v[120:123], off offset:336
	s_wait_loadcnt 0x6
	scratch_store_b128 off, v[124:127], off offset:352
	s_clause 0x3
	global_load_b64 v[120:121], v108, s[6:7] scale_offset
	global_load_b64 v[122:123], v110, s[6:7] scale_offset
	;; [unrolled: 1-line block ×4, first 2 shown]
	s_wait_loadcnt 0x8
	scratch_store_b128 off, v[128:131], off offset:368
	s_clause 0x1
	global_load_b64 v[128:129], v116, s[6:7] scale_offset
	global_load_b64 v[130:131], v118, s[6:7] scale_offset
	s_wait_loadcnt 0x8
	scratch_store_b128 off, v[132:135], off offset:384
	s_wait_loadcnt 0x6
	scratch_store_b128 off, v[136:139], off offset:400
	;; [unrolled: 2-line block ×5, first 2 shown]
	s_cbranch_vccz .LBB57_7
; %bb.2:
	scratch_load_b64 v[120:121], v0, off scale_offset
                                        ; implicit-def: $vgpr125
                                        ; implicit-def: $vgpr122
	s_wait_loadcnt 0x0
	v_cmp_ngt_f32_e64 s0, |v120|, |v121|
	s_wait_xcnt 0x0
	s_and_saveexec_b32 s1, s0
	s_delay_alu instid0(SALU_CYCLE_1)
	s_xor_b32 s0, exec_lo, s1
	s_cbranch_execz .LBB57_4
; %bb.3:
	v_div_scale_f32 v1, null, v121, v121, v120
	v_div_scale_f32 v9, vcc_lo, v120, v121, v120
	s_delay_alu instid0(VALU_DEP_2) | instskip(SKIP_1) | instid1(TRANS32_DEP_1)
	v_rcp_f32_e32 v3, v1
	v_nop
	v_fma_f32 v5, -v1, v3, 1.0
	s_delay_alu instid0(VALU_DEP_1) | instskip(NEXT) | instid1(VALU_DEP_1)
	v_fmac_f32_e32 v3, v5, v3
	v_mul_f32_e32 v5, v9, v3
	s_delay_alu instid0(VALU_DEP_1) | instskip(NEXT) | instid1(VALU_DEP_1)
	v_fma_f32 v11, -v1, v5, v9
	v_fmac_f32_e32 v5, v11, v3
	s_delay_alu instid0(VALU_DEP_1) | instskip(NEXT) | instid1(VALU_DEP_1)
	v_fma_f32 v1, -v1, v5, v9
	v_div_fmas_f32 v1, v1, v3, v5
	s_delay_alu instid0(VALU_DEP_1) | instskip(NEXT) | instid1(VALU_DEP_1)
	v_div_fixup_f32 v1, v1, v121, v120
	v_fmac_f32_e32 v121, v120, v1
	s_delay_alu instid0(VALU_DEP_1) | instskip(NEXT) | instid1(VALU_DEP_1)
	v_div_scale_f32 v3, null, v121, v121, -1.0
	v_rcp_f32_e32 v5, v3
	v_nop
	s_delay_alu instid0(TRANS32_DEP_1) | instskip(NEXT) | instid1(VALU_DEP_1)
	v_fma_f32 v9, -v3, v5, 1.0
	v_fmac_f32_e32 v5, v9, v5
	v_div_scale_f32 v9, vcc_lo, -1.0, v121, -1.0
	s_delay_alu instid0(VALU_DEP_1) | instskip(NEXT) | instid1(VALU_DEP_1)
	v_mul_f32_e32 v11, v9, v5
	v_fma_f32 v13, -v3, v11, v9
	s_delay_alu instid0(VALU_DEP_1) | instskip(NEXT) | instid1(VALU_DEP_1)
	v_fmac_f32_e32 v11, v13, v5
	v_fma_f32 v3, -v3, v11, v9
	s_delay_alu instid0(VALU_DEP_1) | instskip(NEXT) | instid1(VALU_DEP_1)
	v_div_fmas_f32 v3, v3, v5, v11
	v_div_fixup_f32 v125, v3, v121, -1.0
                                        ; implicit-def: $vgpr120_vgpr121
	s_delay_alu instid0(VALU_DEP_1) | instskip(NEXT) | instid1(VALU_DEP_1)
	v_mul_f32_e32 v122, v1, v125
	v_xor_b32_e32 v124, 0x80000000, v122
.LBB57_4:
	s_or_saveexec_b32 s0, s0
	v_lshl_add_u32 v1, v0, 3, 0
	s_xor_b32 exec_lo, exec_lo, s0
	s_cbranch_execz .LBB57_6
; %bb.5:
	v_div_scale_f32 v3, null, v120, v120, v121
	v_div_scale_f32 v11, vcc_lo, v121, v120, v121
	s_delay_alu instid0(VALU_DEP_2) | instskip(SKIP_1) | instid1(TRANS32_DEP_1)
	v_rcp_f32_e32 v5, v3
	v_nop
	v_fma_f32 v9, -v3, v5, 1.0
	s_delay_alu instid0(VALU_DEP_1) | instskip(NEXT) | instid1(VALU_DEP_1)
	v_fmac_f32_e32 v5, v9, v5
	v_mul_f32_e32 v9, v11, v5
	s_delay_alu instid0(VALU_DEP_1) | instskip(NEXT) | instid1(VALU_DEP_1)
	v_fma_f32 v13, -v3, v9, v11
	v_fmac_f32_e32 v9, v13, v5
	s_delay_alu instid0(VALU_DEP_1) | instskip(NEXT) | instid1(VALU_DEP_1)
	v_fma_f32 v3, -v3, v9, v11
	v_div_fmas_f32 v3, v3, v5, v9
	s_delay_alu instid0(VALU_DEP_1) | instskip(NEXT) | instid1(VALU_DEP_1)
	v_div_fixup_f32 v3, v3, v120, v121
	v_fmac_f32_e32 v120, v121, v3
	s_delay_alu instid0(VALU_DEP_1) | instskip(SKIP_1) | instid1(VALU_DEP_2)
	v_div_scale_f32 v5, null, v120, v120, 1.0
	v_div_scale_f32 v13, vcc_lo, 1.0, v120, 1.0
	v_rcp_f32_e32 v9, v5
	v_nop
	s_delay_alu instid0(TRANS32_DEP_1) | instskip(NEXT) | instid1(VALU_DEP_1)
	v_fma_f32 v11, -v5, v9, 1.0
	v_fmac_f32_e32 v9, v11, v9
	s_delay_alu instid0(VALU_DEP_1) | instskip(NEXT) | instid1(VALU_DEP_1)
	v_mul_f32_e32 v11, v13, v9
	v_fma_f32 v15, -v5, v11, v13
	s_delay_alu instid0(VALU_DEP_1) | instskip(NEXT) | instid1(VALU_DEP_1)
	v_fmac_f32_e32 v11, v15, v9
	v_fma_f32 v5, -v5, v11, v13
	s_delay_alu instid0(VALU_DEP_1) | instskip(NEXT) | instid1(VALU_DEP_1)
	v_div_fmas_f32 v5, v5, v9, v11
	v_div_fixup_f32 v124, v5, v120, 1.0
	s_delay_alu instid0(VALU_DEP_1)
	v_xor_b32_e32 v122, 0x80000000, v124
	v_mul_f32_e64 v125, v3, -v124
.LBB57_6:
	s_or_b32 exec_lo, exec_lo, s0
	s_delay_alu instid0(VALU_DEP_1)
	v_xor_b32_e32 v123, 0x80000000, v125
	s_mov_b32 s0, 0
	scratch_store_b64 v1, v[124:125], off
	ds_store_b64 v56, v[122:123]
.LBB57_7:
	s_and_b32 vcc_lo, exec_lo, s0
	s_cbranch_vccz .LBB57_9
; %bb.8:
	s_mov_b64 s[0:1], 0xbf800000
	s_wait_xcnt 0x2
	v_mov_b64_e32 v[120:121], s[0:1]
	ds_store_b64 v56, v[120:121]
.LBB57_9:
	v_dual_ashrrev_i32 v3, 31, v2 :: v_dual_ashrrev_i32 v5, 31, v4
	v_dual_ashrrev_i32 v9, 31, v8 :: v_dual_ashrrev_i32 v11, 31, v10
	v_dual_ashrrev_i32 v13, 31, v12 :: v_dual_ashrrev_i32 v15, 31, v14
	v_dual_ashrrev_i32 v19, 31, v18 :: v_dual_ashrrev_i32 v21, 31, v20
	v_dual_ashrrev_i32 v23, 31, v22 :: v_dual_ashrrev_i32 v25, 31, v24
	v_dual_ashrrev_i32 v27, 31, v26 :: v_dual_ashrrev_i32 v29, 31, v28
	v_dual_ashrrev_i32 v31, 31, v30 :: v_dual_ashrrev_i32 v33, 31, v32
	v_dual_ashrrev_i32 v35, 31, v34 :: v_dual_ashrrev_i32 v37, 31, v36
	v_dual_ashrrev_i32 v39, 31, v38 :: v_dual_ashrrev_i32 v41, 31, v40
	v_dual_ashrrev_i32 v43, 31, v42 :: v_dual_ashrrev_i32 v45, 31, v44
	v_dual_ashrrev_i32 v47, 31, v46 :: v_dual_ashrrev_i32 v49, 31, v48
	v_dual_ashrrev_i32 v51, 31, v50 :: v_dual_ashrrev_i32 v53, 31, v52
	v_dual_ashrrev_i32 v55, 31, v54 :: v_dual_ashrrev_i32 v61, 31, v60
	v_dual_ashrrev_i32 v59, 31, v58 :: v_dual_ashrrev_i32 v65, 31, v64
	v_dual_ashrrev_i32 v63, 31, v62 :: v_dual_ashrrev_i32 v69, 31, v68
	v_dual_ashrrev_i32 v67, 31, v66 :: v_dual_ashrrev_i32 v73, 31, v72
	v_dual_ashrrev_i32 v71, 31, v70 :: v_dual_ashrrev_i32 v77, 31, v76
	v_dual_ashrrev_i32 v75, 31, v74 :: v_dual_ashrrev_i32 v81, 31, v80
	v_dual_ashrrev_i32 v79, 31, v78 :: v_dual_ashrrev_i32 v85, 31, v84
	v_dual_ashrrev_i32 v83, 31, v82 :: v_dual_ashrrev_i32 v89, 31, v88
	v_dual_ashrrev_i32 v87, 31, v86 :: v_dual_ashrrev_i32 v93, 31, v92
	v_dual_ashrrev_i32 v91, 31, v90 :: v_dual_ashrrev_i32 v97, 31, v96
	v_dual_ashrrev_i32 v95, 31, v94 :: v_dual_ashrrev_i32 v101, 31, v100
	v_dual_ashrrev_i32 v99, 31, v98 :: v_dual_ashrrev_i32 v105, 31, v104
	v_dual_ashrrev_i32 v103, 31, v102 :: v_dual_ashrrev_i32 v109, 31, v108
	v_dual_ashrrev_i32 v107, 31, v106 :: v_dual_ashrrev_i32 v113, 31, v112
	v_dual_ashrrev_i32 v111, 31, v110 :: v_dual_ashrrev_i32 v117, 31, v116
	v_dual_ashrrev_i32 v115, 31, v114 :: v_dual_mov_b32 v57, v56
	v_ashrrev_i32_e32 v119, 31, v118
	s_wait_xcnt 0x0
	v_add_nc_u32_e32 v1, 0x1d0, v56
	s_cmp_eq_u32 s4, 0x79
	s_cbranch_scc1 .LBB57_13
; %bb.10:
	scratch_load_b64 v[120:121], off, off offset:448
	v_cmp_eq_u32_e64 s0, 57, v0
	s_movk_i32 s1, 0x50
	s_movk_i32 s10, 0x60
	;; [unrolled: 1-line block ×23, first 2 shown]
	s_wait_loadcnt 0x0
	ds_store_b64 v1, v[120:121]
	s_wait_storecnt_dscnt 0x0
	s_barrier_signal -1
	s_barrier_wait -1
	s_wait_xcnt 0x0
	s_and_saveexec_b32 s2, s0
	s_cbranch_execz .LBB57_17
; %bb.11:
	s_and_b32 vcc_lo, exec_lo, s3
	s_cbranch_vccz .LBB57_14
; %bb.12:
	scratch_load_b64 v[120:121], v57, off
	ds_load_b64 v[122:123], v1
	s_wait_loadcnt_dscnt 0x0
	v_pk_mul_f32 v[124:125], v[122:123], v[120:121] op_sel:[1,1] op_sel_hi:[0,1]
	v_pk_mul_f32 v[126:127], v[122:123], v[120:121] op_sel_hi:[1,0]
	s_delay_alu instid0(VALU_DEP_2) | instskip(NEXT) | instid1(VALU_DEP_2)
	v_pk_fma_f32 v[120:121], v[122:123], v[120:121], v[124:125] op_sel_hi:[1,0,1]
	v_sub_f32_e32 v120, v126, v124
	s_cbranch_execz .LBB57_15
	s_branch .LBB57_16
.LBB57_13:
	s_mov_b32 s1, 0
                                        ; implicit-def: $vgpr164
                                        ; implicit-def: $sgpr4
	s_cbranch_execnz .LBB57_576
	s_branch .LBB57_1141
.LBB57_14:
                                        ; implicit-def: $vgpr121
.LBB57_15:
	ds_load_b64 v[120:121], v1
.LBB57_16:
	s_wait_dscnt 0x0
	v_dual_mov_b32 v122, 0 :: v_dual_mov_b32 v124, v121
	v_mov_b32_e32 v125, v120
	ds_load_b64 v[122:123], v122 offset:448
	s_wait_dscnt 0x0
	v_pk_mul_f32 v[124:125], v[124:125], v[122:123] op_sel:[0,1]
	s_delay_alu instid0(VALU_DEP_1) | instskip(SKIP_1) | instid1(VALU_DEP_2)
	v_pk_fma_f32 v[126:127], v[120:121], v[122:123], v[124:125] op_sel_hi:[1,0,1]
	v_pk_fma_f32 v[120:121], v[120:121], v[122:123], v[124:125] neg_lo:[0,0,1] neg_hi:[0,0,1]
	v_mov_b32_e32 v121, v127
	scratch_store_b64 off, v[120:121], off offset:448
.LBB57_17:
	s_wait_xcnt 0x0
	s_or_b32 exec_lo, exec_lo, s2
	scratch_load_b64 v[120:121], off, off offset:440
	s_mov_b32 s9, s1
	v_cmp_lt_u32_e64 s1, 55, v0
	s_mov_b32 s4, 16
	s_mov_b32 s5, 32
	;; [unrolled: 1-line block ×4, first 2 shown]
	s_wait_loadcnt 0x0
	ds_store_b64 v1, v[120:121]
	s_wait_storecnt_dscnt 0x0
	s_barrier_signal -1
	s_barrier_wait -1
	s_wait_xcnt 0x0
	s_and_saveexec_b32 s33, s1
	s_cbranch_execz .LBB57_25
; %bb.18:
	s_and_not1_b32 vcc_lo, exec_lo, s3
	s_cbranch_vccnz .LBB57_20
; %bb.19:
	scratch_load_b64 v[120:121], v57, off
	ds_load_b64 v[122:123], v1
	s_wait_loadcnt_dscnt 0x0
	v_pk_mul_f32 v[124:125], v[122:123], v[120:121] op_sel:[1,1] op_sel_hi:[0,1]
	s_delay_alu instid0(VALU_DEP_1) | instskip(SKIP_1) | instid1(VALU_DEP_2)
	v_pk_fma_f32 v[126:127], v[122:123], v[120:121], v[124:125] op_sel_hi:[1,0,1]
	v_pk_fma_f32 v[120:121], v[122:123], v[120:121], v[124:125] neg_lo:[0,0,1] neg_hi:[0,0,1]
	v_mov_b32_e32 v121, v127
	s_cbranch_execz .LBB57_21
	s_branch .LBB57_22
.LBB57_20:
                                        ; implicit-def: $vgpr120_vgpr121
.LBB57_21:
	ds_load_b64 v[120:121], v1
.LBB57_22:
	s_and_saveexec_b32 s34, s0
	s_cbranch_execz .LBB57_24
; %bb.23:
	scratch_load_b64 v[122:123], off, off offset:448
	v_mov_b32_e32 v124, 0
	ds_load_b64 v[124:125], v124 offset:912
	s_wait_loadcnt_dscnt 0x0
	v_pk_mul_f32 v[126:127], v[124:125], v[122:123] op_sel:[1,1] op_sel_hi:[0,1]
	s_delay_alu instid0(VALU_DEP_1) | instskip(SKIP_1) | instid1(VALU_DEP_2)
	v_pk_fma_f32 v[128:129], v[124:125], v[122:123], v[126:127] op_sel_hi:[1,0,1]
	v_pk_fma_f32 v[122:123], v[124:125], v[122:123], v[126:127] neg_lo:[0,0,1] neg_hi:[0,0,1]
	v_mov_b32_e32 v123, v129
	s_delay_alu instid0(VALU_DEP_1)
	v_pk_add_f32 v[120:121], v[120:121], v[122:123]
.LBB57_24:
	s_or_b32 exec_lo, exec_lo, s34
	v_mov_b32_e32 v122, 0
	ds_load_b64 v[122:123], v122 offset:440
	s_wait_dscnt 0x0
	v_pk_mul_f32 v[124:125], v[120:121], v[122:123] op_sel:[1,1] op_sel_hi:[0,1]
	s_delay_alu instid0(VALU_DEP_1) | instskip(SKIP_1) | instid1(VALU_DEP_2)
	v_pk_fma_f32 v[126:127], v[120:121], v[122:123], v[124:125] op_sel_hi:[1,0,1]
	v_pk_fma_f32 v[120:121], v[120:121], v[122:123], v[124:125] neg_lo:[0,0,1] neg_hi:[0,0,1]
	v_mov_b32_e32 v121, v127
	scratch_store_b64 off, v[120:121], off offset:440
.LBB57_25:
	s_wait_xcnt 0x0
	s_or_b32 exec_lo, exec_lo, s33
	scratch_load_b64 v[120:121], off, off offset:432
	v_cmp_lt_u32_e64 s0, 54, v0
	s_wait_loadcnt 0x0
	ds_store_b64 v1, v[120:121]
	s_wait_storecnt_dscnt 0x0
	s_barrier_signal -1
	s_barrier_wait -1
	s_wait_xcnt 0x0
	s_and_saveexec_b32 s33, s0
	s_cbranch_execz .LBB57_35
; %bb.26:
	s_and_not1_b32 vcc_lo, exec_lo, s3
	s_cbranch_vccnz .LBB57_28
; %bb.27:
	scratch_load_b64 v[120:121], v57, off
	ds_load_b64 v[122:123], v1
	s_wait_loadcnt_dscnt 0x0
	v_pk_mul_f32 v[124:125], v[122:123], v[120:121] op_sel:[1,1] op_sel_hi:[0,1]
	s_delay_alu instid0(VALU_DEP_1) | instskip(SKIP_1) | instid1(VALU_DEP_2)
	v_pk_fma_f32 v[126:127], v[122:123], v[120:121], v[124:125] op_sel_hi:[1,0,1]
	v_pk_fma_f32 v[120:121], v[122:123], v[120:121], v[124:125] neg_lo:[0,0,1] neg_hi:[0,0,1]
	v_mov_b32_e32 v121, v127
	s_cbranch_execz .LBB57_29
	s_branch .LBB57_30
.LBB57_28:
                                        ; implicit-def: $vgpr120_vgpr121
.LBB57_29:
	ds_load_b64 v[120:121], v1
.LBB57_30:
	s_and_saveexec_b32 s34, s1
	s_cbranch_execz .LBB57_34
; %bb.31:
	v_subrev_nc_u32_e32 v122, 55, v0
	s_movk_i32 s1, 0x1b8
	s_movk_i32 s36, 0x388
	s_mov_b32 s35, 0
.LBB57_32:                              ; =>This Inner Loop Header: Depth=1
	scratch_load_b64 v[124:125], off, s1
	v_dual_mov_b32 v123, s36 :: v_dual_add_nc_u32 v122, -1, v122
	s_add_co_i32 s36, s36, 8
	s_wait_xcnt 0x0
	s_add_co_i32 s1, s1, 8
	ds_load_b64 v[126:127], v123
	v_cmp_eq_u32_e32 vcc_lo, 0, v122
	s_or_b32 s35, vcc_lo, s35
	s_wait_loadcnt_dscnt 0x0
	v_pk_mul_f32 v[128:129], v[126:127], v[124:125] op_sel:[1,1] op_sel_hi:[0,1]
	s_delay_alu instid0(VALU_DEP_1) | instskip(SKIP_1) | instid1(VALU_DEP_2)
	v_pk_fma_f32 v[130:131], v[126:127], v[124:125], v[128:129] op_sel_hi:[1,0,1]
	v_pk_fma_f32 v[124:125], v[126:127], v[124:125], v[128:129] neg_lo:[0,0,1] neg_hi:[0,0,1]
	v_mov_b32_e32 v125, v131
	s_delay_alu instid0(VALU_DEP_1)
	v_pk_add_f32 v[120:121], v[120:121], v[124:125]
	s_and_not1_b32 exec_lo, exec_lo, s35
	s_cbranch_execnz .LBB57_32
; %bb.33:
	s_or_b32 exec_lo, exec_lo, s35
.LBB57_34:
	s_delay_alu instid0(SALU_CYCLE_1) | instskip(SKIP_4) | instid1(VALU_DEP_1)
	s_or_b32 exec_lo, exec_lo, s34
	v_mov_b32_e32 v122, 0
	ds_load_b64 v[122:123], v122 offset:432
	s_wait_dscnt 0x0
	v_pk_mul_f32 v[124:125], v[120:121], v[122:123] op_sel:[1,1] op_sel_hi:[0,1]
	v_pk_fma_f32 v[126:127], v[120:121], v[122:123], v[124:125] op_sel_hi:[1,0,1]
	v_pk_fma_f32 v[120:121], v[120:121], v[122:123], v[124:125] neg_lo:[0,0,1] neg_hi:[0,0,1]
	s_delay_alu instid0(VALU_DEP_2)
	v_mov_b32_e32 v121, v127
	scratch_store_b64 off, v[120:121], off offset:432
.LBB57_35:
	s_wait_xcnt 0x0
	s_or_b32 exec_lo, exec_lo, s33
	scratch_load_b64 v[120:121], off, off offset:424
	v_cmp_lt_u32_e64 s1, 53, v0
	s_wait_loadcnt 0x0
	ds_store_b64 v1, v[120:121]
	s_wait_storecnt_dscnt 0x0
	s_barrier_signal -1
	s_barrier_wait -1
	s_wait_xcnt 0x0
	s_and_saveexec_b32 s33, s1
	s_cbranch_execz .LBB57_45
; %bb.36:
	s_and_not1_b32 vcc_lo, exec_lo, s3
	s_cbranch_vccnz .LBB57_38
; %bb.37:
	scratch_load_b64 v[120:121], v57, off
	ds_load_b64 v[122:123], v1
	s_wait_loadcnt_dscnt 0x0
	v_pk_mul_f32 v[124:125], v[122:123], v[120:121] op_sel:[1,1] op_sel_hi:[0,1]
	s_delay_alu instid0(VALU_DEP_1) | instskip(SKIP_1) | instid1(VALU_DEP_2)
	v_pk_fma_f32 v[126:127], v[122:123], v[120:121], v[124:125] op_sel_hi:[1,0,1]
	v_pk_fma_f32 v[120:121], v[122:123], v[120:121], v[124:125] neg_lo:[0,0,1] neg_hi:[0,0,1]
	v_mov_b32_e32 v121, v127
	s_cbranch_execz .LBB57_39
	s_branch .LBB57_40
.LBB57_38:
                                        ; implicit-def: $vgpr120_vgpr121
.LBB57_39:
	ds_load_b64 v[120:121], v1
.LBB57_40:
	s_and_saveexec_b32 s34, s0
	s_cbranch_execz .LBB57_44
; %bb.41:
	v_subrev_nc_u32_e32 v122, 54, v0
	s_movk_i32 s35, 0x380
	s_mov_b32 s0, 0
.LBB57_42:                              ; =>This Inner Loop Header: Depth=1
	scratch_load_b64 v[124:125], off, s31
	v_dual_mov_b32 v123, s35 :: v_dual_add_nc_u32 v122, -1, v122
	s_add_co_i32 s35, s35, 8
	s_wait_xcnt 0x0
	s_add_co_i32 s31, s31, 8
	ds_load_b64 v[126:127], v123
	v_cmp_eq_u32_e32 vcc_lo, 0, v122
	s_or_b32 s0, vcc_lo, s0
	s_wait_loadcnt_dscnt 0x0
	v_pk_mul_f32 v[128:129], v[126:127], v[124:125] op_sel:[1,1] op_sel_hi:[0,1]
	s_delay_alu instid0(VALU_DEP_1) | instskip(SKIP_1) | instid1(VALU_DEP_2)
	v_pk_fma_f32 v[130:131], v[126:127], v[124:125], v[128:129] op_sel_hi:[1,0,1]
	v_pk_fma_f32 v[124:125], v[126:127], v[124:125], v[128:129] neg_lo:[0,0,1] neg_hi:[0,0,1]
	v_mov_b32_e32 v125, v131
	s_delay_alu instid0(VALU_DEP_1)
	v_pk_add_f32 v[120:121], v[120:121], v[124:125]
	s_and_not1_b32 exec_lo, exec_lo, s0
	s_cbranch_execnz .LBB57_42
; %bb.43:
	s_or_b32 exec_lo, exec_lo, s0
.LBB57_44:
	s_delay_alu instid0(SALU_CYCLE_1) | instskip(SKIP_4) | instid1(VALU_DEP_1)
	s_or_b32 exec_lo, exec_lo, s34
	v_mov_b32_e32 v122, 0
	ds_load_b64 v[122:123], v122 offset:424
	s_wait_dscnt 0x0
	v_pk_mul_f32 v[124:125], v[120:121], v[122:123] op_sel:[1,1] op_sel_hi:[0,1]
	v_pk_fma_f32 v[126:127], v[120:121], v[122:123], v[124:125] op_sel_hi:[1,0,1]
	v_pk_fma_f32 v[120:121], v[120:121], v[122:123], v[124:125] neg_lo:[0,0,1] neg_hi:[0,0,1]
	s_delay_alu instid0(VALU_DEP_2)
	v_mov_b32_e32 v121, v127
	scratch_store_b64 off, v[120:121], off offset:424
.LBB57_45:
	s_wait_xcnt 0x0
	s_or_b32 exec_lo, exec_lo, s33
	scratch_load_b64 v[120:121], off, off offset:416
	v_cmp_lt_u32_e64 s0, 52, v0
	s_wait_loadcnt 0x0
	ds_store_b64 v1, v[120:121]
	s_wait_storecnt_dscnt 0x0
	s_barrier_signal -1
	s_barrier_wait -1
	s_wait_xcnt 0x0
	s_and_saveexec_b32 s31, s0
	s_cbranch_execz .LBB57_55
; %bb.46:
	s_and_not1_b32 vcc_lo, exec_lo, s3
	s_cbranch_vccnz .LBB57_48
; %bb.47:
	scratch_load_b64 v[120:121], v57, off
	ds_load_b64 v[122:123], v1
	s_wait_loadcnt_dscnt 0x0
	v_pk_mul_f32 v[124:125], v[122:123], v[120:121] op_sel:[1,1] op_sel_hi:[0,1]
	s_delay_alu instid0(VALU_DEP_1) | instskip(SKIP_1) | instid1(VALU_DEP_2)
	v_pk_fma_f32 v[126:127], v[122:123], v[120:121], v[124:125] op_sel_hi:[1,0,1]
	v_pk_fma_f32 v[120:121], v[122:123], v[120:121], v[124:125] neg_lo:[0,0,1] neg_hi:[0,0,1]
	v_mov_b32_e32 v121, v127
	s_cbranch_execz .LBB57_49
	s_branch .LBB57_50
.LBB57_48:
                                        ; implicit-def: $vgpr120_vgpr121
.LBB57_49:
	ds_load_b64 v[120:121], v1
.LBB57_50:
	s_and_saveexec_b32 s33, s1
	s_cbranch_execz .LBB57_54
; %bb.51:
	v_subrev_nc_u32_e32 v122, 53, v0
	s_movk_i32 s1, 0x1a8
	s_movk_i32 s35, 0x378
	s_mov_b32 s34, 0
.LBB57_52:                              ; =>This Inner Loop Header: Depth=1
	scratch_load_b64 v[124:125], off, s1
	v_dual_mov_b32 v123, s35 :: v_dual_add_nc_u32 v122, -1, v122
	s_add_co_i32 s35, s35, 8
	s_wait_xcnt 0x0
	s_add_co_i32 s1, s1, 8
	ds_load_b64 v[126:127], v123
	v_cmp_eq_u32_e32 vcc_lo, 0, v122
	s_or_b32 s34, vcc_lo, s34
	s_wait_loadcnt_dscnt 0x0
	v_pk_mul_f32 v[128:129], v[126:127], v[124:125] op_sel:[1,1] op_sel_hi:[0,1]
	s_delay_alu instid0(VALU_DEP_1) | instskip(SKIP_1) | instid1(VALU_DEP_2)
	v_pk_fma_f32 v[130:131], v[126:127], v[124:125], v[128:129] op_sel_hi:[1,0,1]
	v_pk_fma_f32 v[124:125], v[126:127], v[124:125], v[128:129] neg_lo:[0,0,1] neg_hi:[0,0,1]
	v_mov_b32_e32 v125, v131
	s_delay_alu instid0(VALU_DEP_1)
	v_pk_add_f32 v[120:121], v[120:121], v[124:125]
	s_and_not1_b32 exec_lo, exec_lo, s34
	s_cbranch_execnz .LBB57_52
; %bb.53:
	s_or_b32 exec_lo, exec_lo, s34
.LBB57_54:
	s_delay_alu instid0(SALU_CYCLE_1) | instskip(SKIP_4) | instid1(VALU_DEP_1)
	s_or_b32 exec_lo, exec_lo, s33
	v_mov_b32_e32 v122, 0
	ds_load_b64 v[122:123], v122 offset:416
	s_wait_dscnt 0x0
	v_pk_mul_f32 v[124:125], v[120:121], v[122:123] op_sel:[1,1] op_sel_hi:[0,1]
	v_pk_fma_f32 v[126:127], v[120:121], v[122:123], v[124:125] op_sel_hi:[1,0,1]
	v_pk_fma_f32 v[120:121], v[120:121], v[122:123], v[124:125] neg_lo:[0,0,1] neg_hi:[0,0,1]
	s_delay_alu instid0(VALU_DEP_2)
	v_mov_b32_e32 v121, v127
	scratch_store_b64 off, v[120:121], off offset:416
.LBB57_55:
	s_wait_xcnt 0x0
	s_or_b32 exec_lo, exec_lo, s31
	scratch_load_b64 v[120:121], off, off offset:408
	v_cmp_lt_u32_e64 s1, 51, v0
	s_wait_loadcnt 0x0
	ds_store_b64 v1, v[120:121]
	s_wait_storecnt_dscnt 0x0
	s_barrier_signal -1
	s_barrier_wait -1
	s_wait_xcnt 0x0
	s_and_saveexec_b32 s31, s1
	s_cbranch_execz .LBB57_65
; %bb.56:
	s_and_not1_b32 vcc_lo, exec_lo, s3
	s_cbranch_vccnz .LBB57_58
; %bb.57:
	scratch_load_b64 v[120:121], v57, off
	ds_load_b64 v[122:123], v1
	s_wait_loadcnt_dscnt 0x0
	v_pk_mul_f32 v[124:125], v[122:123], v[120:121] op_sel:[1,1] op_sel_hi:[0,1]
	s_delay_alu instid0(VALU_DEP_1) | instskip(SKIP_1) | instid1(VALU_DEP_2)
	v_pk_fma_f32 v[126:127], v[122:123], v[120:121], v[124:125] op_sel_hi:[1,0,1]
	v_pk_fma_f32 v[120:121], v[122:123], v[120:121], v[124:125] neg_lo:[0,0,1] neg_hi:[0,0,1]
	v_mov_b32_e32 v121, v127
	s_cbranch_execz .LBB57_59
	s_branch .LBB57_60
.LBB57_58:
                                        ; implicit-def: $vgpr120_vgpr121
.LBB57_59:
	ds_load_b64 v[120:121], v1
.LBB57_60:
	s_and_saveexec_b32 s33, s0
	s_cbranch_execz .LBB57_64
; %bb.61:
	v_subrev_nc_u32_e32 v122, 52, v0
	s_movk_i32 s34, 0x370
	s_mov_b32 s0, 0
.LBB57_62:                              ; =>This Inner Loop Header: Depth=1
	scratch_load_b64 v[124:125], off, s30
	v_dual_mov_b32 v123, s34 :: v_dual_add_nc_u32 v122, -1, v122
	s_add_co_i32 s34, s34, 8
	s_wait_xcnt 0x0
	s_add_co_i32 s30, s30, 8
	ds_load_b64 v[126:127], v123
	v_cmp_eq_u32_e32 vcc_lo, 0, v122
	s_or_b32 s0, vcc_lo, s0
	s_wait_loadcnt_dscnt 0x0
	v_pk_mul_f32 v[128:129], v[126:127], v[124:125] op_sel:[1,1] op_sel_hi:[0,1]
	s_delay_alu instid0(VALU_DEP_1) | instskip(SKIP_1) | instid1(VALU_DEP_2)
	v_pk_fma_f32 v[130:131], v[126:127], v[124:125], v[128:129] op_sel_hi:[1,0,1]
	v_pk_fma_f32 v[124:125], v[126:127], v[124:125], v[128:129] neg_lo:[0,0,1] neg_hi:[0,0,1]
	v_mov_b32_e32 v125, v131
	s_delay_alu instid0(VALU_DEP_1)
	v_pk_add_f32 v[120:121], v[120:121], v[124:125]
	s_and_not1_b32 exec_lo, exec_lo, s0
	s_cbranch_execnz .LBB57_62
; %bb.63:
	s_or_b32 exec_lo, exec_lo, s0
.LBB57_64:
	s_delay_alu instid0(SALU_CYCLE_1) | instskip(SKIP_4) | instid1(VALU_DEP_1)
	s_or_b32 exec_lo, exec_lo, s33
	v_mov_b32_e32 v122, 0
	ds_load_b64 v[122:123], v122 offset:408
	s_wait_dscnt 0x0
	v_pk_mul_f32 v[124:125], v[120:121], v[122:123] op_sel:[1,1] op_sel_hi:[0,1]
	v_pk_fma_f32 v[126:127], v[120:121], v[122:123], v[124:125] op_sel_hi:[1,0,1]
	v_pk_fma_f32 v[120:121], v[120:121], v[122:123], v[124:125] neg_lo:[0,0,1] neg_hi:[0,0,1]
	s_delay_alu instid0(VALU_DEP_2)
	v_mov_b32_e32 v121, v127
	scratch_store_b64 off, v[120:121], off offset:408
.LBB57_65:
	s_wait_xcnt 0x0
	s_or_b32 exec_lo, exec_lo, s31
	scratch_load_b64 v[120:121], off, off offset:400
	v_cmp_lt_u32_e64 s0, 50, v0
	s_wait_loadcnt 0x0
	ds_store_b64 v1, v[120:121]
	s_wait_storecnt_dscnt 0x0
	s_barrier_signal -1
	s_barrier_wait -1
	s_wait_xcnt 0x0
	s_and_saveexec_b32 s30, s0
	s_cbranch_execz .LBB57_75
; %bb.66:
	s_and_not1_b32 vcc_lo, exec_lo, s3
	s_cbranch_vccnz .LBB57_68
; %bb.67:
	scratch_load_b64 v[120:121], v57, off
	ds_load_b64 v[122:123], v1
	s_wait_loadcnt_dscnt 0x0
	v_pk_mul_f32 v[124:125], v[122:123], v[120:121] op_sel:[1,1] op_sel_hi:[0,1]
	s_delay_alu instid0(VALU_DEP_1) | instskip(SKIP_1) | instid1(VALU_DEP_2)
	v_pk_fma_f32 v[126:127], v[122:123], v[120:121], v[124:125] op_sel_hi:[1,0,1]
	v_pk_fma_f32 v[120:121], v[122:123], v[120:121], v[124:125] neg_lo:[0,0,1] neg_hi:[0,0,1]
	v_mov_b32_e32 v121, v127
	s_cbranch_execz .LBB57_69
	s_branch .LBB57_70
.LBB57_68:
                                        ; implicit-def: $vgpr120_vgpr121
.LBB57_69:
	ds_load_b64 v[120:121], v1
.LBB57_70:
	s_and_saveexec_b32 s31, s1
	s_cbranch_execz .LBB57_74
; %bb.71:
	v_subrev_nc_u32_e32 v122, 51, v0
	s_movk_i32 s1, 0x198
	s_movk_i32 s34, 0x368
	s_mov_b32 s33, 0
.LBB57_72:                              ; =>This Inner Loop Header: Depth=1
	scratch_load_b64 v[124:125], off, s1
	v_dual_mov_b32 v123, s34 :: v_dual_add_nc_u32 v122, -1, v122
	s_add_co_i32 s34, s34, 8
	s_wait_xcnt 0x0
	s_add_co_i32 s1, s1, 8
	ds_load_b64 v[126:127], v123
	v_cmp_eq_u32_e32 vcc_lo, 0, v122
	s_or_b32 s33, vcc_lo, s33
	s_wait_loadcnt_dscnt 0x0
	v_pk_mul_f32 v[128:129], v[126:127], v[124:125] op_sel:[1,1] op_sel_hi:[0,1]
	s_delay_alu instid0(VALU_DEP_1) | instskip(SKIP_1) | instid1(VALU_DEP_2)
	v_pk_fma_f32 v[130:131], v[126:127], v[124:125], v[128:129] op_sel_hi:[1,0,1]
	v_pk_fma_f32 v[124:125], v[126:127], v[124:125], v[128:129] neg_lo:[0,0,1] neg_hi:[0,0,1]
	v_mov_b32_e32 v125, v131
	s_delay_alu instid0(VALU_DEP_1)
	v_pk_add_f32 v[120:121], v[120:121], v[124:125]
	s_and_not1_b32 exec_lo, exec_lo, s33
	s_cbranch_execnz .LBB57_72
; %bb.73:
	s_or_b32 exec_lo, exec_lo, s33
.LBB57_74:
	s_delay_alu instid0(SALU_CYCLE_1) | instskip(SKIP_4) | instid1(VALU_DEP_1)
	s_or_b32 exec_lo, exec_lo, s31
	v_mov_b32_e32 v122, 0
	ds_load_b64 v[122:123], v122 offset:400
	s_wait_dscnt 0x0
	v_pk_mul_f32 v[124:125], v[120:121], v[122:123] op_sel:[1,1] op_sel_hi:[0,1]
	v_pk_fma_f32 v[126:127], v[120:121], v[122:123], v[124:125] op_sel_hi:[1,0,1]
	v_pk_fma_f32 v[120:121], v[120:121], v[122:123], v[124:125] neg_lo:[0,0,1] neg_hi:[0,0,1]
	s_delay_alu instid0(VALU_DEP_2)
	v_mov_b32_e32 v121, v127
	scratch_store_b64 off, v[120:121], off offset:400
.LBB57_75:
	s_wait_xcnt 0x0
	s_or_b32 exec_lo, exec_lo, s30
	scratch_load_b64 v[120:121], off, off offset:392
	v_cmp_lt_u32_e64 s1, 49, v0
	s_wait_loadcnt 0x0
	ds_store_b64 v1, v[120:121]
	s_wait_storecnt_dscnt 0x0
	s_barrier_signal -1
	s_barrier_wait -1
	s_wait_xcnt 0x0
	s_and_saveexec_b32 s30, s1
	s_cbranch_execz .LBB57_85
; %bb.76:
	s_and_not1_b32 vcc_lo, exec_lo, s3
	s_cbranch_vccnz .LBB57_78
; %bb.77:
	scratch_load_b64 v[120:121], v57, off
	ds_load_b64 v[122:123], v1
	s_wait_loadcnt_dscnt 0x0
	v_pk_mul_f32 v[124:125], v[122:123], v[120:121] op_sel:[1,1] op_sel_hi:[0,1]
	s_delay_alu instid0(VALU_DEP_1) | instskip(SKIP_1) | instid1(VALU_DEP_2)
	v_pk_fma_f32 v[126:127], v[122:123], v[120:121], v[124:125] op_sel_hi:[1,0,1]
	v_pk_fma_f32 v[120:121], v[122:123], v[120:121], v[124:125] neg_lo:[0,0,1] neg_hi:[0,0,1]
	v_mov_b32_e32 v121, v127
	s_cbranch_execz .LBB57_79
	s_branch .LBB57_80
.LBB57_78:
                                        ; implicit-def: $vgpr120_vgpr121
.LBB57_79:
	ds_load_b64 v[120:121], v1
.LBB57_80:
	s_and_saveexec_b32 s31, s0
	s_cbranch_execz .LBB57_84
; %bb.81:
	v_subrev_nc_u32_e32 v122, 50, v0
	s_movk_i32 s33, 0x360
	s_mov_b32 s0, 0
.LBB57_82:                              ; =>This Inner Loop Header: Depth=1
	scratch_load_b64 v[124:125], off, s29
	v_dual_mov_b32 v123, s33 :: v_dual_add_nc_u32 v122, -1, v122
	s_add_co_i32 s33, s33, 8
	s_wait_xcnt 0x0
	s_add_co_i32 s29, s29, 8
	ds_load_b64 v[126:127], v123
	v_cmp_eq_u32_e32 vcc_lo, 0, v122
	s_or_b32 s0, vcc_lo, s0
	s_wait_loadcnt_dscnt 0x0
	v_pk_mul_f32 v[128:129], v[126:127], v[124:125] op_sel:[1,1] op_sel_hi:[0,1]
	s_delay_alu instid0(VALU_DEP_1) | instskip(SKIP_1) | instid1(VALU_DEP_2)
	v_pk_fma_f32 v[130:131], v[126:127], v[124:125], v[128:129] op_sel_hi:[1,0,1]
	v_pk_fma_f32 v[124:125], v[126:127], v[124:125], v[128:129] neg_lo:[0,0,1] neg_hi:[0,0,1]
	v_mov_b32_e32 v125, v131
	s_delay_alu instid0(VALU_DEP_1)
	v_pk_add_f32 v[120:121], v[120:121], v[124:125]
	s_and_not1_b32 exec_lo, exec_lo, s0
	s_cbranch_execnz .LBB57_82
; %bb.83:
	s_or_b32 exec_lo, exec_lo, s0
.LBB57_84:
	s_delay_alu instid0(SALU_CYCLE_1) | instskip(SKIP_4) | instid1(VALU_DEP_1)
	s_or_b32 exec_lo, exec_lo, s31
	v_mov_b32_e32 v122, 0
	ds_load_b64 v[122:123], v122 offset:392
	s_wait_dscnt 0x0
	v_pk_mul_f32 v[124:125], v[120:121], v[122:123] op_sel:[1,1] op_sel_hi:[0,1]
	v_pk_fma_f32 v[126:127], v[120:121], v[122:123], v[124:125] op_sel_hi:[1,0,1]
	v_pk_fma_f32 v[120:121], v[120:121], v[122:123], v[124:125] neg_lo:[0,0,1] neg_hi:[0,0,1]
	s_delay_alu instid0(VALU_DEP_2)
	v_mov_b32_e32 v121, v127
	scratch_store_b64 off, v[120:121], off offset:392
.LBB57_85:
	s_wait_xcnt 0x0
	s_or_b32 exec_lo, exec_lo, s30
	scratch_load_b64 v[120:121], off, off offset:384
	v_cmp_lt_u32_e64 s0, 48, v0
	s_wait_loadcnt 0x0
	ds_store_b64 v1, v[120:121]
	s_wait_storecnt_dscnt 0x0
	s_barrier_signal -1
	s_barrier_wait -1
	s_wait_xcnt 0x0
	s_and_saveexec_b32 s29, s0
	s_cbranch_execz .LBB57_95
; %bb.86:
	s_and_not1_b32 vcc_lo, exec_lo, s3
	s_cbranch_vccnz .LBB57_88
; %bb.87:
	scratch_load_b64 v[120:121], v57, off
	ds_load_b64 v[122:123], v1
	s_wait_loadcnt_dscnt 0x0
	v_pk_mul_f32 v[124:125], v[122:123], v[120:121] op_sel:[1,1] op_sel_hi:[0,1]
	s_delay_alu instid0(VALU_DEP_1) | instskip(SKIP_1) | instid1(VALU_DEP_2)
	v_pk_fma_f32 v[126:127], v[122:123], v[120:121], v[124:125] op_sel_hi:[1,0,1]
	v_pk_fma_f32 v[120:121], v[122:123], v[120:121], v[124:125] neg_lo:[0,0,1] neg_hi:[0,0,1]
	v_mov_b32_e32 v121, v127
	s_cbranch_execz .LBB57_89
	s_branch .LBB57_90
.LBB57_88:
                                        ; implicit-def: $vgpr120_vgpr121
.LBB57_89:
	ds_load_b64 v[120:121], v1
.LBB57_90:
	s_and_saveexec_b32 s30, s1
	s_cbranch_execz .LBB57_94
; %bb.91:
	v_subrev_nc_u32_e32 v122, 49, v0
	s_movk_i32 s1, 0x188
	s_movk_i32 s33, 0x358
	s_mov_b32 s31, 0
.LBB57_92:                              ; =>This Inner Loop Header: Depth=1
	scratch_load_b64 v[124:125], off, s1
	v_dual_mov_b32 v123, s33 :: v_dual_add_nc_u32 v122, -1, v122
	s_add_co_i32 s33, s33, 8
	s_wait_xcnt 0x0
	s_add_co_i32 s1, s1, 8
	ds_load_b64 v[126:127], v123
	v_cmp_eq_u32_e32 vcc_lo, 0, v122
	s_or_b32 s31, vcc_lo, s31
	s_wait_loadcnt_dscnt 0x0
	v_pk_mul_f32 v[128:129], v[126:127], v[124:125] op_sel:[1,1] op_sel_hi:[0,1]
	s_delay_alu instid0(VALU_DEP_1) | instskip(SKIP_1) | instid1(VALU_DEP_2)
	v_pk_fma_f32 v[130:131], v[126:127], v[124:125], v[128:129] op_sel_hi:[1,0,1]
	v_pk_fma_f32 v[124:125], v[126:127], v[124:125], v[128:129] neg_lo:[0,0,1] neg_hi:[0,0,1]
	v_mov_b32_e32 v125, v131
	s_delay_alu instid0(VALU_DEP_1)
	v_pk_add_f32 v[120:121], v[120:121], v[124:125]
	s_and_not1_b32 exec_lo, exec_lo, s31
	s_cbranch_execnz .LBB57_92
; %bb.93:
	s_or_b32 exec_lo, exec_lo, s31
.LBB57_94:
	s_delay_alu instid0(SALU_CYCLE_1) | instskip(SKIP_4) | instid1(VALU_DEP_1)
	s_or_b32 exec_lo, exec_lo, s30
	v_mov_b32_e32 v122, 0
	ds_load_b64 v[122:123], v122 offset:384
	s_wait_dscnt 0x0
	v_pk_mul_f32 v[124:125], v[120:121], v[122:123] op_sel:[1,1] op_sel_hi:[0,1]
	v_pk_fma_f32 v[126:127], v[120:121], v[122:123], v[124:125] op_sel_hi:[1,0,1]
	v_pk_fma_f32 v[120:121], v[120:121], v[122:123], v[124:125] neg_lo:[0,0,1] neg_hi:[0,0,1]
	s_delay_alu instid0(VALU_DEP_2)
	v_mov_b32_e32 v121, v127
	scratch_store_b64 off, v[120:121], off offset:384
.LBB57_95:
	s_wait_xcnt 0x0
	s_or_b32 exec_lo, exec_lo, s29
	scratch_load_b64 v[120:121], off, off offset:376
	v_cmp_lt_u32_e64 s1, 47, v0
	s_wait_loadcnt 0x0
	ds_store_b64 v1, v[120:121]
	s_wait_storecnt_dscnt 0x0
	s_barrier_signal -1
	s_barrier_wait -1
	s_wait_xcnt 0x0
	s_and_saveexec_b32 s29, s1
	s_cbranch_execz .LBB57_105
; %bb.96:
	s_and_not1_b32 vcc_lo, exec_lo, s3
	s_cbranch_vccnz .LBB57_98
; %bb.97:
	scratch_load_b64 v[120:121], v57, off
	ds_load_b64 v[122:123], v1
	s_wait_loadcnt_dscnt 0x0
	v_pk_mul_f32 v[124:125], v[122:123], v[120:121] op_sel:[1,1] op_sel_hi:[0,1]
	s_delay_alu instid0(VALU_DEP_1) | instskip(SKIP_1) | instid1(VALU_DEP_2)
	v_pk_fma_f32 v[126:127], v[122:123], v[120:121], v[124:125] op_sel_hi:[1,0,1]
	v_pk_fma_f32 v[120:121], v[122:123], v[120:121], v[124:125] neg_lo:[0,0,1] neg_hi:[0,0,1]
	v_mov_b32_e32 v121, v127
	s_cbranch_execz .LBB57_99
	s_branch .LBB57_100
.LBB57_98:
                                        ; implicit-def: $vgpr120_vgpr121
.LBB57_99:
	ds_load_b64 v[120:121], v1
.LBB57_100:
	s_and_saveexec_b32 s30, s0
	s_cbranch_execz .LBB57_104
; %bb.101:
	v_subrev_nc_u32_e32 v122, 48, v0
	s_movk_i32 s31, 0x350
	s_mov_b32 s0, 0
.LBB57_102:                             ; =>This Inner Loop Header: Depth=1
	scratch_load_b64 v[124:125], off, s28
	v_dual_mov_b32 v123, s31 :: v_dual_add_nc_u32 v122, -1, v122
	s_add_co_i32 s31, s31, 8
	s_wait_xcnt 0x0
	s_add_co_i32 s28, s28, 8
	ds_load_b64 v[126:127], v123
	v_cmp_eq_u32_e32 vcc_lo, 0, v122
	s_or_b32 s0, vcc_lo, s0
	s_wait_loadcnt_dscnt 0x0
	v_pk_mul_f32 v[128:129], v[126:127], v[124:125] op_sel:[1,1] op_sel_hi:[0,1]
	s_delay_alu instid0(VALU_DEP_1) | instskip(SKIP_1) | instid1(VALU_DEP_2)
	v_pk_fma_f32 v[130:131], v[126:127], v[124:125], v[128:129] op_sel_hi:[1,0,1]
	v_pk_fma_f32 v[124:125], v[126:127], v[124:125], v[128:129] neg_lo:[0,0,1] neg_hi:[0,0,1]
	v_mov_b32_e32 v125, v131
	s_delay_alu instid0(VALU_DEP_1)
	v_pk_add_f32 v[120:121], v[120:121], v[124:125]
	s_and_not1_b32 exec_lo, exec_lo, s0
	s_cbranch_execnz .LBB57_102
; %bb.103:
	s_or_b32 exec_lo, exec_lo, s0
.LBB57_104:
	s_delay_alu instid0(SALU_CYCLE_1) | instskip(SKIP_4) | instid1(VALU_DEP_1)
	s_or_b32 exec_lo, exec_lo, s30
	v_mov_b32_e32 v122, 0
	ds_load_b64 v[122:123], v122 offset:376
	s_wait_dscnt 0x0
	v_pk_mul_f32 v[124:125], v[120:121], v[122:123] op_sel:[1,1] op_sel_hi:[0,1]
	v_pk_fma_f32 v[126:127], v[120:121], v[122:123], v[124:125] op_sel_hi:[1,0,1]
	v_pk_fma_f32 v[120:121], v[120:121], v[122:123], v[124:125] neg_lo:[0,0,1] neg_hi:[0,0,1]
	s_delay_alu instid0(VALU_DEP_2)
	v_mov_b32_e32 v121, v127
	scratch_store_b64 off, v[120:121], off offset:376
.LBB57_105:
	s_wait_xcnt 0x0
	s_or_b32 exec_lo, exec_lo, s29
	scratch_load_b64 v[120:121], off, off offset:368
	v_cmp_lt_u32_e64 s0, 46, v0
	s_wait_loadcnt 0x0
	ds_store_b64 v1, v[120:121]
	s_wait_storecnt_dscnt 0x0
	s_barrier_signal -1
	s_barrier_wait -1
	s_wait_xcnt 0x0
	s_and_saveexec_b32 s28, s0
	s_cbranch_execz .LBB57_115
; %bb.106:
	s_and_not1_b32 vcc_lo, exec_lo, s3
	s_cbranch_vccnz .LBB57_108
; %bb.107:
	scratch_load_b64 v[120:121], v57, off
	ds_load_b64 v[122:123], v1
	s_wait_loadcnt_dscnt 0x0
	v_pk_mul_f32 v[124:125], v[122:123], v[120:121] op_sel:[1,1] op_sel_hi:[0,1]
	s_delay_alu instid0(VALU_DEP_1) | instskip(SKIP_1) | instid1(VALU_DEP_2)
	v_pk_fma_f32 v[126:127], v[122:123], v[120:121], v[124:125] op_sel_hi:[1,0,1]
	v_pk_fma_f32 v[120:121], v[122:123], v[120:121], v[124:125] neg_lo:[0,0,1] neg_hi:[0,0,1]
	v_mov_b32_e32 v121, v127
	s_cbranch_execz .LBB57_109
	s_branch .LBB57_110
.LBB57_108:
                                        ; implicit-def: $vgpr120_vgpr121
.LBB57_109:
	ds_load_b64 v[120:121], v1
.LBB57_110:
	s_and_saveexec_b32 s29, s1
	s_cbranch_execz .LBB57_114
; %bb.111:
	v_subrev_nc_u32_e32 v122, 47, v0
	s_movk_i32 s1, 0x178
	s_movk_i32 s31, 0x348
	s_mov_b32 s30, 0
.LBB57_112:                             ; =>This Inner Loop Header: Depth=1
	scratch_load_b64 v[124:125], off, s1
	v_dual_mov_b32 v123, s31 :: v_dual_add_nc_u32 v122, -1, v122
	s_add_co_i32 s31, s31, 8
	s_wait_xcnt 0x0
	s_add_co_i32 s1, s1, 8
	ds_load_b64 v[126:127], v123
	v_cmp_eq_u32_e32 vcc_lo, 0, v122
	s_or_b32 s30, vcc_lo, s30
	s_wait_loadcnt_dscnt 0x0
	v_pk_mul_f32 v[128:129], v[126:127], v[124:125] op_sel:[1,1] op_sel_hi:[0,1]
	s_delay_alu instid0(VALU_DEP_1) | instskip(SKIP_1) | instid1(VALU_DEP_2)
	v_pk_fma_f32 v[130:131], v[126:127], v[124:125], v[128:129] op_sel_hi:[1,0,1]
	v_pk_fma_f32 v[124:125], v[126:127], v[124:125], v[128:129] neg_lo:[0,0,1] neg_hi:[0,0,1]
	v_mov_b32_e32 v125, v131
	s_delay_alu instid0(VALU_DEP_1)
	v_pk_add_f32 v[120:121], v[120:121], v[124:125]
	s_and_not1_b32 exec_lo, exec_lo, s30
	s_cbranch_execnz .LBB57_112
; %bb.113:
	s_or_b32 exec_lo, exec_lo, s30
.LBB57_114:
	s_delay_alu instid0(SALU_CYCLE_1) | instskip(SKIP_4) | instid1(VALU_DEP_1)
	s_or_b32 exec_lo, exec_lo, s29
	v_mov_b32_e32 v122, 0
	ds_load_b64 v[122:123], v122 offset:368
	s_wait_dscnt 0x0
	v_pk_mul_f32 v[124:125], v[120:121], v[122:123] op_sel:[1,1] op_sel_hi:[0,1]
	v_pk_fma_f32 v[126:127], v[120:121], v[122:123], v[124:125] op_sel_hi:[1,0,1]
	v_pk_fma_f32 v[120:121], v[120:121], v[122:123], v[124:125] neg_lo:[0,0,1] neg_hi:[0,0,1]
	s_delay_alu instid0(VALU_DEP_2)
	v_mov_b32_e32 v121, v127
	scratch_store_b64 off, v[120:121], off offset:368
.LBB57_115:
	s_wait_xcnt 0x0
	s_or_b32 exec_lo, exec_lo, s28
	scratch_load_b64 v[120:121], off, off offset:360
	v_cmp_lt_u32_e64 s1, 45, v0
	s_wait_loadcnt 0x0
	ds_store_b64 v1, v[120:121]
	s_wait_storecnt_dscnt 0x0
	s_barrier_signal -1
	s_barrier_wait -1
	s_wait_xcnt 0x0
	s_and_saveexec_b32 s28, s1
	s_cbranch_execz .LBB57_125
; %bb.116:
	s_and_not1_b32 vcc_lo, exec_lo, s3
	s_cbranch_vccnz .LBB57_118
; %bb.117:
	scratch_load_b64 v[120:121], v57, off
	ds_load_b64 v[122:123], v1
	s_wait_loadcnt_dscnt 0x0
	v_pk_mul_f32 v[124:125], v[122:123], v[120:121] op_sel:[1,1] op_sel_hi:[0,1]
	s_delay_alu instid0(VALU_DEP_1) | instskip(SKIP_1) | instid1(VALU_DEP_2)
	v_pk_fma_f32 v[126:127], v[122:123], v[120:121], v[124:125] op_sel_hi:[1,0,1]
	v_pk_fma_f32 v[120:121], v[122:123], v[120:121], v[124:125] neg_lo:[0,0,1] neg_hi:[0,0,1]
	v_mov_b32_e32 v121, v127
	s_cbranch_execz .LBB57_119
	s_branch .LBB57_120
.LBB57_118:
                                        ; implicit-def: $vgpr120_vgpr121
.LBB57_119:
	ds_load_b64 v[120:121], v1
.LBB57_120:
	s_and_saveexec_b32 s29, s0
	s_cbranch_execz .LBB57_124
; %bb.121:
	v_subrev_nc_u32_e32 v122, 46, v0
	s_movk_i32 s30, 0x340
	s_mov_b32 s0, 0
.LBB57_122:                             ; =>This Inner Loop Header: Depth=1
	scratch_load_b64 v[124:125], off, s27
	v_dual_mov_b32 v123, s30 :: v_dual_add_nc_u32 v122, -1, v122
	s_add_co_i32 s30, s30, 8
	s_wait_xcnt 0x0
	s_add_co_i32 s27, s27, 8
	ds_load_b64 v[126:127], v123
	v_cmp_eq_u32_e32 vcc_lo, 0, v122
	s_or_b32 s0, vcc_lo, s0
	s_wait_loadcnt_dscnt 0x0
	v_pk_mul_f32 v[128:129], v[126:127], v[124:125] op_sel:[1,1] op_sel_hi:[0,1]
	s_delay_alu instid0(VALU_DEP_1) | instskip(SKIP_1) | instid1(VALU_DEP_2)
	v_pk_fma_f32 v[130:131], v[126:127], v[124:125], v[128:129] op_sel_hi:[1,0,1]
	v_pk_fma_f32 v[124:125], v[126:127], v[124:125], v[128:129] neg_lo:[0,0,1] neg_hi:[0,0,1]
	v_mov_b32_e32 v125, v131
	s_delay_alu instid0(VALU_DEP_1)
	v_pk_add_f32 v[120:121], v[120:121], v[124:125]
	s_and_not1_b32 exec_lo, exec_lo, s0
	s_cbranch_execnz .LBB57_122
; %bb.123:
	s_or_b32 exec_lo, exec_lo, s0
.LBB57_124:
	s_delay_alu instid0(SALU_CYCLE_1) | instskip(SKIP_4) | instid1(VALU_DEP_1)
	s_or_b32 exec_lo, exec_lo, s29
	v_mov_b32_e32 v122, 0
	ds_load_b64 v[122:123], v122 offset:360
	s_wait_dscnt 0x0
	v_pk_mul_f32 v[124:125], v[120:121], v[122:123] op_sel:[1,1] op_sel_hi:[0,1]
	v_pk_fma_f32 v[126:127], v[120:121], v[122:123], v[124:125] op_sel_hi:[1,0,1]
	v_pk_fma_f32 v[120:121], v[120:121], v[122:123], v[124:125] neg_lo:[0,0,1] neg_hi:[0,0,1]
	s_delay_alu instid0(VALU_DEP_2)
	v_mov_b32_e32 v121, v127
	scratch_store_b64 off, v[120:121], off offset:360
.LBB57_125:
	s_wait_xcnt 0x0
	s_or_b32 exec_lo, exec_lo, s28
	scratch_load_b64 v[120:121], off, off offset:352
	v_cmp_lt_u32_e64 s0, 44, v0
	s_wait_loadcnt 0x0
	ds_store_b64 v1, v[120:121]
	s_wait_storecnt_dscnt 0x0
	s_barrier_signal -1
	s_barrier_wait -1
	s_wait_xcnt 0x0
	s_and_saveexec_b32 s27, s0
	s_cbranch_execz .LBB57_135
; %bb.126:
	s_and_not1_b32 vcc_lo, exec_lo, s3
	s_cbranch_vccnz .LBB57_128
; %bb.127:
	scratch_load_b64 v[120:121], v57, off
	ds_load_b64 v[122:123], v1
	s_wait_loadcnt_dscnt 0x0
	v_pk_mul_f32 v[124:125], v[122:123], v[120:121] op_sel:[1,1] op_sel_hi:[0,1]
	s_delay_alu instid0(VALU_DEP_1) | instskip(SKIP_1) | instid1(VALU_DEP_2)
	v_pk_fma_f32 v[126:127], v[122:123], v[120:121], v[124:125] op_sel_hi:[1,0,1]
	v_pk_fma_f32 v[120:121], v[122:123], v[120:121], v[124:125] neg_lo:[0,0,1] neg_hi:[0,0,1]
	v_mov_b32_e32 v121, v127
	s_cbranch_execz .LBB57_129
	s_branch .LBB57_130
.LBB57_128:
                                        ; implicit-def: $vgpr120_vgpr121
.LBB57_129:
	ds_load_b64 v[120:121], v1
.LBB57_130:
	s_and_saveexec_b32 s28, s1
	s_cbranch_execz .LBB57_134
; %bb.131:
	v_subrev_nc_u32_e32 v122, 45, v0
	s_movk_i32 s1, 0x168
	s_movk_i32 s30, 0x338
	s_mov_b32 s29, 0
.LBB57_132:                             ; =>This Inner Loop Header: Depth=1
	scratch_load_b64 v[124:125], off, s1
	v_dual_mov_b32 v123, s30 :: v_dual_add_nc_u32 v122, -1, v122
	s_add_co_i32 s30, s30, 8
	s_wait_xcnt 0x0
	s_add_co_i32 s1, s1, 8
	ds_load_b64 v[126:127], v123
	v_cmp_eq_u32_e32 vcc_lo, 0, v122
	s_or_b32 s29, vcc_lo, s29
	s_wait_loadcnt_dscnt 0x0
	v_pk_mul_f32 v[128:129], v[126:127], v[124:125] op_sel:[1,1] op_sel_hi:[0,1]
	s_delay_alu instid0(VALU_DEP_1) | instskip(SKIP_1) | instid1(VALU_DEP_2)
	v_pk_fma_f32 v[130:131], v[126:127], v[124:125], v[128:129] op_sel_hi:[1,0,1]
	v_pk_fma_f32 v[124:125], v[126:127], v[124:125], v[128:129] neg_lo:[0,0,1] neg_hi:[0,0,1]
	v_mov_b32_e32 v125, v131
	s_delay_alu instid0(VALU_DEP_1)
	v_pk_add_f32 v[120:121], v[120:121], v[124:125]
	s_and_not1_b32 exec_lo, exec_lo, s29
	s_cbranch_execnz .LBB57_132
; %bb.133:
	s_or_b32 exec_lo, exec_lo, s29
.LBB57_134:
	s_delay_alu instid0(SALU_CYCLE_1) | instskip(SKIP_4) | instid1(VALU_DEP_1)
	s_or_b32 exec_lo, exec_lo, s28
	v_mov_b32_e32 v122, 0
	ds_load_b64 v[122:123], v122 offset:352
	s_wait_dscnt 0x0
	v_pk_mul_f32 v[124:125], v[120:121], v[122:123] op_sel:[1,1] op_sel_hi:[0,1]
	v_pk_fma_f32 v[126:127], v[120:121], v[122:123], v[124:125] op_sel_hi:[1,0,1]
	v_pk_fma_f32 v[120:121], v[120:121], v[122:123], v[124:125] neg_lo:[0,0,1] neg_hi:[0,0,1]
	s_delay_alu instid0(VALU_DEP_2)
	v_mov_b32_e32 v121, v127
	scratch_store_b64 off, v[120:121], off offset:352
.LBB57_135:
	s_wait_xcnt 0x0
	s_or_b32 exec_lo, exec_lo, s27
	scratch_load_b64 v[120:121], off, off offset:344
	v_cmp_lt_u32_e64 s1, 43, v0
	s_wait_loadcnt 0x0
	ds_store_b64 v1, v[120:121]
	s_wait_storecnt_dscnt 0x0
	s_barrier_signal -1
	s_barrier_wait -1
	s_wait_xcnt 0x0
	s_and_saveexec_b32 s27, s1
	s_cbranch_execz .LBB57_145
; %bb.136:
	s_and_not1_b32 vcc_lo, exec_lo, s3
	s_cbranch_vccnz .LBB57_138
; %bb.137:
	scratch_load_b64 v[120:121], v57, off
	ds_load_b64 v[122:123], v1
	s_wait_loadcnt_dscnt 0x0
	v_pk_mul_f32 v[124:125], v[122:123], v[120:121] op_sel:[1,1] op_sel_hi:[0,1]
	s_delay_alu instid0(VALU_DEP_1) | instskip(SKIP_1) | instid1(VALU_DEP_2)
	v_pk_fma_f32 v[126:127], v[122:123], v[120:121], v[124:125] op_sel_hi:[1,0,1]
	v_pk_fma_f32 v[120:121], v[122:123], v[120:121], v[124:125] neg_lo:[0,0,1] neg_hi:[0,0,1]
	v_mov_b32_e32 v121, v127
	s_cbranch_execz .LBB57_139
	s_branch .LBB57_140
.LBB57_138:
                                        ; implicit-def: $vgpr120_vgpr121
.LBB57_139:
	ds_load_b64 v[120:121], v1
.LBB57_140:
	s_and_saveexec_b32 s28, s0
	s_cbranch_execz .LBB57_144
; %bb.141:
	v_subrev_nc_u32_e32 v122, 44, v0
	s_movk_i32 s29, 0x330
	s_mov_b32 s0, 0
.LBB57_142:                             ; =>This Inner Loop Header: Depth=1
	scratch_load_b64 v[124:125], off, s26
	v_dual_mov_b32 v123, s29 :: v_dual_add_nc_u32 v122, -1, v122
	s_add_co_i32 s29, s29, 8
	s_wait_xcnt 0x0
	s_add_co_i32 s26, s26, 8
	ds_load_b64 v[126:127], v123
	v_cmp_eq_u32_e32 vcc_lo, 0, v122
	s_or_b32 s0, vcc_lo, s0
	s_wait_loadcnt_dscnt 0x0
	v_pk_mul_f32 v[128:129], v[126:127], v[124:125] op_sel:[1,1] op_sel_hi:[0,1]
	s_delay_alu instid0(VALU_DEP_1) | instskip(SKIP_1) | instid1(VALU_DEP_2)
	v_pk_fma_f32 v[130:131], v[126:127], v[124:125], v[128:129] op_sel_hi:[1,0,1]
	v_pk_fma_f32 v[124:125], v[126:127], v[124:125], v[128:129] neg_lo:[0,0,1] neg_hi:[0,0,1]
	v_mov_b32_e32 v125, v131
	s_delay_alu instid0(VALU_DEP_1)
	v_pk_add_f32 v[120:121], v[120:121], v[124:125]
	s_and_not1_b32 exec_lo, exec_lo, s0
	s_cbranch_execnz .LBB57_142
; %bb.143:
	s_or_b32 exec_lo, exec_lo, s0
.LBB57_144:
	s_delay_alu instid0(SALU_CYCLE_1) | instskip(SKIP_4) | instid1(VALU_DEP_1)
	s_or_b32 exec_lo, exec_lo, s28
	v_mov_b32_e32 v122, 0
	ds_load_b64 v[122:123], v122 offset:344
	s_wait_dscnt 0x0
	v_pk_mul_f32 v[124:125], v[120:121], v[122:123] op_sel:[1,1] op_sel_hi:[0,1]
	v_pk_fma_f32 v[126:127], v[120:121], v[122:123], v[124:125] op_sel_hi:[1,0,1]
	v_pk_fma_f32 v[120:121], v[120:121], v[122:123], v[124:125] neg_lo:[0,0,1] neg_hi:[0,0,1]
	s_delay_alu instid0(VALU_DEP_2)
	v_mov_b32_e32 v121, v127
	scratch_store_b64 off, v[120:121], off offset:344
.LBB57_145:
	s_wait_xcnt 0x0
	s_or_b32 exec_lo, exec_lo, s27
	scratch_load_b64 v[120:121], off, off offset:336
	v_cmp_lt_u32_e64 s0, 42, v0
	s_wait_loadcnt 0x0
	ds_store_b64 v1, v[120:121]
	s_wait_storecnt_dscnt 0x0
	s_barrier_signal -1
	s_barrier_wait -1
	s_wait_xcnt 0x0
	s_and_saveexec_b32 s26, s0
	s_cbranch_execz .LBB57_155
; %bb.146:
	s_and_not1_b32 vcc_lo, exec_lo, s3
	s_cbranch_vccnz .LBB57_148
; %bb.147:
	scratch_load_b64 v[120:121], v57, off
	ds_load_b64 v[122:123], v1
	s_wait_loadcnt_dscnt 0x0
	v_pk_mul_f32 v[124:125], v[122:123], v[120:121] op_sel:[1,1] op_sel_hi:[0,1]
	s_delay_alu instid0(VALU_DEP_1) | instskip(SKIP_1) | instid1(VALU_DEP_2)
	v_pk_fma_f32 v[126:127], v[122:123], v[120:121], v[124:125] op_sel_hi:[1,0,1]
	v_pk_fma_f32 v[120:121], v[122:123], v[120:121], v[124:125] neg_lo:[0,0,1] neg_hi:[0,0,1]
	v_mov_b32_e32 v121, v127
	s_cbranch_execz .LBB57_149
	s_branch .LBB57_150
.LBB57_148:
                                        ; implicit-def: $vgpr120_vgpr121
.LBB57_149:
	ds_load_b64 v[120:121], v1
.LBB57_150:
	s_and_saveexec_b32 s27, s1
	s_cbranch_execz .LBB57_154
; %bb.151:
	v_subrev_nc_u32_e32 v122, 43, v0
	s_movk_i32 s1, 0x158
	s_movk_i32 s29, 0x328
	s_mov_b32 s28, 0
.LBB57_152:                             ; =>This Inner Loop Header: Depth=1
	scratch_load_b64 v[124:125], off, s1
	v_dual_mov_b32 v123, s29 :: v_dual_add_nc_u32 v122, -1, v122
	s_add_co_i32 s29, s29, 8
	s_wait_xcnt 0x0
	s_add_co_i32 s1, s1, 8
	ds_load_b64 v[126:127], v123
	v_cmp_eq_u32_e32 vcc_lo, 0, v122
	s_or_b32 s28, vcc_lo, s28
	s_wait_loadcnt_dscnt 0x0
	v_pk_mul_f32 v[128:129], v[126:127], v[124:125] op_sel:[1,1] op_sel_hi:[0,1]
	s_delay_alu instid0(VALU_DEP_1) | instskip(SKIP_1) | instid1(VALU_DEP_2)
	v_pk_fma_f32 v[130:131], v[126:127], v[124:125], v[128:129] op_sel_hi:[1,0,1]
	v_pk_fma_f32 v[124:125], v[126:127], v[124:125], v[128:129] neg_lo:[0,0,1] neg_hi:[0,0,1]
	v_mov_b32_e32 v125, v131
	s_delay_alu instid0(VALU_DEP_1)
	v_pk_add_f32 v[120:121], v[120:121], v[124:125]
	s_and_not1_b32 exec_lo, exec_lo, s28
	s_cbranch_execnz .LBB57_152
; %bb.153:
	s_or_b32 exec_lo, exec_lo, s28
.LBB57_154:
	s_delay_alu instid0(SALU_CYCLE_1) | instskip(SKIP_4) | instid1(VALU_DEP_1)
	s_or_b32 exec_lo, exec_lo, s27
	v_mov_b32_e32 v122, 0
	ds_load_b64 v[122:123], v122 offset:336
	s_wait_dscnt 0x0
	v_pk_mul_f32 v[124:125], v[120:121], v[122:123] op_sel:[1,1] op_sel_hi:[0,1]
	v_pk_fma_f32 v[126:127], v[120:121], v[122:123], v[124:125] op_sel_hi:[1,0,1]
	v_pk_fma_f32 v[120:121], v[120:121], v[122:123], v[124:125] neg_lo:[0,0,1] neg_hi:[0,0,1]
	s_delay_alu instid0(VALU_DEP_2)
	v_mov_b32_e32 v121, v127
	scratch_store_b64 off, v[120:121], off offset:336
.LBB57_155:
	s_wait_xcnt 0x0
	s_or_b32 exec_lo, exec_lo, s26
	scratch_load_b64 v[120:121], off, off offset:328
	v_cmp_lt_u32_e64 s1, 41, v0
	s_wait_loadcnt 0x0
	ds_store_b64 v1, v[120:121]
	s_wait_storecnt_dscnt 0x0
	s_barrier_signal -1
	s_barrier_wait -1
	s_wait_xcnt 0x0
	s_and_saveexec_b32 s26, s1
	s_cbranch_execz .LBB57_165
; %bb.156:
	s_and_not1_b32 vcc_lo, exec_lo, s3
	s_cbranch_vccnz .LBB57_158
; %bb.157:
	scratch_load_b64 v[120:121], v57, off
	ds_load_b64 v[122:123], v1
	s_wait_loadcnt_dscnt 0x0
	v_pk_mul_f32 v[124:125], v[122:123], v[120:121] op_sel:[1,1] op_sel_hi:[0,1]
	s_delay_alu instid0(VALU_DEP_1) | instskip(SKIP_1) | instid1(VALU_DEP_2)
	v_pk_fma_f32 v[126:127], v[122:123], v[120:121], v[124:125] op_sel_hi:[1,0,1]
	v_pk_fma_f32 v[120:121], v[122:123], v[120:121], v[124:125] neg_lo:[0,0,1] neg_hi:[0,0,1]
	v_mov_b32_e32 v121, v127
	s_cbranch_execz .LBB57_159
	s_branch .LBB57_160
.LBB57_158:
                                        ; implicit-def: $vgpr120_vgpr121
.LBB57_159:
	ds_load_b64 v[120:121], v1
.LBB57_160:
	s_and_saveexec_b32 s27, s0
	s_cbranch_execz .LBB57_164
; %bb.161:
	v_subrev_nc_u32_e32 v122, 42, v0
	s_movk_i32 s28, 0x320
	s_mov_b32 s0, 0
.LBB57_162:                             ; =>This Inner Loop Header: Depth=1
	scratch_load_b64 v[124:125], off, s25
	v_dual_mov_b32 v123, s28 :: v_dual_add_nc_u32 v122, -1, v122
	s_add_co_i32 s28, s28, 8
	s_wait_xcnt 0x0
	s_add_co_i32 s25, s25, 8
	ds_load_b64 v[126:127], v123
	v_cmp_eq_u32_e32 vcc_lo, 0, v122
	s_or_b32 s0, vcc_lo, s0
	s_wait_loadcnt_dscnt 0x0
	v_pk_mul_f32 v[128:129], v[126:127], v[124:125] op_sel:[1,1] op_sel_hi:[0,1]
	s_delay_alu instid0(VALU_DEP_1) | instskip(SKIP_1) | instid1(VALU_DEP_2)
	v_pk_fma_f32 v[130:131], v[126:127], v[124:125], v[128:129] op_sel_hi:[1,0,1]
	v_pk_fma_f32 v[124:125], v[126:127], v[124:125], v[128:129] neg_lo:[0,0,1] neg_hi:[0,0,1]
	v_mov_b32_e32 v125, v131
	s_delay_alu instid0(VALU_DEP_1)
	v_pk_add_f32 v[120:121], v[120:121], v[124:125]
	s_and_not1_b32 exec_lo, exec_lo, s0
	s_cbranch_execnz .LBB57_162
; %bb.163:
	s_or_b32 exec_lo, exec_lo, s0
.LBB57_164:
	s_delay_alu instid0(SALU_CYCLE_1) | instskip(SKIP_4) | instid1(VALU_DEP_1)
	s_or_b32 exec_lo, exec_lo, s27
	v_mov_b32_e32 v122, 0
	ds_load_b64 v[122:123], v122 offset:328
	s_wait_dscnt 0x0
	v_pk_mul_f32 v[124:125], v[120:121], v[122:123] op_sel:[1,1] op_sel_hi:[0,1]
	v_pk_fma_f32 v[126:127], v[120:121], v[122:123], v[124:125] op_sel_hi:[1,0,1]
	v_pk_fma_f32 v[120:121], v[120:121], v[122:123], v[124:125] neg_lo:[0,0,1] neg_hi:[0,0,1]
	s_delay_alu instid0(VALU_DEP_2)
	v_mov_b32_e32 v121, v127
	scratch_store_b64 off, v[120:121], off offset:328
.LBB57_165:
	s_wait_xcnt 0x0
	s_or_b32 exec_lo, exec_lo, s26
	scratch_load_b64 v[120:121], off, off offset:320
	v_cmp_lt_u32_e64 s0, 40, v0
	s_wait_loadcnt 0x0
	ds_store_b64 v1, v[120:121]
	s_wait_storecnt_dscnt 0x0
	s_barrier_signal -1
	s_barrier_wait -1
	s_wait_xcnt 0x0
	s_and_saveexec_b32 s25, s0
	s_cbranch_execz .LBB57_175
; %bb.166:
	s_and_not1_b32 vcc_lo, exec_lo, s3
	s_cbranch_vccnz .LBB57_168
; %bb.167:
	scratch_load_b64 v[120:121], v57, off
	ds_load_b64 v[122:123], v1
	s_wait_loadcnt_dscnt 0x0
	v_pk_mul_f32 v[124:125], v[122:123], v[120:121] op_sel:[1,1] op_sel_hi:[0,1]
	s_delay_alu instid0(VALU_DEP_1) | instskip(SKIP_1) | instid1(VALU_DEP_2)
	v_pk_fma_f32 v[126:127], v[122:123], v[120:121], v[124:125] op_sel_hi:[1,0,1]
	v_pk_fma_f32 v[120:121], v[122:123], v[120:121], v[124:125] neg_lo:[0,0,1] neg_hi:[0,0,1]
	v_mov_b32_e32 v121, v127
	s_cbranch_execz .LBB57_169
	s_branch .LBB57_170
.LBB57_168:
                                        ; implicit-def: $vgpr120_vgpr121
.LBB57_169:
	ds_load_b64 v[120:121], v1
.LBB57_170:
	s_and_saveexec_b32 s26, s1
	s_cbranch_execz .LBB57_174
; %bb.171:
	v_subrev_nc_u32_e32 v122, 41, v0
	s_movk_i32 s1, 0x148
	s_movk_i32 s28, 0x318
	s_mov_b32 s27, 0
.LBB57_172:                             ; =>This Inner Loop Header: Depth=1
	scratch_load_b64 v[124:125], off, s1
	v_dual_mov_b32 v123, s28 :: v_dual_add_nc_u32 v122, -1, v122
	s_add_co_i32 s28, s28, 8
	s_wait_xcnt 0x0
	s_add_co_i32 s1, s1, 8
	ds_load_b64 v[126:127], v123
	v_cmp_eq_u32_e32 vcc_lo, 0, v122
	s_or_b32 s27, vcc_lo, s27
	s_wait_loadcnt_dscnt 0x0
	v_pk_mul_f32 v[128:129], v[126:127], v[124:125] op_sel:[1,1] op_sel_hi:[0,1]
	s_delay_alu instid0(VALU_DEP_1) | instskip(SKIP_1) | instid1(VALU_DEP_2)
	v_pk_fma_f32 v[130:131], v[126:127], v[124:125], v[128:129] op_sel_hi:[1,0,1]
	v_pk_fma_f32 v[124:125], v[126:127], v[124:125], v[128:129] neg_lo:[0,0,1] neg_hi:[0,0,1]
	v_mov_b32_e32 v125, v131
	s_delay_alu instid0(VALU_DEP_1)
	v_pk_add_f32 v[120:121], v[120:121], v[124:125]
	s_and_not1_b32 exec_lo, exec_lo, s27
	s_cbranch_execnz .LBB57_172
; %bb.173:
	s_or_b32 exec_lo, exec_lo, s27
.LBB57_174:
	s_delay_alu instid0(SALU_CYCLE_1) | instskip(SKIP_4) | instid1(VALU_DEP_1)
	s_or_b32 exec_lo, exec_lo, s26
	v_mov_b32_e32 v122, 0
	ds_load_b64 v[122:123], v122 offset:320
	s_wait_dscnt 0x0
	v_pk_mul_f32 v[124:125], v[120:121], v[122:123] op_sel:[1,1] op_sel_hi:[0,1]
	v_pk_fma_f32 v[126:127], v[120:121], v[122:123], v[124:125] op_sel_hi:[1,0,1]
	v_pk_fma_f32 v[120:121], v[120:121], v[122:123], v[124:125] neg_lo:[0,0,1] neg_hi:[0,0,1]
	s_delay_alu instid0(VALU_DEP_2)
	v_mov_b32_e32 v121, v127
	scratch_store_b64 off, v[120:121], off offset:320
.LBB57_175:
	s_wait_xcnt 0x0
	s_or_b32 exec_lo, exec_lo, s25
	scratch_load_b64 v[120:121], off, off offset:312
	v_cmp_lt_u32_e64 s1, 39, v0
	s_wait_loadcnt 0x0
	ds_store_b64 v1, v[120:121]
	s_wait_storecnt_dscnt 0x0
	s_barrier_signal -1
	s_barrier_wait -1
	s_wait_xcnt 0x0
	s_and_saveexec_b32 s25, s1
	s_cbranch_execz .LBB57_185
; %bb.176:
	s_and_not1_b32 vcc_lo, exec_lo, s3
	s_cbranch_vccnz .LBB57_178
; %bb.177:
	scratch_load_b64 v[120:121], v57, off
	ds_load_b64 v[122:123], v1
	s_wait_loadcnt_dscnt 0x0
	v_pk_mul_f32 v[124:125], v[122:123], v[120:121] op_sel:[1,1] op_sel_hi:[0,1]
	s_delay_alu instid0(VALU_DEP_1) | instskip(SKIP_1) | instid1(VALU_DEP_2)
	v_pk_fma_f32 v[126:127], v[122:123], v[120:121], v[124:125] op_sel_hi:[1,0,1]
	v_pk_fma_f32 v[120:121], v[122:123], v[120:121], v[124:125] neg_lo:[0,0,1] neg_hi:[0,0,1]
	v_mov_b32_e32 v121, v127
	s_cbranch_execz .LBB57_179
	s_branch .LBB57_180
.LBB57_178:
                                        ; implicit-def: $vgpr120_vgpr121
.LBB57_179:
	ds_load_b64 v[120:121], v1
.LBB57_180:
	s_and_saveexec_b32 s26, s0
	s_cbranch_execz .LBB57_184
; %bb.181:
	v_subrev_nc_u32_e32 v122, 40, v0
	s_movk_i32 s27, 0x310
	s_mov_b32 s0, 0
.LBB57_182:                             ; =>This Inner Loop Header: Depth=1
	scratch_load_b64 v[124:125], off, s24
	v_dual_mov_b32 v123, s27 :: v_dual_add_nc_u32 v122, -1, v122
	s_add_co_i32 s27, s27, 8
	s_wait_xcnt 0x0
	s_add_co_i32 s24, s24, 8
	ds_load_b64 v[126:127], v123
	v_cmp_eq_u32_e32 vcc_lo, 0, v122
	s_or_b32 s0, vcc_lo, s0
	s_wait_loadcnt_dscnt 0x0
	v_pk_mul_f32 v[128:129], v[126:127], v[124:125] op_sel:[1,1] op_sel_hi:[0,1]
	s_delay_alu instid0(VALU_DEP_1) | instskip(SKIP_1) | instid1(VALU_DEP_2)
	v_pk_fma_f32 v[130:131], v[126:127], v[124:125], v[128:129] op_sel_hi:[1,0,1]
	v_pk_fma_f32 v[124:125], v[126:127], v[124:125], v[128:129] neg_lo:[0,0,1] neg_hi:[0,0,1]
	v_mov_b32_e32 v125, v131
	s_delay_alu instid0(VALU_DEP_1)
	v_pk_add_f32 v[120:121], v[120:121], v[124:125]
	s_and_not1_b32 exec_lo, exec_lo, s0
	s_cbranch_execnz .LBB57_182
; %bb.183:
	s_or_b32 exec_lo, exec_lo, s0
.LBB57_184:
	s_delay_alu instid0(SALU_CYCLE_1) | instskip(SKIP_4) | instid1(VALU_DEP_1)
	s_or_b32 exec_lo, exec_lo, s26
	v_mov_b32_e32 v122, 0
	ds_load_b64 v[122:123], v122 offset:312
	s_wait_dscnt 0x0
	v_pk_mul_f32 v[124:125], v[120:121], v[122:123] op_sel:[1,1] op_sel_hi:[0,1]
	v_pk_fma_f32 v[126:127], v[120:121], v[122:123], v[124:125] op_sel_hi:[1,0,1]
	v_pk_fma_f32 v[120:121], v[120:121], v[122:123], v[124:125] neg_lo:[0,0,1] neg_hi:[0,0,1]
	s_delay_alu instid0(VALU_DEP_2)
	v_mov_b32_e32 v121, v127
	scratch_store_b64 off, v[120:121], off offset:312
.LBB57_185:
	s_wait_xcnt 0x0
	s_or_b32 exec_lo, exec_lo, s25
	scratch_load_b64 v[120:121], off, off offset:304
	v_cmp_lt_u32_e64 s0, 38, v0
	s_wait_loadcnt 0x0
	ds_store_b64 v1, v[120:121]
	s_wait_storecnt_dscnt 0x0
	s_barrier_signal -1
	s_barrier_wait -1
	s_wait_xcnt 0x0
	s_and_saveexec_b32 s24, s0
	s_cbranch_execz .LBB57_195
; %bb.186:
	s_and_not1_b32 vcc_lo, exec_lo, s3
	s_cbranch_vccnz .LBB57_188
; %bb.187:
	scratch_load_b64 v[120:121], v57, off
	ds_load_b64 v[122:123], v1
	s_wait_loadcnt_dscnt 0x0
	v_pk_mul_f32 v[124:125], v[122:123], v[120:121] op_sel:[1,1] op_sel_hi:[0,1]
	s_delay_alu instid0(VALU_DEP_1) | instskip(SKIP_1) | instid1(VALU_DEP_2)
	v_pk_fma_f32 v[126:127], v[122:123], v[120:121], v[124:125] op_sel_hi:[1,0,1]
	v_pk_fma_f32 v[120:121], v[122:123], v[120:121], v[124:125] neg_lo:[0,0,1] neg_hi:[0,0,1]
	v_mov_b32_e32 v121, v127
	s_cbranch_execz .LBB57_189
	s_branch .LBB57_190
.LBB57_188:
                                        ; implicit-def: $vgpr120_vgpr121
.LBB57_189:
	ds_load_b64 v[120:121], v1
.LBB57_190:
	s_and_saveexec_b32 s25, s1
	s_cbranch_execz .LBB57_194
; %bb.191:
	v_subrev_nc_u32_e32 v122, 39, v0
	s_movk_i32 s1, 0x138
	s_movk_i32 s27, 0x308
	s_mov_b32 s26, 0
.LBB57_192:                             ; =>This Inner Loop Header: Depth=1
	scratch_load_b64 v[124:125], off, s1
	v_dual_mov_b32 v123, s27 :: v_dual_add_nc_u32 v122, -1, v122
	s_add_co_i32 s27, s27, 8
	s_wait_xcnt 0x0
	s_add_co_i32 s1, s1, 8
	ds_load_b64 v[126:127], v123
	v_cmp_eq_u32_e32 vcc_lo, 0, v122
	s_or_b32 s26, vcc_lo, s26
	s_wait_loadcnt_dscnt 0x0
	v_pk_mul_f32 v[128:129], v[126:127], v[124:125] op_sel:[1,1] op_sel_hi:[0,1]
	s_delay_alu instid0(VALU_DEP_1) | instskip(SKIP_1) | instid1(VALU_DEP_2)
	v_pk_fma_f32 v[130:131], v[126:127], v[124:125], v[128:129] op_sel_hi:[1,0,1]
	v_pk_fma_f32 v[124:125], v[126:127], v[124:125], v[128:129] neg_lo:[0,0,1] neg_hi:[0,0,1]
	v_mov_b32_e32 v125, v131
	s_delay_alu instid0(VALU_DEP_1)
	v_pk_add_f32 v[120:121], v[120:121], v[124:125]
	s_and_not1_b32 exec_lo, exec_lo, s26
	s_cbranch_execnz .LBB57_192
; %bb.193:
	s_or_b32 exec_lo, exec_lo, s26
.LBB57_194:
	s_delay_alu instid0(SALU_CYCLE_1) | instskip(SKIP_4) | instid1(VALU_DEP_1)
	s_or_b32 exec_lo, exec_lo, s25
	v_mov_b32_e32 v122, 0
	ds_load_b64 v[122:123], v122 offset:304
	s_wait_dscnt 0x0
	v_pk_mul_f32 v[124:125], v[120:121], v[122:123] op_sel:[1,1] op_sel_hi:[0,1]
	v_pk_fma_f32 v[126:127], v[120:121], v[122:123], v[124:125] op_sel_hi:[1,0,1]
	v_pk_fma_f32 v[120:121], v[120:121], v[122:123], v[124:125] neg_lo:[0,0,1] neg_hi:[0,0,1]
	s_delay_alu instid0(VALU_DEP_2)
	v_mov_b32_e32 v121, v127
	scratch_store_b64 off, v[120:121], off offset:304
.LBB57_195:
	s_wait_xcnt 0x0
	s_or_b32 exec_lo, exec_lo, s24
	scratch_load_b64 v[120:121], off, off offset:296
	v_cmp_lt_u32_e64 s1, 37, v0
	s_wait_loadcnt 0x0
	ds_store_b64 v1, v[120:121]
	s_wait_storecnt_dscnt 0x0
	s_barrier_signal -1
	s_barrier_wait -1
	s_wait_xcnt 0x0
	s_and_saveexec_b32 s24, s1
	s_cbranch_execz .LBB57_205
; %bb.196:
	s_and_not1_b32 vcc_lo, exec_lo, s3
	s_cbranch_vccnz .LBB57_198
; %bb.197:
	scratch_load_b64 v[120:121], v57, off
	ds_load_b64 v[122:123], v1
	s_wait_loadcnt_dscnt 0x0
	v_pk_mul_f32 v[124:125], v[122:123], v[120:121] op_sel:[1,1] op_sel_hi:[0,1]
	s_delay_alu instid0(VALU_DEP_1) | instskip(SKIP_1) | instid1(VALU_DEP_2)
	v_pk_fma_f32 v[126:127], v[122:123], v[120:121], v[124:125] op_sel_hi:[1,0,1]
	v_pk_fma_f32 v[120:121], v[122:123], v[120:121], v[124:125] neg_lo:[0,0,1] neg_hi:[0,0,1]
	v_mov_b32_e32 v121, v127
	s_cbranch_execz .LBB57_199
	s_branch .LBB57_200
.LBB57_198:
                                        ; implicit-def: $vgpr120_vgpr121
.LBB57_199:
	ds_load_b64 v[120:121], v1
.LBB57_200:
	s_and_saveexec_b32 s25, s0
	s_cbranch_execz .LBB57_204
; %bb.201:
	v_subrev_nc_u32_e32 v122, 38, v0
	s_movk_i32 s26, 0x300
	s_mov_b32 s0, 0
.LBB57_202:                             ; =>This Inner Loop Header: Depth=1
	scratch_load_b64 v[124:125], off, s23
	v_dual_mov_b32 v123, s26 :: v_dual_add_nc_u32 v122, -1, v122
	s_add_co_i32 s26, s26, 8
	s_wait_xcnt 0x0
	s_add_co_i32 s23, s23, 8
	ds_load_b64 v[126:127], v123
	v_cmp_eq_u32_e32 vcc_lo, 0, v122
	s_or_b32 s0, vcc_lo, s0
	s_wait_loadcnt_dscnt 0x0
	v_pk_mul_f32 v[128:129], v[126:127], v[124:125] op_sel:[1,1] op_sel_hi:[0,1]
	s_delay_alu instid0(VALU_DEP_1) | instskip(SKIP_1) | instid1(VALU_DEP_2)
	v_pk_fma_f32 v[130:131], v[126:127], v[124:125], v[128:129] op_sel_hi:[1,0,1]
	v_pk_fma_f32 v[124:125], v[126:127], v[124:125], v[128:129] neg_lo:[0,0,1] neg_hi:[0,0,1]
	v_mov_b32_e32 v125, v131
	s_delay_alu instid0(VALU_DEP_1)
	v_pk_add_f32 v[120:121], v[120:121], v[124:125]
	s_and_not1_b32 exec_lo, exec_lo, s0
	s_cbranch_execnz .LBB57_202
; %bb.203:
	s_or_b32 exec_lo, exec_lo, s0
.LBB57_204:
	s_delay_alu instid0(SALU_CYCLE_1) | instskip(SKIP_4) | instid1(VALU_DEP_1)
	s_or_b32 exec_lo, exec_lo, s25
	v_mov_b32_e32 v122, 0
	ds_load_b64 v[122:123], v122 offset:296
	s_wait_dscnt 0x0
	v_pk_mul_f32 v[124:125], v[120:121], v[122:123] op_sel:[1,1] op_sel_hi:[0,1]
	v_pk_fma_f32 v[126:127], v[120:121], v[122:123], v[124:125] op_sel_hi:[1,0,1]
	v_pk_fma_f32 v[120:121], v[120:121], v[122:123], v[124:125] neg_lo:[0,0,1] neg_hi:[0,0,1]
	s_delay_alu instid0(VALU_DEP_2)
	v_mov_b32_e32 v121, v127
	scratch_store_b64 off, v[120:121], off offset:296
.LBB57_205:
	s_wait_xcnt 0x0
	s_or_b32 exec_lo, exec_lo, s24
	scratch_load_b64 v[120:121], off, off offset:288
	v_cmp_lt_u32_e64 s0, 36, v0
	s_wait_loadcnt 0x0
	ds_store_b64 v1, v[120:121]
	s_wait_storecnt_dscnt 0x0
	s_barrier_signal -1
	s_barrier_wait -1
	s_wait_xcnt 0x0
	s_and_saveexec_b32 s23, s0
	s_cbranch_execz .LBB57_215
; %bb.206:
	s_and_not1_b32 vcc_lo, exec_lo, s3
	s_cbranch_vccnz .LBB57_208
; %bb.207:
	scratch_load_b64 v[120:121], v57, off
	ds_load_b64 v[122:123], v1
	s_wait_loadcnt_dscnt 0x0
	v_pk_mul_f32 v[124:125], v[122:123], v[120:121] op_sel:[1,1] op_sel_hi:[0,1]
	s_delay_alu instid0(VALU_DEP_1) | instskip(SKIP_1) | instid1(VALU_DEP_2)
	v_pk_fma_f32 v[126:127], v[122:123], v[120:121], v[124:125] op_sel_hi:[1,0,1]
	v_pk_fma_f32 v[120:121], v[122:123], v[120:121], v[124:125] neg_lo:[0,0,1] neg_hi:[0,0,1]
	v_mov_b32_e32 v121, v127
	s_cbranch_execz .LBB57_209
	s_branch .LBB57_210
.LBB57_208:
                                        ; implicit-def: $vgpr120_vgpr121
.LBB57_209:
	ds_load_b64 v[120:121], v1
.LBB57_210:
	s_and_saveexec_b32 s24, s1
	s_cbranch_execz .LBB57_214
; %bb.211:
	v_subrev_nc_u32_e32 v122, 37, v0
	s_movk_i32 s1, 0x128
	s_movk_i32 s26, 0x2f8
	s_mov_b32 s25, 0
.LBB57_212:                             ; =>This Inner Loop Header: Depth=1
	scratch_load_b64 v[124:125], off, s1
	v_dual_mov_b32 v123, s26 :: v_dual_add_nc_u32 v122, -1, v122
	s_add_co_i32 s26, s26, 8
	s_wait_xcnt 0x0
	s_add_co_i32 s1, s1, 8
	ds_load_b64 v[126:127], v123
	v_cmp_eq_u32_e32 vcc_lo, 0, v122
	s_or_b32 s25, vcc_lo, s25
	s_wait_loadcnt_dscnt 0x0
	v_pk_mul_f32 v[128:129], v[126:127], v[124:125] op_sel:[1,1] op_sel_hi:[0,1]
	s_delay_alu instid0(VALU_DEP_1) | instskip(SKIP_1) | instid1(VALU_DEP_2)
	v_pk_fma_f32 v[130:131], v[126:127], v[124:125], v[128:129] op_sel_hi:[1,0,1]
	v_pk_fma_f32 v[124:125], v[126:127], v[124:125], v[128:129] neg_lo:[0,0,1] neg_hi:[0,0,1]
	v_mov_b32_e32 v125, v131
	s_delay_alu instid0(VALU_DEP_1)
	v_pk_add_f32 v[120:121], v[120:121], v[124:125]
	s_and_not1_b32 exec_lo, exec_lo, s25
	s_cbranch_execnz .LBB57_212
; %bb.213:
	s_or_b32 exec_lo, exec_lo, s25
.LBB57_214:
	s_delay_alu instid0(SALU_CYCLE_1) | instskip(SKIP_4) | instid1(VALU_DEP_1)
	s_or_b32 exec_lo, exec_lo, s24
	v_mov_b32_e32 v122, 0
	ds_load_b64 v[122:123], v122 offset:288
	s_wait_dscnt 0x0
	v_pk_mul_f32 v[124:125], v[120:121], v[122:123] op_sel:[1,1] op_sel_hi:[0,1]
	v_pk_fma_f32 v[126:127], v[120:121], v[122:123], v[124:125] op_sel_hi:[1,0,1]
	v_pk_fma_f32 v[120:121], v[120:121], v[122:123], v[124:125] neg_lo:[0,0,1] neg_hi:[0,0,1]
	s_delay_alu instid0(VALU_DEP_2)
	v_mov_b32_e32 v121, v127
	scratch_store_b64 off, v[120:121], off offset:288
.LBB57_215:
	s_wait_xcnt 0x0
	s_or_b32 exec_lo, exec_lo, s23
	scratch_load_b64 v[120:121], off, off offset:280
	v_cmp_lt_u32_e64 s1, 35, v0
	s_wait_loadcnt 0x0
	ds_store_b64 v1, v[120:121]
	s_wait_storecnt_dscnt 0x0
	s_barrier_signal -1
	s_barrier_wait -1
	s_wait_xcnt 0x0
	s_and_saveexec_b32 s23, s1
	s_cbranch_execz .LBB57_225
; %bb.216:
	s_and_not1_b32 vcc_lo, exec_lo, s3
	s_cbranch_vccnz .LBB57_218
; %bb.217:
	scratch_load_b64 v[120:121], v57, off
	ds_load_b64 v[122:123], v1
	s_wait_loadcnt_dscnt 0x0
	v_pk_mul_f32 v[124:125], v[122:123], v[120:121] op_sel:[1,1] op_sel_hi:[0,1]
	s_delay_alu instid0(VALU_DEP_1) | instskip(SKIP_1) | instid1(VALU_DEP_2)
	v_pk_fma_f32 v[126:127], v[122:123], v[120:121], v[124:125] op_sel_hi:[1,0,1]
	v_pk_fma_f32 v[120:121], v[122:123], v[120:121], v[124:125] neg_lo:[0,0,1] neg_hi:[0,0,1]
	v_mov_b32_e32 v121, v127
	s_cbranch_execz .LBB57_219
	s_branch .LBB57_220
.LBB57_218:
                                        ; implicit-def: $vgpr120_vgpr121
.LBB57_219:
	ds_load_b64 v[120:121], v1
.LBB57_220:
	s_and_saveexec_b32 s24, s0
	s_cbranch_execz .LBB57_224
; %bb.221:
	v_subrev_nc_u32_e32 v122, 36, v0
	s_movk_i32 s25, 0x2f0
	s_mov_b32 s0, 0
.LBB57_222:                             ; =>This Inner Loop Header: Depth=1
	scratch_load_b64 v[124:125], off, s22
	v_dual_mov_b32 v123, s25 :: v_dual_add_nc_u32 v122, -1, v122
	s_add_co_i32 s25, s25, 8
	s_wait_xcnt 0x0
	s_add_co_i32 s22, s22, 8
	ds_load_b64 v[126:127], v123
	v_cmp_eq_u32_e32 vcc_lo, 0, v122
	s_or_b32 s0, vcc_lo, s0
	s_wait_loadcnt_dscnt 0x0
	v_pk_mul_f32 v[128:129], v[126:127], v[124:125] op_sel:[1,1] op_sel_hi:[0,1]
	s_delay_alu instid0(VALU_DEP_1) | instskip(SKIP_1) | instid1(VALU_DEP_2)
	v_pk_fma_f32 v[130:131], v[126:127], v[124:125], v[128:129] op_sel_hi:[1,0,1]
	v_pk_fma_f32 v[124:125], v[126:127], v[124:125], v[128:129] neg_lo:[0,0,1] neg_hi:[0,0,1]
	v_mov_b32_e32 v125, v131
	s_delay_alu instid0(VALU_DEP_1)
	v_pk_add_f32 v[120:121], v[120:121], v[124:125]
	s_and_not1_b32 exec_lo, exec_lo, s0
	s_cbranch_execnz .LBB57_222
; %bb.223:
	s_or_b32 exec_lo, exec_lo, s0
.LBB57_224:
	s_delay_alu instid0(SALU_CYCLE_1) | instskip(SKIP_4) | instid1(VALU_DEP_1)
	s_or_b32 exec_lo, exec_lo, s24
	v_mov_b32_e32 v122, 0
	ds_load_b64 v[122:123], v122 offset:280
	s_wait_dscnt 0x0
	v_pk_mul_f32 v[124:125], v[120:121], v[122:123] op_sel:[1,1] op_sel_hi:[0,1]
	v_pk_fma_f32 v[126:127], v[120:121], v[122:123], v[124:125] op_sel_hi:[1,0,1]
	v_pk_fma_f32 v[120:121], v[120:121], v[122:123], v[124:125] neg_lo:[0,0,1] neg_hi:[0,0,1]
	s_delay_alu instid0(VALU_DEP_2)
	v_mov_b32_e32 v121, v127
	scratch_store_b64 off, v[120:121], off offset:280
.LBB57_225:
	s_wait_xcnt 0x0
	s_or_b32 exec_lo, exec_lo, s23
	scratch_load_b64 v[120:121], off, off offset:272
	v_cmp_lt_u32_e64 s0, 34, v0
	s_wait_loadcnt 0x0
	ds_store_b64 v1, v[120:121]
	s_wait_storecnt_dscnt 0x0
	s_barrier_signal -1
	s_barrier_wait -1
	s_wait_xcnt 0x0
	s_and_saveexec_b32 s22, s0
	s_cbranch_execz .LBB57_235
; %bb.226:
	s_and_not1_b32 vcc_lo, exec_lo, s3
	s_cbranch_vccnz .LBB57_228
; %bb.227:
	scratch_load_b64 v[120:121], v57, off
	ds_load_b64 v[122:123], v1
	s_wait_loadcnt_dscnt 0x0
	v_pk_mul_f32 v[124:125], v[122:123], v[120:121] op_sel:[1,1] op_sel_hi:[0,1]
	s_delay_alu instid0(VALU_DEP_1) | instskip(SKIP_1) | instid1(VALU_DEP_2)
	v_pk_fma_f32 v[126:127], v[122:123], v[120:121], v[124:125] op_sel_hi:[1,0,1]
	v_pk_fma_f32 v[120:121], v[122:123], v[120:121], v[124:125] neg_lo:[0,0,1] neg_hi:[0,0,1]
	v_mov_b32_e32 v121, v127
	s_cbranch_execz .LBB57_229
	s_branch .LBB57_230
.LBB57_228:
                                        ; implicit-def: $vgpr120_vgpr121
.LBB57_229:
	ds_load_b64 v[120:121], v1
.LBB57_230:
	s_and_saveexec_b32 s23, s1
	s_cbranch_execz .LBB57_234
; %bb.231:
	v_subrev_nc_u32_e32 v122, 35, v0
	s_movk_i32 s1, 0x118
	s_movk_i32 s25, 0x2e8
	s_mov_b32 s24, 0
.LBB57_232:                             ; =>This Inner Loop Header: Depth=1
	scratch_load_b64 v[124:125], off, s1
	v_dual_mov_b32 v123, s25 :: v_dual_add_nc_u32 v122, -1, v122
	s_add_co_i32 s25, s25, 8
	s_wait_xcnt 0x0
	s_add_co_i32 s1, s1, 8
	ds_load_b64 v[126:127], v123
	v_cmp_eq_u32_e32 vcc_lo, 0, v122
	s_or_b32 s24, vcc_lo, s24
	s_wait_loadcnt_dscnt 0x0
	v_pk_mul_f32 v[128:129], v[126:127], v[124:125] op_sel:[1,1] op_sel_hi:[0,1]
	s_delay_alu instid0(VALU_DEP_1) | instskip(SKIP_1) | instid1(VALU_DEP_2)
	v_pk_fma_f32 v[130:131], v[126:127], v[124:125], v[128:129] op_sel_hi:[1,0,1]
	v_pk_fma_f32 v[124:125], v[126:127], v[124:125], v[128:129] neg_lo:[0,0,1] neg_hi:[0,0,1]
	v_mov_b32_e32 v125, v131
	s_delay_alu instid0(VALU_DEP_1)
	v_pk_add_f32 v[120:121], v[120:121], v[124:125]
	s_and_not1_b32 exec_lo, exec_lo, s24
	s_cbranch_execnz .LBB57_232
; %bb.233:
	s_or_b32 exec_lo, exec_lo, s24
.LBB57_234:
	s_delay_alu instid0(SALU_CYCLE_1) | instskip(SKIP_4) | instid1(VALU_DEP_1)
	s_or_b32 exec_lo, exec_lo, s23
	v_mov_b32_e32 v122, 0
	ds_load_b64 v[122:123], v122 offset:272
	s_wait_dscnt 0x0
	v_pk_mul_f32 v[124:125], v[120:121], v[122:123] op_sel:[1,1] op_sel_hi:[0,1]
	v_pk_fma_f32 v[126:127], v[120:121], v[122:123], v[124:125] op_sel_hi:[1,0,1]
	v_pk_fma_f32 v[120:121], v[120:121], v[122:123], v[124:125] neg_lo:[0,0,1] neg_hi:[0,0,1]
	s_delay_alu instid0(VALU_DEP_2)
	v_mov_b32_e32 v121, v127
	scratch_store_b64 off, v[120:121], off offset:272
.LBB57_235:
	s_wait_xcnt 0x0
	s_or_b32 exec_lo, exec_lo, s22
	scratch_load_b64 v[120:121], off, off offset:264
	v_cmp_lt_u32_e64 s1, 33, v0
	s_wait_loadcnt 0x0
	ds_store_b64 v1, v[120:121]
	s_wait_storecnt_dscnt 0x0
	s_barrier_signal -1
	s_barrier_wait -1
	s_wait_xcnt 0x0
	s_and_saveexec_b32 s22, s1
	s_cbranch_execz .LBB57_245
; %bb.236:
	s_and_not1_b32 vcc_lo, exec_lo, s3
	s_cbranch_vccnz .LBB57_238
; %bb.237:
	scratch_load_b64 v[120:121], v57, off
	ds_load_b64 v[122:123], v1
	s_wait_loadcnt_dscnt 0x0
	v_pk_mul_f32 v[124:125], v[122:123], v[120:121] op_sel:[1,1] op_sel_hi:[0,1]
	s_delay_alu instid0(VALU_DEP_1) | instskip(SKIP_1) | instid1(VALU_DEP_2)
	v_pk_fma_f32 v[126:127], v[122:123], v[120:121], v[124:125] op_sel_hi:[1,0,1]
	v_pk_fma_f32 v[120:121], v[122:123], v[120:121], v[124:125] neg_lo:[0,0,1] neg_hi:[0,0,1]
	v_mov_b32_e32 v121, v127
	s_cbranch_execz .LBB57_239
	s_branch .LBB57_240
.LBB57_238:
                                        ; implicit-def: $vgpr120_vgpr121
.LBB57_239:
	ds_load_b64 v[120:121], v1
.LBB57_240:
	s_and_saveexec_b32 s23, s0
	s_cbranch_execz .LBB57_244
; %bb.241:
	v_subrev_nc_u32_e32 v122, 34, v0
	s_movk_i32 s24, 0x2e0
	s_mov_b32 s0, 0
.LBB57_242:                             ; =>This Inner Loop Header: Depth=1
	scratch_load_b64 v[124:125], off, s21
	v_dual_mov_b32 v123, s24 :: v_dual_add_nc_u32 v122, -1, v122
	s_add_co_i32 s24, s24, 8
	s_wait_xcnt 0x0
	s_add_co_i32 s21, s21, 8
	ds_load_b64 v[126:127], v123
	v_cmp_eq_u32_e32 vcc_lo, 0, v122
	s_or_b32 s0, vcc_lo, s0
	s_wait_loadcnt_dscnt 0x0
	v_pk_mul_f32 v[128:129], v[126:127], v[124:125] op_sel:[1,1] op_sel_hi:[0,1]
	s_delay_alu instid0(VALU_DEP_1) | instskip(SKIP_1) | instid1(VALU_DEP_2)
	v_pk_fma_f32 v[130:131], v[126:127], v[124:125], v[128:129] op_sel_hi:[1,0,1]
	v_pk_fma_f32 v[124:125], v[126:127], v[124:125], v[128:129] neg_lo:[0,0,1] neg_hi:[0,0,1]
	v_mov_b32_e32 v125, v131
	s_delay_alu instid0(VALU_DEP_1)
	v_pk_add_f32 v[120:121], v[120:121], v[124:125]
	s_and_not1_b32 exec_lo, exec_lo, s0
	s_cbranch_execnz .LBB57_242
; %bb.243:
	s_or_b32 exec_lo, exec_lo, s0
.LBB57_244:
	s_delay_alu instid0(SALU_CYCLE_1) | instskip(SKIP_4) | instid1(VALU_DEP_1)
	s_or_b32 exec_lo, exec_lo, s23
	v_mov_b32_e32 v122, 0
	ds_load_b64 v[122:123], v122 offset:264
	s_wait_dscnt 0x0
	v_pk_mul_f32 v[124:125], v[120:121], v[122:123] op_sel:[1,1] op_sel_hi:[0,1]
	v_pk_fma_f32 v[126:127], v[120:121], v[122:123], v[124:125] op_sel_hi:[1,0,1]
	v_pk_fma_f32 v[120:121], v[120:121], v[122:123], v[124:125] neg_lo:[0,0,1] neg_hi:[0,0,1]
	s_delay_alu instid0(VALU_DEP_2)
	v_mov_b32_e32 v121, v127
	scratch_store_b64 off, v[120:121], off offset:264
.LBB57_245:
	s_wait_xcnt 0x0
	s_or_b32 exec_lo, exec_lo, s22
	scratch_load_b64 v[120:121], off, off offset:256
	v_cmp_lt_u32_e64 s0, 32, v0
	s_wait_loadcnt 0x0
	ds_store_b64 v1, v[120:121]
	s_wait_storecnt_dscnt 0x0
	s_barrier_signal -1
	s_barrier_wait -1
	s_wait_xcnt 0x0
	s_and_saveexec_b32 s21, s0
	s_cbranch_execz .LBB57_255
; %bb.246:
	s_and_not1_b32 vcc_lo, exec_lo, s3
	s_cbranch_vccnz .LBB57_248
; %bb.247:
	scratch_load_b64 v[120:121], v57, off
	ds_load_b64 v[122:123], v1
	s_wait_loadcnt_dscnt 0x0
	v_pk_mul_f32 v[124:125], v[122:123], v[120:121] op_sel:[1,1] op_sel_hi:[0,1]
	s_delay_alu instid0(VALU_DEP_1) | instskip(SKIP_1) | instid1(VALU_DEP_2)
	v_pk_fma_f32 v[126:127], v[122:123], v[120:121], v[124:125] op_sel_hi:[1,0,1]
	v_pk_fma_f32 v[120:121], v[122:123], v[120:121], v[124:125] neg_lo:[0,0,1] neg_hi:[0,0,1]
	v_mov_b32_e32 v121, v127
	s_cbranch_execz .LBB57_249
	s_branch .LBB57_250
.LBB57_248:
                                        ; implicit-def: $vgpr120_vgpr121
.LBB57_249:
	ds_load_b64 v[120:121], v1
.LBB57_250:
	s_and_saveexec_b32 s22, s1
	s_cbranch_execz .LBB57_254
; %bb.251:
	v_subrev_nc_u32_e32 v122, 33, v0
	s_movk_i32 s1, 0x108
	s_movk_i32 s24, 0x2d8
	s_mov_b32 s23, 0
.LBB57_252:                             ; =>This Inner Loop Header: Depth=1
	scratch_load_b64 v[124:125], off, s1
	v_dual_mov_b32 v123, s24 :: v_dual_add_nc_u32 v122, -1, v122
	s_add_co_i32 s24, s24, 8
	s_wait_xcnt 0x0
	s_add_co_i32 s1, s1, 8
	ds_load_b64 v[126:127], v123
	v_cmp_eq_u32_e32 vcc_lo, 0, v122
	s_or_b32 s23, vcc_lo, s23
	s_wait_loadcnt_dscnt 0x0
	v_pk_mul_f32 v[128:129], v[126:127], v[124:125] op_sel:[1,1] op_sel_hi:[0,1]
	s_delay_alu instid0(VALU_DEP_1) | instskip(SKIP_1) | instid1(VALU_DEP_2)
	v_pk_fma_f32 v[130:131], v[126:127], v[124:125], v[128:129] op_sel_hi:[1,0,1]
	v_pk_fma_f32 v[124:125], v[126:127], v[124:125], v[128:129] neg_lo:[0,0,1] neg_hi:[0,0,1]
	v_mov_b32_e32 v125, v131
	s_delay_alu instid0(VALU_DEP_1)
	v_pk_add_f32 v[120:121], v[120:121], v[124:125]
	s_and_not1_b32 exec_lo, exec_lo, s23
	s_cbranch_execnz .LBB57_252
; %bb.253:
	s_or_b32 exec_lo, exec_lo, s23
.LBB57_254:
	s_delay_alu instid0(SALU_CYCLE_1) | instskip(SKIP_4) | instid1(VALU_DEP_1)
	s_or_b32 exec_lo, exec_lo, s22
	v_mov_b32_e32 v122, 0
	ds_load_b64 v[122:123], v122 offset:256
	s_wait_dscnt 0x0
	v_pk_mul_f32 v[124:125], v[120:121], v[122:123] op_sel:[1,1] op_sel_hi:[0,1]
	v_pk_fma_f32 v[126:127], v[120:121], v[122:123], v[124:125] op_sel_hi:[1,0,1]
	v_pk_fma_f32 v[120:121], v[120:121], v[122:123], v[124:125] neg_lo:[0,0,1] neg_hi:[0,0,1]
	s_delay_alu instid0(VALU_DEP_2)
	v_mov_b32_e32 v121, v127
	scratch_store_b64 off, v[120:121], off offset:256
.LBB57_255:
	s_wait_xcnt 0x0
	s_or_b32 exec_lo, exec_lo, s21
	scratch_load_b64 v[120:121], off, off offset:248
	v_cmp_lt_u32_e64 s1, 31, v0
	s_wait_loadcnt 0x0
	ds_store_b64 v1, v[120:121]
	s_wait_storecnt_dscnt 0x0
	s_barrier_signal -1
	s_barrier_wait -1
	s_wait_xcnt 0x0
	s_and_saveexec_b32 s21, s1
	s_cbranch_execz .LBB57_265
; %bb.256:
	s_and_not1_b32 vcc_lo, exec_lo, s3
	s_cbranch_vccnz .LBB57_258
; %bb.257:
	scratch_load_b64 v[120:121], v57, off
	ds_load_b64 v[122:123], v1
	s_wait_loadcnt_dscnt 0x0
	v_pk_mul_f32 v[124:125], v[122:123], v[120:121] op_sel:[1,1] op_sel_hi:[0,1]
	s_delay_alu instid0(VALU_DEP_1) | instskip(SKIP_1) | instid1(VALU_DEP_2)
	v_pk_fma_f32 v[126:127], v[122:123], v[120:121], v[124:125] op_sel_hi:[1,0,1]
	v_pk_fma_f32 v[120:121], v[122:123], v[120:121], v[124:125] neg_lo:[0,0,1] neg_hi:[0,0,1]
	v_mov_b32_e32 v121, v127
	s_cbranch_execz .LBB57_259
	s_branch .LBB57_260
.LBB57_258:
                                        ; implicit-def: $vgpr120_vgpr121
.LBB57_259:
	ds_load_b64 v[120:121], v1
.LBB57_260:
	s_and_saveexec_b32 s22, s0
	s_cbranch_execz .LBB57_264
; %bb.261:
	v_subrev_nc_u32_e32 v122, 32, v0
	s_movk_i32 s23, 0x2d0
	s_mov_b32 s0, 0
.LBB57_262:                             ; =>This Inner Loop Header: Depth=1
	scratch_load_b64 v[124:125], off, s20
	v_dual_mov_b32 v123, s23 :: v_dual_add_nc_u32 v122, -1, v122
	s_add_co_i32 s23, s23, 8
	s_wait_xcnt 0x0
	s_add_co_i32 s20, s20, 8
	ds_load_b64 v[126:127], v123
	v_cmp_eq_u32_e32 vcc_lo, 0, v122
	s_or_b32 s0, vcc_lo, s0
	s_wait_loadcnt_dscnt 0x0
	v_pk_mul_f32 v[128:129], v[126:127], v[124:125] op_sel:[1,1] op_sel_hi:[0,1]
	s_delay_alu instid0(VALU_DEP_1) | instskip(SKIP_1) | instid1(VALU_DEP_2)
	v_pk_fma_f32 v[130:131], v[126:127], v[124:125], v[128:129] op_sel_hi:[1,0,1]
	v_pk_fma_f32 v[124:125], v[126:127], v[124:125], v[128:129] neg_lo:[0,0,1] neg_hi:[0,0,1]
	v_mov_b32_e32 v125, v131
	s_delay_alu instid0(VALU_DEP_1)
	v_pk_add_f32 v[120:121], v[120:121], v[124:125]
	s_and_not1_b32 exec_lo, exec_lo, s0
	s_cbranch_execnz .LBB57_262
; %bb.263:
	s_or_b32 exec_lo, exec_lo, s0
.LBB57_264:
	s_delay_alu instid0(SALU_CYCLE_1) | instskip(SKIP_4) | instid1(VALU_DEP_1)
	s_or_b32 exec_lo, exec_lo, s22
	v_mov_b32_e32 v122, 0
	ds_load_b64 v[122:123], v122 offset:248
	s_wait_dscnt 0x0
	v_pk_mul_f32 v[124:125], v[120:121], v[122:123] op_sel:[1,1] op_sel_hi:[0,1]
	v_pk_fma_f32 v[126:127], v[120:121], v[122:123], v[124:125] op_sel_hi:[1,0,1]
	v_pk_fma_f32 v[120:121], v[120:121], v[122:123], v[124:125] neg_lo:[0,0,1] neg_hi:[0,0,1]
	s_delay_alu instid0(VALU_DEP_2)
	v_mov_b32_e32 v121, v127
	scratch_store_b64 off, v[120:121], off offset:248
.LBB57_265:
	s_wait_xcnt 0x0
	s_or_b32 exec_lo, exec_lo, s21
	scratch_load_b64 v[120:121], off, off offset:240
	v_cmp_lt_u32_e64 s0, 30, v0
	s_wait_loadcnt 0x0
	ds_store_b64 v1, v[120:121]
	s_wait_storecnt_dscnt 0x0
	s_barrier_signal -1
	s_barrier_wait -1
	s_wait_xcnt 0x0
	s_and_saveexec_b32 s20, s0
	s_cbranch_execz .LBB57_275
; %bb.266:
	s_and_not1_b32 vcc_lo, exec_lo, s3
	s_cbranch_vccnz .LBB57_268
; %bb.267:
	scratch_load_b64 v[120:121], v57, off
	ds_load_b64 v[122:123], v1
	s_wait_loadcnt_dscnt 0x0
	v_pk_mul_f32 v[124:125], v[122:123], v[120:121] op_sel:[1,1] op_sel_hi:[0,1]
	s_delay_alu instid0(VALU_DEP_1) | instskip(SKIP_1) | instid1(VALU_DEP_2)
	v_pk_fma_f32 v[126:127], v[122:123], v[120:121], v[124:125] op_sel_hi:[1,0,1]
	v_pk_fma_f32 v[120:121], v[122:123], v[120:121], v[124:125] neg_lo:[0,0,1] neg_hi:[0,0,1]
	v_mov_b32_e32 v121, v127
	s_cbranch_execz .LBB57_269
	s_branch .LBB57_270
.LBB57_268:
                                        ; implicit-def: $vgpr120_vgpr121
.LBB57_269:
	ds_load_b64 v[120:121], v1
.LBB57_270:
	s_and_saveexec_b32 s21, s1
	s_cbranch_execz .LBB57_274
; %bb.271:
	v_subrev_nc_u32_e32 v122, 31, v0
	s_movk_i32 s1, 0xf8
	s_movk_i32 s23, 0x2c8
	s_mov_b32 s22, 0
.LBB57_272:                             ; =>This Inner Loop Header: Depth=1
	scratch_load_b64 v[124:125], off, s1
	v_dual_mov_b32 v123, s23 :: v_dual_add_nc_u32 v122, -1, v122
	s_add_co_i32 s23, s23, 8
	s_wait_xcnt 0x0
	s_add_co_i32 s1, s1, 8
	ds_load_b64 v[126:127], v123
	v_cmp_eq_u32_e32 vcc_lo, 0, v122
	s_or_b32 s22, vcc_lo, s22
	s_wait_loadcnt_dscnt 0x0
	v_pk_mul_f32 v[128:129], v[126:127], v[124:125] op_sel:[1,1] op_sel_hi:[0,1]
	s_delay_alu instid0(VALU_DEP_1) | instskip(SKIP_1) | instid1(VALU_DEP_2)
	v_pk_fma_f32 v[130:131], v[126:127], v[124:125], v[128:129] op_sel_hi:[1,0,1]
	v_pk_fma_f32 v[124:125], v[126:127], v[124:125], v[128:129] neg_lo:[0,0,1] neg_hi:[0,0,1]
	v_mov_b32_e32 v125, v131
	s_delay_alu instid0(VALU_DEP_1)
	v_pk_add_f32 v[120:121], v[120:121], v[124:125]
	s_and_not1_b32 exec_lo, exec_lo, s22
	s_cbranch_execnz .LBB57_272
; %bb.273:
	s_or_b32 exec_lo, exec_lo, s22
.LBB57_274:
	s_delay_alu instid0(SALU_CYCLE_1) | instskip(SKIP_4) | instid1(VALU_DEP_1)
	s_or_b32 exec_lo, exec_lo, s21
	v_mov_b32_e32 v122, 0
	ds_load_b64 v[122:123], v122 offset:240
	s_wait_dscnt 0x0
	v_pk_mul_f32 v[124:125], v[120:121], v[122:123] op_sel:[1,1] op_sel_hi:[0,1]
	v_pk_fma_f32 v[126:127], v[120:121], v[122:123], v[124:125] op_sel_hi:[1,0,1]
	v_pk_fma_f32 v[120:121], v[120:121], v[122:123], v[124:125] neg_lo:[0,0,1] neg_hi:[0,0,1]
	s_delay_alu instid0(VALU_DEP_2)
	v_mov_b32_e32 v121, v127
	scratch_store_b64 off, v[120:121], off offset:240
.LBB57_275:
	s_wait_xcnt 0x0
	s_or_b32 exec_lo, exec_lo, s20
	scratch_load_b64 v[120:121], off, off offset:232
	v_cmp_lt_u32_e64 s1, 29, v0
	s_wait_loadcnt 0x0
	ds_store_b64 v1, v[120:121]
	s_wait_storecnt_dscnt 0x0
	s_barrier_signal -1
	s_barrier_wait -1
	s_wait_xcnt 0x0
	s_and_saveexec_b32 s20, s1
	s_cbranch_execz .LBB57_285
; %bb.276:
	s_and_not1_b32 vcc_lo, exec_lo, s3
	s_cbranch_vccnz .LBB57_278
; %bb.277:
	scratch_load_b64 v[120:121], v57, off
	ds_load_b64 v[122:123], v1
	s_wait_loadcnt_dscnt 0x0
	v_pk_mul_f32 v[124:125], v[122:123], v[120:121] op_sel:[1,1] op_sel_hi:[0,1]
	s_delay_alu instid0(VALU_DEP_1) | instskip(SKIP_1) | instid1(VALU_DEP_2)
	v_pk_fma_f32 v[126:127], v[122:123], v[120:121], v[124:125] op_sel_hi:[1,0,1]
	v_pk_fma_f32 v[120:121], v[122:123], v[120:121], v[124:125] neg_lo:[0,0,1] neg_hi:[0,0,1]
	v_mov_b32_e32 v121, v127
	s_cbranch_execz .LBB57_279
	s_branch .LBB57_280
.LBB57_278:
                                        ; implicit-def: $vgpr120_vgpr121
.LBB57_279:
	ds_load_b64 v[120:121], v1
.LBB57_280:
	s_and_saveexec_b32 s21, s0
	s_cbranch_execz .LBB57_284
; %bb.281:
	v_subrev_nc_u32_e32 v122, 30, v0
	s_movk_i32 s22, 0x2c0
	s_mov_b32 s0, 0
.LBB57_282:                             ; =>This Inner Loop Header: Depth=1
	scratch_load_b64 v[124:125], off, s19
	v_dual_mov_b32 v123, s22 :: v_dual_add_nc_u32 v122, -1, v122
	s_add_co_i32 s22, s22, 8
	s_wait_xcnt 0x0
	s_add_co_i32 s19, s19, 8
	ds_load_b64 v[126:127], v123
	v_cmp_eq_u32_e32 vcc_lo, 0, v122
	s_or_b32 s0, vcc_lo, s0
	s_wait_loadcnt_dscnt 0x0
	v_pk_mul_f32 v[128:129], v[126:127], v[124:125] op_sel:[1,1] op_sel_hi:[0,1]
	s_delay_alu instid0(VALU_DEP_1) | instskip(SKIP_1) | instid1(VALU_DEP_2)
	v_pk_fma_f32 v[130:131], v[126:127], v[124:125], v[128:129] op_sel_hi:[1,0,1]
	v_pk_fma_f32 v[124:125], v[126:127], v[124:125], v[128:129] neg_lo:[0,0,1] neg_hi:[0,0,1]
	v_mov_b32_e32 v125, v131
	s_delay_alu instid0(VALU_DEP_1)
	v_pk_add_f32 v[120:121], v[120:121], v[124:125]
	s_and_not1_b32 exec_lo, exec_lo, s0
	s_cbranch_execnz .LBB57_282
; %bb.283:
	s_or_b32 exec_lo, exec_lo, s0
.LBB57_284:
	s_delay_alu instid0(SALU_CYCLE_1) | instskip(SKIP_4) | instid1(VALU_DEP_1)
	s_or_b32 exec_lo, exec_lo, s21
	v_mov_b32_e32 v122, 0
	ds_load_b64 v[122:123], v122 offset:232
	s_wait_dscnt 0x0
	v_pk_mul_f32 v[124:125], v[120:121], v[122:123] op_sel:[1,1] op_sel_hi:[0,1]
	v_pk_fma_f32 v[126:127], v[120:121], v[122:123], v[124:125] op_sel_hi:[1,0,1]
	v_pk_fma_f32 v[120:121], v[120:121], v[122:123], v[124:125] neg_lo:[0,0,1] neg_hi:[0,0,1]
	s_delay_alu instid0(VALU_DEP_2)
	v_mov_b32_e32 v121, v127
	scratch_store_b64 off, v[120:121], off offset:232
.LBB57_285:
	s_wait_xcnt 0x0
	s_or_b32 exec_lo, exec_lo, s20
	scratch_load_b64 v[120:121], off, off offset:224
	v_cmp_lt_u32_e64 s0, 28, v0
	s_wait_loadcnt 0x0
	ds_store_b64 v1, v[120:121]
	s_wait_storecnt_dscnt 0x0
	s_barrier_signal -1
	s_barrier_wait -1
	s_wait_xcnt 0x0
	s_and_saveexec_b32 s19, s0
	s_cbranch_execz .LBB57_295
; %bb.286:
	s_and_not1_b32 vcc_lo, exec_lo, s3
	s_cbranch_vccnz .LBB57_288
; %bb.287:
	scratch_load_b64 v[120:121], v57, off
	ds_load_b64 v[122:123], v1
	s_wait_loadcnt_dscnt 0x0
	v_pk_mul_f32 v[124:125], v[122:123], v[120:121] op_sel:[1,1] op_sel_hi:[0,1]
	s_delay_alu instid0(VALU_DEP_1) | instskip(SKIP_1) | instid1(VALU_DEP_2)
	v_pk_fma_f32 v[126:127], v[122:123], v[120:121], v[124:125] op_sel_hi:[1,0,1]
	v_pk_fma_f32 v[120:121], v[122:123], v[120:121], v[124:125] neg_lo:[0,0,1] neg_hi:[0,0,1]
	v_mov_b32_e32 v121, v127
	s_cbranch_execz .LBB57_289
	s_branch .LBB57_290
.LBB57_288:
                                        ; implicit-def: $vgpr120_vgpr121
.LBB57_289:
	ds_load_b64 v[120:121], v1
.LBB57_290:
	s_and_saveexec_b32 s20, s1
	s_cbranch_execz .LBB57_294
; %bb.291:
	v_subrev_nc_u32_e32 v122, 29, v0
	s_movk_i32 s1, 0xe8
	s_movk_i32 s22, 0x2b8
	s_mov_b32 s21, 0
.LBB57_292:                             ; =>This Inner Loop Header: Depth=1
	scratch_load_b64 v[124:125], off, s1
	v_dual_mov_b32 v123, s22 :: v_dual_add_nc_u32 v122, -1, v122
	s_add_co_i32 s22, s22, 8
	s_wait_xcnt 0x0
	s_add_co_i32 s1, s1, 8
	ds_load_b64 v[126:127], v123
	v_cmp_eq_u32_e32 vcc_lo, 0, v122
	s_or_b32 s21, vcc_lo, s21
	s_wait_loadcnt_dscnt 0x0
	v_pk_mul_f32 v[128:129], v[126:127], v[124:125] op_sel:[1,1] op_sel_hi:[0,1]
	s_delay_alu instid0(VALU_DEP_1) | instskip(SKIP_1) | instid1(VALU_DEP_2)
	v_pk_fma_f32 v[130:131], v[126:127], v[124:125], v[128:129] op_sel_hi:[1,0,1]
	v_pk_fma_f32 v[124:125], v[126:127], v[124:125], v[128:129] neg_lo:[0,0,1] neg_hi:[0,0,1]
	v_mov_b32_e32 v125, v131
	s_delay_alu instid0(VALU_DEP_1)
	v_pk_add_f32 v[120:121], v[120:121], v[124:125]
	s_and_not1_b32 exec_lo, exec_lo, s21
	s_cbranch_execnz .LBB57_292
; %bb.293:
	s_or_b32 exec_lo, exec_lo, s21
.LBB57_294:
	s_delay_alu instid0(SALU_CYCLE_1) | instskip(SKIP_4) | instid1(VALU_DEP_1)
	s_or_b32 exec_lo, exec_lo, s20
	v_mov_b32_e32 v122, 0
	ds_load_b64 v[122:123], v122 offset:224
	s_wait_dscnt 0x0
	v_pk_mul_f32 v[124:125], v[120:121], v[122:123] op_sel:[1,1] op_sel_hi:[0,1]
	v_pk_fma_f32 v[126:127], v[120:121], v[122:123], v[124:125] op_sel_hi:[1,0,1]
	v_pk_fma_f32 v[120:121], v[120:121], v[122:123], v[124:125] neg_lo:[0,0,1] neg_hi:[0,0,1]
	s_delay_alu instid0(VALU_DEP_2)
	v_mov_b32_e32 v121, v127
	scratch_store_b64 off, v[120:121], off offset:224
.LBB57_295:
	s_wait_xcnt 0x0
	s_or_b32 exec_lo, exec_lo, s19
	scratch_load_b64 v[120:121], off, off offset:216
	v_cmp_lt_u32_e64 s1, 27, v0
	s_wait_loadcnt 0x0
	ds_store_b64 v1, v[120:121]
	s_wait_storecnt_dscnt 0x0
	s_barrier_signal -1
	s_barrier_wait -1
	s_wait_xcnt 0x0
	s_and_saveexec_b32 s19, s1
	s_cbranch_execz .LBB57_305
; %bb.296:
	s_and_not1_b32 vcc_lo, exec_lo, s3
	s_cbranch_vccnz .LBB57_298
; %bb.297:
	scratch_load_b64 v[120:121], v57, off
	ds_load_b64 v[122:123], v1
	s_wait_loadcnt_dscnt 0x0
	v_pk_mul_f32 v[124:125], v[122:123], v[120:121] op_sel:[1,1] op_sel_hi:[0,1]
	s_delay_alu instid0(VALU_DEP_1) | instskip(SKIP_1) | instid1(VALU_DEP_2)
	v_pk_fma_f32 v[126:127], v[122:123], v[120:121], v[124:125] op_sel_hi:[1,0,1]
	v_pk_fma_f32 v[120:121], v[122:123], v[120:121], v[124:125] neg_lo:[0,0,1] neg_hi:[0,0,1]
	v_mov_b32_e32 v121, v127
	s_cbranch_execz .LBB57_299
	s_branch .LBB57_300
.LBB57_298:
                                        ; implicit-def: $vgpr120_vgpr121
.LBB57_299:
	ds_load_b64 v[120:121], v1
.LBB57_300:
	s_and_saveexec_b32 s20, s0
	s_cbranch_execz .LBB57_304
; %bb.301:
	v_subrev_nc_u32_e32 v122, 28, v0
	s_movk_i32 s21, 0x2b0
	s_mov_b32 s0, 0
.LBB57_302:                             ; =>This Inner Loop Header: Depth=1
	scratch_load_b64 v[124:125], off, s18
	v_dual_mov_b32 v123, s21 :: v_dual_add_nc_u32 v122, -1, v122
	s_add_co_i32 s21, s21, 8
	s_wait_xcnt 0x0
	s_add_co_i32 s18, s18, 8
	ds_load_b64 v[126:127], v123
	v_cmp_eq_u32_e32 vcc_lo, 0, v122
	s_or_b32 s0, vcc_lo, s0
	s_wait_loadcnt_dscnt 0x0
	v_pk_mul_f32 v[128:129], v[126:127], v[124:125] op_sel:[1,1] op_sel_hi:[0,1]
	s_delay_alu instid0(VALU_DEP_1) | instskip(SKIP_1) | instid1(VALU_DEP_2)
	v_pk_fma_f32 v[130:131], v[126:127], v[124:125], v[128:129] op_sel_hi:[1,0,1]
	v_pk_fma_f32 v[124:125], v[126:127], v[124:125], v[128:129] neg_lo:[0,0,1] neg_hi:[0,0,1]
	v_mov_b32_e32 v125, v131
	s_delay_alu instid0(VALU_DEP_1)
	v_pk_add_f32 v[120:121], v[120:121], v[124:125]
	s_and_not1_b32 exec_lo, exec_lo, s0
	s_cbranch_execnz .LBB57_302
; %bb.303:
	s_or_b32 exec_lo, exec_lo, s0
.LBB57_304:
	s_delay_alu instid0(SALU_CYCLE_1) | instskip(SKIP_4) | instid1(VALU_DEP_1)
	s_or_b32 exec_lo, exec_lo, s20
	v_mov_b32_e32 v122, 0
	ds_load_b64 v[122:123], v122 offset:216
	s_wait_dscnt 0x0
	v_pk_mul_f32 v[124:125], v[120:121], v[122:123] op_sel:[1,1] op_sel_hi:[0,1]
	v_pk_fma_f32 v[126:127], v[120:121], v[122:123], v[124:125] op_sel_hi:[1,0,1]
	v_pk_fma_f32 v[120:121], v[120:121], v[122:123], v[124:125] neg_lo:[0,0,1] neg_hi:[0,0,1]
	s_delay_alu instid0(VALU_DEP_2)
	v_mov_b32_e32 v121, v127
	scratch_store_b64 off, v[120:121], off offset:216
.LBB57_305:
	s_wait_xcnt 0x0
	s_or_b32 exec_lo, exec_lo, s19
	scratch_load_b64 v[120:121], off, off offset:208
	v_cmp_lt_u32_e64 s0, 26, v0
	s_wait_loadcnt 0x0
	ds_store_b64 v1, v[120:121]
	s_wait_storecnt_dscnt 0x0
	s_barrier_signal -1
	s_barrier_wait -1
	s_wait_xcnt 0x0
	s_and_saveexec_b32 s18, s0
	s_cbranch_execz .LBB57_315
; %bb.306:
	s_and_not1_b32 vcc_lo, exec_lo, s3
	s_cbranch_vccnz .LBB57_308
; %bb.307:
	scratch_load_b64 v[120:121], v57, off
	ds_load_b64 v[122:123], v1
	s_wait_loadcnt_dscnt 0x0
	v_pk_mul_f32 v[124:125], v[122:123], v[120:121] op_sel:[1,1] op_sel_hi:[0,1]
	s_delay_alu instid0(VALU_DEP_1) | instskip(SKIP_1) | instid1(VALU_DEP_2)
	v_pk_fma_f32 v[126:127], v[122:123], v[120:121], v[124:125] op_sel_hi:[1,0,1]
	v_pk_fma_f32 v[120:121], v[122:123], v[120:121], v[124:125] neg_lo:[0,0,1] neg_hi:[0,0,1]
	v_mov_b32_e32 v121, v127
	s_cbranch_execz .LBB57_309
	s_branch .LBB57_310
.LBB57_308:
                                        ; implicit-def: $vgpr120_vgpr121
.LBB57_309:
	ds_load_b64 v[120:121], v1
.LBB57_310:
	s_and_saveexec_b32 s19, s1
	s_cbranch_execz .LBB57_314
; %bb.311:
	v_subrev_nc_u32_e32 v122, 27, v0
	s_movk_i32 s1, 0xd8
	s_movk_i32 s21, 0x2a8
	s_mov_b32 s20, 0
.LBB57_312:                             ; =>This Inner Loop Header: Depth=1
	scratch_load_b64 v[124:125], off, s1
	v_dual_mov_b32 v123, s21 :: v_dual_add_nc_u32 v122, -1, v122
	s_add_co_i32 s21, s21, 8
	s_wait_xcnt 0x0
	s_add_co_i32 s1, s1, 8
	ds_load_b64 v[126:127], v123
	v_cmp_eq_u32_e32 vcc_lo, 0, v122
	s_or_b32 s20, vcc_lo, s20
	s_wait_loadcnt_dscnt 0x0
	v_pk_mul_f32 v[128:129], v[126:127], v[124:125] op_sel:[1,1] op_sel_hi:[0,1]
	s_delay_alu instid0(VALU_DEP_1) | instskip(SKIP_1) | instid1(VALU_DEP_2)
	v_pk_fma_f32 v[130:131], v[126:127], v[124:125], v[128:129] op_sel_hi:[1,0,1]
	v_pk_fma_f32 v[124:125], v[126:127], v[124:125], v[128:129] neg_lo:[0,0,1] neg_hi:[0,0,1]
	v_mov_b32_e32 v125, v131
	s_delay_alu instid0(VALU_DEP_1)
	v_pk_add_f32 v[120:121], v[120:121], v[124:125]
	s_and_not1_b32 exec_lo, exec_lo, s20
	s_cbranch_execnz .LBB57_312
; %bb.313:
	s_or_b32 exec_lo, exec_lo, s20
.LBB57_314:
	s_delay_alu instid0(SALU_CYCLE_1) | instskip(SKIP_4) | instid1(VALU_DEP_1)
	s_or_b32 exec_lo, exec_lo, s19
	v_mov_b32_e32 v122, 0
	ds_load_b64 v[122:123], v122 offset:208
	s_wait_dscnt 0x0
	v_pk_mul_f32 v[124:125], v[120:121], v[122:123] op_sel:[1,1] op_sel_hi:[0,1]
	v_pk_fma_f32 v[126:127], v[120:121], v[122:123], v[124:125] op_sel_hi:[1,0,1]
	v_pk_fma_f32 v[120:121], v[120:121], v[122:123], v[124:125] neg_lo:[0,0,1] neg_hi:[0,0,1]
	s_delay_alu instid0(VALU_DEP_2)
	v_mov_b32_e32 v121, v127
	scratch_store_b64 off, v[120:121], off offset:208
.LBB57_315:
	s_wait_xcnt 0x0
	s_or_b32 exec_lo, exec_lo, s18
	scratch_load_b64 v[120:121], off, off offset:200
	v_cmp_lt_u32_e64 s1, 25, v0
	s_wait_loadcnt 0x0
	ds_store_b64 v1, v[120:121]
	s_wait_storecnt_dscnt 0x0
	s_barrier_signal -1
	s_barrier_wait -1
	s_wait_xcnt 0x0
	s_and_saveexec_b32 s18, s1
	s_cbranch_execz .LBB57_325
; %bb.316:
	s_and_not1_b32 vcc_lo, exec_lo, s3
	s_cbranch_vccnz .LBB57_318
; %bb.317:
	scratch_load_b64 v[120:121], v57, off
	ds_load_b64 v[122:123], v1
	s_wait_loadcnt_dscnt 0x0
	v_pk_mul_f32 v[124:125], v[122:123], v[120:121] op_sel:[1,1] op_sel_hi:[0,1]
	s_delay_alu instid0(VALU_DEP_1) | instskip(SKIP_1) | instid1(VALU_DEP_2)
	v_pk_fma_f32 v[126:127], v[122:123], v[120:121], v[124:125] op_sel_hi:[1,0,1]
	v_pk_fma_f32 v[120:121], v[122:123], v[120:121], v[124:125] neg_lo:[0,0,1] neg_hi:[0,0,1]
	v_mov_b32_e32 v121, v127
	s_cbranch_execz .LBB57_319
	s_branch .LBB57_320
.LBB57_318:
                                        ; implicit-def: $vgpr120_vgpr121
.LBB57_319:
	ds_load_b64 v[120:121], v1
.LBB57_320:
	s_and_saveexec_b32 s19, s0
	s_cbranch_execz .LBB57_324
; %bb.321:
	v_subrev_nc_u32_e32 v122, 26, v0
	s_movk_i32 s20, 0x2a0
	s_mov_b32 s0, 0
.LBB57_322:                             ; =>This Inner Loop Header: Depth=1
	scratch_load_b64 v[124:125], off, s17
	v_dual_mov_b32 v123, s20 :: v_dual_add_nc_u32 v122, -1, v122
	s_add_co_i32 s20, s20, 8
	s_wait_xcnt 0x0
	s_add_co_i32 s17, s17, 8
	ds_load_b64 v[126:127], v123
	v_cmp_eq_u32_e32 vcc_lo, 0, v122
	s_or_b32 s0, vcc_lo, s0
	s_wait_loadcnt_dscnt 0x0
	v_pk_mul_f32 v[128:129], v[126:127], v[124:125] op_sel:[1,1] op_sel_hi:[0,1]
	s_delay_alu instid0(VALU_DEP_1) | instskip(SKIP_1) | instid1(VALU_DEP_2)
	v_pk_fma_f32 v[130:131], v[126:127], v[124:125], v[128:129] op_sel_hi:[1,0,1]
	v_pk_fma_f32 v[124:125], v[126:127], v[124:125], v[128:129] neg_lo:[0,0,1] neg_hi:[0,0,1]
	v_mov_b32_e32 v125, v131
	s_delay_alu instid0(VALU_DEP_1)
	v_pk_add_f32 v[120:121], v[120:121], v[124:125]
	s_and_not1_b32 exec_lo, exec_lo, s0
	s_cbranch_execnz .LBB57_322
; %bb.323:
	s_or_b32 exec_lo, exec_lo, s0
.LBB57_324:
	s_delay_alu instid0(SALU_CYCLE_1) | instskip(SKIP_4) | instid1(VALU_DEP_1)
	s_or_b32 exec_lo, exec_lo, s19
	v_mov_b32_e32 v122, 0
	ds_load_b64 v[122:123], v122 offset:200
	s_wait_dscnt 0x0
	v_pk_mul_f32 v[124:125], v[120:121], v[122:123] op_sel:[1,1] op_sel_hi:[0,1]
	v_pk_fma_f32 v[126:127], v[120:121], v[122:123], v[124:125] op_sel_hi:[1,0,1]
	v_pk_fma_f32 v[120:121], v[120:121], v[122:123], v[124:125] neg_lo:[0,0,1] neg_hi:[0,0,1]
	s_delay_alu instid0(VALU_DEP_2)
	v_mov_b32_e32 v121, v127
	scratch_store_b64 off, v[120:121], off offset:200
.LBB57_325:
	s_wait_xcnt 0x0
	s_or_b32 exec_lo, exec_lo, s18
	scratch_load_b64 v[120:121], off, off offset:192
	v_cmp_lt_u32_e64 s0, 24, v0
	s_wait_loadcnt 0x0
	ds_store_b64 v1, v[120:121]
	s_wait_storecnt_dscnt 0x0
	s_barrier_signal -1
	s_barrier_wait -1
	s_wait_xcnt 0x0
	s_and_saveexec_b32 s17, s0
	s_cbranch_execz .LBB57_335
; %bb.326:
	s_and_not1_b32 vcc_lo, exec_lo, s3
	s_cbranch_vccnz .LBB57_328
; %bb.327:
	scratch_load_b64 v[120:121], v57, off
	ds_load_b64 v[122:123], v1
	s_wait_loadcnt_dscnt 0x0
	v_pk_mul_f32 v[124:125], v[122:123], v[120:121] op_sel:[1,1] op_sel_hi:[0,1]
	s_delay_alu instid0(VALU_DEP_1) | instskip(SKIP_1) | instid1(VALU_DEP_2)
	v_pk_fma_f32 v[126:127], v[122:123], v[120:121], v[124:125] op_sel_hi:[1,0,1]
	v_pk_fma_f32 v[120:121], v[122:123], v[120:121], v[124:125] neg_lo:[0,0,1] neg_hi:[0,0,1]
	v_mov_b32_e32 v121, v127
	s_cbranch_execz .LBB57_329
	s_branch .LBB57_330
.LBB57_328:
                                        ; implicit-def: $vgpr120_vgpr121
.LBB57_329:
	ds_load_b64 v[120:121], v1
.LBB57_330:
	s_and_saveexec_b32 s18, s1
	s_cbranch_execz .LBB57_334
; %bb.331:
	v_subrev_nc_u32_e32 v122, 25, v0
	s_movk_i32 s1, 0xc8
	s_movk_i32 s20, 0x298
	s_mov_b32 s19, 0
.LBB57_332:                             ; =>This Inner Loop Header: Depth=1
	scratch_load_b64 v[124:125], off, s1
	v_dual_mov_b32 v123, s20 :: v_dual_add_nc_u32 v122, -1, v122
	s_add_co_i32 s20, s20, 8
	s_wait_xcnt 0x0
	s_add_co_i32 s1, s1, 8
	ds_load_b64 v[126:127], v123
	v_cmp_eq_u32_e32 vcc_lo, 0, v122
	s_or_b32 s19, vcc_lo, s19
	s_wait_loadcnt_dscnt 0x0
	v_pk_mul_f32 v[128:129], v[126:127], v[124:125] op_sel:[1,1] op_sel_hi:[0,1]
	s_delay_alu instid0(VALU_DEP_1) | instskip(SKIP_1) | instid1(VALU_DEP_2)
	v_pk_fma_f32 v[130:131], v[126:127], v[124:125], v[128:129] op_sel_hi:[1,0,1]
	v_pk_fma_f32 v[124:125], v[126:127], v[124:125], v[128:129] neg_lo:[0,0,1] neg_hi:[0,0,1]
	v_mov_b32_e32 v125, v131
	s_delay_alu instid0(VALU_DEP_1)
	v_pk_add_f32 v[120:121], v[120:121], v[124:125]
	s_and_not1_b32 exec_lo, exec_lo, s19
	s_cbranch_execnz .LBB57_332
; %bb.333:
	s_or_b32 exec_lo, exec_lo, s19
.LBB57_334:
	s_delay_alu instid0(SALU_CYCLE_1) | instskip(SKIP_4) | instid1(VALU_DEP_1)
	s_or_b32 exec_lo, exec_lo, s18
	v_mov_b32_e32 v122, 0
	ds_load_b64 v[122:123], v122 offset:192
	s_wait_dscnt 0x0
	v_pk_mul_f32 v[124:125], v[120:121], v[122:123] op_sel:[1,1] op_sel_hi:[0,1]
	v_pk_fma_f32 v[126:127], v[120:121], v[122:123], v[124:125] op_sel_hi:[1,0,1]
	v_pk_fma_f32 v[120:121], v[120:121], v[122:123], v[124:125] neg_lo:[0,0,1] neg_hi:[0,0,1]
	s_delay_alu instid0(VALU_DEP_2)
	v_mov_b32_e32 v121, v127
	scratch_store_b64 off, v[120:121], off offset:192
.LBB57_335:
	s_wait_xcnt 0x0
	s_or_b32 exec_lo, exec_lo, s17
	scratch_load_b64 v[120:121], off, off offset:184
	v_cmp_lt_u32_e64 s1, 23, v0
	s_wait_loadcnt 0x0
	ds_store_b64 v1, v[120:121]
	s_wait_storecnt_dscnt 0x0
	s_barrier_signal -1
	s_barrier_wait -1
	s_wait_xcnt 0x0
	s_and_saveexec_b32 s17, s1
	s_cbranch_execz .LBB57_345
; %bb.336:
	s_and_not1_b32 vcc_lo, exec_lo, s3
	s_cbranch_vccnz .LBB57_338
; %bb.337:
	scratch_load_b64 v[120:121], v57, off
	ds_load_b64 v[122:123], v1
	s_wait_loadcnt_dscnt 0x0
	v_pk_mul_f32 v[124:125], v[122:123], v[120:121] op_sel:[1,1] op_sel_hi:[0,1]
	s_delay_alu instid0(VALU_DEP_1) | instskip(SKIP_1) | instid1(VALU_DEP_2)
	v_pk_fma_f32 v[126:127], v[122:123], v[120:121], v[124:125] op_sel_hi:[1,0,1]
	v_pk_fma_f32 v[120:121], v[122:123], v[120:121], v[124:125] neg_lo:[0,0,1] neg_hi:[0,0,1]
	v_mov_b32_e32 v121, v127
	s_cbranch_execz .LBB57_339
	s_branch .LBB57_340
.LBB57_338:
                                        ; implicit-def: $vgpr120_vgpr121
.LBB57_339:
	ds_load_b64 v[120:121], v1
.LBB57_340:
	s_and_saveexec_b32 s18, s0
	s_cbranch_execz .LBB57_344
; %bb.341:
	v_subrev_nc_u32_e32 v122, 24, v0
	s_movk_i32 s19, 0x290
	s_mov_b32 s0, 0
.LBB57_342:                             ; =>This Inner Loop Header: Depth=1
	scratch_load_b64 v[124:125], off, s16
	v_dual_mov_b32 v123, s19 :: v_dual_add_nc_u32 v122, -1, v122
	s_add_co_i32 s19, s19, 8
	s_wait_xcnt 0x0
	s_add_co_i32 s16, s16, 8
	ds_load_b64 v[126:127], v123
	v_cmp_eq_u32_e32 vcc_lo, 0, v122
	s_or_b32 s0, vcc_lo, s0
	s_wait_loadcnt_dscnt 0x0
	v_pk_mul_f32 v[128:129], v[126:127], v[124:125] op_sel:[1,1] op_sel_hi:[0,1]
	s_delay_alu instid0(VALU_DEP_1) | instskip(SKIP_1) | instid1(VALU_DEP_2)
	v_pk_fma_f32 v[130:131], v[126:127], v[124:125], v[128:129] op_sel_hi:[1,0,1]
	v_pk_fma_f32 v[124:125], v[126:127], v[124:125], v[128:129] neg_lo:[0,0,1] neg_hi:[0,0,1]
	v_mov_b32_e32 v125, v131
	s_delay_alu instid0(VALU_DEP_1)
	v_pk_add_f32 v[120:121], v[120:121], v[124:125]
	s_and_not1_b32 exec_lo, exec_lo, s0
	s_cbranch_execnz .LBB57_342
; %bb.343:
	s_or_b32 exec_lo, exec_lo, s0
.LBB57_344:
	s_delay_alu instid0(SALU_CYCLE_1) | instskip(SKIP_4) | instid1(VALU_DEP_1)
	s_or_b32 exec_lo, exec_lo, s18
	v_mov_b32_e32 v122, 0
	ds_load_b64 v[122:123], v122 offset:184
	s_wait_dscnt 0x0
	v_pk_mul_f32 v[124:125], v[120:121], v[122:123] op_sel:[1,1] op_sel_hi:[0,1]
	v_pk_fma_f32 v[126:127], v[120:121], v[122:123], v[124:125] op_sel_hi:[1,0,1]
	v_pk_fma_f32 v[120:121], v[120:121], v[122:123], v[124:125] neg_lo:[0,0,1] neg_hi:[0,0,1]
	s_delay_alu instid0(VALU_DEP_2)
	v_mov_b32_e32 v121, v127
	scratch_store_b64 off, v[120:121], off offset:184
.LBB57_345:
	s_wait_xcnt 0x0
	s_or_b32 exec_lo, exec_lo, s17
	scratch_load_b64 v[120:121], off, off offset:176
	v_cmp_lt_u32_e64 s0, 22, v0
	s_wait_loadcnt 0x0
	ds_store_b64 v1, v[120:121]
	s_wait_storecnt_dscnt 0x0
	s_barrier_signal -1
	s_barrier_wait -1
	s_wait_xcnt 0x0
	s_and_saveexec_b32 s16, s0
	s_cbranch_execz .LBB57_355
; %bb.346:
	s_and_not1_b32 vcc_lo, exec_lo, s3
	s_cbranch_vccnz .LBB57_348
; %bb.347:
	scratch_load_b64 v[120:121], v57, off
	ds_load_b64 v[122:123], v1
	s_wait_loadcnt_dscnt 0x0
	v_pk_mul_f32 v[124:125], v[122:123], v[120:121] op_sel:[1,1] op_sel_hi:[0,1]
	s_delay_alu instid0(VALU_DEP_1) | instskip(SKIP_1) | instid1(VALU_DEP_2)
	v_pk_fma_f32 v[126:127], v[122:123], v[120:121], v[124:125] op_sel_hi:[1,0,1]
	v_pk_fma_f32 v[120:121], v[122:123], v[120:121], v[124:125] neg_lo:[0,0,1] neg_hi:[0,0,1]
	v_mov_b32_e32 v121, v127
	s_cbranch_execz .LBB57_349
	s_branch .LBB57_350
.LBB57_348:
                                        ; implicit-def: $vgpr120_vgpr121
.LBB57_349:
	ds_load_b64 v[120:121], v1
.LBB57_350:
	s_and_saveexec_b32 s17, s1
	s_cbranch_execz .LBB57_354
; %bb.351:
	v_subrev_nc_u32_e32 v122, 23, v0
	s_movk_i32 s1, 0xb8
	s_movk_i32 s19, 0x288
	s_mov_b32 s18, 0
.LBB57_352:                             ; =>This Inner Loop Header: Depth=1
	scratch_load_b64 v[124:125], off, s1
	v_dual_mov_b32 v123, s19 :: v_dual_add_nc_u32 v122, -1, v122
	s_add_co_i32 s19, s19, 8
	s_wait_xcnt 0x0
	s_add_co_i32 s1, s1, 8
	ds_load_b64 v[126:127], v123
	v_cmp_eq_u32_e32 vcc_lo, 0, v122
	s_or_b32 s18, vcc_lo, s18
	s_wait_loadcnt_dscnt 0x0
	v_pk_mul_f32 v[128:129], v[126:127], v[124:125] op_sel:[1,1] op_sel_hi:[0,1]
	s_delay_alu instid0(VALU_DEP_1) | instskip(SKIP_1) | instid1(VALU_DEP_2)
	v_pk_fma_f32 v[130:131], v[126:127], v[124:125], v[128:129] op_sel_hi:[1,0,1]
	v_pk_fma_f32 v[124:125], v[126:127], v[124:125], v[128:129] neg_lo:[0,0,1] neg_hi:[0,0,1]
	v_mov_b32_e32 v125, v131
	s_delay_alu instid0(VALU_DEP_1)
	v_pk_add_f32 v[120:121], v[120:121], v[124:125]
	s_and_not1_b32 exec_lo, exec_lo, s18
	s_cbranch_execnz .LBB57_352
; %bb.353:
	s_or_b32 exec_lo, exec_lo, s18
.LBB57_354:
	s_delay_alu instid0(SALU_CYCLE_1) | instskip(SKIP_4) | instid1(VALU_DEP_1)
	s_or_b32 exec_lo, exec_lo, s17
	v_mov_b32_e32 v122, 0
	ds_load_b64 v[122:123], v122 offset:176
	s_wait_dscnt 0x0
	v_pk_mul_f32 v[124:125], v[120:121], v[122:123] op_sel:[1,1] op_sel_hi:[0,1]
	v_pk_fma_f32 v[126:127], v[120:121], v[122:123], v[124:125] op_sel_hi:[1,0,1]
	v_pk_fma_f32 v[120:121], v[120:121], v[122:123], v[124:125] neg_lo:[0,0,1] neg_hi:[0,0,1]
	s_delay_alu instid0(VALU_DEP_2)
	v_mov_b32_e32 v121, v127
	scratch_store_b64 off, v[120:121], off offset:176
.LBB57_355:
	s_wait_xcnt 0x0
	s_or_b32 exec_lo, exec_lo, s16
	scratch_load_b64 v[120:121], off, off offset:168
	v_cmp_lt_u32_e64 s1, 21, v0
	s_wait_loadcnt 0x0
	ds_store_b64 v1, v[120:121]
	s_wait_storecnt_dscnt 0x0
	s_barrier_signal -1
	s_barrier_wait -1
	s_wait_xcnt 0x0
	s_and_saveexec_b32 s16, s1
	s_cbranch_execz .LBB57_365
; %bb.356:
	s_and_not1_b32 vcc_lo, exec_lo, s3
	s_cbranch_vccnz .LBB57_358
; %bb.357:
	scratch_load_b64 v[120:121], v57, off
	ds_load_b64 v[122:123], v1
	s_wait_loadcnt_dscnt 0x0
	v_pk_mul_f32 v[124:125], v[122:123], v[120:121] op_sel:[1,1] op_sel_hi:[0,1]
	s_delay_alu instid0(VALU_DEP_1) | instskip(SKIP_1) | instid1(VALU_DEP_2)
	v_pk_fma_f32 v[126:127], v[122:123], v[120:121], v[124:125] op_sel_hi:[1,0,1]
	v_pk_fma_f32 v[120:121], v[122:123], v[120:121], v[124:125] neg_lo:[0,0,1] neg_hi:[0,0,1]
	v_mov_b32_e32 v121, v127
	s_cbranch_execz .LBB57_359
	s_branch .LBB57_360
.LBB57_358:
                                        ; implicit-def: $vgpr120_vgpr121
.LBB57_359:
	ds_load_b64 v[120:121], v1
.LBB57_360:
	s_and_saveexec_b32 s17, s0
	s_cbranch_execz .LBB57_364
; %bb.361:
	v_subrev_nc_u32_e32 v122, 22, v0
	s_movk_i32 s18, 0x280
	s_mov_b32 s0, 0
.LBB57_362:                             ; =>This Inner Loop Header: Depth=1
	scratch_load_b64 v[124:125], off, s15
	v_dual_mov_b32 v123, s18 :: v_dual_add_nc_u32 v122, -1, v122
	s_add_co_i32 s18, s18, 8
	s_wait_xcnt 0x0
	s_add_co_i32 s15, s15, 8
	ds_load_b64 v[126:127], v123
	v_cmp_eq_u32_e32 vcc_lo, 0, v122
	s_or_b32 s0, vcc_lo, s0
	s_wait_loadcnt_dscnt 0x0
	v_pk_mul_f32 v[128:129], v[126:127], v[124:125] op_sel:[1,1] op_sel_hi:[0,1]
	s_delay_alu instid0(VALU_DEP_1) | instskip(SKIP_1) | instid1(VALU_DEP_2)
	v_pk_fma_f32 v[130:131], v[126:127], v[124:125], v[128:129] op_sel_hi:[1,0,1]
	v_pk_fma_f32 v[124:125], v[126:127], v[124:125], v[128:129] neg_lo:[0,0,1] neg_hi:[0,0,1]
	v_mov_b32_e32 v125, v131
	s_delay_alu instid0(VALU_DEP_1)
	v_pk_add_f32 v[120:121], v[120:121], v[124:125]
	s_and_not1_b32 exec_lo, exec_lo, s0
	s_cbranch_execnz .LBB57_362
; %bb.363:
	s_or_b32 exec_lo, exec_lo, s0
.LBB57_364:
	s_delay_alu instid0(SALU_CYCLE_1) | instskip(SKIP_4) | instid1(VALU_DEP_1)
	s_or_b32 exec_lo, exec_lo, s17
	v_mov_b32_e32 v122, 0
	ds_load_b64 v[122:123], v122 offset:168
	s_wait_dscnt 0x0
	v_pk_mul_f32 v[124:125], v[120:121], v[122:123] op_sel:[1,1] op_sel_hi:[0,1]
	v_pk_fma_f32 v[126:127], v[120:121], v[122:123], v[124:125] op_sel_hi:[1,0,1]
	v_pk_fma_f32 v[120:121], v[120:121], v[122:123], v[124:125] neg_lo:[0,0,1] neg_hi:[0,0,1]
	s_delay_alu instid0(VALU_DEP_2)
	v_mov_b32_e32 v121, v127
	scratch_store_b64 off, v[120:121], off offset:168
.LBB57_365:
	s_wait_xcnt 0x0
	s_or_b32 exec_lo, exec_lo, s16
	scratch_load_b64 v[120:121], off, off offset:160
	v_cmp_lt_u32_e64 s0, 20, v0
	s_wait_loadcnt 0x0
	ds_store_b64 v1, v[120:121]
	s_wait_storecnt_dscnt 0x0
	s_barrier_signal -1
	s_barrier_wait -1
	s_wait_xcnt 0x0
	s_and_saveexec_b32 s15, s0
	s_cbranch_execz .LBB57_375
; %bb.366:
	s_and_not1_b32 vcc_lo, exec_lo, s3
	s_cbranch_vccnz .LBB57_368
; %bb.367:
	scratch_load_b64 v[120:121], v57, off
	ds_load_b64 v[122:123], v1
	s_wait_loadcnt_dscnt 0x0
	v_pk_mul_f32 v[124:125], v[122:123], v[120:121] op_sel:[1,1] op_sel_hi:[0,1]
	s_delay_alu instid0(VALU_DEP_1) | instskip(SKIP_1) | instid1(VALU_DEP_2)
	v_pk_fma_f32 v[126:127], v[122:123], v[120:121], v[124:125] op_sel_hi:[1,0,1]
	v_pk_fma_f32 v[120:121], v[122:123], v[120:121], v[124:125] neg_lo:[0,0,1] neg_hi:[0,0,1]
	v_mov_b32_e32 v121, v127
	s_cbranch_execz .LBB57_369
	s_branch .LBB57_370
.LBB57_368:
                                        ; implicit-def: $vgpr120_vgpr121
.LBB57_369:
	ds_load_b64 v[120:121], v1
.LBB57_370:
	s_and_saveexec_b32 s16, s1
	s_cbranch_execz .LBB57_374
; %bb.371:
	v_subrev_nc_u32_e32 v122, 21, v0
	s_movk_i32 s1, 0xa8
	s_movk_i32 s18, 0x278
	s_mov_b32 s17, 0
.LBB57_372:                             ; =>This Inner Loop Header: Depth=1
	scratch_load_b64 v[124:125], off, s1
	v_dual_mov_b32 v123, s18 :: v_dual_add_nc_u32 v122, -1, v122
	s_add_co_i32 s18, s18, 8
	s_wait_xcnt 0x0
	s_add_co_i32 s1, s1, 8
	ds_load_b64 v[126:127], v123
	v_cmp_eq_u32_e32 vcc_lo, 0, v122
	s_or_b32 s17, vcc_lo, s17
	s_wait_loadcnt_dscnt 0x0
	v_pk_mul_f32 v[128:129], v[126:127], v[124:125] op_sel:[1,1] op_sel_hi:[0,1]
	s_delay_alu instid0(VALU_DEP_1) | instskip(SKIP_1) | instid1(VALU_DEP_2)
	v_pk_fma_f32 v[130:131], v[126:127], v[124:125], v[128:129] op_sel_hi:[1,0,1]
	v_pk_fma_f32 v[124:125], v[126:127], v[124:125], v[128:129] neg_lo:[0,0,1] neg_hi:[0,0,1]
	v_mov_b32_e32 v125, v131
	s_delay_alu instid0(VALU_DEP_1)
	v_pk_add_f32 v[120:121], v[120:121], v[124:125]
	s_and_not1_b32 exec_lo, exec_lo, s17
	s_cbranch_execnz .LBB57_372
; %bb.373:
	s_or_b32 exec_lo, exec_lo, s17
.LBB57_374:
	s_delay_alu instid0(SALU_CYCLE_1) | instskip(SKIP_4) | instid1(VALU_DEP_1)
	s_or_b32 exec_lo, exec_lo, s16
	v_mov_b32_e32 v122, 0
	ds_load_b64 v[122:123], v122 offset:160
	s_wait_dscnt 0x0
	v_pk_mul_f32 v[124:125], v[120:121], v[122:123] op_sel:[1,1] op_sel_hi:[0,1]
	v_pk_fma_f32 v[126:127], v[120:121], v[122:123], v[124:125] op_sel_hi:[1,0,1]
	v_pk_fma_f32 v[120:121], v[120:121], v[122:123], v[124:125] neg_lo:[0,0,1] neg_hi:[0,0,1]
	s_delay_alu instid0(VALU_DEP_2)
	v_mov_b32_e32 v121, v127
	scratch_store_b64 off, v[120:121], off offset:160
.LBB57_375:
	s_wait_xcnt 0x0
	s_or_b32 exec_lo, exec_lo, s15
	scratch_load_b64 v[120:121], off, off offset:152
	v_cmp_lt_u32_e64 s1, 19, v0
	s_wait_loadcnt 0x0
	ds_store_b64 v1, v[120:121]
	s_wait_storecnt_dscnt 0x0
	s_barrier_signal -1
	s_barrier_wait -1
	s_wait_xcnt 0x0
	s_and_saveexec_b32 s15, s1
	s_cbranch_execz .LBB57_385
; %bb.376:
	s_and_not1_b32 vcc_lo, exec_lo, s3
	s_cbranch_vccnz .LBB57_378
; %bb.377:
	scratch_load_b64 v[120:121], v57, off
	ds_load_b64 v[122:123], v1
	s_wait_loadcnt_dscnt 0x0
	v_pk_mul_f32 v[124:125], v[122:123], v[120:121] op_sel:[1,1] op_sel_hi:[0,1]
	s_delay_alu instid0(VALU_DEP_1) | instskip(SKIP_1) | instid1(VALU_DEP_2)
	v_pk_fma_f32 v[126:127], v[122:123], v[120:121], v[124:125] op_sel_hi:[1,0,1]
	v_pk_fma_f32 v[120:121], v[122:123], v[120:121], v[124:125] neg_lo:[0,0,1] neg_hi:[0,0,1]
	v_mov_b32_e32 v121, v127
	s_cbranch_execz .LBB57_379
	s_branch .LBB57_380
.LBB57_378:
                                        ; implicit-def: $vgpr120_vgpr121
.LBB57_379:
	ds_load_b64 v[120:121], v1
.LBB57_380:
	s_and_saveexec_b32 s16, s0
	s_cbranch_execz .LBB57_384
; %bb.381:
	v_subrev_nc_u32_e32 v122, 20, v0
	s_movk_i32 s17, 0x270
	s_mov_b32 s0, 0
.LBB57_382:                             ; =>This Inner Loop Header: Depth=1
	scratch_load_b64 v[124:125], off, s14
	v_dual_mov_b32 v123, s17 :: v_dual_add_nc_u32 v122, -1, v122
	s_add_co_i32 s17, s17, 8
	s_wait_xcnt 0x0
	s_add_co_i32 s14, s14, 8
	ds_load_b64 v[126:127], v123
	v_cmp_eq_u32_e32 vcc_lo, 0, v122
	s_or_b32 s0, vcc_lo, s0
	s_wait_loadcnt_dscnt 0x0
	v_pk_mul_f32 v[128:129], v[126:127], v[124:125] op_sel:[1,1] op_sel_hi:[0,1]
	s_delay_alu instid0(VALU_DEP_1) | instskip(SKIP_1) | instid1(VALU_DEP_2)
	v_pk_fma_f32 v[130:131], v[126:127], v[124:125], v[128:129] op_sel_hi:[1,0,1]
	v_pk_fma_f32 v[124:125], v[126:127], v[124:125], v[128:129] neg_lo:[0,0,1] neg_hi:[0,0,1]
	v_mov_b32_e32 v125, v131
	s_delay_alu instid0(VALU_DEP_1)
	v_pk_add_f32 v[120:121], v[120:121], v[124:125]
	s_and_not1_b32 exec_lo, exec_lo, s0
	s_cbranch_execnz .LBB57_382
; %bb.383:
	s_or_b32 exec_lo, exec_lo, s0
.LBB57_384:
	s_delay_alu instid0(SALU_CYCLE_1) | instskip(SKIP_4) | instid1(VALU_DEP_1)
	s_or_b32 exec_lo, exec_lo, s16
	v_mov_b32_e32 v122, 0
	ds_load_b64 v[122:123], v122 offset:152
	s_wait_dscnt 0x0
	v_pk_mul_f32 v[124:125], v[120:121], v[122:123] op_sel:[1,1] op_sel_hi:[0,1]
	v_pk_fma_f32 v[126:127], v[120:121], v[122:123], v[124:125] op_sel_hi:[1,0,1]
	v_pk_fma_f32 v[120:121], v[120:121], v[122:123], v[124:125] neg_lo:[0,0,1] neg_hi:[0,0,1]
	s_delay_alu instid0(VALU_DEP_2)
	v_mov_b32_e32 v121, v127
	scratch_store_b64 off, v[120:121], off offset:152
.LBB57_385:
	s_wait_xcnt 0x0
	s_or_b32 exec_lo, exec_lo, s15
	scratch_load_b64 v[120:121], off, off offset:144
	v_cmp_lt_u32_e64 s0, 18, v0
	s_wait_loadcnt 0x0
	ds_store_b64 v1, v[120:121]
	s_wait_storecnt_dscnt 0x0
	s_barrier_signal -1
	s_barrier_wait -1
	s_wait_xcnt 0x0
	s_and_saveexec_b32 s14, s0
	s_cbranch_execz .LBB57_395
; %bb.386:
	s_and_not1_b32 vcc_lo, exec_lo, s3
	s_cbranch_vccnz .LBB57_388
; %bb.387:
	scratch_load_b64 v[120:121], v57, off
	ds_load_b64 v[122:123], v1
	s_wait_loadcnt_dscnt 0x0
	v_pk_mul_f32 v[124:125], v[122:123], v[120:121] op_sel:[1,1] op_sel_hi:[0,1]
	s_delay_alu instid0(VALU_DEP_1) | instskip(SKIP_1) | instid1(VALU_DEP_2)
	v_pk_fma_f32 v[126:127], v[122:123], v[120:121], v[124:125] op_sel_hi:[1,0,1]
	v_pk_fma_f32 v[120:121], v[122:123], v[120:121], v[124:125] neg_lo:[0,0,1] neg_hi:[0,0,1]
	v_mov_b32_e32 v121, v127
	s_cbranch_execz .LBB57_389
	s_branch .LBB57_390
.LBB57_388:
                                        ; implicit-def: $vgpr120_vgpr121
.LBB57_389:
	ds_load_b64 v[120:121], v1
.LBB57_390:
	s_and_saveexec_b32 s15, s1
	s_cbranch_execz .LBB57_394
; %bb.391:
	v_subrev_nc_u32_e32 v122, 19, v0
	s_movk_i32 s1, 0x98
	s_movk_i32 s17, 0x268
	s_mov_b32 s16, 0
.LBB57_392:                             ; =>This Inner Loop Header: Depth=1
	scratch_load_b64 v[124:125], off, s1
	v_dual_mov_b32 v123, s17 :: v_dual_add_nc_u32 v122, -1, v122
	s_add_co_i32 s17, s17, 8
	s_wait_xcnt 0x0
	s_add_co_i32 s1, s1, 8
	ds_load_b64 v[126:127], v123
	v_cmp_eq_u32_e32 vcc_lo, 0, v122
	s_or_b32 s16, vcc_lo, s16
	s_wait_loadcnt_dscnt 0x0
	v_pk_mul_f32 v[128:129], v[126:127], v[124:125] op_sel:[1,1] op_sel_hi:[0,1]
	s_delay_alu instid0(VALU_DEP_1) | instskip(SKIP_1) | instid1(VALU_DEP_2)
	v_pk_fma_f32 v[130:131], v[126:127], v[124:125], v[128:129] op_sel_hi:[1,0,1]
	v_pk_fma_f32 v[124:125], v[126:127], v[124:125], v[128:129] neg_lo:[0,0,1] neg_hi:[0,0,1]
	v_mov_b32_e32 v125, v131
	s_delay_alu instid0(VALU_DEP_1)
	v_pk_add_f32 v[120:121], v[120:121], v[124:125]
	s_and_not1_b32 exec_lo, exec_lo, s16
	s_cbranch_execnz .LBB57_392
; %bb.393:
	s_or_b32 exec_lo, exec_lo, s16
.LBB57_394:
	s_delay_alu instid0(SALU_CYCLE_1) | instskip(SKIP_4) | instid1(VALU_DEP_1)
	s_or_b32 exec_lo, exec_lo, s15
	v_mov_b32_e32 v122, 0
	ds_load_b64 v[122:123], v122 offset:144
	s_wait_dscnt 0x0
	v_pk_mul_f32 v[124:125], v[120:121], v[122:123] op_sel:[1,1] op_sel_hi:[0,1]
	v_pk_fma_f32 v[126:127], v[120:121], v[122:123], v[124:125] op_sel_hi:[1,0,1]
	v_pk_fma_f32 v[120:121], v[120:121], v[122:123], v[124:125] neg_lo:[0,0,1] neg_hi:[0,0,1]
	s_delay_alu instid0(VALU_DEP_2)
	v_mov_b32_e32 v121, v127
	scratch_store_b64 off, v[120:121], off offset:144
.LBB57_395:
	s_wait_xcnt 0x0
	s_or_b32 exec_lo, exec_lo, s14
	scratch_load_b64 v[120:121], off, off offset:136
	v_cmp_lt_u32_e64 s1, 17, v0
	s_wait_loadcnt 0x0
	ds_store_b64 v1, v[120:121]
	s_wait_storecnt_dscnt 0x0
	s_barrier_signal -1
	s_barrier_wait -1
	s_wait_xcnt 0x0
	s_and_saveexec_b32 s14, s1
	s_cbranch_execz .LBB57_405
; %bb.396:
	s_and_not1_b32 vcc_lo, exec_lo, s3
	s_cbranch_vccnz .LBB57_398
; %bb.397:
	scratch_load_b64 v[120:121], v57, off
	ds_load_b64 v[122:123], v1
	s_wait_loadcnt_dscnt 0x0
	v_pk_mul_f32 v[124:125], v[122:123], v[120:121] op_sel:[1,1] op_sel_hi:[0,1]
	s_delay_alu instid0(VALU_DEP_1) | instskip(SKIP_1) | instid1(VALU_DEP_2)
	v_pk_fma_f32 v[126:127], v[122:123], v[120:121], v[124:125] op_sel_hi:[1,0,1]
	v_pk_fma_f32 v[120:121], v[122:123], v[120:121], v[124:125] neg_lo:[0,0,1] neg_hi:[0,0,1]
	v_mov_b32_e32 v121, v127
	s_cbranch_execz .LBB57_399
	s_branch .LBB57_400
.LBB57_398:
                                        ; implicit-def: $vgpr120_vgpr121
.LBB57_399:
	ds_load_b64 v[120:121], v1
.LBB57_400:
	s_and_saveexec_b32 s15, s0
	s_cbranch_execz .LBB57_404
; %bb.401:
	v_subrev_nc_u32_e32 v122, 18, v0
	s_movk_i32 s16, 0x260
	s_mov_b32 s0, 0
.LBB57_402:                             ; =>This Inner Loop Header: Depth=1
	scratch_load_b64 v[124:125], off, s13
	v_dual_mov_b32 v123, s16 :: v_dual_add_nc_u32 v122, -1, v122
	s_add_co_i32 s16, s16, 8
	s_wait_xcnt 0x0
	s_add_co_i32 s13, s13, 8
	ds_load_b64 v[126:127], v123
	v_cmp_eq_u32_e32 vcc_lo, 0, v122
	s_or_b32 s0, vcc_lo, s0
	s_wait_loadcnt_dscnt 0x0
	v_pk_mul_f32 v[128:129], v[126:127], v[124:125] op_sel:[1,1] op_sel_hi:[0,1]
	s_delay_alu instid0(VALU_DEP_1) | instskip(SKIP_1) | instid1(VALU_DEP_2)
	v_pk_fma_f32 v[130:131], v[126:127], v[124:125], v[128:129] op_sel_hi:[1,0,1]
	v_pk_fma_f32 v[124:125], v[126:127], v[124:125], v[128:129] neg_lo:[0,0,1] neg_hi:[0,0,1]
	v_mov_b32_e32 v125, v131
	s_delay_alu instid0(VALU_DEP_1)
	v_pk_add_f32 v[120:121], v[120:121], v[124:125]
	s_and_not1_b32 exec_lo, exec_lo, s0
	s_cbranch_execnz .LBB57_402
; %bb.403:
	s_or_b32 exec_lo, exec_lo, s0
.LBB57_404:
	s_delay_alu instid0(SALU_CYCLE_1) | instskip(SKIP_4) | instid1(VALU_DEP_1)
	s_or_b32 exec_lo, exec_lo, s15
	v_mov_b32_e32 v122, 0
	ds_load_b64 v[122:123], v122 offset:136
	s_wait_dscnt 0x0
	v_pk_mul_f32 v[124:125], v[120:121], v[122:123] op_sel:[1,1] op_sel_hi:[0,1]
	v_pk_fma_f32 v[126:127], v[120:121], v[122:123], v[124:125] op_sel_hi:[1,0,1]
	v_pk_fma_f32 v[120:121], v[120:121], v[122:123], v[124:125] neg_lo:[0,0,1] neg_hi:[0,0,1]
	s_delay_alu instid0(VALU_DEP_2)
	v_mov_b32_e32 v121, v127
	scratch_store_b64 off, v[120:121], off offset:136
.LBB57_405:
	s_wait_xcnt 0x0
	s_or_b32 exec_lo, exec_lo, s14
	scratch_load_b64 v[120:121], off, off offset:128
	v_cmp_lt_u32_e64 s0, 16, v0
	s_wait_loadcnt 0x0
	ds_store_b64 v1, v[120:121]
	s_wait_storecnt_dscnt 0x0
	s_barrier_signal -1
	s_barrier_wait -1
	s_wait_xcnt 0x0
	s_and_saveexec_b32 s13, s0
	s_cbranch_execz .LBB57_415
; %bb.406:
	s_and_not1_b32 vcc_lo, exec_lo, s3
	s_cbranch_vccnz .LBB57_408
; %bb.407:
	scratch_load_b64 v[120:121], v57, off
	ds_load_b64 v[122:123], v1
	s_wait_loadcnt_dscnt 0x0
	v_pk_mul_f32 v[124:125], v[122:123], v[120:121] op_sel:[1,1] op_sel_hi:[0,1]
	s_delay_alu instid0(VALU_DEP_1) | instskip(SKIP_1) | instid1(VALU_DEP_2)
	v_pk_fma_f32 v[126:127], v[122:123], v[120:121], v[124:125] op_sel_hi:[1,0,1]
	v_pk_fma_f32 v[120:121], v[122:123], v[120:121], v[124:125] neg_lo:[0,0,1] neg_hi:[0,0,1]
	v_mov_b32_e32 v121, v127
	s_cbranch_execz .LBB57_409
	s_branch .LBB57_410
.LBB57_408:
                                        ; implicit-def: $vgpr120_vgpr121
.LBB57_409:
	ds_load_b64 v[120:121], v1
.LBB57_410:
	s_and_saveexec_b32 s14, s1
	s_cbranch_execz .LBB57_414
; %bb.411:
	v_subrev_nc_u32_e32 v122, 17, v0
	s_movk_i32 s1, 0x88
	s_movk_i32 s16, 0x258
	s_mov_b32 s15, 0
.LBB57_412:                             ; =>This Inner Loop Header: Depth=1
	scratch_load_b64 v[124:125], off, s1
	v_dual_mov_b32 v123, s16 :: v_dual_add_nc_u32 v122, -1, v122
	s_add_co_i32 s16, s16, 8
	s_wait_xcnt 0x0
	s_add_co_i32 s1, s1, 8
	ds_load_b64 v[126:127], v123
	v_cmp_eq_u32_e32 vcc_lo, 0, v122
	s_or_b32 s15, vcc_lo, s15
	s_wait_loadcnt_dscnt 0x0
	v_pk_mul_f32 v[128:129], v[126:127], v[124:125] op_sel:[1,1] op_sel_hi:[0,1]
	s_delay_alu instid0(VALU_DEP_1) | instskip(SKIP_1) | instid1(VALU_DEP_2)
	v_pk_fma_f32 v[130:131], v[126:127], v[124:125], v[128:129] op_sel_hi:[1,0,1]
	v_pk_fma_f32 v[124:125], v[126:127], v[124:125], v[128:129] neg_lo:[0,0,1] neg_hi:[0,0,1]
	v_mov_b32_e32 v125, v131
	s_delay_alu instid0(VALU_DEP_1)
	v_pk_add_f32 v[120:121], v[120:121], v[124:125]
	s_and_not1_b32 exec_lo, exec_lo, s15
	s_cbranch_execnz .LBB57_412
; %bb.413:
	s_or_b32 exec_lo, exec_lo, s15
.LBB57_414:
	s_delay_alu instid0(SALU_CYCLE_1) | instskip(SKIP_4) | instid1(VALU_DEP_1)
	s_or_b32 exec_lo, exec_lo, s14
	v_mov_b32_e32 v122, 0
	ds_load_b64 v[122:123], v122 offset:128
	s_wait_dscnt 0x0
	v_pk_mul_f32 v[124:125], v[120:121], v[122:123] op_sel:[1,1] op_sel_hi:[0,1]
	v_pk_fma_f32 v[126:127], v[120:121], v[122:123], v[124:125] op_sel_hi:[1,0,1]
	v_pk_fma_f32 v[120:121], v[120:121], v[122:123], v[124:125] neg_lo:[0,0,1] neg_hi:[0,0,1]
	s_delay_alu instid0(VALU_DEP_2)
	v_mov_b32_e32 v121, v127
	scratch_store_b64 off, v[120:121], off offset:128
.LBB57_415:
	s_wait_xcnt 0x0
	s_or_b32 exec_lo, exec_lo, s13
	scratch_load_b64 v[120:121], off, off offset:120
	v_cmp_lt_u32_e64 s1, 15, v0
	s_wait_loadcnt 0x0
	ds_store_b64 v1, v[120:121]
	s_wait_storecnt_dscnt 0x0
	s_barrier_signal -1
	s_barrier_wait -1
	s_wait_xcnt 0x0
	s_and_saveexec_b32 s13, s1
	s_cbranch_execz .LBB57_425
; %bb.416:
	s_and_not1_b32 vcc_lo, exec_lo, s3
	s_cbranch_vccnz .LBB57_418
; %bb.417:
	scratch_load_b64 v[120:121], v57, off
	ds_load_b64 v[122:123], v1
	s_wait_loadcnt_dscnt 0x0
	v_pk_mul_f32 v[124:125], v[122:123], v[120:121] op_sel:[1,1] op_sel_hi:[0,1]
	s_delay_alu instid0(VALU_DEP_1) | instskip(SKIP_1) | instid1(VALU_DEP_2)
	v_pk_fma_f32 v[126:127], v[122:123], v[120:121], v[124:125] op_sel_hi:[1,0,1]
	v_pk_fma_f32 v[120:121], v[122:123], v[120:121], v[124:125] neg_lo:[0,0,1] neg_hi:[0,0,1]
	v_mov_b32_e32 v121, v127
	s_cbranch_execz .LBB57_419
	s_branch .LBB57_420
.LBB57_418:
                                        ; implicit-def: $vgpr120_vgpr121
.LBB57_419:
	ds_load_b64 v[120:121], v1
.LBB57_420:
	s_and_saveexec_b32 s14, s0
	s_cbranch_execz .LBB57_424
; %bb.421:
	v_add_nc_u32_e32 v122, -16, v0
	s_movk_i32 s15, 0x250
	s_mov_b32 s0, 0
.LBB57_422:                             ; =>This Inner Loop Header: Depth=1
	scratch_load_b64 v[124:125], off, s12
	v_dual_mov_b32 v123, s15 :: v_dual_add_nc_u32 v122, -1, v122
	s_add_co_i32 s15, s15, 8
	s_wait_xcnt 0x0
	s_add_co_i32 s12, s12, 8
	ds_load_b64 v[126:127], v123
	v_cmp_eq_u32_e32 vcc_lo, 0, v122
	s_or_b32 s0, vcc_lo, s0
	s_wait_loadcnt_dscnt 0x0
	v_pk_mul_f32 v[128:129], v[126:127], v[124:125] op_sel:[1,1] op_sel_hi:[0,1]
	s_delay_alu instid0(VALU_DEP_1) | instskip(SKIP_1) | instid1(VALU_DEP_2)
	v_pk_fma_f32 v[130:131], v[126:127], v[124:125], v[128:129] op_sel_hi:[1,0,1]
	v_pk_fma_f32 v[124:125], v[126:127], v[124:125], v[128:129] neg_lo:[0,0,1] neg_hi:[0,0,1]
	v_mov_b32_e32 v125, v131
	s_delay_alu instid0(VALU_DEP_1)
	v_pk_add_f32 v[120:121], v[120:121], v[124:125]
	s_and_not1_b32 exec_lo, exec_lo, s0
	s_cbranch_execnz .LBB57_422
; %bb.423:
	s_or_b32 exec_lo, exec_lo, s0
.LBB57_424:
	s_delay_alu instid0(SALU_CYCLE_1) | instskip(SKIP_4) | instid1(VALU_DEP_1)
	s_or_b32 exec_lo, exec_lo, s14
	v_mov_b32_e32 v122, 0
	ds_load_b64 v[122:123], v122 offset:120
	s_wait_dscnt 0x0
	v_pk_mul_f32 v[124:125], v[120:121], v[122:123] op_sel:[1,1] op_sel_hi:[0,1]
	v_pk_fma_f32 v[126:127], v[120:121], v[122:123], v[124:125] op_sel_hi:[1,0,1]
	v_pk_fma_f32 v[120:121], v[120:121], v[122:123], v[124:125] neg_lo:[0,0,1] neg_hi:[0,0,1]
	s_delay_alu instid0(VALU_DEP_2)
	v_mov_b32_e32 v121, v127
	scratch_store_b64 off, v[120:121], off offset:120
.LBB57_425:
	s_wait_xcnt 0x0
	s_or_b32 exec_lo, exec_lo, s13
	scratch_load_b64 v[120:121], off, off offset:112
	v_cmp_lt_u32_e64 s0, 14, v0
	s_wait_loadcnt 0x0
	ds_store_b64 v1, v[120:121]
	s_wait_storecnt_dscnt 0x0
	s_barrier_signal -1
	s_barrier_wait -1
	s_wait_xcnt 0x0
	s_and_saveexec_b32 s12, s0
	s_cbranch_execz .LBB57_435
; %bb.426:
	s_and_not1_b32 vcc_lo, exec_lo, s3
	s_cbranch_vccnz .LBB57_428
; %bb.427:
	scratch_load_b64 v[120:121], v57, off
	ds_load_b64 v[122:123], v1
	s_wait_loadcnt_dscnt 0x0
	v_pk_mul_f32 v[124:125], v[122:123], v[120:121] op_sel:[1,1] op_sel_hi:[0,1]
	s_delay_alu instid0(VALU_DEP_1) | instskip(SKIP_1) | instid1(VALU_DEP_2)
	v_pk_fma_f32 v[126:127], v[122:123], v[120:121], v[124:125] op_sel_hi:[1,0,1]
	v_pk_fma_f32 v[120:121], v[122:123], v[120:121], v[124:125] neg_lo:[0,0,1] neg_hi:[0,0,1]
	v_mov_b32_e32 v121, v127
	s_cbranch_execz .LBB57_429
	s_branch .LBB57_430
.LBB57_428:
                                        ; implicit-def: $vgpr120_vgpr121
.LBB57_429:
	ds_load_b64 v[120:121], v1
.LBB57_430:
	s_and_saveexec_b32 s13, s1
	s_cbranch_execz .LBB57_434
; %bb.431:
	v_add_nc_u32_e32 v122, -15, v0
	s_movk_i32 s1, 0x78
	s_movk_i32 s15, 0x248
	s_mov_b32 s14, 0
.LBB57_432:                             ; =>This Inner Loop Header: Depth=1
	scratch_load_b64 v[124:125], off, s1
	v_dual_mov_b32 v123, s15 :: v_dual_add_nc_u32 v122, -1, v122
	s_add_co_i32 s15, s15, 8
	s_wait_xcnt 0x0
	s_add_co_i32 s1, s1, 8
	ds_load_b64 v[126:127], v123
	v_cmp_eq_u32_e32 vcc_lo, 0, v122
	s_or_b32 s14, vcc_lo, s14
	s_wait_loadcnt_dscnt 0x0
	v_pk_mul_f32 v[128:129], v[126:127], v[124:125] op_sel:[1,1] op_sel_hi:[0,1]
	s_delay_alu instid0(VALU_DEP_1) | instskip(SKIP_1) | instid1(VALU_DEP_2)
	v_pk_fma_f32 v[130:131], v[126:127], v[124:125], v[128:129] op_sel_hi:[1,0,1]
	v_pk_fma_f32 v[124:125], v[126:127], v[124:125], v[128:129] neg_lo:[0,0,1] neg_hi:[0,0,1]
	v_mov_b32_e32 v125, v131
	s_delay_alu instid0(VALU_DEP_1)
	v_pk_add_f32 v[120:121], v[120:121], v[124:125]
	s_and_not1_b32 exec_lo, exec_lo, s14
	s_cbranch_execnz .LBB57_432
; %bb.433:
	s_or_b32 exec_lo, exec_lo, s14
.LBB57_434:
	s_delay_alu instid0(SALU_CYCLE_1) | instskip(SKIP_4) | instid1(VALU_DEP_1)
	s_or_b32 exec_lo, exec_lo, s13
	v_mov_b32_e32 v122, 0
	ds_load_b64 v[122:123], v122 offset:112
	s_wait_dscnt 0x0
	v_pk_mul_f32 v[124:125], v[120:121], v[122:123] op_sel:[1,1] op_sel_hi:[0,1]
	v_pk_fma_f32 v[126:127], v[120:121], v[122:123], v[124:125] op_sel_hi:[1,0,1]
	v_pk_fma_f32 v[120:121], v[120:121], v[122:123], v[124:125] neg_lo:[0,0,1] neg_hi:[0,0,1]
	s_delay_alu instid0(VALU_DEP_2)
	v_mov_b32_e32 v121, v127
	scratch_store_b64 off, v[120:121], off offset:112
.LBB57_435:
	s_wait_xcnt 0x0
	s_or_b32 exec_lo, exec_lo, s12
	scratch_load_b64 v[120:121], off, off offset:104
	v_cmp_lt_u32_e64 s1, 13, v0
	s_wait_loadcnt 0x0
	ds_store_b64 v1, v[120:121]
	s_wait_storecnt_dscnt 0x0
	s_barrier_signal -1
	s_barrier_wait -1
	s_wait_xcnt 0x0
	s_and_saveexec_b32 s12, s1
	s_cbranch_execz .LBB57_445
; %bb.436:
	s_and_not1_b32 vcc_lo, exec_lo, s3
	s_cbranch_vccnz .LBB57_438
; %bb.437:
	scratch_load_b64 v[120:121], v57, off
	ds_load_b64 v[122:123], v1
	s_wait_loadcnt_dscnt 0x0
	v_pk_mul_f32 v[124:125], v[122:123], v[120:121] op_sel:[1,1] op_sel_hi:[0,1]
	s_delay_alu instid0(VALU_DEP_1) | instskip(SKIP_1) | instid1(VALU_DEP_2)
	v_pk_fma_f32 v[126:127], v[122:123], v[120:121], v[124:125] op_sel_hi:[1,0,1]
	v_pk_fma_f32 v[120:121], v[122:123], v[120:121], v[124:125] neg_lo:[0,0,1] neg_hi:[0,0,1]
	v_mov_b32_e32 v121, v127
	s_cbranch_execz .LBB57_439
	s_branch .LBB57_440
.LBB57_438:
                                        ; implicit-def: $vgpr120_vgpr121
.LBB57_439:
	ds_load_b64 v[120:121], v1
.LBB57_440:
	s_and_saveexec_b32 s13, s0
	s_cbranch_execz .LBB57_444
; %bb.441:
	v_add_nc_u32_e32 v122, -14, v0
	s_movk_i32 s14, 0x240
	s_mov_b32 s0, 0
.LBB57_442:                             ; =>This Inner Loop Header: Depth=1
	scratch_load_b64 v[124:125], off, s11
	v_dual_mov_b32 v123, s14 :: v_dual_add_nc_u32 v122, -1, v122
	s_add_co_i32 s14, s14, 8
	s_wait_xcnt 0x0
	s_add_co_i32 s11, s11, 8
	ds_load_b64 v[126:127], v123
	v_cmp_eq_u32_e32 vcc_lo, 0, v122
	s_or_b32 s0, vcc_lo, s0
	s_wait_loadcnt_dscnt 0x0
	v_pk_mul_f32 v[128:129], v[126:127], v[124:125] op_sel:[1,1] op_sel_hi:[0,1]
	s_delay_alu instid0(VALU_DEP_1) | instskip(SKIP_1) | instid1(VALU_DEP_2)
	v_pk_fma_f32 v[130:131], v[126:127], v[124:125], v[128:129] op_sel_hi:[1,0,1]
	v_pk_fma_f32 v[124:125], v[126:127], v[124:125], v[128:129] neg_lo:[0,0,1] neg_hi:[0,0,1]
	v_mov_b32_e32 v125, v131
	s_delay_alu instid0(VALU_DEP_1)
	v_pk_add_f32 v[120:121], v[120:121], v[124:125]
	s_and_not1_b32 exec_lo, exec_lo, s0
	s_cbranch_execnz .LBB57_442
; %bb.443:
	s_or_b32 exec_lo, exec_lo, s0
.LBB57_444:
	s_delay_alu instid0(SALU_CYCLE_1) | instskip(SKIP_4) | instid1(VALU_DEP_1)
	s_or_b32 exec_lo, exec_lo, s13
	v_mov_b32_e32 v122, 0
	ds_load_b64 v[122:123], v122 offset:104
	s_wait_dscnt 0x0
	v_pk_mul_f32 v[124:125], v[120:121], v[122:123] op_sel:[1,1] op_sel_hi:[0,1]
	v_pk_fma_f32 v[126:127], v[120:121], v[122:123], v[124:125] op_sel_hi:[1,0,1]
	v_pk_fma_f32 v[120:121], v[120:121], v[122:123], v[124:125] neg_lo:[0,0,1] neg_hi:[0,0,1]
	s_delay_alu instid0(VALU_DEP_2)
	v_mov_b32_e32 v121, v127
	scratch_store_b64 off, v[120:121], off offset:104
.LBB57_445:
	s_wait_xcnt 0x0
	s_or_b32 exec_lo, exec_lo, s12
	scratch_load_b64 v[120:121], off, off offset:96
	v_cmp_lt_u32_e64 s0, 12, v0
	s_wait_loadcnt 0x0
	ds_store_b64 v1, v[120:121]
	s_wait_storecnt_dscnt 0x0
	s_barrier_signal -1
	s_barrier_wait -1
	s_wait_xcnt 0x0
	s_and_saveexec_b32 s11, s0
	s_cbranch_execz .LBB57_455
; %bb.446:
	s_and_not1_b32 vcc_lo, exec_lo, s3
	s_cbranch_vccnz .LBB57_448
; %bb.447:
	scratch_load_b64 v[120:121], v57, off
	ds_load_b64 v[122:123], v1
	s_wait_loadcnt_dscnt 0x0
	v_pk_mul_f32 v[124:125], v[122:123], v[120:121] op_sel:[1,1] op_sel_hi:[0,1]
	s_delay_alu instid0(VALU_DEP_1) | instskip(SKIP_1) | instid1(VALU_DEP_2)
	v_pk_fma_f32 v[126:127], v[122:123], v[120:121], v[124:125] op_sel_hi:[1,0,1]
	v_pk_fma_f32 v[120:121], v[122:123], v[120:121], v[124:125] neg_lo:[0,0,1] neg_hi:[0,0,1]
	v_mov_b32_e32 v121, v127
	s_cbranch_execz .LBB57_449
	s_branch .LBB57_450
.LBB57_448:
                                        ; implicit-def: $vgpr120_vgpr121
.LBB57_449:
	ds_load_b64 v[120:121], v1
.LBB57_450:
	s_and_saveexec_b32 s12, s1
	s_cbranch_execz .LBB57_454
; %bb.451:
	v_add_nc_u32_e32 v122, -13, v0
	s_movk_i32 s1, 0x68
	s_movk_i32 s14, 0x238
	s_mov_b32 s13, 0
.LBB57_452:                             ; =>This Inner Loop Header: Depth=1
	scratch_load_b64 v[124:125], off, s1
	v_dual_mov_b32 v123, s14 :: v_dual_add_nc_u32 v122, -1, v122
	s_add_co_i32 s14, s14, 8
	s_wait_xcnt 0x0
	s_add_co_i32 s1, s1, 8
	ds_load_b64 v[126:127], v123
	v_cmp_eq_u32_e32 vcc_lo, 0, v122
	s_or_b32 s13, vcc_lo, s13
	s_wait_loadcnt_dscnt 0x0
	v_pk_mul_f32 v[128:129], v[126:127], v[124:125] op_sel:[1,1] op_sel_hi:[0,1]
	s_delay_alu instid0(VALU_DEP_1) | instskip(SKIP_1) | instid1(VALU_DEP_2)
	v_pk_fma_f32 v[130:131], v[126:127], v[124:125], v[128:129] op_sel_hi:[1,0,1]
	v_pk_fma_f32 v[124:125], v[126:127], v[124:125], v[128:129] neg_lo:[0,0,1] neg_hi:[0,0,1]
	v_mov_b32_e32 v125, v131
	s_delay_alu instid0(VALU_DEP_1)
	v_pk_add_f32 v[120:121], v[120:121], v[124:125]
	s_and_not1_b32 exec_lo, exec_lo, s13
	s_cbranch_execnz .LBB57_452
; %bb.453:
	s_or_b32 exec_lo, exec_lo, s13
.LBB57_454:
	s_delay_alu instid0(SALU_CYCLE_1) | instskip(SKIP_4) | instid1(VALU_DEP_1)
	s_or_b32 exec_lo, exec_lo, s12
	v_mov_b32_e32 v122, 0
	ds_load_b64 v[122:123], v122 offset:96
	s_wait_dscnt 0x0
	v_pk_mul_f32 v[124:125], v[120:121], v[122:123] op_sel:[1,1] op_sel_hi:[0,1]
	v_pk_fma_f32 v[126:127], v[120:121], v[122:123], v[124:125] op_sel_hi:[1,0,1]
	v_pk_fma_f32 v[120:121], v[120:121], v[122:123], v[124:125] neg_lo:[0,0,1] neg_hi:[0,0,1]
	s_delay_alu instid0(VALU_DEP_2)
	v_mov_b32_e32 v121, v127
	scratch_store_b64 off, v[120:121], off offset:96
.LBB57_455:
	s_wait_xcnt 0x0
	s_or_b32 exec_lo, exec_lo, s11
	scratch_load_b64 v[120:121], off, off offset:88
	v_cmp_lt_u32_e64 s1, 11, v0
	s_wait_loadcnt 0x0
	ds_store_b64 v1, v[120:121]
	s_wait_storecnt_dscnt 0x0
	s_barrier_signal -1
	s_barrier_wait -1
	s_wait_xcnt 0x0
	s_and_saveexec_b32 s11, s1
	s_cbranch_execz .LBB57_465
; %bb.456:
	s_and_not1_b32 vcc_lo, exec_lo, s3
	s_cbranch_vccnz .LBB57_458
; %bb.457:
	scratch_load_b64 v[120:121], v57, off
	ds_load_b64 v[122:123], v1
	s_wait_loadcnt_dscnt 0x0
	v_pk_mul_f32 v[124:125], v[122:123], v[120:121] op_sel:[1,1] op_sel_hi:[0,1]
	s_delay_alu instid0(VALU_DEP_1) | instskip(SKIP_1) | instid1(VALU_DEP_2)
	v_pk_fma_f32 v[126:127], v[122:123], v[120:121], v[124:125] op_sel_hi:[1,0,1]
	v_pk_fma_f32 v[120:121], v[122:123], v[120:121], v[124:125] neg_lo:[0,0,1] neg_hi:[0,0,1]
	v_mov_b32_e32 v121, v127
	s_cbranch_execz .LBB57_459
	s_branch .LBB57_460
.LBB57_458:
                                        ; implicit-def: $vgpr120_vgpr121
.LBB57_459:
	ds_load_b64 v[120:121], v1
.LBB57_460:
	s_and_saveexec_b32 s12, s0
	s_cbranch_execz .LBB57_464
; %bb.461:
	v_add_nc_u32_e32 v122, -12, v0
	s_movk_i32 s13, 0x230
	s_mov_b32 s0, 0
.LBB57_462:                             ; =>This Inner Loop Header: Depth=1
	scratch_load_b64 v[124:125], off, s10
	v_dual_mov_b32 v123, s13 :: v_dual_add_nc_u32 v122, -1, v122
	s_add_co_i32 s13, s13, 8
	s_wait_xcnt 0x0
	s_add_co_i32 s10, s10, 8
	ds_load_b64 v[126:127], v123
	v_cmp_eq_u32_e32 vcc_lo, 0, v122
	s_or_b32 s0, vcc_lo, s0
	s_wait_loadcnt_dscnt 0x0
	v_pk_mul_f32 v[128:129], v[126:127], v[124:125] op_sel:[1,1] op_sel_hi:[0,1]
	s_delay_alu instid0(VALU_DEP_1) | instskip(SKIP_1) | instid1(VALU_DEP_2)
	v_pk_fma_f32 v[130:131], v[126:127], v[124:125], v[128:129] op_sel_hi:[1,0,1]
	v_pk_fma_f32 v[124:125], v[126:127], v[124:125], v[128:129] neg_lo:[0,0,1] neg_hi:[0,0,1]
	v_mov_b32_e32 v125, v131
	s_delay_alu instid0(VALU_DEP_1)
	v_pk_add_f32 v[120:121], v[120:121], v[124:125]
	s_and_not1_b32 exec_lo, exec_lo, s0
	s_cbranch_execnz .LBB57_462
; %bb.463:
	s_or_b32 exec_lo, exec_lo, s0
.LBB57_464:
	s_delay_alu instid0(SALU_CYCLE_1) | instskip(SKIP_4) | instid1(VALU_DEP_1)
	s_or_b32 exec_lo, exec_lo, s12
	v_mov_b32_e32 v122, 0
	ds_load_b64 v[122:123], v122 offset:88
	s_wait_dscnt 0x0
	v_pk_mul_f32 v[124:125], v[120:121], v[122:123] op_sel:[1,1] op_sel_hi:[0,1]
	v_pk_fma_f32 v[126:127], v[120:121], v[122:123], v[124:125] op_sel_hi:[1,0,1]
	v_pk_fma_f32 v[120:121], v[120:121], v[122:123], v[124:125] neg_lo:[0,0,1] neg_hi:[0,0,1]
	s_delay_alu instid0(VALU_DEP_2)
	v_mov_b32_e32 v121, v127
	scratch_store_b64 off, v[120:121], off offset:88
.LBB57_465:
	s_wait_xcnt 0x0
	s_or_b32 exec_lo, exec_lo, s11
	scratch_load_b64 v[120:121], off, off offset:80
	v_cmp_lt_u32_e64 s0, 10, v0
	s_wait_loadcnt 0x0
	ds_store_b64 v1, v[120:121]
	s_wait_storecnt_dscnt 0x0
	s_barrier_signal -1
	s_barrier_wait -1
	s_wait_xcnt 0x0
	s_and_saveexec_b32 s10, s0
	s_cbranch_execz .LBB57_475
; %bb.466:
	s_and_not1_b32 vcc_lo, exec_lo, s3
	s_cbranch_vccnz .LBB57_468
; %bb.467:
	scratch_load_b64 v[120:121], v57, off
	ds_load_b64 v[122:123], v1
	s_wait_loadcnt_dscnt 0x0
	v_pk_mul_f32 v[124:125], v[122:123], v[120:121] op_sel:[1,1] op_sel_hi:[0,1]
	s_delay_alu instid0(VALU_DEP_1) | instskip(SKIP_1) | instid1(VALU_DEP_2)
	v_pk_fma_f32 v[126:127], v[122:123], v[120:121], v[124:125] op_sel_hi:[1,0,1]
	v_pk_fma_f32 v[120:121], v[122:123], v[120:121], v[124:125] neg_lo:[0,0,1] neg_hi:[0,0,1]
	v_mov_b32_e32 v121, v127
	s_cbranch_execz .LBB57_469
	s_branch .LBB57_470
.LBB57_468:
                                        ; implicit-def: $vgpr120_vgpr121
.LBB57_469:
	ds_load_b64 v[120:121], v1
.LBB57_470:
	s_and_saveexec_b32 s11, s1
	s_cbranch_execz .LBB57_474
; %bb.471:
	v_add_nc_u32_e32 v122, -11, v0
	s_movk_i32 s1, 0x58
	s_movk_i32 s13, 0x228
	s_mov_b32 s12, 0
.LBB57_472:                             ; =>This Inner Loop Header: Depth=1
	scratch_load_b64 v[124:125], off, s1
	v_dual_mov_b32 v123, s13 :: v_dual_add_nc_u32 v122, -1, v122
	s_add_co_i32 s13, s13, 8
	s_wait_xcnt 0x0
	s_add_co_i32 s1, s1, 8
	ds_load_b64 v[126:127], v123
	v_cmp_eq_u32_e32 vcc_lo, 0, v122
	s_or_b32 s12, vcc_lo, s12
	s_wait_loadcnt_dscnt 0x0
	v_pk_mul_f32 v[128:129], v[126:127], v[124:125] op_sel:[1,1] op_sel_hi:[0,1]
	s_delay_alu instid0(VALU_DEP_1) | instskip(SKIP_1) | instid1(VALU_DEP_2)
	v_pk_fma_f32 v[130:131], v[126:127], v[124:125], v[128:129] op_sel_hi:[1,0,1]
	v_pk_fma_f32 v[124:125], v[126:127], v[124:125], v[128:129] neg_lo:[0,0,1] neg_hi:[0,0,1]
	v_mov_b32_e32 v125, v131
	s_delay_alu instid0(VALU_DEP_1)
	v_pk_add_f32 v[120:121], v[120:121], v[124:125]
	s_and_not1_b32 exec_lo, exec_lo, s12
	s_cbranch_execnz .LBB57_472
; %bb.473:
	s_or_b32 exec_lo, exec_lo, s12
.LBB57_474:
	s_delay_alu instid0(SALU_CYCLE_1) | instskip(SKIP_4) | instid1(VALU_DEP_1)
	s_or_b32 exec_lo, exec_lo, s11
	v_mov_b32_e32 v122, 0
	ds_load_b64 v[122:123], v122 offset:80
	s_wait_dscnt 0x0
	v_pk_mul_f32 v[124:125], v[120:121], v[122:123] op_sel:[1,1] op_sel_hi:[0,1]
	v_pk_fma_f32 v[126:127], v[120:121], v[122:123], v[124:125] op_sel_hi:[1,0,1]
	v_pk_fma_f32 v[120:121], v[120:121], v[122:123], v[124:125] neg_lo:[0,0,1] neg_hi:[0,0,1]
	s_delay_alu instid0(VALU_DEP_2)
	v_mov_b32_e32 v121, v127
	scratch_store_b64 off, v[120:121], off offset:80
.LBB57_475:
	s_wait_xcnt 0x0
	s_or_b32 exec_lo, exec_lo, s10
	scratch_load_b64 v[120:121], off, off offset:72
	v_cmp_lt_u32_e64 s1, 9, v0
	s_wait_loadcnt 0x0
	ds_store_b64 v1, v[120:121]
	s_wait_storecnt_dscnt 0x0
	s_barrier_signal -1
	s_barrier_wait -1
	s_wait_xcnt 0x0
	s_and_saveexec_b32 s10, s1
	s_cbranch_execz .LBB57_485
; %bb.476:
	s_and_not1_b32 vcc_lo, exec_lo, s3
	s_cbranch_vccnz .LBB57_478
; %bb.477:
	scratch_load_b64 v[120:121], v57, off
	ds_load_b64 v[122:123], v1
	s_wait_loadcnt_dscnt 0x0
	v_pk_mul_f32 v[124:125], v[122:123], v[120:121] op_sel:[1,1] op_sel_hi:[0,1]
	s_delay_alu instid0(VALU_DEP_1) | instskip(SKIP_1) | instid1(VALU_DEP_2)
	v_pk_fma_f32 v[126:127], v[122:123], v[120:121], v[124:125] op_sel_hi:[1,0,1]
	v_pk_fma_f32 v[120:121], v[122:123], v[120:121], v[124:125] neg_lo:[0,0,1] neg_hi:[0,0,1]
	v_mov_b32_e32 v121, v127
	s_cbranch_execz .LBB57_479
	s_branch .LBB57_480
.LBB57_478:
                                        ; implicit-def: $vgpr120_vgpr121
.LBB57_479:
	ds_load_b64 v[120:121], v1
.LBB57_480:
	s_and_saveexec_b32 s11, s0
	s_cbranch_execz .LBB57_484
; %bb.481:
	v_add_nc_u32_e32 v122, -10, v0
	s_movk_i32 s12, 0x220
	s_mov_b32 s0, 0
.LBB57_482:                             ; =>This Inner Loop Header: Depth=1
	scratch_load_b64 v[124:125], off, s9
	v_dual_mov_b32 v123, s12 :: v_dual_add_nc_u32 v122, -1, v122
	s_add_co_i32 s12, s12, 8
	s_wait_xcnt 0x0
	s_add_co_i32 s9, s9, 8
	ds_load_b64 v[126:127], v123
	v_cmp_eq_u32_e32 vcc_lo, 0, v122
	s_or_b32 s0, vcc_lo, s0
	s_wait_loadcnt_dscnt 0x0
	v_pk_mul_f32 v[128:129], v[126:127], v[124:125] op_sel:[1,1] op_sel_hi:[0,1]
	s_delay_alu instid0(VALU_DEP_1) | instskip(SKIP_1) | instid1(VALU_DEP_2)
	v_pk_fma_f32 v[130:131], v[126:127], v[124:125], v[128:129] op_sel_hi:[1,0,1]
	v_pk_fma_f32 v[124:125], v[126:127], v[124:125], v[128:129] neg_lo:[0,0,1] neg_hi:[0,0,1]
	v_mov_b32_e32 v125, v131
	s_delay_alu instid0(VALU_DEP_1)
	v_pk_add_f32 v[120:121], v[120:121], v[124:125]
	s_and_not1_b32 exec_lo, exec_lo, s0
	s_cbranch_execnz .LBB57_482
; %bb.483:
	s_or_b32 exec_lo, exec_lo, s0
.LBB57_484:
	s_delay_alu instid0(SALU_CYCLE_1) | instskip(SKIP_4) | instid1(VALU_DEP_1)
	s_or_b32 exec_lo, exec_lo, s11
	v_mov_b32_e32 v122, 0
	ds_load_b64 v[122:123], v122 offset:72
	s_wait_dscnt 0x0
	v_pk_mul_f32 v[124:125], v[120:121], v[122:123] op_sel:[1,1] op_sel_hi:[0,1]
	v_pk_fma_f32 v[126:127], v[120:121], v[122:123], v[124:125] op_sel_hi:[1,0,1]
	v_pk_fma_f32 v[120:121], v[120:121], v[122:123], v[124:125] neg_lo:[0,0,1] neg_hi:[0,0,1]
	s_delay_alu instid0(VALU_DEP_2)
	v_mov_b32_e32 v121, v127
	scratch_store_b64 off, v[120:121], off offset:72
.LBB57_485:
	s_wait_xcnt 0x0
	s_or_b32 exec_lo, exec_lo, s10
	scratch_load_b64 v[120:121], off, off offset:64
	v_cmp_lt_u32_e64 s0, 8, v0
	s_wait_loadcnt 0x0
	ds_store_b64 v1, v[120:121]
	s_wait_storecnt_dscnt 0x0
	s_barrier_signal -1
	s_barrier_wait -1
	s_wait_xcnt 0x0
	s_and_saveexec_b32 s9, s0
	s_cbranch_execz .LBB57_495
; %bb.486:
	s_and_not1_b32 vcc_lo, exec_lo, s3
	s_cbranch_vccnz .LBB57_488
; %bb.487:
	scratch_load_b64 v[120:121], v57, off
	ds_load_b64 v[122:123], v1
	s_wait_loadcnt_dscnt 0x0
	v_pk_mul_f32 v[124:125], v[122:123], v[120:121] op_sel:[1,1] op_sel_hi:[0,1]
	s_delay_alu instid0(VALU_DEP_1) | instskip(SKIP_1) | instid1(VALU_DEP_2)
	v_pk_fma_f32 v[126:127], v[122:123], v[120:121], v[124:125] op_sel_hi:[1,0,1]
	v_pk_fma_f32 v[120:121], v[122:123], v[120:121], v[124:125] neg_lo:[0,0,1] neg_hi:[0,0,1]
	v_mov_b32_e32 v121, v127
	s_cbranch_execz .LBB57_489
	s_branch .LBB57_490
.LBB57_488:
                                        ; implicit-def: $vgpr120_vgpr121
.LBB57_489:
	ds_load_b64 v[120:121], v1
.LBB57_490:
	s_and_saveexec_b32 s10, s1
	s_cbranch_execz .LBB57_494
; %bb.491:
	v_add_nc_u32_e32 v122, -9, v0
	s_movk_i32 s1, 0x48
	s_movk_i32 s12, 0x218
	s_mov_b32 s11, 0
.LBB57_492:                             ; =>This Inner Loop Header: Depth=1
	scratch_load_b64 v[124:125], off, s1
	v_dual_mov_b32 v123, s12 :: v_dual_add_nc_u32 v122, -1, v122
	s_add_co_i32 s12, s12, 8
	s_wait_xcnt 0x0
	s_add_co_i32 s1, s1, 8
	ds_load_b64 v[126:127], v123
	v_cmp_eq_u32_e32 vcc_lo, 0, v122
	s_or_b32 s11, vcc_lo, s11
	s_wait_loadcnt_dscnt 0x0
	v_pk_mul_f32 v[128:129], v[126:127], v[124:125] op_sel:[1,1] op_sel_hi:[0,1]
	s_delay_alu instid0(VALU_DEP_1) | instskip(SKIP_1) | instid1(VALU_DEP_2)
	v_pk_fma_f32 v[130:131], v[126:127], v[124:125], v[128:129] op_sel_hi:[1,0,1]
	v_pk_fma_f32 v[124:125], v[126:127], v[124:125], v[128:129] neg_lo:[0,0,1] neg_hi:[0,0,1]
	v_mov_b32_e32 v125, v131
	s_delay_alu instid0(VALU_DEP_1)
	v_pk_add_f32 v[120:121], v[120:121], v[124:125]
	s_and_not1_b32 exec_lo, exec_lo, s11
	s_cbranch_execnz .LBB57_492
; %bb.493:
	s_or_b32 exec_lo, exec_lo, s11
.LBB57_494:
	s_delay_alu instid0(SALU_CYCLE_1) | instskip(SKIP_4) | instid1(VALU_DEP_1)
	s_or_b32 exec_lo, exec_lo, s10
	v_mov_b32_e32 v122, 0
	ds_load_b64 v[122:123], v122 offset:64
	s_wait_dscnt 0x0
	v_pk_mul_f32 v[124:125], v[120:121], v[122:123] op_sel:[1,1] op_sel_hi:[0,1]
	v_pk_fma_f32 v[126:127], v[120:121], v[122:123], v[124:125] op_sel_hi:[1,0,1]
	v_pk_fma_f32 v[120:121], v[120:121], v[122:123], v[124:125] neg_lo:[0,0,1] neg_hi:[0,0,1]
	s_delay_alu instid0(VALU_DEP_2)
	v_mov_b32_e32 v121, v127
	scratch_store_b64 off, v[120:121], off offset:64
.LBB57_495:
	s_wait_xcnt 0x0
	s_or_b32 exec_lo, exec_lo, s9
	scratch_load_b64 v[120:121], off, off offset:56
	v_cmp_lt_u32_e64 s1, 7, v0
	s_wait_loadcnt 0x0
	ds_store_b64 v1, v[120:121]
	s_wait_storecnt_dscnt 0x0
	s_barrier_signal -1
	s_barrier_wait -1
	s_wait_xcnt 0x0
	s_and_saveexec_b32 s9, s1
	s_cbranch_execz .LBB57_505
; %bb.496:
	s_and_not1_b32 vcc_lo, exec_lo, s3
	s_cbranch_vccnz .LBB57_498
; %bb.497:
	scratch_load_b64 v[120:121], v57, off
	ds_load_b64 v[122:123], v1
	s_wait_loadcnt_dscnt 0x0
	v_pk_mul_f32 v[124:125], v[122:123], v[120:121] op_sel:[1,1] op_sel_hi:[0,1]
	s_delay_alu instid0(VALU_DEP_1) | instskip(SKIP_1) | instid1(VALU_DEP_2)
	v_pk_fma_f32 v[126:127], v[122:123], v[120:121], v[124:125] op_sel_hi:[1,0,1]
	v_pk_fma_f32 v[120:121], v[122:123], v[120:121], v[124:125] neg_lo:[0,0,1] neg_hi:[0,0,1]
	v_mov_b32_e32 v121, v127
	s_cbranch_execz .LBB57_499
	s_branch .LBB57_500
.LBB57_498:
                                        ; implicit-def: $vgpr120_vgpr121
.LBB57_499:
	ds_load_b64 v[120:121], v1
.LBB57_500:
	s_and_saveexec_b32 s10, s0
	s_cbranch_execz .LBB57_504
; %bb.501:
	v_add_nc_u32_e32 v122, -8, v0
	s_movk_i32 s11, 0x210
	s_mov_b32 s0, 0
.LBB57_502:                             ; =>This Inner Loop Header: Depth=1
	scratch_load_b64 v[124:125], off, s8
	v_dual_mov_b32 v123, s11 :: v_dual_add_nc_u32 v122, -1, v122
	s_add_co_i32 s11, s11, 8
	s_wait_xcnt 0x0
	s_add_co_i32 s8, s8, 8
	ds_load_b64 v[126:127], v123
	v_cmp_eq_u32_e32 vcc_lo, 0, v122
	s_or_b32 s0, vcc_lo, s0
	s_wait_loadcnt_dscnt 0x0
	v_pk_mul_f32 v[128:129], v[126:127], v[124:125] op_sel:[1,1] op_sel_hi:[0,1]
	s_delay_alu instid0(VALU_DEP_1) | instskip(SKIP_1) | instid1(VALU_DEP_2)
	v_pk_fma_f32 v[130:131], v[126:127], v[124:125], v[128:129] op_sel_hi:[1,0,1]
	v_pk_fma_f32 v[124:125], v[126:127], v[124:125], v[128:129] neg_lo:[0,0,1] neg_hi:[0,0,1]
	v_mov_b32_e32 v125, v131
	s_delay_alu instid0(VALU_DEP_1)
	v_pk_add_f32 v[120:121], v[120:121], v[124:125]
	s_and_not1_b32 exec_lo, exec_lo, s0
	s_cbranch_execnz .LBB57_502
; %bb.503:
	s_or_b32 exec_lo, exec_lo, s0
.LBB57_504:
	s_delay_alu instid0(SALU_CYCLE_1) | instskip(SKIP_4) | instid1(VALU_DEP_1)
	s_or_b32 exec_lo, exec_lo, s10
	v_mov_b32_e32 v122, 0
	ds_load_b64 v[122:123], v122 offset:56
	s_wait_dscnt 0x0
	v_pk_mul_f32 v[124:125], v[120:121], v[122:123] op_sel:[1,1] op_sel_hi:[0,1]
	v_pk_fma_f32 v[126:127], v[120:121], v[122:123], v[124:125] op_sel_hi:[1,0,1]
	v_pk_fma_f32 v[120:121], v[120:121], v[122:123], v[124:125] neg_lo:[0,0,1] neg_hi:[0,0,1]
	s_delay_alu instid0(VALU_DEP_2)
	v_mov_b32_e32 v121, v127
	scratch_store_b64 off, v[120:121], off offset:56
.LBB57_505:
	s_wait_xcnt 0x0
	s_or_b32 exec_lo, exec_lo, s9
	scratch_load_b64 v[120:121], off, off offset:48
	v_cmp_lt_u32_e64 s0, 6, v0
	s_wait_loadcnt 0x0
	ds_store_b64 v1, v[120:121]
	s_wait_storecnt_dscnt 0x0
	s_barrier_signal -1
	s_barrier_wait -1
	s_wait_xcnt 0x0
	s_and_saveexec_b32 s8, s0
	s_cbranch_execz .LBB57_515
; %bb.506:
	s_and_not1_b32 vcc_lo, exec_lo, s3
	s_cbranch_vccnz .LBB57_508
; %bb.507:
	scratch_load_b64 v[120:121], v57, off
	ds_load_b64 v[122:123], v1
	s_wait_loadcnt_dscnt 0x0
	v_pk_mul_f32 v[124:125], v[122:123], v[120:121] op_sel:[1,1] op_sel_hi:[0,1]
	s_delay_alu instid0(VALU_DEP_1) | instskip(SKIP_1) | instid1(VALU_DEP_2)
	v_pk_fma_f32 v[126:127], v[122:123], v[120:121], v[124:125] op_sel_hi:[1,0,1]
	v_pk_fma_f32 v[120:121], v[122:123], v[120:121], v[124:125] neg_lo:[0,0,1] neg_hi:[0,0,1]
	v_mov_b32_e32 v121, v127
	s_cbranch_execz .LBB57_509
	s_branch .LBB57_510
.LBB57_508:
                                        ; implicit-def: $vgpr120_vgpr121
.LBB57_509:
	ds_load_b64 v[120:121], v1
.LBB57_510:
	s_and_saveexec_b32 s9, s1
	s_cbranch_execz .LBB57_514
; %bb.511:
	v_add_nc_u32_e32 v122, -7, v0
	s_mov_b32 s1, 56
	s_movk_i32 s11, 0x208
	s_mov_b32 s10, 0
.LBB57_512:                             ; =>This Inner Loop Header: Depth=1
	scratch_load_b64 v[124:125], off, s1
	v_dual_mov_b32 v123, s11 :: v_dual_add_nc_u32 v122, -1, v122
	s_add_co_i32 s11, s11, 8
	s_wait_xcnt 0x0
	s_add_co_i32 s1, s1, 8
	ds_load_b64 v[126:127], v123
	v_cmp_eq_u32_e32 vcc_lo, 0, v122
	s_or_b32 s10, vcc_lo, s10
	s_wait_loadcnt_dscnt 0x0
	v_pk_mul_f32 v[128:129], v[126:127], v[124:125] op_sel:[1,1] op_sel_hi:[0,1]
	s_delay_alu instid0(VALU_DEP_1) | instskip(SKIP_1) | instid1(VALU_DEP_2)
	v_pk_fma_f32 v[130:131], v[126:127], v[124:125], v[128:129] op_sel_hi:[1,0,1]
	v_pk_fma_f32 v[124:125], v[126:127], v[124:125], v[128:129] neg_lo:[0,0,1] neg_hi:[0,0,1]
	v_mov_b32_e32 v125, v131
	s_delay_alu instid0(VALU_DEP_1)
	v_pk_add_f32 v[120:121], v[120:121], v[124:125]
	s_and_not1_b32 exec_lo, exec_lo, s10
	s_cbranch_execnz .LBB57_512
; %bb.513:
	s_or_b32 exec_lo, exec_lo, s10
.LBB57_514:
	s_delay_alu instid0(SALU_CYCLE_1) | instskip(SKIP_4) | instid1(VALU_DEP_1)
	s_or_b32 exec_lo, exec_lo, s9
	v_mov_b32_e32 v122, 0
	ds_load_b64 v[122:123], v122 offset:48
	s_wait_dscnt 0x0
	v_pk_mul_f32 v[124:125], v[120:121], v[122:123] op_sel:[1,1] op_sel_hi:[0,1]
	v_pk_fma_f32 v[126:127], v[120:121], v[122:123], v[124:125] op_sel_hi:[1,0,1]
	v_pk_fma_f32 v[120:121], v[120:121], v[122:123], v[124:125] neg_lo:[0,0,1] neg_hi:[0,0,1]
	s_delay_alu instid0(VALU_DEP_2)
	v_mov_b32_e32 v121, v127
	scratch_store_b64 off, v[120:121], off offset:48
.LBB57_515:
	s_wait_xcnt 0x0
	s_or_b32 exec_lo, exec_lo, s8
	scratch_load_b64 v[120:121], off, off offset:40
	v_cmp_lt_u32_e64 s1, 5, v0
	s_wait_loadcnt 0x0
	ds_store_b64 v1, v[120:121]
	s_wait_storecnt_dscnt 0x0
	s_barrier_signal -1
	s_barrier_wait -1
	s_wait_xcnt 0x0
	s_and_saveexec_b32 s8, s1
	s_cbranch_execz .LBB57_525
; %bb.516:
	s_and_not1_b32 vcc_lo, exec_lo, s3
	s_cbranch_vccnz .LBB57_518
; %bb.517:
	scratch_load_b64 v[120:121], v57, off
	ds_load_b64 v[122:123], v1
	s_wait_loadcnt_dscnt 0x0
	v_pk_mul_f32 v[124:125], v[122:123], v[120:121] op_sel:[1,1] op_sel_hi:[0,1]
	s_delay_alu instid0(VALU_DEP_1) | instskip(SKIP_1) | instid1(VALU_DEP_2)
	v_pk_fma_f32 v[126:127], v[122:123], v[120:121], v[124:125] op_sel_hi:[1,0,1]
	v_pk_fma_f32 v[120:121], v[122:123], v[120:121], v[124:125] neg_lo:[0,0,1] neg_hi:[0,0,1]
	v_mov_b32_e32 v121, v127
	s_cbranch_execz .LBB57_519
	s_branch .LBB57_520
.LBB57_518:
                                        ; implicit-def: $vgpr120_vgpr121
.LBB57_519:
	ds_load_b64 v[120:121], v1
.LBB57_520:
	s_and_saveexec_b32 s9, s0
	s_cbranch_execz .LBB57_524
; %bb.521:
	v_add_nc_u32_e32 v122, -6, v0
	s_movk_i32 s10, 0x200
	s_mov_b32 s0, 0
.LBB57_522:                             ; =>This Inner Loop Header: Depth=1
	scratch_load_b64 v[124:125], off, s2
	v_dual_mov_b32 v123, s10 :: v_dual_add_nc_u32 v122, -1, v122
	s_add_co_i32 s10, s10, 8
	s_wait_xcnt 0x0
	s_add_co_i32 s2, s2, 8
	ds_load_b64 v[126:127], v123
	v_cmp_eq_u32_e32 vcc_lo, 0, v122
	s_or_b32 s0, vcc_lo, s0
	s_wait_loadcnt_dscnt 0x0
	v_pk_mul_f32 v[128:129], v[126:127], v[124:125] op_sel:[1,1] op_sel_hi:[0,1]
	s_delay_alu instid0(VALU_DEP_1) | instskip(SKIP_1) | instid1(VALU_DEP_2)
	v_pk_fma_f32 v[130:131], v[126:127], v[124:125], v[128:129] op_sel_hi:[1,0,1]
	v_pk_fma_f32 v[124:125], v[126:127], v[124:125], v[128:129] neg_lo:[0,0,1] neg_hi:[0,0,1]
	v_mov_b32_e32 v125, v131
	s_delay_alu instid0(VALU_DEP_1)
	v_pk_add_f32 v[120:121], v[120:121], v[124:125]
	s_and_not1_b32 exec_lo, exec_lo, s0
	s_cbranch_execnz .LBB57_522
; %bb.523:
	s_or_b32 exec_lo, exec_lo, s0
.LBB57_524:
	s_delay_alu instid0(SALU_CYCLE_1) | instskip(SKIP_4) | instid1(VALU_DEP_1)
	s_or_b32 exec_lo, exec_lo, s9
	v_mov_b32_e32 v122, 0
	ds_load_b64 v[122:123], v122 offset:40
	s_wait_dscnt 0x0
	v_pk_mul_f32 v[124:125], v[120:121], v[122:123] op_sel:[1,1] op_sel_hi:[0,1]
	v_pk_fma_f32 v[126:127], v[120:121], v[122:123], v[124:125] op_sel_hi:[1,0,1]
	v_pk_fma_f32 v[120:121], v[120:121], v[122:123], v[124:125] neg_lo:[0,0,1] neg_hi:[0,0,1]
	s_delay_alu instid0(VALU_DEP_2)
	v_mov_b32_e32 v121, v127
	scratch_store_b64 off, v[120:121], off offset:40
.LBB57_525:
	s_wait_xcnt 0x0
	s_or_b32 exec_lo, exec_lo, s8
	scratch_load_b64 v[120:121], off, off offset:32
	v_cmp_lt_u32_e64 s0, 4, v0
	s_wait_loadcnt 0x0
	ds_store_b64 v1, v[120:121]
	s_wait_storecnt_dscnt 0x0
	s_barrier_signal -1
	s_barrier_wait -1
	s_wait_xcnt 0x0
	s_and_saveexec_b32 s2, s0
	s_cbranch_execz .LBB57_535
; %bb.526:
	s_and_not1_b32 vcc_lo, exec_lo, s3
	s_cbranch_vccnz .LBB57_528
; %bb.527:
	scratch_load_b64 v[120:121], v57, off
	ds_load_b64 v[122:123], v1
	s_wait_loadcnt_dscnt 0x0
	v_pk_mul_f32 v[124:125], v[122:123], v[120:121] op_sel:[1,1] op_sel_hi:[0,1]
	s_delay_alu instid0(VALU_DEP_1) | instskip(SKIP_1) | instid1(VALU_DEP_2)
	v_pk_fma_f32 v[126:127], v[122:123], v[120:121], v[124:125] op_sel_hi:[1,0,1]
	v_pk_fma_f32 v[120:121], v[122:123], v[120:121], v[124:125] neg_lo:[0,0,1] neg_hi:[0,0,1]
	v_mov_b32_e32 v121, v127
	s_cbranch_execz .LBB57_529
	s_branch .LBB57_530
.LBB57_528:
                                        ; implicit-def: $vgpr120_vgpr121
.LBB57_529:
	ds_load_b64 v[120:121], v1
.LBB57_530:
	s_and_saveexec_b32 s8, s1
	s_cbranch_execz .LBB57_534
; %bb.531:
	v_add_nc_u32_e32 v122, -5, v0
	s_mov_b32 s1, 40
	s_movk_i32 s10, 0x1f8
	s_mov_b32 s9, 0
.LBB57_532:                             ; =>This Inner Loop Header: Depth=1
	scratch_load_b64 v[124:125], off, s1
	v_dual_mov_b32 v123, s10 :: v_dual_add_nc_u32 v122, -1, v122
	s_add_co_i32 s10, s10, 8
	s_wait_xcnt 0x0
	s_add_co_i32 s1, s1, 8
	ds_load_b64 v[126:127], v123
	v_cmp_eq_u32_e32 vcc_lo, 0, v122
	s_or_b32 s9, vcc_lo, s9
	s_wait_loadcnt_dscnt 0x0
	v_pk_mul_f32 v[128:129], v[126:127], v[124:125] op_sel:[1,1] op_sel_hi:[0,1]
	s_delay_alu instid0(VALU_DEP_1) | instskip(SKIP_1) | instid1(VALU_DEP_2)
	v_pk_fma_f32 v[130:131], v[126:127], v[124:125], v[128:129] op_sel_hi:[1,0,1]
	v_pk_fma_f32 v[124:125], v[126:127], v[124:125], v[128:129] neg_lo:[0,0,1] neg_hi:[0,0,1]
	v_mov_b32_e32 v125, v131
	s_delay_alu instid0(VALU_DEP_1)
	v_pk_add_f32 v[120:121], v[120:121], v[124:125]
	s_and_not1_b32 exec_lo, exec_lo, s9
	s_cbranch_execnz .LBB57_532
; %bb.533:
	s_or_b32 exec_lo, exec_lo, s9
.LBB57_534:
	s_delay_alu instid0(SALU_CYCLE_1) | instskip(SKIP_4) | instid1(VALU_DEP_1)
	s_or_b32 exec_lo, exec_lo, s8
	v_mov_b32_e32 v122, 0
	ds_load_b64 v[122:123], v122 offset:32
	s_wait_dscnt 0x0
	v_pk_mul_f32 v[124:125], v[120:121], v[122:123] op_sel:[1,1] op_sel_hi:[0,1]
	v_pk_fma_f32 v[126:127], v[120:121], v[122:123], v[124:125] op_sel_hi:[1,0,1]
	v_pk_fma_f32 v[120:121], v[120:121], v[122:123], v[124:125] neg_lo:[0,0,1] neg_hi:[0,0,1]
	s_delay_alu instid0(VALU_DEP_2)
	v_mov_b32_e32 v121, v127
	scratch_store_b64 off, v[120:121], off offset:32
.LBB57_535:
	s_wait_xcnt 0x0
	s_or_b32 exec_lo, exec_lo, s2
	scratch_load_b64 v[120:121], off, off offset:24
	v_cmp_lt_u32_e64 s2, 3, v0
	s_wait_loadcnt 0x0
	ds_store_b64 v1, v[120:121]
	s_wait_storecnt_dscnt 0x0
	s_barrier_signal -1
	s_barrier_wait -1
	s_wait_xcnt 0x0
	s_and_saveexec_b32 s1, s2
	s_cbranch_execz .LBB57_545
; %bb.536:
	s_and_not1_b32 vcc_lo, exec_lo, s3
	s_cbranch_vccnz .LBB57_538
; %bb.537:
	scratch_load_b64 v[120:121], v57, off
	ds_load_b64 v[122:123], v1
	s_wait_loadcnt_dscnt 0x0
	v_pk_mul_f32 v[124:125], v[122:123], v[120:121] op_sel:[1,1] op_sel_hi:[0,1]
	s_delay_alu instid0(VALU_DEP_1) | instskip(SKIP_1) | instid1(VALU_DEP_2)
	v_pk_fma_f32 v[126:127], v[122:123], v[120:121], v[124:125] op_sel_hi:[1,0,1]
	v_pk_fma_f32 v[120:121], v[122:123], v[120:121], v[124:125] neg_lo:[0,0,1] neg_hi:[0,0,1]
	v_mov_b32_e32 v121, v127
	s_cbranch_execz .LBB57_539
	s_branch .LBB57_540
.LBB57_538:
                                        ; implicit-def: $vgpr120_vgpr121
.LBB57_539:
	ds_load_b64 v[120:121], v1
.LBB57_540:
	s_and_saveexec_b32 s8, s0
	s_cbranch_execz .LBB57_544
; %bb.541:
	v_add_nc_u32_e32 v122, -4, v0
	s_movk_i32 s9, 0x1f0
	s_mov_b32 s0, 0
.LBB57_542:                             ; =>This Inner Loop Header: Depth=1
	scratch_load_b64 v[124:125], off, s5
	v_dual_mov_b32 v123, s9 :: v_dual_add_nc_u32 v122, -1, v122
	s_add_co_i32 s9, s9, 8
	s_wait_xcnt 0x0
	s_add_co_i32 s5, s5, 8
	ds_load_b64 v[126:127], v123
	v_cmp_eq_u32_e32 vcc_lo, 0, v122
	s_or_b32 s0, vcc_lo, s0
	s_wait_loadcnt_dscnt 0x0
	v_pk_mul_f32 v[128:129], v[126:127], v[124:125] op_sel:[1,1] op_sel_hi:[0,1]
	s_delay_alu instid0(VALU_DEP_1) | instskip(SKIP_1) | instid1(VALU_DEP_2)
	v_pk_fma_f32 v[130:131], v[126:127], v[124:125], v[128:129] op_sel_hi:[1,0,1]
	v_pk_fma_f32 v[124:125], v[126:127], v[124:125], v[128:129] neg_lo:[0,0,1] neg_hi:[0,0,1]
	v_mov_b32_e32 v125, v131
	s_delay_alu instid0(VALU_DEP_1)
	v_pk_add_f32 v[120:121], v[120:121], v[124:125]
	s_and_not1_b32 exec_lo, exec_lo, s0
	s_cbranch_execnz .LBB57_542
; %bb.543:
	s_or_b32 exec_lo, exec_lo, s0
.LBB57_544:
	s_delay_alu instid0(SALU_CYCLE_1) | instskip(SKIP_4) | instid1(VALU_DEP_1)
	s_or_b32 exec_lo, exec_lo, s8
	v_mov_b32_e32 v122, 0
	ds_load_b64 v[122:123], v122 offset:24
	s_wait_dscnt 0x0
	v_pk_mul_f32 v[124:125], v[120:121], v[122:123] op_sel:[1,1] op_sel_hi:[0,1]
	v_pk_fma_f32 v[126:127], v[120:121], v[122:123], v[124:125] op_sel_hi:[1,0,1]
	v_pk_fma_f32 v[120:121], v[120:121], v[122:123], v[124:125] neg_lo:[0,0,1] neg_hi:[0,0,1]
	s_delay_alu instid0(VALU_DEP_2)
	v_mov_b32_e32 v121, v127
	scratch_store_b64 off, v[120:121], off offset:24
.LBB57_545:
	s_wait_xcnt 0x0
	s_or_b32 exec_lo, exec_lo, s1
	scratch_load_b64 v[120:121], off, off offset:16
	v_cmp_lt_u32_e64 s1, 2, v0
	s_wait_loadcnt 0x0
	ds_store_b64 v1, v[120:121]
	s_wait_storecnt_dscnt 0x0
	s_barrier_signal -1
	s_barrier_wait -1
	s_wait_xcnt 0x0
	s_and_saveexec_b32 s0, s1
	s_cbranch_execz .LBB57_555
; %bb.546:
	s_and_not1_b32 vcc_lo, exec_lo, s3
	s_cbranch_vccnz .LBB57_548
; %bb.547:
	scratch_load_b64 v[120:121], v57, off
	ds_load_b64 v[122:123], v1
	s_wait_loadcnt_dscnt 0x0
	v_pk_mul_f32 v[124:125], v[122:123], v[120:121] op_sel:[1,1] op_sel_hi:[0,1]
	s_delay_alu instid0(VALU_DEP_1) | instskip(SKIP_1) | instid1(VALU_DEP_2)
	v_pk_fma_f32 v[126:127], v[122:123], v[120:121], v[124:125] op_sel_hi:[1,0,1]
	v_pk_fma_f32 v[120:121], v[122:123], v[120:121], v[124:125] neg_lo:[0,0,1] neg_hi:[0,0,1]
	v_mov_b32_e32 v121, v127
	s_cbranch_execz .LBB57_549
	s_branch .LBB57_550
.LBB57_548:
                                        ; implicit-def: $vgpr120_vgpr121
.LBB57_549:
	ds_load_b64 v[120:121], v1
.LBB57_550:
	s_and_saveexec_b32 s5, s2
	s_cbranch_execz .LBB57_554
; %bb.551:
	v_add_nc_u32_e32 v122, -3, v0
	s_mov_b32 s2, 24
	s_movk_i32 s9, 0x1e8
	s_mov_b32 s8, 0
.LBB57_552:                             ; =>This Inner Loop Header: Depth=1
	scratch_load_b64 v[124:125], off, s2
	v_dual_mov_b32 v123, s9 :: v_dual_add_nc_u32 v122, -1, v122
	s_add_co_i32 s9, s9, 8
	s_wait_xcnt 0x0
	s_add_co_i32 s2, s2, 8
	ds_load_b64 v[126:127], v123
	v_cmp_eq_u32_e32 vcc_lo, 0, v122
	s_or_b32 s8, vcc_lo, s8
	s_wait_loadcnt_dscnt 0x0
	v_pk_mul_f32 v[128:129], v[126:127], v[124:125] op_sel:[1,1] op_sel_hi:[0,1]
	s_delay_alu instid0(VALU_DEP_1) | instskip(SKIP_1) | instid1(VALU_DEP_2)
	v_pk_fma_f32 v[130:131], v[126:127], v[124:125], v[128:129] op_sel_hi:[1,0,1]
	v_pk_fma_f32 v[124:125], v[126:127], v[124:125], v[128:129] neg_lo:[0,0,1] neg_hi:[0,0,1]
	v_mov_b32_e32 v125, v131
	s_delay_alu instid0(VALU_DEP_1)
	v_pk_add_f32 v[120:121], v[120:121], v[124:125]
	s_and_not1_b32 exec_lo, exec_lo, s8
	s_cbranch_execnz .LBB57_552
; %bb.553:
	s_or_b32 exec_lo, exec_lo, s8
.LBB57_554:
	s_delay_alu instid0(SALU_CYCLE_1) | instskip(SKIP_4) | instid1(VALU_DEP_1)
	s_or_b32 exec_lo, exec_lo, s5
	v_mov_b32_e32 v122, 0
	ds_load_b64 v[122:123], v122 offset:16
	s_wait_dscnt 0x0
	v_pk_mul_f32 v[124:125], v[120:121], v[122:123] op_sel:[1,1] op_sel_hi:[0,1]
	v_pk_fma_f32 v[126:127], v[120:121], v[122:123], v[124:125] op_sel_hi:[1,0,1]
	v_pk_fma_f32 v[120:121], v[120:121], v[122:123], v[124:125] neg_lo:[0,0,1] neg_hi:[0,0,1]
	s_delay_alu instid0(VALU_DEP_2)
	v_mov_b32_e32 v121, v127
	scratch_store_b64 off, v[120:121], off offset:16
.LBB57_555:
	s_wait_xcnt 0x0
	s_or_b32 exec_lo, exec_lo, s0
	scratch_load_b64 v[120:121], off, off offset:8
	v_cmp_lt_u32_e64 s0, 1, v0
	s_wait_loadcnt 0x0
	ds_store_b64 v1, v[120:121]
	s_wait_storecnt_dscnt 0x0
	s_barrier_signal -1
	s_barrier_wait -1
	s_wait_xcnt 0x0
	s_and_saveexec_b32 s2, s0
	s_cbranch_execz .LBB57_565
; %bb.556:
	s_and_not1_b32 vcc_lo, exec_lo, s3
	s_cbranch_vccnz .LBB57_558
; %bb.557:
	scratch_load_b64 v[120:121], v57, off
	ds_load_b64 v[122:123], v1
	s_wait_loadcnt_dscnt 0x0
	v_pk_mul_f32 v[124:125], v[122:123], v[120:121] op_sel:[1,1] op_sel_hi:[0,1]
	s_delay_alu instid0(VALU_DEP_1) | instskip(SKIP_1) | instid1(VALU_DEP_2)
	v_pk_fma_f32 v[126:127], v[122:123], v[120:121], v[124:125] op_sel_hi:[1,0,1]
	v_pk_fma_f32 v[120:121], v[122:123], v[120:121], v[124:125] neg_lo:[0,0,1] neg_hi:[0,0,1]
	v_mov_b32_e32 v121, v127
	s_cbranch_execz .LBB57_559
	s_branch .LBB57_560
.LBB57_558:
                                        ; implicit-def: $vgpr120_vgpr121
.LBB57_559:
	ds_load_b64 v[120:121], v1
.LBB57_560:
	s_and_saveexec_b32 s5, s1
	s_cbranch_execz .LBB57_564
; %bb.561:
	v_add_nc_u32_e32 v122, -2, v0
	s_movk_i32 s8, 0x1e0
	s_mov_b32 s1, 0
.LBB57_562:                             ; =>This Inner Loop Header: Depth=1
	scratch_load_b64 v[124:125], off, s4
	v_dual_mov_b32 v123, s8 :: v_dual_add_nc_u32 v122, -1, v122
	s_add_co_i32 s8, s8, 8
	s_wait_xcnt 0x0
	s_add_co_i32 s4, s4, 8
	ds_load_b64 v[126:127], v123
	v_cmp_eq_u32_e32 vcc_lo, 0, v122
	s_or_b32 s1, vcc_lo, s1
	s_wait_loadcnt_dscnt 0x0
	v_pk_mul_f32 v[128:129], v[126:127], v[124:125] op_sel:[1,1] op_sel_hi:[0,1]
	s_delay_alu instid0(VALU_DEP_1) | instskip(SKIP_1) | instid1(VALU_DEP_2)
	v_pk_fma_f32 v[130:131], v[126:127], v[124:125], v[128:129] op_sel_hi:[1,0,1]
	v_pk_fma_f32 v[124:125], v[126:127], v[124:125], v[128:129] neg_lo:[0,0,1] neg_hi:[0,0,1]
	v_mov_b32_e32 v125, v131
	s_delay_alu instid0(VALU_DEP_1)
	v_pk_add_f32 v[120:121], v[120:121], v[124:125]
	s_and_not1_b32 exec_lo, exec_lo, s1
	s_cbranch_execnz .LBB57_562
; %bb.563:
	s_or_b32 exec_lo, exec_lo, s1
.LBB57_564:
	s_delay_alu instid0(SALU_CYCLE_1) | instskip(SKIP_4) | instid1(VALU_DEP_1)
	s_or_b32 exec_lo, exec_lo, s5
	v_mov_b32_e32 v122, 0
	ds_load_b64 v[122:123], v122 offset:8
	s_wait_dscnt 0x0
	v_pk_mul_f32 v[124:125], v[120:121], v[122:123] op_sel:[1,1] op_sel_hi:[0,1]
	v_pk_fma_f32 v[126:127], v[120:121], v[122:123], v[124:125] op_sel_hi:[1,0,1]
	v_pk_fma_f32 v[120:121], v[120:121], v[122:123], v[124:125] neg_lo:[0,0,1] neg_hi:[0,0,1]
	s_delay_alu instid0(VALU_DEP_2)
	v_mov_b32_e32 v121, v127
	scratch_store_b64 off, v[120:121], off offset:8
.LBB57_565:
	s_wait_xcnt 0x0
	s_or_b32 exec_lo, exec_lo, s2
	scratch_load_b64 v[120:121], off, off
	s_mov_b32 s2, 0
	s_mov_b32 s1, 0
	s_mov_b32 s5, exec_lo
                                        ; implicit-def: $vgpr164
                                        ; implicit-def: $sgpr4
	s_wait_loadcnt 0x0
	ds_store_b64 v1, v[120:121]
	s_wait_storecnt_dscnt 0x0
	s_barrier_signal -1
	s_barrier_wait -1
	s_wait_xcnt 0x0
	v_cmpx_ne_u32_e32 0, v0
	s_cbranch_execz .LBB57_575
; %bb.566:
	s_and_not1_b32 vcc_lo, exec_lo, s3
	s_cbranch_vccnz .LBB57_568
; %bb.567:
	scratch_load_b64 v[122:123], v57, off
	ds_load_b64 v[124:125], v1
	s_wait_loadcnt_dscnt 0x0
	v_dual_mul_f32 v120, v125, v123 :: v_dual_mul_f32 v121, v124, v123
	s_delay_alu instid0(VALU_DEP_1)
	v_dual_fma_f32 v120, v124, v122, -v120 :: v_dual_fmac_f32 v121, v125, v122
	s_and_not1_b32 vcc_lo, exec_lo, s1
	s_cbranch_vccz .LBB57_569
	s_branch .LBB57_570
.LBB57_568:
                                        ; implicit-def: $vgpr120
.LBB57_569:
	ds_load_b64 v[120:121], v1
.LBB57_570:
	s_and_saveexec_b32 s1, s0
	s_cbranch_execz .LBB57_574
; %bb.571:
	v_add_nc_u32_e32 v122, -1, v0
	s_or_b32 s0, 0, 8
	s_movk_i32 s8, 0x1d8
	s_mov_b32 s4, 0
.LBB57_572:                             ; =>This Inner Loop Header: Depth=1
	scratch_load_b64 v[124:125], off, s0
	v_mov_b32_e32 v123, s8
	s_add_co_i32 s8, s8, 8
	s_wait_xcnt 0x0
	s_add_co_i32 s0, s0, 8
	v_add_nc_u32_e32 v122, -1, v122
	ds_load_b64 v[126:127], v123
	v_cmp_eq_u32_e32 vcc_lo, 0, v122
	s_or_b32 s4, vcc_lo, s4
	s_wait_loadcnt_dscnt 0x0
	v_dual_mul_f32 v123, v127, v125 :: v_dual_mul_f32 v125, v126, v125
	s_delay_alu instid0(VALU_DEP_1) | instskip(NEXT) | instid1(VALU_DEP_1)
	v_dual_fma_f32 v123, v126, v124, -v123 :: v_dual_fmac_f32 v125, v127, v124
	v_dual_add_f32 v120, v120, v123 :: v_dual_add_f32 v121, v121, v125
	s_and_not1_b32 exec_lo, exec_lo, s4
	s_cbranch_execnz .LBB57_572
; %bb.573:
	s_or_b32 exec_lo, exec_lo, s4
.LBB57_574:
	s_delay_alu instid0(SALU_CYCLE_1)
	s_or_b32 exec_lo, exec_lo, s1
	v_mov_b32_e32 v122, 0
	s_mov_b32 s1, exec_lo
	s_or_b32 s4, 0, 4
	ds_load_b64 v[122:123], v122
	s_wait_dscnt 0x0
	v_dual_mul_f32 v124, v121, v123 :: v_dual_mul_f32 v164, v120, v123
	s_delay_alu instid0(VALU_DEP_1) | instskip(NEXT) | instid1(VALU_DEP_2)
	v_fma_f32 v120, v120, v122, -v124
	v_fmac_f32_e32 v164, v121, v122
	scratch_store_b32 off, v120, off
.LBB57_575:
	s_wait_xcnt 0x0
	s_or_b32 exec_lo, exec_lo, s5
	s_delay_alu instid0(SALU_CYCLE_1)
	s_and_b32 vcc_lo, exec_lo, s2
	s_cbranch_vccz .LBB57_1141
.LBB57_576:
	scratch_load_b64 v[120:121], off, off offset:8
	v_cmp_eq_u32_e64 s0, 0, v0
	s_wait_loadcnt 0x0
	ds_store_b64 v1, v[120:121]
	s_wait_storecnt_dscnt 0x0
	s_barrier_signal -1
	s_barrier_wait -1
	s_wait_xcnt 0x0
	s_and_saveexec_b32 s2, s0
	s_cbranch_execz .LBB57_582
; %bb.577:
	s_and_b32 vcc_lo, exec_lo, s3
	s_cbranch_vccz .LBB57_579
; %bb.578:
	scratch_load_b64 v[120:121], v57, off
	ds_load_b64 v[122:123], v1
	s_wait_loadcnt_dscnt 0x0
	v_pk_mul_f32 v[124:125], v[122:123], v[120:121] op_sel:[1,1] op_sel_hi:[0,1]
	v_pk_mul_f32 v[126:127], v[122:123], v[120:121] op_sel_hi:[1,0]
	s_delay_alu instid0(VALU_DEP_2) | instskip(NEXT) | instid1(VALU_DEP_2)
	v_pk_fma_f32 v[120:121], v[122:123], v[120:121], v[124:125] op_sel_hi:[1,0,1]
	v_sub_f32_e32 v120, v126, v124
	s_cbranch_execz .LBB57_580
	s_branch .LBB57_581
.LBB57_579:
                                        ; implicit-def: $vgpr121
.LBB57_580:
	ds_load_b64 v[120:121], v1
.LBB57_581:
	s_wait_dscnt 0x0
	v_dual_mov_b32 v122, 0 :: v_dual_mov_b32 v124, v121
	v_mov_b32_e32 v125, v120
	ds_load_b64 v[122:123], v122 offset:8
	s_wait_dscnt 0x0
	v_pk_mul_f32 v[124:125], v[124:125], v[122:123] op_sel:[0,1]
	s_delay_alu instid0(VALU_DEP_1) | instskip(SKIP_1) | instid1(VALU_DEP_2)
	v_pk_fma_f32 v[126:127], v[120:121], v[122:123], v[124:125] op_sel_hi:[1,0,1]
	v_pk_fma_f32 v[120:121], v[120:121], v[122:123], v[124:125] neg_lo:[0,0,1] neg_hi:[0,0,1]
	v_mov_b32_e32 v121, v127
	scratch_store_b64 off, v[120:121], off offset:8
.LBB57_582:
	s_wait_xcnt 0x0
	s_or_b32 exec_lo, exec_lo, s2
	scratch_load_b64 v[120:121], off, off offset:16
	v_cndmask_b32_e64 v122, 0, 1, s3
	s_mov_b32 s2, exec_lo
	s_wait_loadcnt 0x0
	ds_store_b64 v1, v[120:121]
	s_wait_storecnt_dscnt 0x0
	s_barrier_signal -1
	s_barrier_wait -1
	s_wait_xcnt 0x0
	v_cmpx_gt_u32_e32 2, v0
	s_cbranch_execz .LBB57_590
; %bb.583:
	s_and_not1_b32 vcc_lo, exec_lo, s3
	s_cbranch_vccnz .LBB57_585
; %bb.584:
	scratch_load_b64 v[120:121], v57, off
	ds_load_b64 v[124:125], v1
	s_wait_loadcnt_dscnt 0x0
	v_pk_mul_f32 v[126:127], v[124:125], v[120:121] op_sel:[1,1] op_sel_hi:[0,1]
	s_delay_alu instid0(VALU_DEP_1) | instskip(SKIP_1) | instid1(VALU_DEP_2)
	v_pk_fma_f32 v[128:129], v[124:125], v[120:121], v[126:127] op_sel_hi:[1,0,1]
	v_pk_fma_f32 v[120:121], v[124:125], v[120:121], v[126:127] neg_lo:[0,0,1] neg_hi:[0,0,1]
	v_mov_b32_e32 v121, v129
	s_cbranch_execz .LBB57_586
	s_branch .LBB57_587
.LBB57_585:
                                        ; implicit-def: $vgpr120_vgpr121
.LBB57_586:
	ds_load_b64 v[120:121], v1
.LBB57_587:
	s_and_saveexec_b32 s3, s0
	s_cbranch_execz .LBB57_589
; %bb.588:
	scratch_load_b64 v[124:125], off, off offset:8
	v_mov_b32_e32 v123, 0
	ds_load_b64 v[126:127], v123 offset:472
	s_wait_loadcnt_dscnt 0x0
	v_pk_mul_f32 v[128:129], v[126:127], v[124:125] op_sel:[1,1] op_sel_hi:[0,1]
	s_delay_alu instid0(VALU_DEP_1) | instskip(SKIP_1) | instid1(VALU_DEP_2)
	v_pk_fma_f32 v[130:131], v[126:127], v[124:125], v[128:129] op_sel_hi:[1,0,1]
	v_pk_fma_f32 v[124:125], v[126:127], v[124:125], v[128:129] neg_lo:[0,0,1] neg_hi:[0,0,1]
	v_mov_b32_e32 v125, v131
	s_delay_alu instid0(VALU_DEP_1)
	v_pk_add_f32 v[120:121], v[120:121], v[124:125]
.LBB57_589:
	s_or_b32 exec_lo, exec_lo, s3
	v_mov_b32_e32 v123, 0
	ds_load_b64 v[124:125], v123 offset:16
	s_wait_dscnt 0x0
	v_pk_mul_f32 v[126:127], v[120:121], v[124:125] op_sel:[1,1] op_sel_hi:[0,1]
	s_delay_alu instid0(VALU_DEP_1) | instskip(SKIP_1) | instid1(VALU_DEP_2)
	v_pk_fma_f32 v[128:129], v[120:121], v[124:125], v[126:127] op_sel_hi:[1,0,1]
	v_pk_fma_f32 v[120:121], v[120:121], v[124:125], v[126:127] neg_lo:[0,0,1] neg_hi:[0,0,1]
	v_mov_b32_e32 v121, v129
	scratch_store_b64 off, v[120:121], off offset:16
.LBB57_590:
	s_wait_xcnt 0x0
	s_or_b32 exec_lo, exec_lo, s2
	scratch_load_b64 v[120:121], off, off offset:24
	s_mov_b32 s2, exec_lo
	s_wait_loadcnt 0x0
	ds_store_b64 v1, v[120:121]
	s_wait_storecnt_dscnt 0x0
	s_barrier_signal -1
	s_barrier_wait -1
	s_wait_xcnt 0x0
	v_cmpx_gt_u32_e32 3, v0
	s_cbranch_execz .LBB57_600
; %bb.591:
	v_cmp_ne_u32_e32 vcc_lo, 1, v122
	s_cbranch_vccnz .LBB57_593
; %bb.592:
	scratch_load_b64 v[120:121], v57, off
	ds_load_b64 v[124:125], v1
	s_wait_loadcnt_dscnt 0x0
	v_pk_mul_f32 v[126:127], v[124:125], v[120:121] op_sel:[1,1] op_sel_hi:[0,1]
	s_delay_alu instid0(VALU_DEP_1) | instskip(SKIP_1) | instid1(VALU_DEP_2)
	v_pk_fma_f32 v[128:129], v[124:125], v[120:121], v[126:127] op_sel_hi:[1,0,1]
	v_pk_fma_f32 v[120:121], v[124:125], v[120:121], v[126:127] neg_lo:[0,0,1] neg_hi:[0,0,1]
	v_mov_b32_e32 v121, v129
	s_cbranch_execz .LBB57_594
	s_branch .LBB57_595
.LBB57_593:
                                        ; implicit-def: $vgpr120_vgpr121
.LBB57_594:
	ds_load_b64 v[120:121], v1
.LBB57_595:
	s_mov_b32 s3, exec_lo
	v_cmpx_ne_u32_e32 2, v0
	s_cbranch_execz .LBB57_599
; %bb.596:
	scratch_load_b64 v[124:125], v57, off offset:8
	ds_load_b64 v[126:127], v1 offset:8
	s_wait_loadcnt_dscnt 0x0
	v_pk_mul_f32 v[128:129], v[126:127], v[124:125] op_sel:[1,1] op_sel_hi:[0,1]
	s_delay_alu instid0(VALU_DEP_1) | instskip(SKIP_1) | instid1(VALU_DEP_2)
	v_pk_fma_f32 v[130:131], v[126:127], v[124:125], v[128:129] op_sel_hi:[1,0,1]
	v_pk_fma_f32 v[124:125], v[126:127], v[124:125], v[128:129] neg_lo:[0,0,1] neg_hi:[0,0,1]
	v_mov_b32_e32 v125, v131
	s_delay_alu instid0(VALU_DEP_1)
	v_pk_add_f32 v[120:121], v[120:121], v[124:125]
	s_and_saveexec_b32 s4, s0
	s_cbranch_execz .LBB57_598
; %bb.597:
	scratch_load_b64 v[124:125], off, off offset:16
	v_mov_b32_e32 v123, 0
	ds_load_b64 v[126:127], v123 offset:480
	s_wait_loadcnt_dscnt 0x0
	v_pk_mul_f32 v[128:129], v[126:127], v[124:125] op_sel:[1,1] op_sel_hi:[0,1]
	s_delay_alu instid0(VALU_DEP_1) | instskip(SKIP_1) | instid1(VALU_DEP_2)
	v_pk_fma_f32 v[130:131], v[126:127], v[124:125], v[128:129] op_sel_hi:[1,0,1]
	v_pk_fma_f32 v[124:125], v[126:127], v[124:125], v[128:129] neg_lo:[0,0,1] neg_hi:[0,0,1]
	v_mov_b32_e32 v125, v131
	s_delay_alu instid0(VALU_DEP_1)
	v_pk_add_f32 v[120:121], v[120:121], v[124:125]
.LBB57_598:
	s_or_b32 exec_lo, exec_lo, s4
.LBB57_599:
	s_delay_alu instid0(SALU_CYCLE_1) | instskip(SKIP_4) | instid1(VALU_DEP_1)
	s_or_b32 exec_lo, exec_lo, s3
	v_mov_b32_e32 v123, 0
	ds_load_b64 v[124:125], v123 offset:24
	s_wait_dscnt 0x0
	v_pk_mul_f32 v[126:127], v[120:121], v[124:125] op_sel:[1,1] op_sel_hi:[0,1]
	v_pk_fma_f32 v[128:129], v[120:121], v[124:125], v[126:127] op_sel_hi:[1,0,1]
	v_pk_fma_f32 v[120:121], v[120:121], v[124:125], v[126:127] neg_lo:[0,0,1] neg_hi:[0,0,1]
	s_delay_alu instid0(VALU_DEP_2)
	v_mov_b32_e32 v121, v129
	scratch_store_b64 off, v[120:121], off offset:24
.LBB57_600:
	s_wait_xcnt 0x0
	s_or_b32 exec_lo, exec_lo, s2
	scratch_load_b64 v[120:121], off, off offset:32
	s_mov_b32 s0, exec_lo
	s_wait_loadcnt 0x0
	ds_store_b64 v1, v[120:121]
	s_wait_storecnt_dscnt 0x0
	s_barrier_signal -1
	s_barrier_wait -1
	s_wait_xcnt 0x0
	v_cmpx_gt_u32_e32 4, v0
	s_cbranch_execz .LBB57_610
; %bb.601:
	v_cmp_ne_u32_e32 vcc_lo, 1, v122
	s_cbranch_vccnz .LBB57_603
; %bb.602:
	scratch_load_b64 v[120:121], v57, off
	ds_load_b64 v[124:125], v1
	s_wait_loadcnt_dscnt 0x0
	v_pk_mul_f32 v[126:127], v[124:125], v[120:121] op_sel:[1,1] op_sel_hi:[0,1]
	s_delay_alu instid0(VALU_DEP_1) | instskip(SKIP_1) | instid1(VALU_DEP_2)
	v_pk_fma_f32 v[128:129], v[124:125], v[120:121], v[126:127] op_sel_hi:[1,0,1]
	v_pk_fma_f32 v[120:121], v[124:125], v[120:121], v[126:127] neg_lo:[0,0,1] neg_hi:[0,0,1]
	v_mov_b32_e32 v121, v129
	s_cbranch_execz .LBB57_604
	s_branch .LBB57_605
.LBB57_603:
                                        ; implicit-def: $vgpr120_vgpr121
.LBB57_604:
	ds_load_b64 v[120:121], v1
.LBB57_605:
	s_mov_b32 s2, exec_lo
	v_cmpx_ne_u32_e32 3, v0
	s_cbranch_execz .LBB57_609
; %bb.606:
	v_add_nc_u32_e32 v123, 0x1d8, v56
	v_add3_u32 v124, 0, v56, 8
	v_mov_b32_e32 v125, v0
	s_mov_b32 s3, 0
.LBB57_607:                             ; =>This Inner Loop Header: Depth=1
	scratch_load_b64 v[126:127], v124, off
	ds_load_b64 v[128:129], v123
	s_wait_xcnt 0x0
	v_dual_add_nc_u32 v123, 8, v123 :: v_dual_add_nc_u32 v124, 8, v124
	s_wait_loadcnt_dscnt 0x0
	v_pk_mul_f32 v[130:131], v[128:129], v[126:127] op_sel:[1,1] op_sel_hi:[0,1]
	s_delay_alu instid0(VALU_DEP_1) | instskip(SKIP_2) | instid1(VALU_DEP_3)
	v_pk_fma_f32 v[132:133], v[128:129], v[126:127], v[130:131] op_sel_hi:[1,0,1]
	v_add_nc_u32_e32 v125, 1, v125
	v_pk_fma_f32 v[126:127], v[128:129], v[126:127], v[130:131] neg_lo:[0,0,1] neg_hi:[0,0,1]
	v_mov_b32_e32 v127, v133
	s_delay_alu instid0(VALU_DEP_3) | instskip(NEXT) | instid1(VALU_DEP_2)
	v_cmp_lt_u32_e32 vcc_lo, 2, v125
	v_pk_add_f32 v[120:121], v[120:121], v[126:127]
	s_or_b32 s3, vcc_lo, s3
	s_delay_alu instid0(SALU_CYCLE_1)
	s_and_not1_b32 exec_lo, exec_lo, s3
	s_cbranch_execnz .LBB57_607
; %bb.608:
	s_or_b32 exec_lo, exec_lo, s3
.LBB57_609:
	s_delay_alu instid0(SALU_CYCLE_1) | instskip(SKIP_4) | instid1(VALU_DEP_1)
	s_or_b32 exec_lo, exec_lo, s2
	v_mov_b32_e32 v123, 0
	ds_load_b64 v[124:125], v123 offset:32
	s_wait_dscnt 0x0
	v_pk_mul_f32 v[126:127], v[120:121], v[124:125] op_sel:[1,1] op_sel_hi:[0,1]
	v_pk_fma_f32 v[128:129], v[120:121], v[124:125], v[126:127] op_sel_hi:[1,0,1]
	v_pk_fma_f32 v[120:121], v[120:121], v[124:125], v[126:127] neg_lo:[0,0,1] neg_hi:[0,0,1]
	s_delay_alu instid0(VALU_DEP_2)
	v_mov_b32_e32 v121, v129
	scratch_store_b64 off, v[120:121], off offset:32
.LBB57_610:
	s_wait_xcnt 0x0
	s_or_b32 exec_lo, exec_lo, s0
	scratch_load_b64 v[120:121], off, off offset:40
	s_mov_b32 s0, exec_lo
	s_wait_loadcnt 0x0
	ds_store_b64 v1, v[120:121]
	s_wait_storecnt_dscnt 0x0
	s_barrier_signal -1
	s_barrier_wait -1
	s_wait_xcnt 0x0
	v_cmpx_gt_u32_e32 5, v0
	s_cbranch_execz .LBB57_620
; %bb.611:
	v_cmp_ne_u32_e32 vcc_lo, 1, v122
	s_cbranch_vccnz .LBB57_613
; %bb.612:
	scratch_load_b64 v[120:121], v57, off
	ds_load_b64 v[124:125], v1
	s_wait_loadcnt_dscnt 0x0
	v_pk_mul_f32 v[126:127], v[124:125], v[120:121] op_sel:[1,1] op_sel_hi:[0,1]
	s_delay_alu instid0(VALU_DEP_1) | instskip(SKIP_1) | instid1(VALU_DEP_2)
	v_pk_fma_f32 v[128:129], v[124:125], v[120:121], v[126:127] op_sel_hi:[1,0,1]
	v_pk_fma_f32 v[120:121], v[124:125], v[120:121], v[126:127] neg_lo:[0,0,1] neg_hi:[0,0,1]
	v_mov_b32_e32 v121, v129
	s_cbranch_execz .LBB57_614
	s_branch .LBB57_615
.LBB57_613:
                                        ; implicit-def: $vgpr120_vgpr121
.LBB57_614:
	ds_load_b64 v[120:121], v1
.LBB57_615:
	s_mov_b32 s2, exec_lo
	v_cmpx_ne_u32_e32 4, v0
	s_cbranch_execz .LBB57_619
; %bb.616:
	v_add_nc_u32_e32 v123, 0x1d8, v56
	v_add3_u32 v124, 0, v56, 8
	v_mov_b32_e32 v125, v0
	s_mov_b32 s3, 0
.LBB57_617:                             ; =>This Inner Loop Header: Depth=1
	scratch_load_b64 v[126:127], v124, off
	ds_load_b64 v[128:129], v123
	s_wait_xcnt 0x0
	v_dual_add_nc_u32 v123, 8, v123 :: v_dual_add_nc_u32 v124, 8, v124
	s_wait_loadcnt_dscnt 0x0
	v_pk_mul_f32 v[130:131], v[128:129], v[126:127] op_sel:[1,1] op_sel_hi:[0,1]
	s_delay_alu instid0(VALU_DEP_1) | instskip(SKIP_2) | instid1(VALU_DEP_3)
	v_pk_fma_f32 v[132:133], v[128:129], v[126:127], v[130:131] op_sel_hi:[1,0,1]
	v_add_nc_u32_e32 v125, 1, v125
	v_pk_fma_f32 v[126:127], v[128:129], v[126:127], v[130:131] neg_lo:[0,0,1] neg_hi:[0,0,1]
	v_mov_b32_e32 v127, v133
	s_delay_alu instid0(VALU_DEP_3) | instskip(NEXT) | instid1(VALU_DEP_2)
	v_cmp_lt_u32_e32 vcc_lo, 3, v125
	v_pk_add_f32 v[120:121], v[120:121], v[126:127]
	s_or_b32 s3, vcc_lo, s3
	s_delay_alu instid0(SALU_CYCLE_1)
	s_and_not1_b32 exec_lo, exec_lo, s3
	s_cbranch_execnz .LBB57_617
; %bb.618:
	s_or_b32 exec_lo, exec_lo, s3
.LBB57_619:
	s_delay_alu instid0(SALU_CYCLE_1) | instskip(SKIP_4) | instid1(VALU_DEP_1)
	s_or_b32 exec_lo, exec_lo, s2
	v_mov_b32_e32 v123, 0
	ds_load_b64 v[124:125], v123 offset:40
	s_wait_dscnt 0x0
	v_pk_mul_f32 v[126:127], v[120:121], v[124:125] op_sel:[1,1] op_sel_hi:[0,1]
	v_pk_fma_f32 v[128:129], v[120:121], v[124:125], v[126:127] op_sel_hi:[1,0,1]
	v_pk_fma_f32 v[120:121], v[120:121], v[124:125], v[126:127] neg_lo:[0,0,1] neg_hi:[0,0,1]
	s_delay_alu instid0(VALU_DEP_2)
	v_mov_b32_e32 v121, v129
	scratch_store_b64 off, v[120:121], off offset:40
.LBB57_620:
	s_wait_xcnt 0x0
	s_or_b32 exec_lo, exec_lo, s0
	scratch_load_b64 v[120:121], off, off offset:48
	s_mov_b32 s0, exec_lo
	s_wait_loadcnt 0x0
	ds_store_b64 v1, v[120:121]
	s_wait_storecnt_dscnt 0x0
	s_barrier_signal -1
	s_barrier_wait -1
	s_wait_xcnt 0x0
	v_cmpx_gt_u32_e32 6, v0
	s_cbranch_execz .LBB57_630
; %bb.621:
	v_cmp_ne_u32_e32 vcc_lo, 1, v122
	s_cbranch_vccnz .LBB57_623
; %bb.622:
	scratch_load_b64 v[120:121], v57, off
	ds_load_b64 v[124:125], v1
	s_wait_loadcnt_dscnt 0x0
	v_pk_mul_f32 v[126:127], v[124:125], v[120:121] op_sel:[1,1] op_sel_hi:[0,1]
	s_delay_alu instid0(VALU_DEP_1) | instskip(SKIP_1) | instid1(VALU_DEP_2)
	v_pk_fma_f32 v[128:129], v[124:125], v[120:121], v[126:127] op_sel_hi:[1,0,1]
	v_pk_fma_f32 v[120:121], v[124:125], v[120:121], v[126:127] neg_lo:[0,0,1] neg_hi:[0,0,1]
	v_mov_b32_e32 v121, v129
	s_cbranch_execz .LBB57_624
	s_branch .LBB57_625
.LBB57_623:
                                        ; implicit-def: $vgpr120_vgpr121
.LBB57_624:
	ds_load_b64 v[120:121], v1
.LBB57_625:
	s_mov_b32 s2, exec_lo
	v_cmpx_ne_u32_e32 5, v0
	s_cbranch_execz .LBB57_629
; %bb.626:
	v_add_nc_u32_e32 v123, 0x1d8, v56
	v_add3_u32 v124, 0, v56, 8
	v_mov_b32_e32 v125, v0
	s_mov_b32 s3, 0
.LBB57_627:                             ; =>This Inner Loop Header: Depth=1
	scratch_load_b64 v[126:127], v124, off
	ds_load_b64 v[128:129], v123
	s_wait_xcnt 0x0
	v_dual_add_nc_u32 v123, 8, v123 :: v_dual_add_nc_u32 v124, 8, v124
	s_wait_loadcnt_dscnt 0x0
	v_pk_mul_f32 v[130:131], v[128:129], v[126:127] op_sel:[1,1] op_sel_hi:[0,1]
	s_delay_alu instid0(VALU_DEP_1) | instskip(SKIP_2) | instid1(VALU_DEP_3)
	v_pk_fma_f32 v[132:133], v[128:129], v[126:127], v[130:131] op_sel_hi:[1,0,1]
	v_add_nc_u32_e32 v125, 1, v125
	v_pk_fma_f32 v[126:127], v[128:129], v[126:127], v[130:131] neg_lo:[0,0,1] neg_hi:[0,0,1]
	v_mov_b32_e32 v127, v133
	s_delay_alu instid0(VALU_DEP_3) | instskip(NEXT) | instid1(VALU_DEP_2)
	v_cmp_lt_u32_e32 vcc_lo, 4, v125
	v_pk_add_f32 v[120:121], v[120:121], v[126:127]
	s_or_b32 s3, vcc_lo, s3
	s_delay_alu instid0(SALU_CYCLE_1)
	s_and_not1_b32 exec_lo, exec_lo, s3
	s_cbranch_execnz .LBB57_627
; %bb.628:
	s_or_b32 exec_lo, exec_lo, s3
.LBB57_629:
	s_delay_alu instid0(SALU_CYCLE_1) | instskip(SKIP_4) | instid1(VALU_DEP_1)
	s_or_b32 exec_lo, exec_lo, s2
	v_mov_b32_e32 v123, 0
	ds_load_b64 v[124:125], v123 offset:48
	s_wait_dscnt 0x0
	v_pk_mul_f32 v[126:127], v[120:121], v[124:125] op_sel:[1,1] op_sel_hi:[0,1]
	v_pk_fma_f32 v[128:129], v[120:121], v[124:125], v[126:127] op_sel_hi:[1,0,1]
	v_pk_fma_f32 v[120:121], v[120:121], v[124:125], v[126:127] neg_lo:[0,0,1] neg_hi:[0,0,1]
	s_delay_alu instid0(VALU_DEP_2)
	v_mov_b32_e32 v121, v129
	scratch_store_b64 off, v[120:121], off offset:48
.LBB57_630:
	s_wait_xcnt 0x0
	s_or_b32 exec_lo, exec_lo, s0
	scratch_load_b64 v[120:121], off, off offset:56
	s_mov_b32 s0, exec_lo
	s_wait_loadcnt 0x0
	ds_store_b64 v1, v[120:121]
	s_wait_storecnt_dscnt 0x0
	s_barrier_signal -1
	s_barrier_wait -1
	s_wait_xcnt 0x0
	v_cmpx_gt_u32_e32 7, v0
	s_cbranch_execz .LBB57_640
; %bb.631:
	v_cmp_ne_u32_e32 vcc_lo, 1, v122
	s_cbranch_vccnz .LBB57_633
; %bb.632:
	scratch_load_b64 v[120:121], v57, off
	ds_load_b64 v[124:125], v1
	s_wait_loadcnt_dscnt 0x0
	v_pk_mul_f32 v[126:127], v[124:125], v[120:121] op_sel:[1,1] op_sel_hi:[0,1]
	s_delay_alu instid0(VALU_DEP_1) | instskip(SKIP_1) | instid1(VALU_DEP_2)
	v_pk_fma_f32 v[128:129], v[124:125], v[120:121], v[126:127] op_sel_hi:[1,0,1]
	v_pk_fma_f32 v[120:121], v[124:125], v[120:121], v[126:127] neg_lo:[0,0,1] neg_hi:[0,0,1]
	v_mov_b32_e32 v121, v129
	s_cbranch_execz .LBB57_634
	s_branch .LBB57_635
.LBB57_633:
                                        ; implicit-def: $vgpr120_vgpr121
.LBB57_634:
	ds_load_b64 v[120:121], v1
.LBB57_635:
	s_mov_b32 s2, exec_lo
	v_cmpx_ne_u32_e32 6, v0
	s_cbranch_execz .LBB57_639
; %bb.636:
	v_add_nc_u32_e32 v123, 0x1d8, v56
	v_add3_u32 v124, 0, v56, 8
	v_mov_b32_e32 v125, v0
	s_mov_b32 s3, 0
.LBB57_637:                             ; =>This Inner Loop Header: Depth=1
	scratch_load_b64 v[126:127], v124, off
	ds_load_b64 v[128:129], v123
	s_wait_xcnt 0x0
	v_dual_add_nc_u32 v123, 8, v123 :: v_dual_add_nc_u32 v124, 8, v124
	s_wait_loadcnt_dscnt 0x0
	v_pk_mul_f32 v[130:131], v[128:129], v[126:127] op_sel:[1,1] op_sel_hi:[0,1]
	s_delay_alu instid0(VALU_DEP_1) | instskip(SKIP_2) | instid1(VALU_DEP_3)
	v_pk_fma_f32 v[132:133], v[128:129], v[126:127], v[130:131] op_sel_hi:[1,0,1]
	v_add_nc_u32_e32 v125, 1, v125
	v_pk_fma_f32 v[126:127], v[128:129], v[126:127], v[130:131] neg_lo:[0,0,1] neg_hi:[0,0,1]
	v_mov_b32_e32 v127, v133
	s_delay_alu instid0(VALU_DEP_3) | instskip(NEXT) | instid1(VALU_DEP_2)
	v_cmp_lt_u32_e32 vcc_lo, 5, v125
	v_pk_add_f32 v[120:121], v[120:121], v[126:127]
	s_or_b32 s3, vcc_lo, s3
	s_delay_alu instid0(SALU_CYCLE_1)
	s_and_not1_b32 exec_lo, exec_lo, s3
	s_cbranch_execnz .LBB57_637
; %bb.638:
	s_or_b32 exec_lo, exec_lo, s3
.LBB57_639:
	s_delay_alu instid0(SALU_CYCLE_1) | instskip(SKIP_4) | instid1(VALU_DEP_1)
	s_or_b32 exec_lo, exec_lo, s2
	v_mov_b32_e32 v123, 0
	ds_load_b64 v[124:125], v123 offset:56
	s_wait_dscnt 0x0
	v_pk_mul_f32 v[126:127], v[120:121], v[124:125] op_sel:[1,1] op_sel_hi:[0,1]
	v_pk_fma_f32 v[128:129], v[120:121], v[124:125], v[126:127] op_sel_hi:[1,0,1]
	v_pk_fma_f32 v[120:121], v[120:121], v[124:125], v[126:127] neg_lo:[0,0,1] neg_hi:[0,0,1]
	s_delay_alu instid0(VALU_DEP_2)
	v_mov_b32_e32 v121, v129
	scratch_store_b64 off, v[120:121], off offset:56
.LBB57_640:
	s_wait_xcnt 0x0
	s_or_b32 exec_lo, exec_lo, s0
	scratch_load_b64 v[120:121], off, off offset:64
	s_mov_b32 s0, exec_lo
	s_wait_loadcnt 0x0
	ds_store_b64 v1, v[120:121]
	s_wait_storecnt_dscnt 0x0
	s_barrier_signal -1
	s_barrier_wait -1
	s_wait_xcnt 0x0
	v_cmpx_gt_u32_e32 8, v0
	s_cbranch_execz .LBB57_650
; %bb.641:
	v_cmp_ne_u32_e32 vcc_lo, 1, v122
	s_cbranch_vccnz .LBB57_643
; %bb.642:
	scratch_load_b64 v[120:121], v57, off
	ds_load_b64 v[124:125], v1
	s_wait_loadcnt_dscnt 0x0
	v_pk_mul_f32 v[126:127], v[124:125], v[120:121] op_sel:[1,1] op_sel_hi:[0,1]
	s_delay_alu instid0(VALU_DEP_1) | instskip(SKIP_1) | instid1(VALU_DEP_2)
	v_pk_fma_f32 v[128:129], v[124:125], v[120:121], v[126:127] op_sel_hi:[1,0,1]
	v_pk_fma_f32 v[120:121], v[124:125], v[120:121], v[126:127] neg_lo:[0,0,1] neg_hi:[0,0,1]
	v_mov_b32_e32 v121, v129
	s_cbranch_execz .LBB57_644
	s_branch .LBB57_645
.LBB57_643:
                                        ; implicit-def: $vgpr120_vgpr121
.LBB57_644:
	ds_load_b64 v[120:121], v1
.LBB57_645:
	s_mov_b32 s2, exec_lo
	v_cmpx_ne_u32_e32 7, v0
	s_cbranch_execz .LBB57_649
; %bb.646:
	v_add_nc_u32_e32 v123, 0x1d8, v56
	v_add3_u32 v124, 0, v56, 8
	v_mov_b32_e32 v125, v0
	s_mov_b32 s3, 0
.LBB57_647:                             ; =>This Inner Loop Header: Depth=1
	scratch_load_b64 v[126:127], v124, off
	ds_load_b64 v[128:129], v123
	s_wait_xcnt 0x0
	v_dual_add_nc_u32 v123, 8, v123 :: v_dual_add_nc_u32 v124, 8, v124
	s_wait_loadcnt_dscnt 0x0
	v_pk_mul_f32 v[130:131], v[128:129], v[126:127] op_sel:[1,1] op_sel_hi:[0,1]
	s_delay_alu instid0(VALU_DEP_1) | instskip(SKIP_2) | instid1(VALU_DEP_3)
	v_pk_fma_f32 v[132:133], v[128:129], v[126:127], v[130:131] op_sel_hi:[1,0,1]
	v_add_nc_u32_e32 v125, 1, v125
	v_pk_fma_f32 v[126:127], v[128:129], v[126:127], v[130:131] neg_lo:[0,0,1] neg_hi:[0,0,1]
	v_mov_b32_e32 v127, v133
	s_delay_alu instid0(VALU_DEP_3) | instskip(NEXT) | instid1(VALU_DEP_2)
	v_cmp_lt_u32_e32 vcc_lo, 6, v125
	v_pk_add_f32 v[120:121], v[120:121], v[126:127]
	s_or_b32 s3, vcc_lo, s3
	s_delay_alu instid0(SALU_CYCLE_1)
	s_and_not1_b32 exec_lo, exec_lo, s3
	s_cbranch_execnz .LBB57_647
; %bb.648:
	s_or_b32 exec_lo, exec_lo, s3
.LBB57_649:
	s_delay_alu instid0(SALU_CYCLE_1) | instskip(SKIP_4) | instid1(VALU_DEP_1)
	s_or_b32 exec_lo, exec_lo, s2
	v_mov_b32_e32 v123, 0
	ds_load_b64 v[124:125], v123 offset:64
	s_wait_dscnt 0x0
	v_pk_mul_f32 v[126:127], v[120:121], v[124:125] op_sel:[1,1] op_sel_hi:[0,1]
	v_pk_fma_f32 v[128:129], v[120:121], v[124:125], v[126:127] op_sel_hi:[1,0,1]
	v_pk_fma_f32 v[120:121], v[120:121], v[124:125], v[126:127] neg_lo:[0,0,1] neg_hi:[0,0,1]
	s_delay_alu instid0(VALU_DEP_2)
	v_mov_b32_e32 v121, v129
	scratch_store_b64 off, v[120:121], off offset:64
.LBB57_650:
	s_wait_xcnt 0x0
	s_or_b32 exec_lo, exec_lo, s0
	scratch_load_b64 v[120:121], off, off offset:72
	s_mov_b32 s0, exec_lo
	s_wait_loadcnt 0x0
	ds_store_b64 v1, v[120:121]
	s_wait_storecnt_dscnt 0x0
	s_barrier_signal -1
	s_barrier_wait -1
	s_wait_xcnt 0x0
	v_cmpx_gt_u32_e32 9, v0
	s_cbranch_execz .LBB57_660
; %bb.651:
	v_cmp_ne_u32_e32 vcc_lo, 1, v122
	s_cbranch_vccnz .LBB57_653
; %bb.652:
	scratch_load_b64 v[120:121], v57, off
	ds_load_b64 v[124:125], v1
	s_wait_loadcnt_dscnt 0x0
	v_pk_mul_f32 v[126:127], v[124:125], v[120:121] op_sel:[1,1] op_sel_hi:[0,1]
	s_delay_alu instid0(VALU_DEP_1) | instskip(SKIP_1) | instid1(VALU_DEP_2)
	v_pk_fma_f32 v[128:129], v[124:125], v[120:121], v[126:127] op_sel_hi:[1,0,1]
	v_pk_fma_f32 v[120:121], v[124:125], v[120:121], v[126:127] neg_lo:[0,0,1] neg_hi:[0,0,1]
	v_mov_b32_e32 v121, v129
	s_cbranch_execz .LBB57_654
	s_branch .LBB57_655
.LBB57_653:
                                        ; implicit-def: $vgpr120_vgpr121
.LBB57_654:
	ds_load_b64 v[120:121], v1
.LBB57_655:
	s_mov_b32 s2, exec_lo
	v_cmpx_ne_u32_e32 8, v0
	s_cbranch_execz .LBB57_659
; %bb.656:
	v_add_nc_u32_e32 v123, 0x1d8, v56
	v_add3_u32 v124, 0, v56, 8
	v_mov_b32_e32 v125, v0
	s_mov_b32 s3, 0
.LBB57_657:                             ; =>This Inner Loop Header: Depth=1
	scratch_load_b64 v[126:127], v124, off
	ds_load_b64 v[128:129], v123
	s_wait_xcnt 0x0
	v_dual_add_nc_u32 v123, 8, v123 :: v_dual_add_nc_u32 v124, 8, v124
	s_wait_loadcnt_dscnt 0x0
	v_pk_mul_f32 v[130:131], v[128:129], v[126:127] op_sel:[1,1] op_sel_hi:[0,1]
	s_delay_alu instid0(VALU_DEP_1) | instskip(SKIP_2) | instid1(VALU_DEP_3)
	v_pk_fma_f32 v[132:133], v[128:129], v[126:127], v[130:131] op_sel_hi:[1,0,1]
	v_add_nc_u32_e32 v125, 1, v125
	v_pk_fma_f32 v[126:127], v[128:129], v[126:127], v[130:131] neg_lo:[0,0,1] neg_hi:[0,0,1]
	v_mov_b32_e32 v127, v133
	s_delay_alu instid0(VALU_DEP_3) | instskip(NEXT) | instid1(VALU_DEP_2)
	v_cmp_lt_u32_e32 vcc_lo, 7, v125
	v_pk_add_f32 v[120:121], v[120:121], v[126:127]
	s_or_b32 s3, vcc_lo, s3
	s_delay_alu instid0(SALU_CYCLE_1)
	s_and_not1_b32 exec_lo, exec_lo, s3
	s_cbranch_execnz .LBB57_657
; %bb.658:
	s_or_b32 exec_lo, exec_lo, s3
.LBB57_659:
	s_delay_alu instid0(SALU_CYCLE_1) | instskip(SKIP_4) | instid1(VALU_DEP_1)
	s_or_b32 exec_lo, exec_lo, s2
	v_mov_b32_e32 v123, 0
	ds_load_b64 v[124:125], v123 offset:72
	s_wait_dscnt 0x0
	v_pk_mul_f32 v[126:127], v[120:121], v[124:125] op_sel:[1,1] op_sel_hi:[0,1]
	v_pk_fma_f32 v[128:129], v[120:121], v[124:125], v[126:127] op_sel_hi:[1,0,1]
	v_pk_fma_f32 v[120:121], v[120:121], v[124:125], v[126:127] neg_lo:[0,0,1] neg_hi:[0,0,1]
	s_delay_alu instid0(VALU_DEP_2)
	v_mov_b32_e32 v121, v129
	scratch_store_b64 off, v[120:121], off offset:72
.LBB57_660:
	s_wait_xcnt 0x0
	s_or_b32 exec_lo, exec_lo, s0
	scratch_load_b64 v[120:121], off, off offset:80
	s_mov_b32 s0, exec_lo
	s_wait_loadcnt 0x0
	ds_store_b64 v1, v[120:121]
	s_wait_storecnt_dscnt 0x0
	s_barrier_signal -1
	s_barrier_wait -1
	s_wait_xcnt 0x0
	v_cmpx_gt_u32_e32 10, v0
	s_cbranch_execz .LBB57_670
; %bb.661:
	v_cmp_ne_u32_e32 vcc_lo, 1, v122
	s_cbranch_vccnz .LBB57_663
; %bb.662:
	scratch_load_b64 v[120:121], v57, off
	ds_load_b64 v[124:125], v1
	s_wait_loadcnt_dscnt 0x0
	v_pk_mul_f32 v[126:127], v[124:125], v[120:121] op_sel:[1,1] op_sel_hi:[0,1]
	s_delay_alu instid0(VALU_DEP_1) | instskip(SKIP_1) | instid1(VALU_DEP_2)
	v_pk_fma_f32 v[128:129], v[124:125], v[120:121], v[126:127] op_sel_hi:[1,0,1]
	v_pk_fma_f32 v[120:121], v[124:125], v[120:121], v[126:127] neg_lo:[0,0,1] neg_hi:[0,0,1]
	v_mov_b32_e32 v121, v129
	s_cbranch_execz .LBB57_664
	s_branch .LBB57_665
.LBB57_663:
                                        ; implicit-def: $vgpr120_vgpr121
.LBB57_664:
	ds_load_b64 v[120:121], v1
.LBB57_665:
	s_mov_b32 s2, exec_lo
	v_cmpx_ne_u32_e32 9, v0
	s_cbranch_execz .LBB57_669
; %bb.666:
	v_add_nc_u32_e32 v123, 0x1d8, v56
	v_add3_u32 v124, 0, v56, 8
	v_mov_b32_e32 v125, v0
	s_mov_b32 s3, 0
.LBB57_667:                             ; =>This Inner Loop Header: Depth=1
	scratch_load_b64 v[126:127], v124, off
	ds_load_b64 v[128:129], v123
	s_wait_xcnt 0x0
	v_dual_add_nc_u32 v123, 8, v123 :: v_dual_add_nc_u32 v124, 8, v124
	s_wait_loadcnt_dscnt 0x0
	v_pk_mul_f32 v[130:131], v[128:129], v[126:127] op_sel:[1,1] op_sel_hi:[0,1]
	s_delay_alu instid0(VALU_DEP_1) | instskip(SKIP_2) | instid1(VALU_DEP_3)
	v_pk_fma_f32 v[132:133], v[128:129], v[126:127], v[130:131] op_sel_hi:[1,0,1]
	v_add_nc_u32_e32 v125, 1, v125
	v_pk_fma_f32 v[126:127], v[128:129], v[126:127], v[130:131] neg_lo:[0,0,1] neg_hi:[0,0,1]
	v_mov_b32_e32 v127, v133
	s_delay_alu instid0(VALU_DEP_3) | instskip(NEXT) | instid1(VALU_DEP_2)
	v_cmp_lt_u32_e32 vcc_lo, 8, v125
	v_pk_add_f32 v[120:121], v[120:121], v[126:127]
	s_or_b32 s3, vcc_lo, s3
	s_delay_alu instid0(SALU_CYCLE_1)
	s_and_not1_b32 exec_lo, exec_lo, s3
	s_cbranch_execnz .LBB57_667
; %bb.668:
	s_or_b32 exec_lo, exec_lo, s3
.LBB57_669:
	s_delay_alu instid0(SALU_CYCLE_1) | instskip(SKIP_4) | instid1(VALU_DEP_1)
	s_or_b32 exec_lo, exec_lo, s2
	v_mov_b32_e32 v123, 0
	ds_load_b64 v[124:125], v123 offset:80
	s_wait_dscnt 0x0
	v_pk_mul_f32 v[126:127], v[120:121], v[124:125] op_sel:[1,1] op_sel_hi:[0,1]
	v_pk_fma_f32 v[128:129], v[120:121], v[124:125], v[126:127] op_sel_hi:[1,0,1]
	v_pk_fma_f32 v[120:121], v[120:121], v[124:125], v[126:127] neg_lo:[0,0,1] neg_hi:[0,0,1]
	s_delay_alu instid0(VALU_DEP_2)
	v_mov_b32_e32 v121, v129
	scratch_store_b64 off, v[120:121], off offset:80
.LBB57_670:
	s_wait_xcnt 0x0
	s_or_b32 exec_lo, exec_lo, s0
	scratch_load_b64 v[120:121], off, off offset:88
	s_mov_b32 s0, exec_lo
	s_wait_loadcnt 0x0
	ds_store_b64 v1, v[120:121]
	s_wait_storecnt_dscnt 0x0
	s_barrier_signal -1
	s_barrier_wait -1
	s_wait_xcnt 0x0
	v_cmpx_gt_u32_e32 11, v0
	s_cbranch_execz .LBB57_680
; %bb.671:
	v_cmp_ne_u32_e32 vcc_lo, 1, v122
	s_cbranch_vccnz .LBB57_673
; %bb.672:
	scratch_load_b64 v[120:121], v57, off
	ds_load_b64 v[124:125], v1
	s_wait_loadcnt_dscnt 0x0
	v_pk_mul_f32 v[126:127], v[124:125], v[120:121] op_sel:[1,1] op_sel_hi:[0,1]
	s_delay_alu instid0(VALU_DEP_1) | instskip(SKIP_1) | instid1(VALU_DEP_2)
	v_pk_fma_f32 v[128:129], v[124:125], v[120:121], v[126:127] op_sel_hi:[1,0,1]
	v_pk_fma_f32 v[120:121], v[124:125], v[120:121], v[126:127] neg_lo:[0,0,1] neg_hi:[0,0,1]
	v_mov_b32_e32 v121, v129
	s_cbranch_execz .LBB57_674
	s_branch .LBB57_675
.LBB57_673:
                                        ; implicit-def: $vgpr120_vgpr121
.LBB57_674:
	ds_load_b64 v[120:121], v1
.LBB57_675:
	s_mov_b32 s2, exec_lo
	v_cmpx_ne_u32_e32 10, v0
	s_cbranch_execz .LBB57_679
; %bb.676:
	v_add_nc_u32_e32 v123, 0x1d8, v56
	v_add3_u32 v124, 0, v56, 8
	v_mov_b32_e32 v125, v0
	s_mov_b32 s3, 0
.LBB57_677:                             ; =>This Inner Loop Header: Depth=1
	scratch_load_b64 v[126:127], v124, off
	ds_load_b64 v[128:129], v123
	s_wait_xcnt 0x0
	v_dual_add_nc_u32 v123, 8, v123 :: v_dual_add_nc_u32 v124, 8, v124
	s_wait_loadcnt_dscnt 0x0
	v_pk_mul_f32 v[130:131], v[128:129], v[126:127] op_sel:[1,1] op_sel_hi:[0,1]
	s_delay_alu instid0(VALU_DEP_1) | instskip(SKIP_2) | instid1(VALU_DEP_3)
	v_pk_fma_f32 v[132:133], v[128:129], v[126:127], v[130:131] op_sel_hi:[1,0,1]
	v_add_nc_u32_e32 v125, 1, v125
	v_pk_fma_f32 v[126:127], v[128:129], v[126:127], v[130:131] neg_lo:[0,0,1] neg_hi:[0,0,1]
	v_mov_b32_e32 v127, v133
	s_delay_alu instid0(VALU_DEP_3) | instskip(NEXT) | instid1(VALU_DEP_2)
	v_cmp_lt_u32_e32 vcc_lo, 9, v125
	v_pk_add_f32 v[120:121], v[120:121], v[126:127]
	s_or_b32 s3, vcc_lo, s3
	s_delay_alu instid0(SALU_CYCLE_1)
	s_and_not1_b32 exec_lo, exec_lo, s3
	s_cbranch_execnz .LBB57_677
; %bb.678:
	s_or_b32 exec_lo, exec_lo, s3
.LBB57_679:
	s_delay_alu instid0(SALU_CYCLE_1) | instskip(SKIP_4) | instid1(VALU_DEP_1)
	s_or_b32 exec_lo, exec_lo, s2
	v_mov_b32_e32 v123, 0
	ds_load_b64 v[124:125], v123 offset:88
	s_wait_dscnt 0x0
	v_pk_mul_f32 v[126:127], v[120:121], v[124:125] op_sel:[1,1] op_sel_hi:[0,1]
	v_pk_fma_f32 v[128:129], v[120:121], v[124:125], v[126:127] op_sel_hi:[1,0,1]
	v_pk_fma_f32 v[120:121], v[120:121], v[124:125], v[126:127] neg_lo:[0,0,1] neg_hi:[0,0,1]
	s_delay_alu instid0(VALU_DEP_2)
	v_mov_b32_e32 v121, v129
	scratch_store_b64 off, v[120:121], off offset:88
.LBB57_680:
	s_wait_xcnt 0x0
	s_or_b32 exec_lo, exec_lo, s0
	scratch_load_b64 v[120:121], off, off offset:96
	s_mov_b32 s0, exec_lo
	s_wait_loadcnt 0x0
	ds_store_b64 v1, v[120:121]
	s_wait_storecnt_dscnt 0x0
	s_barrier_signal -1
	s_barrier_wait -1
	s_wait_xcnt 0x0
	v_cmpx_gt_u32_e32 12, v0
	s_cbranch_execz .LBB57_690
; %bb.681:
	v_cmp_ne_u32_e32 vcc_lo, 1, v122
	s_cbranch_vccnz .LBB57_683
; %bb.682:
	scratch_load_b64 v[120:121], v57, off
	ds_load_b64 v[124:125], v1
	s_wait_loadcnt_dscnt 0x0
	v_pk_mul_f32 v[126:127], v[124:125], v[120:121] op_sel:[1,1] op_sel_hi:[0,1]
	s_delay_alu instid0(VALU_DEP_1) | instskip(SKIP_1) | instid1(VALU_DEP_2)
	v_pk_fma_f32 v[128:129], v[124:125], v[120:121], v[126:127] op_sel_hi:[1,0,1]
	v_pk_fma_f32 v[120:121], v[124:125], v[120:121], v[126:127] neg_lo:[0,0,1] neg_hi:[0,0,1]
	v_mov_b32_e32 v121, v129
	s_cbranch_execz .LBB57_684
	s_branch .LBB57_685
.LBB57_683:
                                        ; implicit-def: $vgpr120_vgpr121
.LBB57_684:
	ds_load_b64 v[120:121], v1
.LBB57_685:
	s_mov_b32 s2, exec_lo
	v_cmpx_ne_u32_e32 11, v0
	s_cbranch_execz .LBB57_689
; %bb.686:
	v_add_nc_u32_e32 v123, 0x1d8, v56
	v_add3_u32 v124, 0, v56, 8
	v_mov_b32_e32 v125, v0
	s_mov_b32 s3, 0
.LBB57_687:                             ; =>This Inner Loop Header: Depth=1
	scratch_load_b64 v[126:127], v124, off
	ds_load_b64 v[128:129], v123
	s_wait_xcnt 0x0
	v_dual_add_nc_u32 v123, 8, v123 :: v_dual_add_nc_u32 v124, 8, v124
	s_wait_loadcnt_dscnt 0x0
	v_pk_mul_f32 v[130:131], v[128:129], v[126:127] op_sel:[1,1] op_sel_hi:[0,1]
	s_delay_alu instid0(VALU_DEP_1) | instskip(SKIP_2) | instid1(VALU_DEP_3)
	v_pk_fma_f32 v[132:133], v[128:129], v[126:127], v[130:131] op_sel_hi:[1,0,1]
	v_add_nc_u32_e32 v125, 1, v125
	v_pk_fma_f32 v[126:127], v[128:129], v[126:127], v[130:131] neg_lo:[0,0,1] neg_hi:[0,0,1]
	v_mov_b32_e32 v127, v133
	s_delay_alu instid0(VALU_DEP_3) | instskip(NEXT) | instid1(VALU_DEP_2)
	v_cmp_lt_u32_e32 vcc_lo, 10, v125
	v_pk_add_f32 v[120:121], v[120:121], v[126:127]
	s_or_b32 s3, vcc_lo, s3
	s_delay_alu instid0(SALU_CYCLE_1)
	s_and_not1_b32 exec_lo, exec_lo, s3
	s_cbranch_execnz .LBB57_687
; %bb.688:
	s_or_b32 exec_lo, exec_lo, s3
.LBB57_689:
	s_delay_alu instid0(SALU_CYCLE_1) | instskip(SKIP_4) | instid1(VALU_DEP_1)
	s_or_b32 exec_lo, exec_lo, s2
	v_mov_b32_e32 v123, 0
	ds_load_b64 v[124:125], v123 offset:96
	s_wait_dscnt 0x0
	v_pk_mul_f32 v[126:127], v[120:121], v[124:125] op_sel:[1,1] op_sel_hi:[0,1]
	v_pk_fma_f32 v[128:129], v[120:121], v[124:125], v[126:127] op_sel_hi:[1,0,1]
	v_pk_fma_f32 v[120:121], v[120:121], v[124:125], v[126:127] neg_lo:[0,0,1] neg_hi:[0,0,1]
	s_delay_alu instid0(VALU_DEP_2)
	v_mov_b32_e32 v121, v129
	scratch_store_b64 off, v[120:121], off offset:96
.LBB57_690:
	s_wait_xcnt 0x0
	s_or_b32 exec_lo, exec_lo, s0
	scratch_load_b64 v[120:121], off, off offset:104
	s_mov_b32 s0, exec_lo
	s_wait_loadcnt 0x0
	ds_store_b64 v1, v[120:121]
	s_wait_storecnt_dscnt 0x0
	s_barrier_signal -1
	s_barrier_wait -1
	s_wait_xcnt 0x0
	v_cmpx_gt_u32_e32 13, v0
	s_cbranch_execz .LBB57_700
; %bb.691:
	v_cmp_ne_u32_e32 vcc_lo, 1, v122
	s_cbranch_vccnz .LBB57_693
; %bb.692:
	scratch_load_b64 v[120:121], v57, off
	ds_load_b64 v[124:125], v1
	s_wait_loadcnt_dscnt 0x0
	v_pk_mul_f32 v[126:127], v[124:125], v[120:121] op_sel:[1,1] op_sel_hi:[0,1]
	s_delay_alu instid0(VALU_DEP_1) | instskip(SKIP_1) | instid1(VALU_DEP_2)
	v_pk_fma_f32 v[128:129], v[124:125], v[120:121], v[126:127] op_sel_hi:[1,0,1]
	v_pk_fma_f32 v[120:121], v[124:125], v[120:121], v[126:127] neg_lo:[0,0,1] neg_hi:[0,0,1]
	v_mov_b32_e32 v121, v129
	s_cbranch_execz .LBB57_694
	s_branch .LBB57_695
.LBB57_693:
                                        ; implicit-def: $vgpr120_vgpr121
.LBB57_694:
	ds_load_b64 v[120:121], v1
.LBB57_695:
	s_mov_b32 s2, exec_lo
	v_cmpx_ne_u32_e32 12, v0
	s_cbranch_execz .LBB57_699
; %bb.696:
	v_add_nc_u32_e32 v123, 0x1d8, v56
	v_add3_u32 v124, 0, v56, 8
	v_mov_b32_e32 v125, v0
	s_mov_b32 s3, 0
.LBB57_697:                             ; =>This Inner Loop Header: Depth=1
	scratch_load_b64 v[126:127], v124, off
	ds_load_b64 v[128:129], v123
	s_wait_xcnt 0x0
	v_dual_add_nc_u32 v123, 8, v123 :: v_dual_add_nc_u32 v124, 8, v124
	s_wait_loadcnt_dscnt 0x0
	v_pk_mul_f32 v[130:131], v[128:129], v[126:127] op_sel:[1,1] op_sel_hi:[0,1]
	s_delay_alu instid0(VALU_DEP_1) | instskip(SKIP_2) | instid1(VALU_DEP_3)
	v_pk_fma_f32 v[132:133], v[128:129], v[126:127], v[130:131] op_sel_hi:[1,0,1]
	v_add_nc_u32_e32 v125, 1, v125
	v_pk_fma_f32 v[126:127], v[128:129], v[126:127], v[130:131] neg_lo:[0,0,1] neg_hi:[0,0,1]
	v_mov_b32_e32 v127, v133
	s_delay_alu instid0(VALU_DEP_3) | instskip(NEXT) | instid1(VALU_DEP_2)
	v_cmp_lt_u32_e32 vcc_lo, 11, v125
	v_pk_add_f32 v[120:121], v[120:121], v[126:127]
	s_or_b32 s3, vcc_lo, s3
	s_delay_alu instid0(SALU_CYCLE_1)
	s_and_not1_b32 exec_lo, exec_lo, s3
	s_cbranch_execnz .LBB57_697
; %bb.698:
	s_or_b32 exec_lo, exec_lo, s3
.LBB57_699:
	s_delay_alu instid0(SALU_CYCLE_1) | instskip(SKIP_4) | instid1(VALU_DEP_1)
	s_or_b32 exec_lo, exec_lo, s2
	v_mov_b32_e32 v123, 0
	ds_load_b64 v[124:125], v123 offset:104
	s_wait_dscnt 0x0
	v_pk_mul_f32 v[126:127], v[120:121], v[124:125] op_sel:[1,1] op_sel_hi:[0,1]
	v_pk_fma_f32 v[128:129], v[120:121], v[124:125], v[126:127] op_sel_hi:[1,0,1]
	v_pk_fma_f32 v[120:121], v[120:121], v[124:125], v[126:127] neg_lo:[0,0,1] neg_hi:[0,0,1]
	s_delay_alu instid0(VALU_DEP_2)
	v_mov_b32_e32 v121, v129
	scratch_store_b64 off, v[120:121], off offset:104
.LBB57_700:
	s_wait_xcnt 0x0
	s_or_b32 exec_lo, exec_lo, s0
	scratch_load_b64 v[120:121], off, off offset:112
	s_mov_b32 s0, exec_lo
	s_wait_loadcnt 0x0
	ds_store_b64 v1, v[120:121]
	s_wait_storecnt_dscnt 0x0
	s_barrier_signal -1
	s_barrier_wait -1
	s_wait_xcnt 0x0
	v_cmpx_gt_u32_e32 14, v0
	s_cbranch_execz .LBB57_710
; %bb.701:
	v_cmp_ne_u32_e32 vcc_lo, 1, v122
	s_cbranch_vccnz .LBB57_703
; %bb.702:
	scratch_load_b64 v[120:121], v57, off
	ds_load_b64 v[124:125], v1
	s_wait_loadcnt_dscnt 0x0
	v_pk_mul_f32 v[126:127], v[124:125], v[120:121] op_sel:[1,1] op_sel_hi:[0,1]
	s_delay_alu instid0(VALU_DEP_1) | instskip(SKIP_1) | instid1(VALU_DEP_2)
	v_pk_fma_f32 v[128:129], v[124:125], v[120:121], v[126:127] op_sel_hi:[1,0,1]
	v_pk_fma_f32 v[120:121], v[124:125], v[120:121], v[126:127] neg_lo:[0,0,1] neg_hi:[0,0,1]
	v_mov_b32_e32 v121, v129
	s_cbranch_execz .LBB57_704
	s_branch .LBB57_705
.LBB57_703:
                                        ; implicit-def: $vgpr120_vgpr121
.LBB57_704:
	ds_load_b64 v[120:121], v1
.LBB57_705:
	s_mov_b32 s2, exec_lo
	v_cmpx_ne_u32_e32 13, v0
	s_cbranch_execz .LBB57_709
; %bb.706:
	v_add_nc_u32_e32 v123, 0x1d8, v56
	v_add3_u32 v124, 0, v56, 8
	v_mov_b32_e32 v125, v0
	s_mov_b32 s3, 0
.LBB57_707:                             ; =>This Inner Loop Header: Depth=1
	scratch_load_b64 v[126:127], v124, off
	ds_load_b64 v[128:129], v123
	s_wait_xcnt 0x0
	v_dual_add_nc_u32 v123, 8, v123 :: v_dual_add_nc_u32 v124, 8, v124
	s_wait_loadcnt_dscnt 0x0
	v_pk_mul_f32 v[130:131], v[128:129], v[126:127] op_sel:[1,1] op_sel_hi:[0,1]
	s_delay_alu instid0(VALU_DEP_1) | instskip(SKIP_2) | instid1(VALU_DEP_3)
	v_pk_fma_f32 v[132:133], v[128:129], v[126:127], v[130:131] op_sel_hi:[1,0,1]
	v_add_nc_u32_e32 v125, 1, v125
	v_pk_fma_f32 v[126:127], v[128:129], v[126:127], v[130:131] neg_lo:[0,0,1] neg_hi:[0,0,1]
	v_mov_b32_e32 v127, v133
	s_delay_alu instid0(VALU_DEP_3) | instskip(NEXT) | instid1(VALU_DEP_2)
	v_cmp_lt_u32_e32 vcc_lo, 12, v125
	v_pk_add_f32 v[120:121], v[120:121], v[126:127]
	s_or_b32 s3, vcc_lo, s3
	s_delay_alu instid0(SALU_CYCLE_1)
	s_and_not1_b32 exec_lo, exec_lo, s3
	s_cbranch_execnz .LBB57_707
; %bb.708:
	s_or_b32 exec_lo, exec_lo, s3
.LBB57_709:
	s_delay_alu instid0(SALU_CYCLE_1) | instskip(SKIP_4) | instid1(VALU_DEP_1)
	s_or_b32 exec_lo, exec_lo, s2
	v_mov_b32_e32 v123, 0
	ds_load_b64 v[124:125], v123 offset:112
	s_wait_dscnt 0x0
	v_pk_mul_f32 v[126:127], v[120:121], v[124:125] op_sel:[1,1] op_sel_hi:[0,1]
	v_pk_fma_f32 v[128:129], v[120:121], v[124:125], v[126:127] op_sel_hi:[1,0,1]
	v_pk_fma_f32 v[120:121], v[120:121], v[124:125], v[126:127] neg_lo:[0,0,1] neg_hi:[0,0,1]
	s_delay_alu instid0(VALU_DEP_2)
	v_mov_b32_e32 v121, v129
	scratch_store_b64 off, v[120:121], off offset:112
.LBB57_710:
	s_wait_xcnt 0x0
	s_or_b32 exec_lo, exec_lo, s0
	scratch_load_b64 v[120:121], off, off offset:120
	s_mov_b32 s0, exec_lo
	s_wait_loadcnt 0x0
	ds_store_b64 v1, v[120:121]
	s_wait_storecnt_dscnt 0x0
	s_barrier_signal -1
	s_barrier_wait -1
	s_wait_xcnt 0x0
	v_cmpx_gt_u32_e32 15, v0
	s_cbranch_execz .LBB57_720
; %bb.711:
	v_cmp_ne_u32_e32 vcc_lo, 1, v122
	s_cbranch_vccnz .LBB57_713
; %bb.712:
	scratch_load_b64 v[120:121], v57, off
	ds_load_b64 v[124:125], v1
	s_wait_loadcnt_dscnt 0x0
	v_pk_mul_f32 v[126:127], v[124:125], v[120:121] op_sel:[1,1] op_sel_hi:[0,1]
	s_delay_alu instid0(VALU_DEP_1) | instskip(SKIP_1) | instid1(VALU_DEP_2)
	v_pk_fma_f32 v[128:129], v[124:125], v[120:121], v[126:127] op_sel_hi:[1,0,1]
	v_pk_fma_f32 v[120:121], v[124:125], v[120:121], v[126:127] neg_lo:[0,0,1] neg_hi:[0,0,1]
	v_mov_b32_e32 v121, v129
	s_cbranch_execz .LBB57_714
	s_branch .LBB57_715
.LBB57_713:
                                        ; implicit-def: $vgpr120_vgpr121
.LBB57_714:
	ds_load_b64 v[120:121], v1
.LBB57_715:
	s_mov_b32 s2, exec_lo
	v_cmpx_ne_u32_e32 14, v0
	s_cbranch_execz .LBB57_719
; %bb.716:
	v_add_nc_u32_e32 v123, 0x1d8, v56
	v_add3_u32 v124, 0, v56, 8
	v_mov_b32_e32 v125, v0
	s_mov_b32 s3, 0
.LBB57_717:                             ; =>This Inner Loop Header: Depth=1
	scratch_load_b64 v[126:127], v124, off
	ds_load_b64 v[128:129], v123
	s_wait_xcnt 0x0
	v_dual_add_nc_u32 v123, 8, v123 :: v_dual_add_nc_u32 v124, 8, v124
	s_wait_loadcnt_dscnt 0x0
	v_pk_mul_f32 v[130:131], v[128:129], v[126:127] op_sel:[1,1] op_sel_hi:[0,1]
	s_delay_alu instid0(VALU_DEP_1) | instskip(SKIP_2) | instid1(VALU_DEP_3)
	v_pk_fma_f32 v[132:133], v[128:129], v[126:127], v[130:131] op_sel_hi:[1,0,1]
	v_add_nc_u32_e32 v125, 1, v125
	v_pk_fma_f32 v[126:127], v[128:129], v[126:127], v[130:131] neg_lo:[0,0,1] neg_hi:[0,0,1]
	v_mov_b32_e32 v127, v133
	s_delay_alu instid0(VALU_DEP_3) | instskip(NEXT) | instid1(VALU_DEP_2)
	v_cmp_lt_u32_e32 vcc_lo, 13, v125
	v_pk_add_f32 v[120:121], v[120:121], v[126:127]
	s_or_b32 s3, vcc_lo, s3
	s_delay_alu instid0(SALU_CYCLE_1)
	s_and_not1_b32 exec_lo, exec_lo, s3
	s_cbranch_execnz .LBB57_717
; %bb.718:
	s_or_b32 exec_lo, exec_lo, s3
.LBB57_719:
	s_delay_alu instid0(SALU_CYCLE_1) | instskip(SKIP_4) | instid1(VALU_DEP_1)
	s_or_b32 exec_lo, exec_lo, s2
	v_mov_b32_e32 v123, 0
	ds_load_b64 v[124:125], v123 offset:120
	s_wait_dscnt 0x0
	v_pk_mul_f32 v[126:127], v[120:121], v[124:125] op_sel:[1,1] op_sel_hi:[0,1]
	v_pk_fma_f32 v[128:129], v[120:121], v[124:125], v[126:127] op_sel_hi:[1,0,1]
	v_pk_fma_f32 v[120:121], v[120:121], v[124:125], v[126:127] neg_lo:[0,0,1] neg_hi:[0,0,1]
	s_delay_alu instid0(VALU_DEP_2)
	v_mov_b32_e32 v121, v129
	scratch_store_b64 off, v[120:121], off offset:120
.LBB57_720:
	s_wait_xcnt 0x0
	s_or_b32 exec_lo, exec_lo, s0
	scratch_load_b64 v[120:121], off, off offset:128
	s_mov_b32 s0, exec_lo
	s_wait_loadcnt 0x0
	ds_store_b64 v1, v[120:121]
	s_wait_storecnt_dscnt 0x0
	s_barrier_signal -1
	s_barrier_wait -1
	s_wait_xcnt 0x0
	v_cmpx_gt_u32_e32 16, v0
	s_cbranch_execz .LBB57_730
; %bb.721:
	v_cmp_ne_u32_e32 vcc_lo, 1, v122
	s_cbranch_vccnz .LBB57_723
; %bb.722:
	scratch_load_b64 v[120:121], v57, off
	ds_load_b64 v[124:125], v1
	s_wait_loadcnt_dscnt 0x0
	v_pk_mul_f32 v[126:127], v[124:125], v[120:121] op_sel:[1,1] op_sel_hi:[0,1]
	s_delay_alu instid0(VALU_DEP_1) | instskip(SKIP_1) | instid1(VALU_DEP_2)
	v_pk_fma_f32 v[128:129], v[124:125], v[120:121], v[126:127] op_sel_hi:[1,0,1]
	v_pk_fma_f32 v[120:121], v[124:125], v[120:121], v[126:127] neg_lo:[0,0,1] neg_hi:[0,0,1]
	v_mov_b32_e32 v121, v129
	s_cbranch_execz .LBB57_724
	s_branch .LBB57_725
.LBB57_723:
                                        ; implicit-def: $vgpr120_vgpr121
.LBB57_724:
	ds_load_b64 v[120:121], v1
.LBB57_725:
	s_mov_b32 s2, exec_lo
	v_cmpx_ne_u32_e32 15, v0
	s_cbranch_execz .LBB57_729
; %bb.726:
	v_add_nc_u32_e32 v123, 0x1d8, v56
	v_add3_u32 v124, 0, v56, 8
	v_mov_b32_e32 v125, v0
	s_mov_b32 s3, 0
.LBB57_727:                             ; =>This Inner Loop Header: Depth=1
	scratch_load_b64 v[126:127], v124, off
	ds_load_b64 v[128:129], v123
	s_wait_xcnt 0x0
	v_dual_add_nc_u32 v123, 8, v123 :: v_dual_add_nc_u32 v124, 8, v124
	s_wait_loadcnt_dscnt 0x0
	v_pk_mul_f32 v[130:131], v[128:129], v[126:127] op_sel:[1,1] op_sel_hi:[0,1]
	s_delay_alu instid0(VALU_DEP_1) | instskip(SKIP_2) | instid1(VALU_DEP_3)
	v_pk_fma_f32 v[132:133], v[128:129], v[126:127], v[130:131] op_sel_hi:[1,0,1]
	v_add_nc_u32_e32 v125, 1, v125
	v_pk_fma_f32 v[126:127], v[128:129], v[126:127], v[130:131] neg_lo:[0,0,1] neg_hi:[0,0,1]
	v_mov_b32_e32 v127, v133
	s_delay_alu instid0(VALU_DEP_3) | instskip(NEXT) | instid1(VALU_DEP_2)
	v_cmp_lt_u32_e32 vcc_lo, 14, v125
	v_pk_add_f32 v[120:121], v[120:121], v[126:127]
	s_or_b32 s3, vcc_lo, s3
	s_delay_alu instid0(SALU_CYCLE_1)
	s_and_not1_b32 exec_lo, exec_lo, s3
	s_cbranch_execnz .LBB57_727
; %bb.728:
	s_or_b32 exec_lo, exec_lo, s3
.LBB57_729:
	s_delay_alu instid0(SALU_CYCLE_1) | instskip(SKIP_4) | instid1(VALU_DEP_1)
	s_or_b32 exec_lo, exec_lo, s2
	v_mov_b32_e32 v123, 0
	ds_load_b64 v[124:125], v123 offset:128
	s_wait_dscnt 0x0
	v_pk_mul_f32 v[126:127], v[120:121], v[124:125] op_sel:[1,1] op_sel_hi:[0,1]
	v_pk_fma_f32 v[128:129], v[120:121], v[124:125], v[126:127] op_sel_hi:[1,0,1]
	v_pk_fma_f32 v[120:121], v[120:121], v[124:125], v[126:127] neg_lo:[0,0,1] neg_hi:[0,0,1]
	s_delay_alu instid0(VALU_DEP_2)
	v_mov_b32_e32 v121, v129
	scratch_store_b64 off, v[120:121], off offset:128
.LBB57_730:
	s_wait_xcnt 0x0
	s_or_b32 exec_lo, exec_lo, s0
	scratch_load_b64 v[120:121], off, off offset:136
	s_mov_b32 s0, exec_lo
	s_wait_loadcnt 0x0
	ds_store_b64 v1, v[120:121]
	s_wait_storecnt_dscnt 0x0
	s_barrier_signal -1
	s_barrier_wait -1
	s_wait_xcnt 0x0
	v_cmpx_gt_u32_e32 17, v0
	s_cbranch_execz .LBB57_740
; %bb.731:
	v_cmp_ne_u32_e32 vcc_lo, 1, v122
	s_cbranch_vccnz .LBB57_733
; %bb.732:
	scratch_load_b64 v[120:121], v57, off
	ds_load_b64 v[124:125], v1
	s_wait_loadcnt_dscnt 0x0
	v_pk_mul_f32 v[126:127], v[124:125], v[120:121] op_sel:[1,1] op_sel_hi:[0,1]
	s_delay_alu instid0(VALU_DEP_1) | instskip(SKIP_1) | instid1(VALU_DEP_2)
	v_pk_fma_f32 v[128:129], v[124:125], v[120:121], v[126:127] op_sel_hi:[1,0,1]
	v_pk_fma_f32 v[120:121], v[124:125], v[120:121], v[126:127] neg_lo:[0,0,1] neg_hi:[0,0,1]
	v_mov_b32_e32 v121, v129
	s_cbranch_execz .LBB57_734
	s_branch .LBB57_735
.LBB57_733:
                                        ; implicit-def: $vgpr120_vgpr121
.LBB57_734:
	ds_load_b64 v[120:121], v1
.LBB57_735:
	s_mov_b32 s2, exec_lo
	v_cmpx_ne_u32_e32 16, v0
	s_cbranch_execz .LBB57_739
; %bb.736:
	v_add_nc_u32_e32 v123, 0x1d8, v56
	v_add3_u32 v124, 0, v56, 8
	v_mov_b32_e32 v125, v0
	s_mov_b32 s3, 0
.LBB57_737:                             ; =>This Inner Loop Header: Depth=1
	scratch_load_b64 v[126:127], v124, off
	ds_load_b64 v[128:129], v123
	s_wait_xcnt 0x0
	v_dual_add_nc_u32 v123, 8, v123 :: v_dual_add_nc_u32 v124, 8, v124
	s_wait_loadcnt_dscnt 0x0
	v_pk_mul_f32 v[130:131], v[128:129], v[126:127] op_sel:[1,1] op_sel_hi:[0,1]
	s_delay_alu instid0(VALU_DEP_1) | instskip(SKIP_2) | instid1(VALU_DEP_3)
	v_pk_fma_f32 v[132:133], v[128:129], v[126:127], v[130:131] op_sel_hi:[1,0,1]
	v_add_nc_u32_e32 v125, 1, v125
	v_pk_fma_f32 v[126:127], v[128:129], v[126:127], v[130:131] neg_lo:[0,0,1] neg_hi:[0,0,1]
	v_mov_b32_e32 v127, v133
	s_delay_alu instid0(VALU_DEP_3) | instskip(NEXT) | instid1(VALU_DEP_2)
	v_cmp_lt_u32_e32 vcc_lo, 15, v125
	v_pk_add_f32 v[120:121], v[120:121], v[126:127]
	s_or_b32 s3, vcc_lo, s3
	s_delay_alu instid0(SALU_CYCLE_1)
	s_and_not1_b32 exec_lo, exec_lo, s3
	s_cbranch_execnz .LBB57_737
; %bb.738:
	s_or_b32 exec_lo, exec_lo, s3
.LBB57_739:
	s_delay_alu instid0(SALU_CYCLE_1) | instskip(SKIP_4) | instid1(VALU_DEP_1)
	s_or_b32 exec_lo, exec_lo, s2
	v_mov_b32_e32 v123, 0
	ds_load_b64 v[124:125], v123 offset:136
	s_wait_dscnt 0x0
	v_pk_mul_f32 v[126:127], v[120:121], v[124:125] op_sel:[1,1] op_sel_hi:[0,1]
	v_pk_fma_f32 v[128:129], v[120:121], v[124:125], v[126:127] op_sel_hi:[1,0,1]
	v_pk_fma_f32 v[120:121], v[120:121], v[124:125], v[126:127] neg_lo:[0,0,1] neg_hi:[0,0,1]
	s_delay_alu instid0(VALU_DEP_2)
	v_mov_b32_e32 v121, v129
	scratch_store_b64 off, v[120:121], off offset:136
.LBB57_740:
	s_wait_xcnt 0x0
	s_or_b32 exec_lo, exec_lo, s0
	scratch_load_b64 v[120:121], off, off offset:144
	s_mov_b32 s0, exec_lo
	s_wait_loadcnt 0x0
	ds_store_b64 v1, v[120:121]
	s_wait_storecnt_dscnt 0x0
	s_barrier_signal -1
	s_barrier_wait -1
	s_wait_xcnt 0x0
	v_cmpx_gt_u32_e32 18, v0
	s_cbranch_execz .LBB57_750
; %bb.741:
	v_cmp_ne_u32_e32 vcc_lo, 1, v122
	s_cbranch_vccnz .LBB57_743
; %bb.742:
	scratch_load_b64 v[120:121], v57, off
	ds_load_b64 v[124:125], v1
	s_wait_loadcnt_dscnt 0x0
	v_pk_mul_f32 v[126:127], v[124:125], v[120:121] op_sel:[1,1] op_sel_hi:[0,1]
	s_delay_alu instid0(VALU_DEP_1) | instskip(SKIP_1) | instid1(VALU_DEP_2)
	v_pk_fma_f32 v[128:129], v[124:125], v[120:121], v[126:127] op_sel_hi:[1,0,1]
	v_pk_fma_f32 v[120:121], v[124:125], v[120:121], v[126:127] neg_lo:[0,0,1] neg_hi:[0,0,1]
	v_mov_b32_e32 v121, v129
	s_cbranch_execz .LBB57_744
	s_branch .LBB57_745
.LBB57_743:
                                        ; implicit-def: $vgpr120_vgpr121
.LBB57_744:
	ds_load_b64 v[120:121], v1
.LBB57_745:
	s_mov_b32 s2, exec_lo
	v_cmpx_ne_u32_e32 17, v0
	s_cbranch_execz .LBB57_749
; %bb.746:
	v_add_nc_u32_e32 v123, 0x1d8, v56
	v_add3_u32 v124, 0, v56, 8
	v_mov_b32_e32 v125, v0
	s_mov_b32 s3, 0
.LBB57_747:                             ; =>This Inner Loop Header: Depth=1
	scratch_load_b64 v[126:127], v124, off
	ds_load_b64 v[128:129], v123
	s_wait_xcnt 0x0
	v_dual_add_nc_u32 v123, 8, v123 :: v_dual_add_nc_u32 v124, 8, v124
	s_wait_loadcnt_dscnt 0x0
	v_pk_mul_f32 v[130:131], v[128:129], v[126:127] op_sel:[1,1] op_sel_hi:[0,1]
	s_delay_alu instid0(VALU_DEP_1) | instskip(SKIP_2) | instid1(VALU_DEP_3)
	v_pk_fma_f32 v[132:133], v[128:129], v[126:127], v[130:131] op_sel_hi:[1,0,1]
	v_add_nc_u32_e32 v125, 1, v125
	v_pk_fma_f32 v[126:127], v[128:129], v[126:127], v[130:131] neg_lo:[0,0,1] neg_hi:[0,0,1]
	v_mov_b32_e32 v127, v133
	s_delay_alu instid0(VALU_DEP_3) | instskip(NEXT) | instid1(VALU_DEP_2)
	v_cmp_lt_u32_e32 vcc_lo, 16, v125
	v_pk_add_f32 v[120:121], v[120:121], v[126:127]
	s_or_b32 s3, vcc_lo, s3
	s_delay_alu instid0(SALU_CYCLE_1)
	s_and_not1_b32 exec_lo, exec_lo, s3
	s_cbranch_execnz .LBB57_747
; %bb.748:
	s_or_b32 exec_lo, exec_lo, s3
.LBB57_749:
	s_delay_alu instid0(SALU_CYCLE_1) | instskip(SKIP_4) | instid1(VALU_DEP_1)
	s_or_b32 exec_lo, exec_lo, s2
	v_mov_b32_e32 v123, 0
	ds_load_b64 v[124:125], v123 offset:144
	s_wait_dscnt 0x0
	v_pk_mul_f32 v[126:127], v[120:121], v[124:125] op_sel:[1,1] op_sel_hi:[0,1]
	v_pk_fma_f32 v[128:129], v[120:121], v[124:125], v[126:127] op_sel_hi:[1,0,1]
	v_pk_fma_f32 v[120:121], v[120:121], v[124:125], v[126:127] neg_lo:[0,0,1] neg_hi:[0,0,1]
	s_delay_alu instid0(VALU_DEP_2)
	v_mov_b32_e32 v121, v129
	scratch_store_b64 off, v[120:121], off offset:144
.LBB57_750:
	s_wait_xcnt 0x0
	s_or_b32 exec_lo, exec_lo, s0
	scratch_load_b64 v[120:121], off, off offset:152
	s_mov_b32 s0, exec_lo
	s_wait_loadcnt 0x0
	ds_store_b64 v1, v[120:121]
	s_wait_storecnt_dscnt 0x0
	s_barrier_signal -1
	s_barrier_wait -1
	s_wait_xcnt 0x0
	v_cmpx_gt_u32_e32 19, v0
	s_cbranch_execz .LBB57_760
; %bb.751:
	v_cmp_ne_u32_e32 vcc_lo, 1, v122
	s_cbranch_vccnz .LBB57_753
; %bb.752:
	scratch_load_b64 v[120:121], v57, off
	ds_load_b64 v[124:125], v1
	s_wait_loadcnt_dscnt 0x0
	v_pk_mul_f32 v[126:127], v[124:125], v[120:121] op_sel:[1,1] op_sel_hi:[0,1]
	s_delay_alu instid0(VALU_DEP_1) | instskip(SKIP_1) | instid1(VALU_DEP_2)
	v_pk_fma_f32 v[128:129], v[124:125], v[120:121], v[126:127] op_sel_hi:[1,0,1]
	v_pk_fma_f32 v[120:121], v[124:125], v[120:121], v[126:127] neg_lo:[0,0,1] neg_hi:[0,0,1]
	v_mov_b32_e32 v121, v129
	s_cbranch_execz .LBB57_754
	s_branch .LBB57_755
.LBB57_753:
                                        ; implicit-def: $vgpr120_vgpr121
.LBB57_754:
	ds_load_b64 v[120:121], v1
.LBB57_755:
	s_mov_b32 s2, exec_lo
	v_cmpx_ne_u32_e32 18, v0
	s_cbranch_execz .LBB57_759
; %bb.756:
	v_add_nc_u32_e32 v123, 0x1d8, v56
	v_add3_u32 v124, 0, v56, 8
	v_mov_b32_e32 v125, v0
	s_mov_b32 s3, 0
.LBB57_757:                             ; =>This Inner Loop Header: Depth=1
	scratch_load_b64 v[126:127], v124, off
	ds_load_b64 v[128:129], v123
	s_wait_xcnt 0x0
	v_dual_add_nc_u32 v123, 8, v123 :: v_dual_add_nc_u32 v124, 8, v124
	s_wait_loadcnt_dscnt 0x0
	v_pk_mul_f32 v[130:131], v[128:129], v[126:127] op_sel:[1,1] op_sel_hi:[0,1]
	s_delay_alu instid0(VALU_DEP_1) | instskip(SKIP_2) | instid1(VALU_DEP_3)
	v_pk_fma_f32 v[132:133], v[128:129], v[126:127], v[130:131] op_sel_hi:[1,0,1]
	v_add_nc_u32_e32 v125, 1, v125
	v_pk_fma_f32 v[126:127], v[128:129], v[126:127], v[130:131] neg_lo:[0,0,1] neg_hi:[0,0,1]
	v_mov_b32_e32 v127, v133
	s_delay_alu instid0(VALU_DEP_3) | instskip(NEXT) | instid1(VALU_DEP_2)
	v_cmp_lt_u32_e32 vcc_lo, 17, v125
	v_pk_add_f32 v[120:121], v[120:121], v[126:127]
	s_or_b32 s3, vcc_lo, s3
	s_delay_alu instid0(SALU_CYCLE_1)
	s_and_not1_b32 exec_lo, exec_lo, s3
	s_cbranch_execnz .LBB57_757
; %bb.758:
	s_or_b32 exec_lo, exec_lo, s3
.LBB57_759:
	s_delay_alu instid0(SALU_CYCLE_1) | instskip(SKIP_4) | instid1(VALU_DEP_1)
	s_or_b32 exec_lo, exec_lo, s2
	v_mov_b32_e32 v123, 0
	ds_load_b64 v[124:125], v123 offset:152
	s_wait_dscnt 0x0
	v_pk_mul_f32 v[126:127], v[120:121], v[124:125] op_sel:[1,1] op_sel_hi:[0,1]
	v_pk_fma_f32 v[128:129], v[120:121], v[124:125], v[126:127] op_sel_hi:[1,0,1]
	v_pk_fma_f32 v[120:121], v[120:121], v[124:125], v[126:127] neg_lo:[0,0,1] neg_hi:[0,0,1]
	s_delay_alu instid0(VALU_DEP_2)
	v_mov_b32_e32 v121, v129
	scratch_store_b64 off, v[120:121], off offset:152
.LBB57_760:
	s_wait_xcnt 0x0
	s_or_b32 exec_lo, exec_lo, s0
	scratch_load_b64 v[120:121], off, off offset:160
	s_mov_b32 s0, exec_lo
	s_wait_loadcnt 0x0
	ds_store_b64 v1, v[120:121]
	s_wait_storecnt_dscnt 0x0
	s_barrier_signal -1
	s_barrier_wait -1
	s_wait_xcnt 0x0
	v_cmpx_gt_u32_e32 20, v0
	s_cbranch_execz .LBB57_770
; %bb.761:
	v_cmp_ne_u32_e32 vcc_lo, 1, v122
	s_cbranch_vccnz .LBB57_763
; %bb.762:
	scratch_load_b64 v[120:121], v57, off
	ds_load_b64 v[124:125], v1
	s_wait_loadcnt_dscnt 0x0
	v_pk_mul_f32 v[126:127], v[124:125], v[120:121] op_sel:[1,1] op_sel_hi:[0,1]
	s_delay_alu instid0(VALU_DEP_1) | instskip(SKIP_1) | instid1(VALU_DEP_2)
	v_pk_fma_f32 v[128:129], v[124:125], v[120:121], v[126:127] op_sel_hi:[1,0,1]
	v_pk_fma_f32 v[120:121], v[124:125], v[120:121], v[126:127] neg_lo:[0,0,1] neg_hi:[0,0,1]
	v_mov_b32_e32 v121, v129
	s_cbranch_execz .LBB57_764
	s_branch .LBB57_765
.LBB57_763:
                                        ; implicit-def: $vgpr120_vgpr121
.LBB57_764:
	ds_load_b64 v[120:121], v1
.LBB57_765:
	s_mov_b32 s2, exec_lo
	v_cmpx_ne_u32_e32 19, v0
	s_cbranch_execz .LBB57_769
; %bb.766:
	v_add_nc_u32_e32 v123, 0x1d8, v56
	v_add3_u32 v124, 0, v56, 8
	v_mov_b32_e32 v125, v0
	s_mov_b32 s3, 0
.LBB57_767:                             ; =>This Inner Loop Header: Depth=1
	scratch_load_b64 v[126:127], v124, off
	ds_load_b64 v[128:129], v123
	s_wait_xcnt 0x0
	v_dual_add_nc_u32 v123, 8, v123 :: v_dual_add_nc_u32 v124, 8, v124
	s_wait_loadcnt_dscnt 0x0
	v_pk_mul_f32 v[130:131], v[128:129], v[126:127] op_sel:[1,1] op_sel_hi:[0,1]
	s_delay_alu instid0(VALU_DEP_1) | instskip(SKIP_2) | instid1(VALU_DEP_3)
	v_pk_fma_f32 v[132:133], v[128:129], v[126:127], v[130:131] op_sel_hi:[1,0,1]
	v_add_nc_u32_e32 v125, 1, v125
	v_pk_fma_f32 v[126:127], v[128:129], v[126:127], v[130:131] neg_lo:[0,0,1] neg_hi:[0,0,1]
	v_mov_b32_e32 v127, v133
	s_delay_alu instid0(VALU_DEP_3) | instskip(NEXT) | instid1(VALU_DEP_2)
	v_cmp_lt_u32_e32 vcc_lo, 18, v125
	v_pk_add_f32 v[120:121], v[120:121], v[126:127]
	s_or_b32 s3, vcc_lo, s3
	s_delay_alu instid0(SALU_CYCLE_1)
	s_and_not1_b32 exec_lo, exec_lo, s3
	s_cbranch_execnz .LBB57_767
; %bb.768:
	s_or_b32 exec_lo, exec_lo, s3
.LBB57_769:
	s_delay_alu instid0(SALU_CYCLE_1) | instskip(SKIP_4) | instid1(VALU_DEP_1)
	s_or_b32 exec_lo, exec_lo, s2
	v_mov_b32_e32 v123, 0
	ds_load_b64 v[124:125], v123 offset:160
	s_wait_dscnt 0x0
	v_pk_mul_f32 v[126:127], v[120:121], v[124:125] op_sel:[1,1] op_sel_hi:[0,1]
	v_pk_fma_f32 v[128:129], v[120:121], v[124:125], v[126:127] op_sel_hi:[1,0,1]
	v_pk_fma_f32 v[120:121], v[120:121], v[124:125], v[126:127] neg_lo:[0,0,1] neg_hi:[0,0,1]
	s_delay_alu instid0(VALU_DEP_2)
	v_mov_b32_e32 v121, v129
	scratch_store_b64 off, v[120:121], off offset:160
.LBB57_770:
	s_wait_xcnt 0x0
	s_or_b32 exec_lo, exec_lo, s0
	scratch_load_b64 v[120:121], off, off offset:168
	s_mov_b32 s0, exec_lo
	s_wait_loadcnt 0x0
	ds_store_b64 v1, v[120:121]
	s_wait_storecnt_dscnt 0x0
	s_barrier_signal -1
	s_barrier_wait -1
	s_wait_xcnt 0x0
	v_cmpx_gt_u32_e32 21, v0
	s_cbranch_execz .LBB57_780
; %bb.771:
	v_cmp_ne_u32_e32 vcc_lo, 1, v122
	s_cbranch_vccnz .LBB57_773
; %bb.772:
	scratch_load_b64 v[120:121], v57, off
	ds_load_b64 v[124:125], v1
	s_wait_loadcnt_dscnt 0x0
	v_pk_mul_f32 v[126:127], v[124:125], v[120:121] op_sel:[1,1] op_sel_hi:[0,1]
	s_delay_alu instid0(VALU_DEP_1) | instskip(SKIP_1) | instid1(VALU_DEP_2)
	v_pk_fma_f32 v[128:129], v[124:125], v[120:121], v[126:127] op_sel_hi:[1,0,1]
	v_pk_fma_f32 v[120:121], v[124:125], v[120:121], v[126:127] neg_lo:[0,0,1] neg_hi:[0,0,1]
	v_mov_b32_e32 v121, v129
	s_cbranch_execz .LBB57_774
	s_branch .LBB57_775
.LBB57_773:
                                        ; implicit-def: $vgpr120_vgpr121
.LBB57_774:
	ds_load_b64 v[120:121], v1
.LBB57_775:
	s_mov_b32 s2, exec_lo
	v_cmpx_ne_u32_e32 20, v0
	s_cbranch_execz .LBB57_779
; %bb.776:
	v_add_nc_u32_e32 v123, 0x1d8, v56
	v_add3_u32 v124, 0, v56, 8
	v_mov_b32_e32 v125, v0
	s_mov_b32 s3, 0
.LBB57_777:                             ; =>This Inner Loop Header: Depth=1
	scratch_load_b64 v[126:127], v124, off
	ds_load_b64 v[128:129], v123
	s_wait_xcnt 0x0
	v_dual_add_nc_u32 v123, 8, v123 :: v_dual_add_nc_u32 v124, 8, v124
	s_wait_loadcnt_dscnt 0x0
	v_pk_mul_f32 v[130:131], v[128:129], v[126:127] op_sel:[1,1] op_sel_hi:[0,1]
	s_delay_alu instid0(VALU_DEP_1) | instskip(SKIP_2) | instid1(VALU_DEP_3)
	v_pk_fma_f32 v[132:133], v[128:129], v[126:127], v[130:131] op_sel_hi:[1,0,1]
	v_add_nc_u32_e32 v125, 1, v125
	v_pk_fma_f32 v[126:127], v[128:129], v[126:127], v[130:131] neg_lo:[0,0,1] neg_hi:[0,0,1]
	v_mov_b32_e32 v127, v133
	s_delay_alu instid0(VALU_DEP_3) | instskip(NEXT) | instid1(VALU_DEP_2)
	v_cmp_lt_u32_e32 vcc_lo, 19, v125
	v_pk_add_f32 v[120:121], v[120:121], v[126:127]
	s_or_b32 s3, vcc_lo, s3
	s_delay_alu instid0(SALU_CYCLE_1)
	s_and_not1_b32 exec_lo, exec_lo, s3
	s_cbranch_execnz .LBB57_777
; %bb.778:
	s_or_b32 exec_lo, exec_lo, s3
.LBB57_779:
	s_delay_alu instid0(SALU_CYCLE_1) | instskip(SKIP_4) | instid1(VALU_DEP_1)
	s_or_b32 exec_lo, exec_lo, s2
	v_mov_b32_e32 v123, 0
	ds_load_b64 v[124:125], v123 offset:168
	s_wait_dscnt 0x0
	v_pk_mul_f32 v[126:127], v[120:121], v[124:125] op_sel:[1,1] op_sel_hi:[0,1]
	v_pk_fma_f32 v[128:129], v[120:121], v[124:125], v[126:127] op_sel_hi:[1,0,1]
	v_pk_fma_f32 v[120:121], v[120:121], v[124:125], v[126:127] neg_lo:[0,0,1] neg_hi:[0,0,1]
	s_delay_alu instid0(VALU_DEP_2)
	v_mov_b32_e32 v121, v129
	scratch_store_b64 off, v[120:121], off offset:168
.LBB57_780:
	s_wait_xcnt 0x0
	s_or_b32 exec_lo, exec_lo, s0
	scratch_load_b64 v[120:121], off, off offset:176
	s_mov_b32 s0, exec_lo
	s_wait_loadcnt 0x0
	ds_store_b64 v1, v[120:121]
	s_wait_storecnt_dscnt 0x0
	s_barrier_signal -1
	s_barrier_wait -1
	s_wait_xcnt 0x0
	v_cmpx_gt_u32_e32 22, v0
	s_cbranch_execz .LBB57_790
; %bb.781:
	v_cmp_ne_u32_e32 vcc_lo, 1, v122
	s_cbranch_vccnz .LBB57_783
; %bb.782:
	scratch_load_b64 v[120:121], v57, off
	ds_load_b64 v[124:125], v1
	s_wait_loadcnt_dscnt 0x0
	v_pk_mul_f32 v[126:127], v[124:125], v[120:121] op_sel:[1,1] op_sel_hi:[0,1]
	s_delay_alu instid0(VALU_DEP_1) | instskip(SKIP_1) | instid1(VALU_DEP_2)
	v_pk_fma_f32 v[128:129], v[124:125], v[120:121], v[126:127] op_sel_hi:[1,0,1]
	v_pk_fma_f32 v[120:121], v[124:125], v[120:121], v[126:127] neg_lo:[0,0,1] neg_hi:[0,0,1]
	v_mov_b32_e32 v121, v129
	s_cbranch_execz .LBB57_784
	s_branch .LBB57_785
.LBB57_783:
                                        ; implicit-def: $vgpr120_vgpr121
.LBB57_784:
	ds_load_b64 v[120:121], v1
.LBB57_785:
	s_mov_b32 s2, exec_lo
	v_cmpx_ne_u32_e32 21, v0
	s_cbranch_execz .LBB57_789
; %bb.786:
	v_add_nc_u32_e32 v123, 0x1d8, v56
	v_add3_u32 v124, 0, v56, 8
	v_mov_b32_e32 v125, v0
	s_mov_b32 s3, 0
.LBB57_787:                             ; =>This Inner Loop Header: Depth=1
	scratch_load_b64 v[126:127], v124, off
	ds_load_b64 v[128:129], v123
	s_wait_xcnt 0x0
	v_dual_add_nc_u32 v123, 8, v123 :: v_dual_add_nc_u32 v124, 8, v124
	s_wait_loadcnt_dscnt 0x0
	v_pk_mul_f32 v[130:131], v[128:129], v[126:127] op_sel:[1,1] op_sel_hi:[0,1]
	s_delay_alu instid0(VALU_DEP_1) | instskip(SKIP_2) | instid1(VALU_DEP_3)
	v_pk_fma_f32 v[132:133], v[128:129], v[126:127], v[130:131] op_sel_hi:[1,0,1]
	v_add_nc_u32_e32 v125, 1, v125
	v_pk_fma_f32 v[126:127], v[128:129], v[126:127], v[130:131] neg_lo:[0,0,1] neg_hi:[0,0,1]
	v_mov_b32_e32 v127, v133
	s_delay_alu instid0(VALU_DEP_3) | instskip(NEXT) | instid1(VALU_DEP_2)
	v_cmp_lt_u32_e32 vcc_lo, 20, v125
	v_pk_add_f32 v[120:121], v[120:121], v[126:127]
	s_or_b32 s3, vcc_lo, s3
	s_delay_alu instid0(SALU_CYCLE_1)
	s_and_not1_b32 exec_lo, exec_lo, s3
	s_cbranch_execnz .LBB57_787
; %bb.788:
	s_or_b32 exec_lo, exec_lo, s3
.LBB57_789:
	s_delay_alu instid0(SALU_CYCLE_1) | instskip(SKIP_4) | instid1(VALU_DEP_1)
	s_or_b32 exec_lo, exec_lo, s2
	v_mov_b32_e32 v123, 0
	ds_load_b64 v[124:125], v123 offset:176
	s_wait_dscnt 0x0
	v_pk_mul_f32 v[126:127], v[120:121], v[124:125] op_sel:[1,1] op_sel_hi:[0,1]
	v_pk_fma_f32 v[128:129], v[120:121], v[124:125], v[126:127] op_sel_hi:[1,0,1]
	v_pk_fma_f32 v[120:121], v[120:121], v[124:125], v[126:127] neg_lo:[0,0,1] neg_hi:[0,0,1]
	s_delay_alu instid0(VALU_DEP_2)
	v_mov_b32_e32 v121, v129
	scratch_store_b64 off, v[120:121], off offset:176
.LBB57_790:
	s_wait_xcnt 0x0
	s_or_b32 exec_lo, exec_lo, s0
	scratch_load_b64 v[120:121], off, off offset:184
	s_mov_b32 s0, exec_lo
	s_wait_loadcnt 0x0
	ds_store_b64 v1, v[120:121]
	s_wait_storecnt_dscnt 0x0
	s_barrier_signal -1
	s_barrier_wait -1
	s_wait_xcnt 0x0
	v_cmpx_gt_u32_e32 23, v0
	s_cbranch_execz .LBB57_800
; %bb.791:
	v_cmp_ne_u32_e32 vcc_lo, 1, v122
	s_cbranch_vccnz .LBB57_793
; %bb.792:
	scratch_load_b64 v[120:121], v57, off
	ds_load_b64 v[124:125], v1
	s_wait_loadcnt_dscnt 0x0
	v_pk_mul_f32 v[126:127], v[124:125], v[120:121] op_sel:[1,1] op_sel_hi:[0,1]
	s_delay_alu instid0(VALU_DEP_1) | instskip(SKIP_1) | instid1(VALU_DEP_2)
	v_pk_fma_f32 v[128:129], v[124:125], v[120:121], v[126:127] op_sel_hi:[1,0,1]
	v_pk_fma_f32 v[120:121], v[124:125], v[120:121], v[126:127] neg_lo:[0,0,1] neg_hi:[0,0,1]
	v_mov_b32_e32 v121, v129
	s_cbranch_execz .LBB57_794
	s_branch .LBB57_795
.LBB57_793:
                                        ; implicit-def: $vgpr120_vgpr121
.LBB57_794:
	ds_load_b64 v[120:121], v1
.LBB57_795:
	s_mov_b32 s2, exec_lo
	v_cmpx_ne_u32_e32 22, v0
	s_cbranch_execz .LBB57_799
; %bb.796:
	v_add_nc_u32_e32 v123, 0x1d8, v56
	v_add3_u32 v124, 0, v56, 8
	v_mov_b32_e32 v125, v0
	s_mov_b32 s3, 0
.LBB57_797:                             ; =>This Inner Loop Header: Depth=1
	scratch_load_b64 v[126:127], v124, off
	ds_load_b64 v[128:129], v123
	s_wait_xcnt 0x0
	v_dual_add_nc_u32 v123, 8, v123 :: v_dual_add_nc_u32 v124, 8, v124
	s_wait_loadcnt_dscnt 0x0
	v_pk_mul_f32 v[130:131], v[128:129], v[126:127] op_sel:[1,1] op_sel_hi:[0,1]
	s_delay_alu instid0(VALU_DEP_1) | instskip(SKIP_2) | instid1(VALU_DEP_3)
	v_pk_fma_f32 v[132:133], v[128:129], v[126:127], v[130:131] op_sel_hi:[1,0,1]
	v_add_nc_u32_e32 v125, 1, v125
	v_pk_fma_f32 v[126:127], v[128:129], v[126:127], v[130:131] neg_lo:[0,0,1] neg_hi:[0,0,1]
	v_mov_b32_e32 v127, v133
	s_delay_alu instid0(VALU_DEP_3) | instskip(NEXT) | instid1(VALU_DEP_2)
	v_cmp_lt_u32_e32 vcc_lo, 21, v125
	v_pk_add_f32 v[120:121], v[120:121], v[126:127]
	s_or_b32 s3, vcc_lo, s3
	s_delay_alu instid0(SALU_CYCLE_1)
	s_and_not1_b32 exec_lo, exec_lo, s3
	s_cbranch_execnz .LBB57_797
; %bb.798:
	s_or_b32 exec_lo, exec_lo, s3
.LBB57_799:
	s_delay_alu instid0(SALU_CYCLE_1) | instskip(SKIP_4) | instid1(VALU_DEP_1)
	s_or_b32 exec_lo, exec_lo, s2
	v_mov_b32_e32 v123, 0
	ds_load_b64 v[124:125], v123 offset:184
	s_wait_dscnt 0x0
	v_pk_mul_f32 v[126:127], v[120:121], v[124:125] op_sel:[1,1] op_sel_hi:[0,1]
	v_pk_fma_f32 v[128:129], v[120:121], v[124:125], v[126:127] op_sel_hi:[1,0,1]
	v_pk_fma_f32 v[120:121], v[120:121], v[124:125], v[126:127] neg_lo:[0,0,1] neg_hi:[0,0,1]
	s_delay_alu instid0(VALU_DEP_2)
	v_mov_b32_e32 v121, v129
	scratch_store_b64 off, v[120:121], off offset:184
.LBB57_800:
	s_wait_xcnt 0x0
	s_or_b32 exec_lo, exec_lo, s0
	scratch_load_b64 v[120:121], off, off offset:192
	s_mov_b32 s0, exec_lo
	s_wait_loadcnt 0x0
	ds_store_b64 v1, v[120:121]
	s_wait_storecnt_dscnt 0x0
	s_barrier_signal -1
	s_barrier_wait -1
	s_wait_xcnt 0x0
	v_cmpx_gt_u32_e32 24, v0
	s_cbranch_execz .LBB57_810
; %bb.801:
	v_cmp_ne_u32_e32 vcc_lo, 1, v122
	s_cbranch_vccnz .LBB57_803
; %bb.802:
	scratch_load_b64 v[120:121], v57, off
	ds_load_b64 v[124:125], v1
	s_wait_loadcnt_dscnt 0x0
	v_pk_mul_f32 v[126:127], v[124:125], v[120:121] op_sel:[1,1] op_sel_hi:[0,1]
	s_delay_alu instid0(VALU_DEP_1) | instskip(SKIP_1) | instid1(VALU_DEP_2)
	v_pk_fma_f32 v[128:129], v[124:125], v[120:121], v[126:127] op_sel_hi:[1,0,1]
	v_pk_fma_f32 v[120:121], v[124:125], v[120:121], v[126:127] neg_lo:[0,0,1] neg_hi:[0,0,1]
	v_mov_b32_e32 v121, v129
	s_cbranch_execz .LBB57_804
	s_branch .LBB57_805
.LBB57_803:
                                        ; implicit-def: $vgpr120_vgpr121
.LBB57_804:
	ds_load_b64 v[120:121], v1
.LBB57_805:
	s_mov_b32 s2, exec_lo
	v_cmpx_ne_u32_e32 23, v0
	s_cbranch_execz .LBB57_809
; %bb.806:
	v_add_nc_u32_e32 v123, 0x1d8, v56
	v_add3_u32 v124, 0, v56, 8
	v_mov_b32_e32 v125, v0
	s_mov_b32 s3, 0
.LBB57_807:                             ; =>This Inner Loop Header: Depth=1
	scratch_load_b64 v[126:127], v124, off
	ds_load_b64 v[128:129], v123
	s_wait_xcnt 0x0
	v_dual_add_nc_u32 v123, 8, v123 :: v_dual_add_nc_u32 v124, 8, v124
	s_wait_loadcnt_dscnt 0x0
	v_pk_mul_f32 v[130:131], v[128:129], v[126:127] op_sel:[1,1] op_sel_hi:[0,1]
	s_delay_alu instid0(VALU_DEP_1) | instskip(SKIP_2) | instid1(VALU_DEP_3)
	v_pk_fma_f32 v[132:133], v[128:129], v[126:127], v[130:131] op_sel_hi:[1,0,1]
	v_add_nc_u32_e32 v125, 1, v125
	v_pk_fma_f32 v[126:127], v[128:129], v[126:127], v[130:131] neg_lo:[0,0,1] neg_hi:[0,0,1]
	v_mov_b32_e32 v127, v133
	s_delay_alu instid0(VALU_DEP_3) | instskip(NEXT) | instid1(VALU_DEP_2)
	v_cmp_lt_u32_e32 vcc_lo, 22, v125
	v_pk_add_f32 v[120:121], v[120:121], v[126:127]
	s_or_b32 s3, vcc_lo, s3
	s_delay_alu instid0(SALU_CYCLE_1)
	s_and_not1_b32 exec_lo, exec_lo, s3
	s_cbranch_execnz .LBB57_807
; %bb.808:
	s_or_b32 exec_lo, exec_lo, s3
.LBB57_809:
	s_delay_alu instid0(SALU_CYCLE_1) | instskip(SKIP_4) | instid1(VALU_DEP_1)
	s_or_b32 exec_lo, exec_lo, s2
	v_mov_b32_e32 v123, 0
	ds_load_b64 v[124:125], v123 offset:192
	s_wait_dscnt 0x0
	v_pk_mul_f32 v[126:127], v[120:121], v[124:125] op_sel:[1,1] op_sel_hi:[0,1]
	v_pk_fma_f32 v[128:129], v[120:121], v[124:125], v[126:127] op_sel_hi:[1,0,1]
	v_pk_fma_f32 v[120:121], v[120:121], v[124:125], v[126:127] neg_lo:[0,0,1] neg_hi:[0,0,1]
	s_delay_alu instid0(VALU_DEP_2)
	v_mov_b32_e32 v121, v129
	scratch_store_b64 off, v[120:121], off offset:192
.LBB57_810:
	s_wait_xcnt 0x0
	s_or_b32 exec_lo, exec_lo, s0
	scratch_load_b64 v[120:121], off, off offset:200
	s_mov_b32 s0, exec_lo
	s_wait_loadcnt 0x0
	ds_store_b64 v1, v[120:121]
	s_wait_storecnt_dscnt 0x0
	s_barrier_signal -1
	s_barrier_wait -1
	s_wait_xcnt 0x0
	v_cmpx_gt_u32_e32 25, v0
	s_cbranch_execz .LBB57_820
; %bb.811:
	v_cmp_ne_u32_e32 vcc_lo, 1, v122
	s_cbranch_vccnz .LBB57_813
; %bb.812:
	scratch_load_b64 v[120:121], v57, off
	ds_load_b64 v[124:125], v1
	s_wait_loadcnt_dscnt 0x0
	v_pk_mul_f32 v[126:127], v[124:125], v[120:121] op_sel:[1,1] op_sel_hi:[0,1]
	s_delay_alu instid0(VALU_DEP_1) | instskip(SKIP_1) | instid1(VALU_DEP_2)
	v_pk_fma_f32 v[128:129], v[124:125], v[120:121], v[126:127] op_sel_hi:[1,0,1]
	v_pk_fma_f32 v[120:121], v[124:125], v[120:121], v[126:127] neg_lo:[0,0,1] neg_hi:[0,0,1]
	v_mov_b32_e32 v121, v129
	s_cbranch_execz .LBB57_814
	s_branch .LBB57_815
.LBB57_813:
                                        ; implicit-def: $vgpr120_vgpr121
.LBB57_814:
	ds_load_b64 v[120:121], v1
.LBB57_815:
	s_mov_b32 s2, exec_lo
	v_cmpx_ne_u32_e32 24, v0
	s_cbranch_execz .LBB57_819
; %bb.816:
	v_add_nc_u32_e32 v123, 0x1d8, v56
	v_add3_u32 v124, 0, v56, 8
	v_mov_b32_e32 v125, v0
	s_mov_b32 s3, 0
.LBB57_817:                             ; =>This Inner Loop Header: Depth=1
	scratch_load_b64 v[126:127], v124, off
	ds_load_b64 v[128:129], v123
	s_wait_xcnt 0x0
	v_dual_add_nc_u32 v123, 8, v123 :: v_dual_add_nc_u32 v124, 8, v124
	s_wait_loadcnt_dscnt 0x0
	v_pk_mul_f32 v[130:131], v[128:129], v[126:127] op_sel:[1,1] op_sel_hi:[0,1]
	s_delay_alu instid0(VALU_DEP_1) | instskip(SKIP_2) | instid1(VALU_DEP_3)
	v_pk_fma_f32 v[132:133], v[128:129], v[126:127], v[130:131] op_sel_hi:[1,0,1]
	v_add_nc_u32_e32 v125, 1, v125
	v_pk_fma_f32 v[126:127], v[128:129], v[126:127], v[130:131] neg_lo:[0,0,1] neg_hi:[0,0,1]
	v_mov_b32_e32 v127, v133
	s_delay_alu instid0(VALU_DEP_3) | instskip(NEXT) | instid1(VALU_DEP_2)
	v_cmp_lt_u32_e32 vcc_lo, 23, v125
	v_pk_add_f32 v[120:121], v[120:121], v[126:127]
	s_or_b32 s3, vcc_lo, s3
	s_delay_alu instid0(SALU_CYCLE_1)
	s_and_not1_b32 exec_lo, exec_lo, s3
	s_cbranch_execnz .LBB57_817
; %bb.818:
	s_or_b32 exec_lo, exec_lo, s3
.LBB57_819:
	s_delay_alu instid0(SALU_CYCLE_1) | instskip(SKIP_4) | instid1(VALU_DEP_1)
	s_or_b32 exec_lo, exec_lo, s2
	v_mov_b32_e32 v123, 0
	ds_load_b64 v[124:125], v123 offset:200
	s_wait_dscnt 0x0
	v_pk_mul_f32 v[126:127], v[120:121], v[124:125] op_sel:[1,1] op_sel_hi:[0,1]
	v_pk_fma_f32 v[128:129], v[120:121], v[124:125], v[126:127] op_sel_hi:[1,0,1]
	v_pk_fma_f32 v[120:121], v[120:121], v[124:125], v[126:127] neg_lo:[0,0,1] neg_hi:[0,0,1]
	s_delay_alu instid0(VALU_DEP_2)
	v_mov_b32_e32 v121, v129
	scratch_store_b64 off, v[120:121], off offset:200
.LBB57_820:
	s_wait_xcnt 0x0
	s_or_b32 exec_lo, exec_lo, s0
	scratch_load_b64 v[120:121], off, off offset:208
	s_mov_b32 s0, exec_lo
	s_wait_loadcnt 0x0
	ds_store_b64 v1, v[120:121]
	s_wait_storecnt_dscnt 0x0
	s_barrier_signal -1
	s_barrier_wait -1
	s_wait_xcnt 0x0
	v_cmpx_gt_u32_e32 26, v0
	s_cbranch_execz .LBB57_830
; %bb.821:
	v_cmp_ne_u32_e32 vcc_lo, 1, v122
	s_cbranch_vccnz .LBB57_823
; %bb.822:
	scratch_load_b64 v[120:121], v57, off
	ds_load_b64 v[124:125], v1
	s_wait_loadcnt_dscnt 0x0
	v_pk_mul_f32 v[126:127], v[124:125], v[120:121] op_sel:[1,1] op_sel_hi:[0,1]
	s_delay_alu instid0(VALU_DEP_1) | instskip(SKIP_1) | instid1(VALU_DEP_2)
	v_pk_fma_f32 v[128:129], v[124:125], v[120:121], v[126:127] op_sel_hi:[1,0,1]
	v_pk_fma_f32 v[120:121], v[124:125], v[120:121], v[126:127] neg_lo:[0,0,1] neg_hi:[0,0,1]
	v_mov_b32_e32 v121, v129
	s_cbranch_execz .LBB57_824
	s_branch .LBB57_825
.LBB57_823:
                                        ; implicit-def: $vgpr120_vgpr121
.LBB57_824:
	ds_load_b64 v[120:121], v1
.LBB57_825:
	s_mov_b32 s2, exec_lo
	v_cmpx_ne_u32_e32 25, v0
	s_cbranch_execz .LBB57_829
; %bb.826:
	v_add_nc_u32_e32 v123, 0x1d8, v56
	v_add3_u32 v124, 0, v56, 8
	v_mov_b32_e32 v125, v0
	s_mov_b32 s3, 0
.LBB57_827:                             ; =>This Inner Loop Header: Depth=1
	scratch_load_b64 v[126:127], v124, off
	ds_load_b64 v[128:129], v123
	s_wait_xcnt 0x0
	v_dual_add_nc_u32 v123, 8, v123 :: v_dual_add_nc_u32 v124, 8, v124
	s_wait_loadcnt_dscnt 0x0
	v_pk_mul_f32 v[130:131], v[128:129], v[126:127] op_sel:[1,1] op_sel_hi:[0,1]
	s_delay_alu instid0(VALU_DEP_1) | instskip(SKIP_2) | instid1(VALU_DEP_3)
	v_pk_fma_f32 v[132:133], v[128:129], v[126:127], v[130:131] op_sel_hi:[1,0,1]
	v_add_nc_u32_e32 v125, 1, v125
	v_pk_fma_f32 v[126:127], v[128:129], v[126:127], v[130:131] neg_lo:[0,0,1] neg_hi:[0,0,1]
	v_mov_b32_e32 v127, v133
	s_delay_alu instid0(VALU_DEP_3) | instskip(NEXT) | instid1(VALU_DEP_2)
	v_cmp_lt_u32_e32 vcc_lo, 24, v125
	v_pk_add_f32 v[120:121], v[120:121], v[126:127]
	s_or_b32 s3, vcc_lo, s3
	s_delay_alu instid0(SALU_CYCLE_1)
	s_and_not1_b32 exec_lo, exec_lo, s3
	s_cbranch_execnz .LBB57_827
; %bb.828:
	s_or_b32 exec_lo, exec_lo, s3
.LBB57_829:
	s_delay_alu instid0(SALU_CYCLE_1) | instskip(SKIP_4) | instid1(VALU_DEP_1)
	s_or_b32 exec_lo, exec_lo, s2
	v_mov_b32_e32 v123, 0
	ds_load_b64 v[124:125], v123 offset:208
	s_wait_dscnt 0x0
	v_pk_mul_f32 v[126:127], v[120:121], v[124:125] op_sel:[1,1] op_sel_hi:[0,1]
	v_pk_fma_f32 v[128:129], v[120:121], v[124:125], v[126:127] op_sel_hi:[1,0,1]
	v_pk_fma_f32 v[120:121], v[120:121], v[124:125], v[126:127] neg_lo:[0,0,1] neg_hi:[0,0,1]
	s_delay_alu instid0(VALU_DEP_2)
	v_mov_b32_e32 v121, v129
	scratch_store_b64 off, v[120:121], off offset:208
.LBB57_830:
	s_wait_xcnt 0x0
	s_or_b32 exec_lo, exec_lo, s0
	scratch_load_b64 v[120:121], off, off offset:216
	s_mov_b32 s0, exec_lo
	s_wait_loadcnt 0x0
	ds_store_b64 v1, v[120:121]
	s_wait_storecnt_dscnt 0x0
	s_barrier_signal -1
	s_barrier_wait -1
	s_wait_xcnt 0x0
	v_cmpx_gt_u32_e32 27, v0
	s_cbranch_execz .LBB57_840
; %bb.831:
	v_cmp_ne_u32_e32 vcc_lo, 1, v122
	s_cbranch_vccnz .LBB57_833
; %bb.832:
	scratch_load_b64 v[120:121], v57, off
	ds_load_b64 v[124:125], v1
	s_wait_loadcnt_dscnt 0x0
	v_pk_mul_f32 v[126:127], v[124:125], v[120:121] op_sel:[1,1] op_sel_hi:[0,1]
	s_delay_alu instid0(VALU_DEP_1) | instskip(SKIP_1) | instid1(VALU_DEP_2)
	v_pk_fma_f32 v[128:129], v[124:125], v[120:121], v[126:127] op_sel_hi:[1,0,1]
	v_pk_fma_f32 v[120:121], v[124:125], v[120:121], v[126:127] neg_lo:[0,0,1] neg_hi:[0,0,1]
	v_mov_b32_e32 v121, v129
	s_cbranch_execz .LBB57_834
	s_branch .LBB57_835
.LBB57_833:
                                        ; implicit-def: $vgpr120_vgpr121
.LBB57_834:
	ds_load_b64 v[120:121], v1
.LBB57_835:
	s_mov_b32 s2, exec_lo
	v_cmpx_ne_u32_e32 26, v0
	s_cbranch_execz .LBB57_839
; %bb.836:
	v_add_nc_u32_e32 v123, 0x1d8, v56
	v_add3_u32 v124, 0, v56, 8
	v_mov_b32_e32 v125, v0
	s_mov_b32 s3, 0
.LBB57_837:                             ; =>This Inner Loop Header: Depth=1
	scratch_load_b64 v[126:127], v124, off
	ds_load_b64 v[128:129], v123
	s_wait_xcnt 0x0
	v_dual_add_nc_u32 v123, 8, v123 :: v_dual_add_nc_u32 v124, 8, v124
	s_wait_loadcnt_dscnt 0x0
	v_pk_mul_f32 v[130:131], v[128:129], v[126:127] op_sel:[1,1] op_sel_hi:[0,1]
	s_delay_alu instid0(VALU_DEP_1) | instskip(SKIP_2) | instid1(VALU_DEP_3)
	v_pk_fma_f32 v[132:133], v[128:129], v[126:127], v[130:131] op_sel_hi:[1,0,1]
	v_add_nc_u32_e32 v125, 1, v125
	v_pk_fma_f32 v[126:127], v[128:129], v[126:127], v[130:131] neg_lo:[0,0,1] neg_hi:[0,0,1]
	v_mov_b32_e32 v127, v133
	s_delay_alu instid0(VALU_DEP_3) | instskip(NEXT) | instid1(VALU_DEP_2)
	v_cmp_lt_u32_e32 vcc_lo, 25, v125
	v_pk_add_f32 v[120:121], v[120:121], v[126:127]
	s_or_b32 s3, vcc_lo, s3
	s_delay_alu instid0(SALU_CYCLE_1)
	s_and_not1_b32 exec_lo, exec_lo, s3
	s_cbranch_execnz .LBB57_837
; %bb.838:
	s_or_b32 exec_lo, exec_lo, s3
.LBB57_839:
	s_delay_alu instid0(SALU_CYCLE_1) | instskip(SKIP_4) | instid1(VALU_DEP_1)
	s_or_b32 exec_lo, exec_lo, s2
	v_mov_b32_e32 v123, 0
	ds_load_b64 v[124:125], v123 offset:216
	s_wait_dscnt 0x0
	v_pk_mul_f32 v[126:127], v[120:121], v[124:125] op_sel:[1,1] op_sel_hi:[0,1]
	v_pk_fma_f32 v[128:129], v[120:121], v[124:125], v[126:127] op_sel_hi:[1,0,1]
	v_pk_fma_f32 v[120:121], v[120:121], v[124:125], v[126:127] neg_lo:[0,0,1] neg_hi:[0,0,1]
	s_delay_alu instid0(VALU_DEP_2)
	v_mov_b32_e32 v121, v129
	scratch_store_b64 off, v[120:121], off offset:216
.LBB57_840:
	s_wait_xcnt 0x0
	s_or_b32 exec_lo, exec_lo, s0
	scratch_load_b64 v[120:121], off, off offset:224
	s_mov_b32 s0, exec_lo
	s_wait_loadcnt 0x0
	ds_store_b64 v1, v[120:121]
	s_wait_storecnt_dscnt 0x0
	s_barrier_signal -1
	s_barrier_wait -1
	s_wait_xcnt 0x0
	v_cmpx_gt_u32_e32 28, v0
	s_cbranch_execz .LBB57_850
; %bb.841:
	v_cmp_ne_u32_e32 vcc_lo, 1, v122
	s_cbranch_vccnz .LBB57_843
; %bb.842:
	scratch_load_b64 v[120:121], v57, off
	ds_load_b64 v[124:125], v1
	s_wait_loadcnt_dscnt 0x0
	v_pk_mul_f32 v[126:127], v[124:125], v[120:121] op_sel:[1,1] op_sel_hi:[0,1]
	s_delay_alu instid0(VALU_DEP_1) | instskip(SKIP_1) | instid1(VALU_DEP_2)
	v_pk_fma_f32 v[128:129], v[124:125], v[120:121], v[126:127] op_sel_hi:[1,0,1]
	v_pk_fma_f32 v[120:121], v[124:125], v[120:121], v[126:127] neg_lo:[0,0,1] neg_hi:[0,0,1]
	v_mov_b32_e32 v121, v129
	s_cbranch_execz .LBB57_844
	s_branch .LBB57_845
.LBB57_843:
                                        ; implicit-def: $vgpr120_vgpr121
.LBB57_844:
	ds_load_b64 v[120:121], v1
.LBB57_845:
	s_mov_b32 s2, exec_lo
	v_cmpx_ne_u32_e32 27, v0
	s_cbranch_execz .LBB57_849
; %bb.846:
	v_add_nc_u32_e32 v123, 0x1d8, v56
	v_add3_u32 v124, 0, v56, 8
	v_mov_b32_e32 v125, v0
	s_mov_b32 s3, 0
.LBB57_847:                             ; =>This Inner Loop Header: Depth=1
	scratch_load_b64 v[126:127], v124, off
	ds_load_b64 v[128:129], v123
	s_wait_xcnt 0x0
	v_dual_add_nc_u32 v123, 8, v123 :: v_dual_add_nc_u32 v124, 8, v124
	s_wait_loadcnt_dscnt 0x0
	v_pk_mul_f32 v[130:131], v[128:129], v[126:127] op_sel:[1,1] op_sel_hi:[0,1]
	s_delay_alu instid0(VALU_DEP_1) | instskip(SKIP_2) | instid1(VALU_DEP_3)
	v_pk_fma_f32 v[132:133], v[128:129], v[126:127], v[130:131] op_sel_hi:[1,0,1]
	v_add_nc_u32_e32 v125, 1, v125
	v_pk_fma_f32 v[126:127], v[128:129], v[126:127], v[130:131] neg_lo:[0,0,1] neg_hi:[0,0,1]
	v_mov_b32_e32 v127, v133
	s_delay_alu instid0(VALU_DEP_3) | instskip(NEXT) | instid1(VALU_DEP_2)
	v_cmp_lt_u32_e32 vcc_lo, 26, v125
	v_pk_add_f32 v[120:121], v[120:121], v[126:127]
	s_or_b32 s3, vcc_lo, s3
	s_delay_alu instid0(SALU_CYCLE_1)
	s_and_not1_b32 exec_lo, exec_lo, s3
	s_cbranch_execnz .LBB57_847
; %bb.848:
	s_or_b32 exec_lo, exec_lo, s3
.LBB57_849:
	s_delay_alu instid0(SALU_CYCLE_1) | instskip(SKIP_4) | instid1(VALU_DEP_1)
	s_or_b32 exec_lo, exec_lo, s2
	v_mov_b32_e32 v123, 0
	ds_load_b64 v[124:125], v123 offset:224
	s_wait_dscnt 0x0
	v_pk_mul_f32 v[126:127], v[120:121], v[124:125] op_sel:[1,1] op_sel_hi:[0,1]
	v_pk_fma_f32 v[128:129], v[120:121], v[124:125], v[126:127] op_sel_hi:[1,0,1]
	v_pk_fma_f32 v[120:121], v[120:121], v[124:125], v[126:127] neg_lo:[0,0,1] neg_hi:[0,0,1]
	s_delay_alu instid0(VALU_DEP_2)
	v_mov_b32_e32 v121, v129
	scratch_store_b64 off, v[120:121], off offset:224
.LBB57_850:
	s_wait_xcnt 0x0
	s_or_b32 exec_lo, exec_lo, s0
	scratch_load_b64 v[120:121], off, off offset:232
	s_mov_b32 s0, exec_lo
	s_wait_loadcnt 0x0
	ds_store_b64 v1, v[120:121]
	s_wait_storecnt_dscnt 0x0
	s_barrier_signal -1
	s_barrier_wait -1
	s_wait_xcnt 0x0
	v_cmpx_gt_u32_e32 29, v0
	s_cbranch_execz .LBB57_860
; %bb.851:
	v_cmp_ne_u32_e32 vcc_lo, 1, v122
	s_cbranch_vccnz .LBB57_853
; %bb.852:
	scratch_load_b64 v[120:121], v57, off
	ds_load_b64 v[124:125], v1
	s_wait_loadcnt_dscnt 0x0
	v_pk_mul_f32 v[126:127], v[124:125], v[120:121] op_sel:[1,1] op_sel_hi:[0,1]
	s_delay_alu instid0(VALU_DEP_1) | instskip(SKIP_1) | instid1(VALU_DEP_2)
	v_pk_fma_f32 v[128:129], v[124:125], v[120:121], v[126:127] op_sel_hi:[1,0,1]
	v_pk_fma_f32 v[120:121], v[124:125], v[120:121], v[126:127] neg_lo:[0,0,1] neg_hi:[0,0,1]
	v_mov_b32_e32 v121, v129
	s_cbranch_execz .LBB57_854
	s_branch .LBB57_855
.LBB57_853:
                                        ; implicit-def: $vgpr120_vgpr121
.LBB57_854:
	ds_load_b64 v[120:121], v1
.LBB57_855:
	s_mov_b32 s2, exec_lo
	v_cmpx_ne_u32_e32 28, v0
	s_cbranch_execz .LBB57_859
; %bb.856:
	v_add_nc_u32_e32 v123, 0x1d8, v56
	v_add3_u32 v124, 0, v56, 8
	v_mov_b32_e32 v125, v0
	s_mov_b32 s3, 0
.LBB57_857:                             ; =>This Inner Loop Header: Depth=1
	scratch_load_b64 v[126:127], v124, off
	ds_load_b64 v[128:129], v123
	s_wait_xcnt 0x0
	v_dual_add_nc_u32 v123, 8, v123 :: v_dual_add_nc_u32 v124, 8, v124
	s_wait_loadcnt_dscnt 0x0
	v_pk_mul_f32 v[130:131], v[128:129], v[126:127] op_sel:[1,1] op_sel_hi:[0,1]
	s_delay_alu instid0(VALU_DEP_1) | instskip(SKIP_2) | instid1(VALU_DEP_3)
	v_pk_fma_f32 v[132:133], v[128:129], v[126:127], v[130:131] op_sel_hi:[1,0,1]
	v_add_nc_u32_e32 v125, 1, v125
	v_pk_fma_f32 v[126:127], v[128:129], v[126:127], v[130:131] neg_lo:[0,0,1] neg_hi:[0,0,1]
	v_mov_b32_e32 v127, v133
	s_delay_alu instid0(VALU_DEP_3) | instskip(NEXT) | instid1(VALU_DEP_2)
	v_cmp_lt_u32_e32 vcc_lo, 27, v125
	v_pk_add_f32 v[120:121], v[120:121], v[126:127]
	s_or_b32 s3, vcc_lo, s3
	s_delay_alu instid0(SALU_CYCLE_1)
	s_and_not1_b32 exec_lo, exec_lo, s3
	s_cbranch_execnz .LBB57_857
; %bb.858:
	s_or_b32 exec_lo, exec_lo, s3
.LBB57_859:
	s_delay_alu instid0(SALU_CYCLE_1) | instskip(SKIP_4) | instid1(VALU_DEP_1)
	s_or_b32 exec_lo, exec_lo, s2
	v_mov_b32_e32 v123, 0
	ds_load_b64 v[124:125], v123 offset:232
	s_wait_dscnt 0x0
	v_pk_mul_f32 v[126:127], v[120:121], v[124:125] op_sel:[1,1] op_sel_hi:[0,1]
	v_pk_fma_f32 v[128:129], v[120:121], v[124:125], v[126:127] op_sel_hi:[1,0,1]
	v_pk_fma_f32 v[120:121], v[120:121], v[124:125], v[126:127] neg_lo:[0,0,1] neg_hi:[0,0,1]
	s_delay_alu instid0(VALU_DEP_2)
	v_mov_b32_e32 v121, v129
	scratch_store_b64 off, v[120:121], off offset:232
.LBB57_860:
	s_wait_xcnt 0x0
	s_or_b32 exec_lo, exec_lo, s0
	scratch_load_b64 v[120:121], off, off offset:240
	s_mov_b32 s0, exec_lo
	s_wait_loadcnt 0x0
	ds_store_b64 v1, v[120:121]
	s_wait_storecnt_dscnt 0x0
	s_barrier_signal -1
	s_barrier_wait -1
	s_wait_xcnt 0x0
	v_cmpx_gt_u32_e32 30, v0
	s_cbranch_execz .LBB57_870
; %bb.861:
	v_cmp_ne_u32_e32 vcc_lo, 1, v122
	s_cbranch_vccnz .LBB57_863
; %bb.862:
	scratch_load_b64 v[120:121], v57, off
	ds_load_b64 v[124:125], v1
	s_wait_loadcnt_dscnt 0x0
	v_pk_mul_f32 v[126:127], v[124:125], v[120:121] op_sel:[1,1] op_sel_hi:[0,1]
	s_delay_alu instid0(VALU_DEP_1) | instskip(SKIP_1) | instid1(VALU_DEP_2)
	v_pk_fma_f32 v[128:129], v[124:125], v[120:121], v[126:127] op_sel_hi:[1,0,1]
	v_pk_fma_f32 v[120:121], v[124:125], v[120:121], v[126:127] neg_lo:[0,0,1] neg_hi:[0,0,1]
	v_mov_b32_e32 v121, v129
	s_cbranch_execz .LBB57_864
	s_branch .LBB57_865
.LBB57_863:
                                        ; implicit-def: $vgpr120_vgpr121
.LBB57_864:
	ds_load_b64 v[120:121], v1
.LBB57_865:
	s_mov_b32 s2, exec_lo
	v_cmpx_ne_u32_e32 29, v0
	s_cbranch_execz .LBB57_869
; %bb.866:
	v_add_nc_u32_e32 v123, 0x1d8, v56
	v_add3_u32 v124, 0, v56, 8
	v_mov_b32_e32 v125, v0
	s_mov_b32 s3, 0
.LBB57_867:                             ; =>This Inner Loop Header: Depth=1
	scratch_load_b64 v[126:127], v124, off
	ds_load_b64 v[128:129], v123
	s_wait_xcnt 0x0
	v_dual_add_nc_u32 v123, 8, v123 :: v_dual_add_nc_u32 v124, 8, v124
	s_wait_loadcnt_dscnt 0x0
	v_pk_mul_f32 v[130:131], v[128:129], v[126:127] op_sel:[1,1] op_sel_hi:[0,1]
	s_delay_alu instid0(VALU_DEP_1) | instskip(SKIP_2) | instid1(VALU_DEP_3)
	v_pk_fma_f32 v[132:133], v[128:129], v[126:127], v[130:131] op_sel_hi:[1,0,1]
	v_add_nc_u32_e32 v125, 1, v125
	v_pk_fma_f32 v[126:127], v[128:129], v[126:127], v[130:131] neg_lo:[0,0,1] neg_hi:[0,0,1]
	v_mov_b32_e32 v127, v133
	s_delay_alu instid0(VALU_DEP_3) | instskip(NEXT) | instid1(VALU_DEP_2)
	v_cmp_lt_u32_e32 vcc_lo, 28, v125
	v_pk_add_f32 v[120:121], v[120:121], v[126:127]
	s_or_b32 s3, vcc_lo, s3
	s_delay_alu instid0(SALU_CYCLE_1)
	s_and_not1_b32 exec_lo, exec_lo, s3
	s_cbranch_execnz .LBB57_867
; %bb.868:
	s_or_b32 exec_lo, exec_lo, s3
.LBB57_869:
	s_delay_alu instid0(SALU_CYCLE_1) | instskip(SKIP_4) | instid1(VALU_DEP_1)
	s_or_b32 exec_lo, exec_lo, s2
	v_mov_b32_e32 v123, 0
	ds_load_b64 v[124:125], v123 offset:240
	s_wait_dscnt 0x0
	v_pk_mul_f32 v[126:127], v[120:121], v[124:125] op_sel:[1,1] op_sel_hi:[0,1]
	v_pk_fma_f32 v[128:129], v[120:121], v[124:125], v[126:127] op_sel_hi:[1,0,1]
	v_pk_fma_f32 v[120:121], v[120:121], v[124:125], v[126:127] neg_lo:[0,0,1] neg_hi:[0,0,1]
	s_delay_alu instid0(VALU_DEP_2)
	v_mov_b32_e32 v121, v129
	scratch_store_b64 off, v[120:121], off offset:240
.LBB57_870:
	s_wait_xcnt 0x0
	s_or_b32 exec_lo, exec_lo, s0
	scratch_load_b64 v[120:121], off, off offset:248
	s_mov_b32 s0, exec_lo
	s_wait_loadcnt 0x0
	ds_store_b64 v1, v[120:121]
	s_wait_storecnt_dscnt 0x0
	s_barrier_signal -1
	s_barrier_wait -1
	s_wait_xcnt 0x0
	v_cmpx_gt_u32_e32 31, v0
	s_cbranch_execz .LBB57_880
; %bb.871:
	v_cmp_ne_u32_e32 vcc_lo, 1, v122
	s_cbranch_vccnz .LBB57_873
; %bb.872:
	scratch_load_b64 v[120:121], v57, off
	ds_load_b64 v[124:125], v1
	s_wait_loadcnt_dscnt 0x0
	v_pk_mul_f32 v[126:127], v[124:125], v[120:121] op_sel:[1,1] op_sel_hi:[0,1]
	s_delay_alu instid0(VALU_DEP_1) | instskip(SKIP_1) | instid1(VALU_DEP_2)
	v_pk_fma_f32 v[128:129], v[124:125], v[120:121], v[126:127] op_sel_hi:[1,0,1]
	v_pk_fma_f32 v[120:121], v[124:125], v[120:121], v[126:127] neg_lo:[0,0,1] neg_hi:[0,0,1]
	v_mov_b32_e32 v121, v129
	s_cbranch_execz .LBB57_874
	s_branch .LBB57_875
.LBB57_873:
                                        ; implicit-def: $vgpr120_vgpr121
.LBB57_874:
	ds_load_b64 v[120:121], v1
.LBB57_875:
	s_mov_b32 s2, exec_lo
	v_cmpx_ne_u32_e32 30, v0
	s_cbranch_execz .LBB57_879
; %bb.876:
	v_add_nc_u32_e32 v123, 0x1d8, v56
	v_add3_u32 v124, 0, v56, 8
	v_mov_b32_e32 v125, v0
	s_mov_b32 s3, 0
.LBB57_877:                             ; =>This Inner Loop Header: Depth=1
	scratch_load_b64 v[126:127], v124, off
	ds_load_b64 v[128:129], v123
	s_wait_xcnt 0x0
	v_dual_add_nc_u32 v123, 8, v123 :: v_dual_add_nc_u32 v124, 8, v124
	s_wait_loadcnt_dscnt 0x0
	v_pk_mul_f32 v[130:131], v[128:129], v[126:127] op_sel:[1,1] op_sel_hi:[0,1]
	s_delay_alu instid0(VALU_DEP_1) | instskip(SKIP_2) | instid1(VALU_DEP_3)
	v_pk_fma_f32 v[132:133], v[128:129], v[126:127], v[130:131] op_sel_hi:[1,0,1]
	v_add_nc_u32_e32 v125, 1, v125
	v_pk_fma_f32 v[126:127], v[128:129], v[126:127], v[130:131] neg_lo:[0,0,1] neg_hi:[0,0,1]
	v_mov_b32_e32 v127, v133
	s_delay_alu instid0(VALU_DEP_3) | instskip(NEXT) | instid1(VALU_DEP_2)
	v_cmp_lt_u32_e32 vcc_lo, 29, v125
	v_pk_add_f32 v[120:121], v[120:121], v[126:127]
	s_or_b32 s3, vcc_lo, s3
	s_delay_alu instid0(SALU_CYCLE_1)
	s_and_not1_b32 exec_lo, exec_lo, s3
	s_cbranch_execnz .LBB57_877
; %bb.878:
	s_or_b32 exec_lo, exec_lo, s3
.LBB57_879:
	s_delay_alu instid0(SALU_CYCLE_1) | instskip(SKIP_4) | instid1(VALU_DEP_1)
	s_or_b32 exec_lo, exec_lo, s2
	v_mov_b32_e32 v123, 0
	ds_load_b64 v[124:125], v123 offset:248
	s_wait_dscnt 0x0
	v_pk_mul_f32 v[126:127], v[120:121], v[124:125] op_sel:[1,1] op_sel_hi:[0,1]
	v_pk_fma_f32 v[128:129], v[120:121], v[124:125], v[126:127] op_sel_hi:[1,0,1]
	v_pk_fma_f32 v[120:121], v[120:121], v[124:125], v[126:127] neg_lo:[0,0,1] neg_hi:[0,0,1]
	s_delay_alu instid0(VALU_DEP_2)
	v_mov_b32_e32 v121, v129
	scratch_store_b64 off, v[120:121], off offset:248
.LBB57_880:
	s_wait_xcnt 0x0
	s_or_b32 exec_lo, exec_lo, s0
	scratch_load_b64 v[120:121], off, off offset:256
	s_mov_b32 s0, exec_lo
	s_wait_loadcnt 0x0
	ds_store_b64 v1, v[120:121]
	s_wait_storecnt_dscnt 0x0
	s_barrier_signal -1
	s_barrier_wait -1
	s_wait_xcnt 0x0
	v_cmpx_gt_u32_e32 32, v0
	s_cbranch_execz .LBB57_890
; %bb.881:
	v_cmp_ne_u32_e32 vcc_lo, 1, v122
	s_cbranch_vccnz .LBB57_883
; %bb.882:
	scratch_load_b64 v[120:121], v57, off
	ds_load_b64 v[124:125], v1
	s_wait_loadcnt_dscnt 0x0
	v_pk_mul_f32 v[126:127], v[124:125], v[120:121] op_sel:[1,1] op_sel_hi:[0,1]
	s_delay_alu instid0(VALU_DEP_1) | instskip(SKIP_1) | instid1(VALU_DEP_2)
	v_pk_fma_f32 v[128:129], v[124:125], v[120:121], v[126:127] op_sel_hi:[1,0,1]
	v_pk_fma_f32 v[120:121], v[124:125], v[120:121], v[126:127] neg_lo:[0,0,1] neg_hi:[0,0,1]
	v_mov_b32_e32 v121, v129
	s_cbranch_execz .LBB57_884
	s_branch .LBB57_885
.LBB57_883:
                                        ; implicit-def: $vgpr120_vgpr121
.LBB57_884:
	ds_load_b64 v[120:121], v1
.LBB57_885:
	s_mov_b32 s2, exec_lo
	v_cmpx_ne_u32_e32 31, v0
	s_cbranch_execz .LBB57_889
; %bb.886:
	v_add_nc_u32_e32 v123, 0x1d8, v56
	v_add3_u32 v124, 0, v56, 8
	v_mov_b32_e32 v125, v0
	s_mov_b32 s3, 0
.LBB57_887:                             ; =>This Inner Loop Header: Depth=1
	scratch_load_b64 v[126:127], v124, off
	ds_load_b64 v[128:129], v123
	s_wait_xcnt 0x0
	v_dual_add_nc_u32 v123, 8, v123 :: v_dual_add_nc_u32 v124, 8, v124
	s_wait_loadcnt_dscnt 0x0
	v_pk_mul_f32 v[130:131], v[128:129], v[126:127] op_sel:[1,1] op_sel_hi:[0,1]
	s_delay_alu instid0(VALU_DEP_1) | instskip(SKIP_2) | instid1(VALU_DEP_3)
	v_pk_fma_f32 v[132:133], v[128:129], v[126:127], v[130:131] op_sel_hi:[1,0,1]
	v_add_nc_u32_e32 v125, 1, v125
	v_pk_fma_f32 v[126:127], v[128:129], v[126:127], v[130:131] neg_lo:[0,0,1] neg_hi:[0,0,1]
	v_mov_b32_e32 v127, v133
	s_delay_alu instid0(VALU_DEP_3) | instskip(NEXT) | instid1(VALU_DEP_2)
	v_cmp_lt_u32_e32 vcc_lo, 30, v125
	v_pk_add_f32 v[120:121], v[120:121], v[126:127]
	s_or_b32 s3, vcc_lo, s3
	s_delay_alu instid0(SALU_CYCLE_1)
	s_and_not1_b32 exec_lo, exec_lo, s3
	s_cbranch_execnz .LBB57_887
; %bb.888:
	s_or_b32 exec_lo, exec_lo, s3
.LBB57_889:
	s_delay_alu instid0(SALU_CYCLE_1) | instskip(SKIP_4) | instid1(VALU_DEP_1)
	s_or_b32 exec_lo, exec_lo, s2
	v_mov_b32_e32 v123, 0
	ds_load_b64 v[124:125], v123 offset:256
	s_wait_dscnt 0x0
	v_pk_mul_f32 v[126:127], v[120:121], v[124:125] op_sel:[1,1] op_sel_hi:[0,1]
	v_pk_fma_f32 v[128:129], v[120:121], v[124:125], v[126:127] op_sel_hi:[1,0,1]
	v_pk_fma_f32 v[120:121], v[120:121], v[124:125], v[126:127] neg_lo:[0,0,1] neg_hi:[0,0,1]
	s_delay_alu instid0(VALU_DEP_2)
	v_mov_b32_e32 v121, v129
	scratch_store_b64 off, v[120:121], off offset:256
.LBB57_890:
	s_wait_xcnt 0x0
	s_or_b32 exec_lo, exec_lo, s0
	scratch_load_b64 v[120:121], off, off offset:264
	s_mov_b32 s0, exec_lo
	s_wait_loadcnt 0x0
	ds_store_b64 v1, v[120:121]
	s_wait_storecnt_dscnt 0x0
	s_barrier_signal -1
	s_barrier_wait -1
	s_wait_xcnt 0x0
	v_cmpx_gt_u32_e32 33, v0
	s_cbranch_execz .LBB57_900
; %bb.891:
	v_cmp_ne_u32_e32 vcc_lo, 1, v122
	s_cbranch_vccnz .LBB57_893
; %bb.892:
	scratch_load_b64 v[120:121], v57, off
	ds_load_b64 v[124:125], v1
	s_wait_loadcnt_dscnt 0x0
	v_pk_mul_f32 v[126:127], v[124:125], v[120:121] op_sel:[1,1] op_sel_hi:[0,1]
	s_delay_alu instid0(VALU_DEP_1) | instskip(SKIP_1) | instid1(VALU_DEP_2)
	v_pk_fma_f32 v[128:129], v[124:125], v[120:121], v[126:127] op_sel_hi:[1,0,1]
	v_pk_fma_f32 v[120:121], v[124:125], v[120:121], v[126:127] neg_lo:[0,0,1] neg_hi:[0,0,1]
	v_mov_b32_e32 v121, v129
	s_cbranch_execz .LBB57_894
	s_branch .LBB57_895
.LBB57_893:
                                        ; implicit-def: $vgpr120_vgpr121
.LBB57_894:
	ds_load_b64 v[120:121], v1
.LBB57_895:
	s_mov_b32 s2, exec_lo
	v_cmpx_ne_u32_e32 32, v0
	s_cbranch_execz .LBB57_899
; %bb.896:
	v_add_nc_u32_e32 v123, 0x1d8, v56
	v_add3_u32 v124, 0, v56, 8
	v_mov_b32_e32 v125, v0
	s_mov_b32 s3, 0
.LBB57_897:                             ; =>This Inner Loop Header: Depth=1
	scratch_load_b64 v[126:127], v124, off
	ds_load_b64 v[128:129], v123
	s_wait_xcnt 0x0
	v_dual_add_nc_u32 v123, 8, v123 :: v_dual_add_nc_u32 v124, 8, v124
	s_wait_loadcnt_dscnt 0x0
	v_pk_mul_f32 v[130:131], v[128:129], v[126:127] op_sel:[1,1] op_sel_hi:[0,1]
	s_delay_alu instid0(VALU_DEP_1) | instskip(SKIP_2) | instid1(VALU_DEP_3)
	v_pk_fma_f32 v[132:133], v[128:129], v[126:127], v[130:131] op_sel_hi:[1,0,1]
	v_add_nc_u32_e32 v125, 1, v125
	v_pk_fma_f32 v[126:127], v[128:129], v[126:127], v[130:131] neg_lo:[0,0,1] neg_hi:[0,0,1]
	v_mov_b32_e32 v127, v133
	s_delay_alu instid0(VALU_DEP_3) | instskip(NEXT) | instid1(VALU_DEP_2)
	v_cmp_lt_u32_e32 vcc_lo, 31, v125
	v_pk_add_f32 v[120:121], v[120:121], v[126:127]
	s_or_b32 s3, vcc_lo, s3
	s_delay_alu instid0(SALU_CYCLE_1)
	s_and_not1_b32 exec_lo, exec_lo, s3
	s_cbranch_execnz .LBB57_897
; %bb.898:
	s_or_b32 exec_lo, exec_lo, s3
.LBB57_899:
	s_delay_alu instid0(SALU_CYCLE_1) | instskip(SKIP_4) | instid1(VALU_DEP_1)
	s_or_b32 exec_lo, exec_lo, s2
	v_mov_b32_e32 v123, 0
	ds_load_b64 v[124:125], v123 offset:264
	s_wait_dscnt 0x0
	v_pk_mul_f32 v[126:127], v[120:121], v[124:125] op_sel:[1,1] op_sel_hi:[0,1]
	v_pk_fma_f32 v[128:129], v[120:121], v[124:125], v[126:127] op_sel_hi:[1,0,1]
	v_pk_fma_f32 v[120:121], v[120:121], v[124:125], v[126:127] neg_lo:[0,0,1] neg_hi:[0,0,1]
	s_delay_alu instid0(VALU_DEP_2)
	v_mov_b32_e32 v121, v129
	scratch_store_b64 off, v[120:121], off offset:264
.LBB57_900:
	s_wait_xcnt 0x0
	s_or_b32 exec_lo, exec_lo, s0
	scratch_load_b64 v[120:121], off, off offset:272
	s_mov_b32 s0, exec_lo
	s_wait_loadcnt 0x0
	ds_store_b64 v1, v[120:121]
	s_wait_storecnt_dscnt 0x0
	s_barrier_signal -1
	s_barrier_wait -1
	s_wait_xcnt 0x0
	v_cmpx_gt_u32_e32 34, v0
	s_cbranch_execz .LBB57_910
; %bb.901:
	v_cmp_ne_u32_e32 vcc_lo, 1, v122
	s_cbranch_vccnz .LBB57_903
; %bb.902:
	scratch_load_b64 v[120:121], v57, off
	ds_load_b64 v[124:125], v1
	s_wait_loadcnt_dscnt 0x0
	v_pk_mul_f32 v[126:127], v[124:125], v[120:121] op_sel:[1,1] op_sel_hi:[0,1]
	s_delay_alu instid0(VALU_DEP_1) | instskip(SKIP_1) | instid1(VALU_DEP_2)
	v_pk_fma_f32 v[128:129], v[124:125], v[120:121], v[126:127] op_sel_hi:[1,0,1]
	v_pk_fma_f32 v[120:121], v[124:125], v[120:121], v[126:127] neg_lo:[0,0,1] neg_hi:[0,0,1]
	v_mov_b32_e32 v121, v129
	s_cbranch_execz .LBB57_904
	s_branch .LBB57_905
.LBB57_903:
                                        ; implicit-def: $vgpr120_vgpr121
.LBB57_904:
	ds_load_b64 v[120:121], v1
.LBB57_905:
	s_mov_b32 s2, exec_lo
	v_cmpx_ne_u32_e32 33, v0
	s_cbranch_execz .LBB57_909
; %bb.906:
	v_add_nc_u32_e32 v123, 0x1d8, v56
	v_add3_u32 v124, 0, v56, 8
	v_mov_b32_e32 v125, v0
	s_mov_b32 s3, 0
.LBB57_907:                             ; =>This Inner Loop Header: Depth=1
	scratch_load_b64 v[126:127], v124, off
	ds_load_b64 v[128:129], v123
	s_wait_xcnt 0x0
	v_dual_add_nc_u32 v123, 8, v123 :: v_dual_add_nc_u32 v124, 8, v124
	s_wait_loadcnt_dscnt 0x0
	v_pk_mul_f32 v[130:131], v[128:129], v[126:127] op_sel:[1,1] op_sel_hi:[0,1]
	s_delay_alu instid0(VALU_DEP_1) | instskip(SKIP_2) | instid1(VALU_DEP_3)
	v_pk_fma_f32 v[132:133], v[128:129], v[126:127], v[130:131] op_sel_hi:[1,0,1]
	v_add_nc_u32_e32 v125, 1, v125
	v_pk_fma_f32 v[126:127], v[128:129], v[126:127], v[130:131] neg_lo:[0,0,1] neg_hi:[0,0,1]
	v_mov_b32_e32 v127, v133
	s_delay_alu instid0(VALU_DEP_3) | instskip(NEXT) | instid1(VALU_DEP_2)
	v_cmp_lt_u32_e32 vcc_lo, 32, v125
	v_pk_add_f32 v[120:121], v[120:121], v[126:127]
	s_or_b32 s3, vcc_lo, s3
	s_delay_alu instid0(SALU_CYCLE_1)
	s_and_not1_b32 exec_lo, exec_lo, s3
	s_cbranch_execnz .LBB57_907
; %bb.908:
	s_or_b32 exec_lo, exec_lo, s3
.LBB57_909:
	s_delay_alu instid0(SALU_CYCLE_1) | instskip(SKIP_4) | instid1(VALU_DEP_1)
	s_or_b32 exec_lo, exec_lo, s2
	v_mov_b32_e32 v123, 0
	ds_load_b64 v[124:125], v123 offset:272
	s_wait_dscnt 0x0
	v_pk_mul_f32 v[126:127], v[120:121], v[124:125] op_sel:[1,1] op_sel_hi:[0,1]
	v_pk_fma_f32 v[128:129], v[120:121], v[124:125], v[126:127] op_sel_hi:[1,0,1]
	v_pk_fma_f32 v[120:121], v[120:121], v[124:125], v[126:127] neg_lo:[0,0,1] neg_hi:[0,0,1]
	s_delay_alu instid0(VALU_DEP_2)
	v_mov_b32_e32 v121, v129
	scratch_store_b64 off, v[120:121], off offset:272
.LBB57_910:
	s_wait_xcnt 0x0
	s_or_b32 exec_lo, exec_lo, s0
	scratch_load_b64 v[120:121], off, off offset:280
	s_mov_b32 s0, exec_lo
	s_wait_loadcnt 0x0
	ds_store_b64 v1, v[120:121]
	s_wait_storecnt_dscnt 0x0
	s_barrier_signal -1
	s_barrier_wait -1
	s_wait_xcnt 0x0
	v_cmpx_gt_u32_e32 35, v0
	s_cbranch_execz .LBB57_920
; %bb.911:
	v_cmp_ne_u32_e32 vcc_lo, 1, v122
	s_cbranch_vccnz .LBB57_913
; %bb.912:
	scratch_load_b64 v[120:121], v57, off
	ds_load_b64 v[124:125], v1
	s_wait_loadcnt_dscnt 0x0
	v_pk_mul_f32 v[126:127], v[124:125], v[120:121] op_sel:[1,1] op_sel_hi:[0,1]
	s_delay_alu instid0(VALU_DEP_1) | instskip(SKIP_1) | instid1(VALU_DEP_2)
	v_pk_fma_f32 v[128:129], v[124:125], v[120:121], v[126:127] op_sel_hi:[1,0,1]
	v_pk_fma_f32 v[120:121], v[124:125], v[120:121], v[126:127] neg_lo:[0,0,1] neg_hi:[0,0,1]
	v_mov_b32_e32 v121, v129
	s_cbranch_execz .LBB57_914
	s_branch .LBB57_915
.LBB57_913:
                                        ; implicit-def: $vgpr120_vgpr121
.LBB57_914:
	ds_load_b64 v[120:121], v1
.LBB57_915:
	s_mov_b32 s2, exec_lo
	v_cmpx_ne_u32_e32 34, v0
	s_cbranch_execz .LBB57_919
; %bb.916:
	v_add_nc_u32_e32 v123, 0x1d8, v56
	v_add3_u32 v124, 0, v56, 8
	v_mov_b32_e32 v125, v0
	s_mov_b32 s3, 0
.LBB57_917:                             ; =>This Inner Loop Header: Depth=1
	scratch_load_b64 v[126:127], v124, off
	ds_load_b64 v[128:129], v123
	s_wait_xcnt 0x0
	v_dual_add_nc_u32 v123, 8, v123 :: v_dual_add_nc_u32 v124, 8, v124
	s_wait_loadcnt_dscnt 0x0
	v_pk_mul_f32 v[130:131], v[128:129], v[126:127] op_sel:[1,1] op_sel_hi:[0,1]
	s_delay_alu instid0(VALU_DEP_1) | instskip(SKIP_2) | instid1(VALU_DEP_3)
	v_pk_fma_f32 v[132:133], v[128:129], v[126:127], v[130:131] op_sel_hi:[1,0,1]
	v_add_nc_u32_e32 v125, 1, v125
	v_pk_fma_f32 v[126:127], v[128:129], v[126:127], v[130:131] neg_lo:[0,0,1] neg_hi:[0,0,1]
	v_mov_b32_e32 v127, v133
	s_delay_alu instid0(VALU_DEP_3) | instskip(NEXT) | instid1(VALU_DEP_2)
	v_cmp_lt_u32_e32 vcc_lo, 33, v125
	v_pk_add_f32 v[120:121], v[120:121], v[126:127]
	s_or_b32 s3, vcc_lo, s3
	s_delay_alu instid0(SALU_CYCLE_1)
	s_and_not1_b32 exec_lo, exec_lo, s3
	s_cbranch_execnz .LBB57_917
; %bb.918:
	s_or_b32 exec_lo, exec_lo, s3
.LBB57_919:
	s_delay_alu instid0(SALU_CYCLE_1) | instskip(SKIP_4) | instid1(VALU_DEP_1)
	s_or_b32 exec_lo, exec_lo, s2
	v_mov_b32_e32 v123, 0
	ds_load_b64 v[124:125], v123 offset:280
	s_wait_dscnt 0x0
	v_pk_mul_f32 v[126:127], v[120:121], v[124:125] op_sel:[1,1] op_sel_hi:[0,1]
	v_pk_fma_f32 v[128:129], v[120:121], v[124:125], v[126:127] op_sel_hi:[1,0,1]
	v_pk_fma_f32 v[120:121], v[120:121], v[124:125], v[126:127] neg_lo:[0,0,1] neg_hi:[0,0,1]
	s_delay_alu instid0(VALU_DEP_2)
	v_mov_b32_e32 v121, v129
	scratch_store_b64 off, v[120:121], off offset:280
.LBB57_920:
	s_wait_xcnt 0x0
	s_or_b32 exec_lo, exec_lo, s0
	scratch_load_b64 v[120:121], off, off offset:288
	s_mov_b32 s0, exec_lo
	s_wait_loadcnt 0x0
	ds_store_b64 v1, v[120:121]
	s_wait_storecnt_dscnt 0x0
	s_barrier_signal -1
	s_barrier_wait -1
	s_wait_xcnt 0x0
	v_cmpx_gt_u32_e32 36, v0
	s_cbranch_execz .LBB57_930
; %bb.921:
	v_cmp_ne_u32_e32 vcc_lo, 1, v122
	s_cbranch_vccnz .LBB57_923
; %bb.922:
	scratch_load_b64 v[120:121], v57, off
	ds_load_b64 v[124:125], v1
	s_wait_loadcnt_dscnt 0x0
	v_pk_mul_f32 v[126:127], v[124:125], v[120:121] op_sel:[1,1] op_sel_hi:[0,1]
	s_delay_alu instid0(VALU_DEP_1) | instskip(SKIP_1) | instid1(VALU_DEP_2)
	v_pk_fma_f32 v[128:129], v[124:125], v[120:121], v[126:127] op_sel_hi:[1,0,1]
	v_pk_fma_f32 v[120:121], v[124:125], v[120:121], v[126:127] neg_lo:[0,0,1] neg_hi:[0,0,1]
	v_mov_b32_e32 v121, v129
	s_cbranch_execz .LBB57_924
	s_branch .LBB57_925
.LBB57_923:
                                        ; implicit-def: $vgpr120_vgpr121
.LBB57_924:
	ds_load_b64 v[120:121], v1
.LBB57_925:
	s_mov_b32 s2, exec_lo
	v_cmpx_ne_u32_e32 35, v0
	s_cbranch_execz .LBB57_929
; %bb.926:
	v_add_nc_u32_e32 v123, 0x1d8, v56
	v_add3_u32 v124, 0, v56, 8
	v_mov_b32_e32 v125, v0
	s_mov_b32 s3, 0
.LBB57_927:                             ; =>This Inner Loop Header: Depth=1
	scratch_load_b64 v[126:127], v124, off
	ds_load_b64 v[128:129], v123
	s_wait_xcnt 0x0
	v_dual_add_nc_u32 v123, 8, v123 :: v_dual_add_nc_u32 v124, 8, v124
	s_wait_loadcnt_dscnt 0x0
	v_pk_mul_f32 v[130:131], v[128:129], v[126:127] op_sel:[1,1] op_sel_hi:[0,1]
	s_delay_alu instid0(VALU_DEP_1) | instskip(SKIP_2) | instid1(VALU_DEP_3)
	v_pk_fma_f32 v[132:133], v[128:129], v[126:127], v[130:131] op_sel_hi:[1,0,1]
	v_add_nc_u32_e32 v125, 1, v125
	v_pk_fma_f32 v[126:127], v[128:129], v[126:127], v[130:131] neg_lo:[0,0,1] neg_hi:[0,0,1]
	v_mov_b32_e32 v127, v133
	s_delay_alu instid0(VALU_DEP_3) | instskip(NEXT) | instid1(VALU_DEP_2)
	v_cmp_lt_u32_e32 vcc_lo, 34, v125
	v_pk_add_f32 v[120:121], v[120:121], v[126:127]
	s_or_b32 s3, vcc_lo, s3
	s_delay_alu instid0(SALU_CYCLE_1)
	s_and_not1_b32 exec_lo, exec_lo, s3
	s_cbranch_execnz .LBB57_927
; %bb.928:
	s_or_b32 exec_lo, exec_lo, s3
.LBB57_929:
	s_delay_alu instid0(SALU_CYCLE_1) | instskip(SKIP_4) | instid1(VALU_DEP_1)
	s_or_b32 exec_lo, exec_lo, s2
	v_mov_b32_e32 v123, 0
	ds_load_b64 v[124:125], v123 offset:288
	s_wait_dscnt 0x0
	v_pk_mul_f32 v[126:127], v[120:121], v[124:125] op_sel:[1,1] op_sel_hi:[0,1]
	v_pk_fma_f32 v[128:129], v[120:121], v[124:125], v[126:127] op_sel_hi:[1,0,1]
	v_pk_fma_f32 v[120:121], v[120:121], v[124:125], v[126:127] neg_lo:[0,0,1] neg_hi:[0,0,1]
	s_delay_alu instid0(VALU_DEP_2)
	v_mov_b32_e32 v121, v129
	scratch_store_b64 off, v[120:121], off offset:288
.LBB57_930:
	s_wait_xcnt 0x0
	s_or_b32 exec_lo, exec_lo, s0
	scratch_load_b64 v[120:121], off, off offset:296
	s_mov_b32 s0, exec_lo
	s_wait_loadcnt 0x0
	ds_store_b64 v1, v[120:121]
	s_wait_storecnt_dscnt 0x0
	s_barrier_signal -1
	s_barrier_wait -1
	s_wait_xcnt 0x0
	v_cmpx_gt_u32_e32 37, v0
	s_cbranch_execz .LBB57_940
; %bb.931:
	v_cmp_ne_u32_e32 vcc_lo, 1, v122
	s_cbranch_vccnz .LBB57_933
; %bb.932:
	scratch_load_b64 v[120:121], v57, off
	ds_load_b64 v[124:125], v1
	s_wait_loadcnt_dscnt 0x0
	v_pk_mul_f32 v[126:127], v[124:125], v[120:121] op_sel:[1,1] op_sel_hi:[0,1]
	s_delay_alu instid0(VALU_DEP_1) | instskip(SKIP_1) | instid1(VALU_DEP_2)
	v_pk_fma_f32 v[128:129], v[124:125], v[120:121], v[126:127] op_sel_hi:[1,0,1]
	v_pk_fma_f32 v[120:121], v[124:125], v[120:121], v[126:127] neg_lo:[0,0,1] neg_hi:[0,0,1]
	v_mov_b32_e32 v121, v129
	s_cbranch_execz .LBB57_934
	s_branch .LBB57_935
.LBB57_933:
                                        ; implicit-def: $vgpr120_vgpr121
.LBB57_934:
	ds_load_b64 v[120:121], v1
.LBB57_935:
	s_mov_b32 s2, exec_lo
	v_cmpx_ne_u32_e32 36, v0
	s_cbranch_execz .LBB57_939
; %bb.936:
	v_add_nc_u32_e32 v123, 0x1d8, v56
	v_add3_u32 v124, 0, v56, 8
	v_mov_b32_e32 v125, v0
	s_mov_b32 s3, 0
.LBB57_937:                             ; =>This Inner Loop Header: Depth=1
	scratch_load_b64 v[126:127], v124, off
	ds_load_b64 v[128:129], v123
	s_wait_xcnt 0x0
	v_dual_add_nc_u32 v123, 8, v123 :: v_dual_add_nc_u32 v124, 8, v124
	s_wait_loadcnt_dscnt 0x0
	v_pk_mul_f32 v[130:131], v[128:129], v[126:127] op_sel:[1,1] op_sel_hi:[0,1]
	s_delay_alu instid0(VALU_DEP_1) | instskip(SKIP_2) | instid1(VALU_DEP_3)
	v_pk_fma_f32 v[132:133], v[128:129], v[126:127], v[130:131] op_sel_hi:[1,0,1]
	v_add_nc_u32_e32 v125, 1, v125
	v_pk_fma_f32 v[126:127], v[128:129], v[126:127], v[130:131] neg_lo:[0,0,1] neg_hi:[0,0,1]
	v_mov_b32_e32 v127, v133
	s_delay_alu instid0(VALU_DEP_3) | instskip(NEXT) | instid1(VALU_DEP_2)
	v_cmp_lt_u32_e32 vcc_lo, 35, v125
	v_pk_add_f32 v[120:121], v[120:121], v[126:127]
	s_or_b32 s3, vcc_lo, s3
	s_delay_alu instid0(SALU_CYCLE_1)
	s_and_not1_b32 exec_lo, exec_lo, s3
	s_cbranch_execnz .LBB57_937
; %bb.938:
	s_or_b32 exec_lo, exec_lo, s3
.LBB57_939:
	s_delay_alu instid0(SALU_CYCLE_1) | instskip(SKIP_4) | instid1(VALU_DEP_1)
	s_or_b32 exec_lo, exec_lo, s2
	v_mov_b32_e32 v123, 0
	ds_load_b64 v[124:125], v123 offset:296
	s_wait_dscnt 0x0
	v_pk_mul_f32 v[126:127], v[120:121], v[124:125] op_sel:[1,1] op_sel_hi:[0,1]
	v_pk_fma_f32 v[128:129], v[120:121], v[124:125], v[126:127] op_sel_hi:[1,0,1]
	v_pk_fma_f32 v[120:121], v[120:121], v[124:125], v[126:127] neg_lo:[0,0,1] neg_hi:[0,0,1]
	s_delay_alu instid0(VALU_DEP_2)
	v_mov_b32_e32 v121, v129
	scratch_store_b64 off, v[120:121], off offset:296
.LBB57_940:
	s_wait_xcnt 0x0
	s_or_b32 exec_lo, exec_lo, s0
	scratch_load_b64 v[120:121], off, off offset:304
	s_mov_b32 s0, exec_lo
	s_wait_loadcnt 0x0
	ds_store_b64 v1, v[120:121]
	s_wait_storecnt_dscnt 0x0
	s_barrier_signal -1
	s_barrier_wait -1
	s_wait_xcnt 0x0
	v_cmpx_gt_u32_e32 38, v0
	s_cbranch_execz .LBB57_950
; %bb.941:
	v_cmp_ne_u32_e32 vcc_lo, 1, v122
	s_cbranch_vccnz .LBB57_943
; %bb.942:
	scratch_load_b64 v[120:121], v57, off
	ds_load_b64 v[124:125], v1
	s_wait_loadcnt_dscnt 0x0
	v_pk_mul_f32 v[126:127], v[124:125], v[120:121] op_sel:[1,1] op_sel_hi:[0,1]
	s_delay_alu instid0(VALU_DEP_1) | instskip(SKIP_1) | instid1(VALU_DEP_2)
	v_pk_fma_f32 v[128:129], v[124:125], v[120:121], v[126:127] op_sel_hi:[1,0,1]
	v_pk_fma_f32 v[120:121], v[124:125], v[120:121], v[126:127] neg_lo:[0,0,1] neg_hi:[0,0,1]
	v_mov_b32_e32 v121, v129
	s_cbranch_execz .LBB57_944
	s_branch .LBB57_945
.LBB57_943:
                                        ; implicit-def: $vgpr120_vgpr121
.LBB57_944:
	ds_load_b64 v[120:121], v1
.LBB57_945:
	s_mov_b32 s2, exec_lo
	v_cmpx_ne_u32_e32 37, v0
	s_cbranch_execz .LBB57_949
; %bb.946:
	v_add_nc_u32_e32 v123, 0x1d8, v56
	v_add3_u32 v124, 0, v56, 8
	v_mov_b32_e32 v125, v0
	s_mov_b32 s3, 0
.LBB57_947:                             ; =>This Inner Loop Header: Depth=1
	scratch_load_b64 v[126:127], v124, off
	ds_load_b64 v[128:129], v123
	s_wait_xcnt 0x0
	v_dual_add_nc_u32 v123, 8, v123 :: v_dual_add_nc_u32 v124, 8, v124
	s_wait_loadcnt_dscnt 0x0
	v_pk_mul_f32 v[130:131], v[128:129], v[126:127] op_sel:[1,1] op_sel_hi:[0,1]
	s_delay_alu instid0(VALU_DEP_1) | instskip(SKIP_2) | instid1(VALU_DEP_3)
	v_pk_fma_f32 v[132:133], v[128:129], v[126:127], v[130:131] op_sel_hi:[1,0,1]
	v_add_nc_u32_e32 v125, 1, v125
	v_pk_fma_f32 v[126:127], v[128:129], v[126:127], v[130:131] neg_lo:[0,0,1] neg_hi:[0,0,1]
	v_mov_b32_e32 v127, v133
	s_delay_alu instid0(VALU_DEP_3) | instskip(NEXT) | instid1(VALU_DEP_2)
	v_cmp_lt_u32_e32 vcc_lo, 36, v125
	v_pk_add_f32 v[120:121], v[120:121], v[126:127]
	s_or_b32 s3, vcc_lo, s3
	s_delay_alu instid0(SALU_CYCLE_1)
	s_and_not1_b32 exec_lo, exec_lo, s3
	s_cbranch_execnz .LBB57_947
; %bb.948:
	s_or_b32 exec_lo, exec_lo, s3
.LBB57_949:
	s_delay_alu instid0(SALU_CYCLE_1) | instskip(SKIP_4) | instid1(VALU_DEP_1)
	s_or_b32 exec_lo, exec_lo, s2
	v_mov_b32_e32 v123, 0
	ds_load_b64 v[124:125], v123 offset:304
	s_wait_dscnt 0x0
	v_pk_mul_f32 v[126:127], v[120:121], v[124:125] op_sel:[1,1] op_sel_hi:[0,1]
	v_pk_fma_f32 v[128:129], v[120:121], v[124:125], v[126:127] op_sel_hi:[1,0,1]
	v_pk_fma_f32 v[120:121], v[120:121], v[124:125], v[126:127] neg_lo:[0,0,1] neg_hi:[0,0,1]
	s_delay_alu instid0(VALU_DEP_2)
	v_mov_b32_e32 v121, v129
	scratch_store_b64 off, v[120:121], off offset:304
.LBB57_950:
	s_wait_xcnt 0x0
	s_or_b32 exec_lo, exec_lo, s0
	scratch_load_b64 v[120:121], off, off offset:312
	s_mov_b32 s0, exec_lo
	s_wait_loadcnt 0x0
	ds_store_b64 v1, v[120:121]
	s_wait_storecnt_dscnt 0x0
	s_barrier_signal -1
	s_barrier_wait -1
	s_wait_xcnt 0x0
	v_cmpx_gt_u32_e32 39, v0
	s_cbranch_execz .LBB57_960
; %bb.951:
	v_cmp_ne_u32_e32 vcc_lo, 1, v122
	s_cbranch_vccnz .LBB57_953
; %bb.952:
	scratch_load_b64 v[120:121], v57, off
	ds_load_b64 v[124:125], v1
	s_wait_loadcnt_dscnt 0x0
	v_pk_mul_f32 v[126:127], v[124:125], v[120:121] op_sel:[1,1] op_sel_hi:[0,1]
	s_delay_alu instid0(VALU_DEP_1) | instskip(SKIP_1) | instid1(VALU_DEP_2)
	v_pk_fma_f32 v[128:129], v[124:125], v[120:121], v[126:127] op_sel_hi:[1,0,1]
	v_pk_fma_f32 v[120:121], v[124:125], v[120:121], v[126:127] neg_lo:[0,0,1] neg_hi:[0,0,1]
	v_mov_b32_e32 v121, v129
	s_cbranch_execz .LBB57_954
	s_branch .LBB57_955
.LBB57_953:
                                        ; implicit-def: $vgpr120_vgpr121
.LBB57_954:
	ds_load_b64 v[120:121], v1
.LBB57_955:
	s_mov_b32 s2, exec_lo
	v_cmpx_ne_u32_e32 38, v0
	s_cbranch_execz .LBB57_959
; %bb.956:
	v_add_nc_u32_e32 v123, 0x1d8, v56
	v_add3_u32 v124, 0, v56, 8
	v_mov_b32_e32 v125, v0
	s_mov_b32 s3, 0
.LBB57_957:                             ; =>This Inner Loop Header: Depth=1
	scratch_load_b64 v[126:127], v124, off
	ds_load_b64 v[128:129], v123
	s_wait_xcnt 0x0
	v_dual_add_nc_u32 v123, 8, v123 :: v_dual_add_nc_u32 v124, 8, v124
	s_wait_loadcnt_dscnt 0x0
	v_pk_mul_f32 v[130:131], v[128:129], v[126:127] op_sel:[1,1] op_sel_hi:[0,1]
	s_delay_alu instid0(VALU_DEP_1) | instskip(SKIP_2) | instid1(VALU_DEP_3)
	v_pk_fma_f32 v[132:133], v[128:129], v[126:127], v[130:131] op_sel_hi:[1,0,1]
	v_add_nc_u32_e32 v125, 1, v125
	v_pk_fma_f32 v[126:127], v[128:129], v[126:127], v[130:131] neg_lo:[0,0,1] neg_hi:[0,0,1]
	v_mov_b32_e32 v127, v133
	s_delay_alu instid0(VALU_DEP_3) | instskip(NEXT) | instid1(VALU_DEP_2)
	v_cmp_lt_u32_e32 vcc_lo, 37, v125
	v_pk_add_f32 v[120:121], v[120:121], v[126:127]
	s_or_b32 s3, vcc_lo, s3
	s_delay_alu instid0(SALU_CYCLE_1)
	s_and_not1_b32 exec_lo, exec_lo, s3
	s_cbranch_execnz .LBB57_957
; %bb.958:
	s_or_b32 exec_lo, exec_lo, s3
.LBB57_959:
	s_delay_alu instid0(SALU_CYCLE_1) | instskip(SKIP_4) | instid1(VALU_DEP_1)
	s_or_b32 exec_lo, exec_lo, s2
	v_mov_b32_e32 v123, 0
	ds_load_b64 v[124:125], v123 offset:312
	s_wait_dscnt 0x0
	v_pk_mul_f32 v[126:127], v[120:121], v[124:125] op_sel:[1,1] op_sel_hi:[0,1]
	v_pk_fma_f32 v[128:129], v[120:121], v[124:125], v[126:127] op_sel_hi:[1,0,1]
	v_pk_fma_f32 v[120:121], v[120:121], v[124:125], v[126:127] neg_lo:[0,0,1] neg_hi:[0,0,1]
	s_delay_alu instid0(VALU_DEP_2)
	v_mov_b32_e32 v121, v129
	scratch_store_b64 off, v[120:121], off offset:312
.LBB57_960:
	s_wait_xcnt 0x0
	s_or_b32 exec_lo, exec_lo, s0
	scratch_load_b64 v[120:121], off, off offset:320
	s_mov_b32 s0, exec_lo
	s_wait_loadcnt 0x0
	ds_store_b64 v1, v[120:121]
	s_wait_storecnt_dscnt 0x0
	s_barrier_signal -1
	s_barrier_wait -1
	s_wait_xcnt 0x0
	v_cmpx_gt_u32_e32 40, v0
	s_cbranch_execz .LBB57_970
; %bb.961:
	v_cmp_ne_u32_e32 vcc_lo, 1, v122
	s_cbranch_vccnz .LBB57_963
; %bb.962:
	scratch_load_b64 v[120:121], v57, off
	ds_load_b64 v[124:125], v1
	s_wait_loadcnt_dscnt 0x0
	v_pk_mul_f32 v[126:127], v[124:125], v[120:121] op_sel:[1,1] op_sel_hi:[0,1]
	s_delay_alu instid0(VALU_DEP_1) | instskip(SKIP_1) | instid1(VALU_DEP_2)
	v_pk_fma_f32 v[128:129], v[124:125], v[120:121], v[126:127] op_sel_hi:[1,0,1]
	v_pk_fma_f32 v[120:121], v[124:125], v[120:121], v[126:127] neg_lo:[0,0,1] neg_hi:[0,0,1]
	v_mov_b32_e32 v121, v129
	s_cbranch_execz .LBB57_964
	s_branch .LBB57_965
.LBB57_963:
                                        ; implicit-def: $vgpr120_vgpr121
.LBB57_964:
	ds_load_b64 v[120:121], v1
.LBB57_965:
	s_mov_b32 s2, exec_lo
	v_cmpx_ne_u32_e32 39, v0
	s_cbranch_execz .LBB57_969
; %bb.966:
	v_add_nc_u32_e32 v123, 0x1d8, v56
	v_add3_u32 v124, 0, v56, 8
	v_mov_b32_e32 v125, v0
	s_mov_b32 s3, 0
.LBB57_967:                             ; =>This Inner Loop Header: Depth=1
	scratch_load_b64 v[126:127], v124, off
	ds_load_b64 v[128:129], v123
	s_wait_xcnt 0x0
	v_dual_add_nc_u32 v123, 8, v123 :: v_dual_add_nc_u32 v124, 8, v124
	s_wait_loadcnt_dscnt 0x0
	v_pk_mul_f32 v[130:131], v[128:129], v[126:127] op_sel:[1,1] op_sel_hi:[0,1]
	s_delay_alu instid0(VALU_DEP_1) | instskip(SKIP_2) | instid1(VALU_DEP_3)
	v_pk_fma_f32 v[132:133], v[128:129], v[126:127], v[130:131] op_sel_hi:[1,0,1]
	v_add_nc_u32_e32 v125, 1, v125
	v_pk_fma_f32 v[126:127], v[128:129], v[126:127], v[130:131] neg_lo:[0,0,1] neg_hi:[0,0,1]
	v_mov_b32_e32 v127, v133
	s_delay_alu instid0(VALU_DEP_3) | instskip(NEXT) | instid1(VALU_DEP_2)
	v_cmp_lt_u32_e32 vcc_lo, 38, v125
	v_pk_add_f32 v[120:121], v[120:121], v[126:127]
	s_or_b32 s3, vcc_lo, s3
	s_delay_alu instid0(SALU_CYCLE_1)
	s_and_not1_b32 exec_lo, exec_lo, s3
	s_cbranch_execnz .LBB57_967
; %bb.968:
	s_or_b32 exec_lo, exec_lo, s3
.LBB57_969:
	s_delay_alu instid0(SALU_CYCLE_1) | instskip(SKIP_4) | instid1(VALU_DEP_1)
	s_or_b32 exec_lo, exec_lo, s2
	v_mov_b32_e32 v123, 0
	ds_load_b64 v[124:125], v123 offset:320
	s_wait_dscnt 0x0
	v_pk_mul_f32 v[126:127], v[120:121], v[124:125] op_sel:[1,1] op_sel_hi:[0,1]
	v_pk_fma_f32 v[128:129], v[120:121], v[124:125], v[126:127] op_sel_hi:[1,0,1]
	v_pk_fma_f32 v[120:121], v[120:121], v[124:125], v[126:127] neg_lo:[0,0,1] neg_hi:[0,0,1]
	s_delay_alu instid0(VALU_DEP_2)
	v_mov_b32_e32 v121, v129
	scratch_store_b64 off, v[120:121], off offset:320
.LBB57_970:
	s_wait_xcnt 0x0
	s_or_b32 exec_lo, exec_lo, s0
	scratch_load_b64 v[120:121], off, off offset:328
	s_mov_b32 s0, exec_lo
	s_wait_loadcnt 0x0
	ds_store_b64 v1, v[120:121]
	s_wait_storecnt_dscnt 0x0
	s_barrier_signal -1
	s_barrier_wait -1
	s_wait_xcnt 0x0
	v_cmpx_gt_u32_e32 41, v0
	s_cbranch_execz .LBB57_980
; %bb.971:
	v_cmp_ne_u32_e32 vcc_lo, 1, v122
	s_cbranch_vccnz .LBB57_973
; %bb.972:
	scratch_load_b64 v[120:121], v57, off
	ds_load_b64 v[124:125], v1
	s_wait_loadcnt_dscnt 0x0
	v_pk_mul_f32 v[126:127], v[124:125], v[120:121] op_sel:[1,1] op_sel_hi:[0,1]
	s_delay_alu instid0(VALU_DEP_1) | instskip(SKIP_1) | instid1(VALU_DEP_2)
	v_pk_fma_f32 v[128:129], v[124:125], v[120:121], v[126:127] op_sel_hi:[1,0,1]
	v_pk_fma_f32 v[120:121], v[124:125], v[120:121], v[126:127] neg_lo:[0,0,1] neg_hi:[0,0,1]
	v_mov_b32_e32 v121, v129
	s_cbranch_execz .LBB57_974
	s_branch .LBB57_975
.LBB57_973:
                                        ; implicit-def: $vgpr120_vgpr121
.LBB57_974:
	ds_load_b64 v[120:121], v1
.LBB57_975:
	s_mov_b32 s2, exec_lo
	v_cmpx_ne_u32_e32 40, v0
	s_cbranch_execz .LBB57_979
; %bb.976:
	v_add_nc_u32_e32 v123, 0x1d8, v56
	v_add3_u32 v124, 0, v56, 8
	v_mov_b32_e32 v125, v0
	s_mov_b32 s3, 0
.LBB57_977:                             ; =>This Inner Loop Header: Depth=1
	scratch_load_b64 v[126:127], v124, off
	ds_load_b64 v[128:129], v123
	s_wait_xcnt 0x0
	v_dual_add_nc_u32 v123, 8, v123 :: v_dual_add_nc_u32 v124, 8, v124
	s_wait_loadcnt_dscnt 0x0
	v_pk_mul_f32 v[130:131], v[128:129], v[126:127] op_sel:[1,1] op_sel_hi:[0,1]
	s_delay_alu instid0(VALU_DEP_1) | instskip(SKIP_2) | instid1(VALU_DEP_3)
	v_pk_fma_f32 v[132:133], v[128:129], v[126:127], v[130:131] op_sel_hi:[1,0,1]
	v_add_nc_u32_e32 v125, 1, v125
	v_pk_fma_f32 v[126:127], v[128:129], v[126:127], v[130:131] neg_lo:[0,0,1] neg_hi:[0,0,1]
	v_mov_b32_e32 v127, v133
	s_delay_alu instid0(VALU_DEP_3) | instskip(NEXT) | instid1(VALU_DEP_2)
	v_cmp_lt_u32_e32 vcc_lo, 39, v125
	v_pk_add_f32 v[120:121], v[120:121], v[126:127]
	s_or_b32 s3, vcc_lo, s3
	s_delay_alu instid0(SALU_CYCLE_1)
	s_and_not1_b32 exec_lo, exec_lo, s3
	s_cbranch_execnz .LBB57_977
; %bb.978:
	s_or_b32 exec_lo, exec_lo, s3
.LBB57_979:
	s_delay_alu instid0(SALU_CYCLE_1) | instskip(SKIP_4) | instid1(VALU_DEP_1)
	s_or_b32 exec_lo, exec_lo, s2
	v_mov_b32_e32 v123, 0
	ds_load_b64 v[124:125], v123 offset:328
	s_wait_dscnt 0x0
	v_pk_mul_f32 v[126:127], v[120:121], v[124:125] op_sel:[1,1] op_sel_hi:[0,1]
	v_pk_fma_f32 v[128:129], v[120:121], v[124:125], v[126:127] op_sel_hi:[1,0,1]
	v_pk_fma_f32 v[120:121], v[120:121], v[124:125], v[126:127] neg_lo:[0,0,1] neg_hi:[0,0,1]
	s_delay_alu instid0(VALU_DEP_2)
	v_mov_b32_e32 v121, v129
	scratch_store_b64 off, v[120:121], off offset:328
.LBB57_980:
	s_wait_xcnt 0x0
	s_or_b32 exec_lo, exec_lo, s0
	scratch_load_b64 v[120:121], off, off offset:336
	s_mov_b32 s0, exec_lo
	s_wait_loadcnt 0x0
	ds_store_b64 v1, v[120:121]
	s_wait_storecnt_dscnt 0x0
	s_barrier_signal -1
	s_barrier_wait -1
	s_wait_xcnt 0x0
	v_cmpx_gt_u32_e32 42, v0
	s_cbranch_execz .LBB57_990
; %bb.981:
	v_cmp_ne_u32_e32 vcc_lo, 1, v122
	s_cbranch_vccnz .LBB57_983
; %bb.982:
	scratch_load_b64 v[120:121], v57, off
	ds_load_b64 v[124:125], v1
	s_wait_loadcnt_dscnt 0x0
	v_pk_mul_f32 v[126:127], v[124:125], v[120:121] op_sel:[1,1] op_sel_hi:[0,1]
	s_delay_alu instid0(VALU_DEP_1) | instskip(SKIP_1) | instid1(VALU_DEP_2)
	v_pk_fma_f32 v[128:129], v[124:125], v[120:121], v[126:127] op_sel_hi:[1,0,1]
	v_pk_fma_f32 v[120:121], v[124:125], v[120:121], v[126:127] neg_lo:[0,0,1] neg_hi:[0,0,1]
	v_mov_b32_e32 v121, v129
	s_cbranch_execz .LBB57_984
	s_branch .LBB57_985
.LBB57_983:
                                        ; implicit-def: $vgpr120_vgpr121
.LBB57_984:
	ds_load_b64 v[120:121], v1
.LBB57_985:
	s_mov_b32 s2, exec_lo
	v_cmpx_ne_u32_e32 41, v0
	s_cbranch_execz .LBB57_989
; %bb.986:
	v_add_nc_u32_e32 v123, 0x1d8, v56
	v_add3_u32 v124, 0, v56, 8
	v_mov_b32_e32 v125, v0
	s_mov_b32 s3, 0
.LBB57_987:                             ; =>This Inner Loop Header: Depth=1
	scratch_load_b64 v[126:127], v124, off
	ds_load_b64 v[128:129], v123
	s_wait_xcnt 0x0
	v_dual_add_nc_u32 v123, 8, v123 :: v_dual_add_nc_u32 v124, 8, v124
	s_wait_loadcnt_dscnt 0x0
	v_pk_mul_f32 v[130:131], v[128:129], v[126:127] op_sel:[1,1] op_sel_hi:[0,1]
	s_delay_alu instid0(VALU_DEP_1) | instskip(SKIP_2) | instid1(VALU_DEP_3)
	v_pk_fma_f32 v[132:133], v[128:129], v[126:127], v[130:131] op_sel_hi:[1,0,1]
	v_add_nc_u32_e32 v125, 1, v125
	v_pk_fma_f32 v[126:127], v[128:129], v[126:127], v[130:131] neg_lo:[0,0,1] neg_hi:[0,0,1]
	v_mov_b32_e32 v127, v133
	s_delay_alu instid0(VALU_DEP_3) | instskip(NEXT) | instid1(VALU_DEP_2)
	v_cmp_lt_u32_e32 vcc_lo, 40, v125
	v_pk_add_f32 v[120:121], v[120:121], v[126:127]
	s_or_b32 s3, vcc_lo, s3
	s_delay_alu instid0(SALU_CYCLE_1)
	s_and_not1_b32 exec_lo, exec_lo, s3
	s_cbranch_execnz .LBB57_987
; %bb.988:
	s_or_b32 exec_lo, exec_lo, s3
.LBB57_989:
	s_delay_alu instid0(SALU_CYCLE_1) | instskip(SKIP_4) | instid1(VALU_DEP_1)
	s_or_b32 exec_lo, exec_lo, s2
	v_mov_b32_e32 v123, 0
	ds_load_b64 v[124:125], v123 offset:336
	s_wait_dscnt 0x0
	v_pk_mul_f32 v[126:127], v[120:121], v[124:125] op_sel:[1,1] op_sel_hi:[0,1]
	v_pk_fma_f32 v[128:129], v[120:121], v[124:125], v[126:127] op_sel_hi:[1,0,1]
	v_pk_fma_f32 v[120:121], v[120:121], v[124:125], v[126:127] neg_lo:[0,0,1] neg_hi:[0,0,1]
	s_delay_alu instid0(VALU_DEP_2)
	v_mov_b32_e32 v121, v129
	scratch_store_b64 off, v[120:121], off offset:336
.LBB57_990:
	s_wait_xcnt 0x0
	s_or_b32 exec_lo, exec_lo, s0
	scratch_load_b64 v[120:121], off, off offset:344
	s_mov_b32 s0, exec_lo
	s_wait_loadcnt 0x0
	ds_store_b64 v1, v[120:121]
	s_wait_storecnt_dscnt 0x0
	s_barrier_signal -1
	s_barrier_wait -1
	s_wait_xcnt 0x0
	v_cmpx_gt_u32_e32 43, v0
	s_cbranch_execz .LBB57_1000
; %bb.991:
	v_cmp_ne_u32_e32 vcc_lo, 1, v122
	s_cbranch_vccnz .LBB57_993
; %bb.992:
	scratch_load_b64 v[120:121], v57, off
	ds_load_b64 v[124:125], v1
	s_wait_loadcnt_dscnt 0x0
	v_pk_mul_f32 v[126:127], v[124:125], v[120:121] op_sel:[1,1] op_sel_hi:[0,1]
	s_delay_alu instid0(VALU_DEP_1) | instskip(SKIP_1) | instid1(VALU_DEP_2)
	v_pk_fma_f32 v[128:129], v[124:125], v[120:121], v[126:127] op_sel_hi:[1,0,1]
	v_pk_fma_f32 v[120:121], v[124:125], v[120:121], v[126:127] neg_lo:[0,0,1] neg_hi:[0,0,1]
	v_mov_b32_e32 v121, v129
	s_cbranch_execz .LBB57_994
	s_branch .LBB57_995
.LBB57_993:
                                        ; implicit-def: $vgpr120_vgpr121
.LBB57_994:
	ds_load_b64 v[120:121], v1
.LBB57_995:
	s_mov_b32 s2, exec_lo
	v_cmpx_ne_u32_e32 42, v0
	s_cbranch_execz .LBB57_999
; %bb.996:
	v_add_nc_u32_e32 v123, 0x1d8, v56
	v_add3_u32 v124, 0, v56, 8
	v_mov_b32_e32 v125, v0
	s_mov_b32 s3, 0
.LBB57_997:                             ; =>This Inner Loop Header: Depth=1
	scratch_load_b64 v[126:127], v124, off
	ds_load_b64 v[128:129], v123
	s_wait_xcnt 0x0
	v_dual_add_nc_u32 v123, 8, v123 :: v_dual_add_nc_u32 v124, 8, v124
	s_wait_loadcnt_dscnt 0x0
	v_pk_mul_f32 v[130:131], v[128:129], v[126:127] op_sel:[1,1] op_sel_hi:[0,1]
	s_delay_alu instid0(VALU_DEP_1) | instskip(SKIP_2) | instid1(VALU_DEP_3)
	v_pk_fma_f32 v[132:133], v[128:129], v[126:127], v[130:131] op_sel_hi:[1,0,1]
	v_add_nc_u32_e32 v125, 1, v125
	v_pk_fma_f32 v[126:127], v[128:129], v[126:127], v[130:131] neg_lo:[0,0,1] neg_hi:[0,0,1]
	v_mov_b32_e32 v127, v133
	s_delay_alu instid0(VALU_DEP_3) | instskip(NEXT) | instid1(VALU_DEP_2)
	v_cmp_lt_u32_e32 vcc_lo, 41, v125
	v_pk_add_f32 v[120:121], v[120:121], v[126:127]
	s_or_b32 s3, vcc_lo, s3
	s_delay_alu instid0(SALU_CYCLE_1)
	s_and_not1_b32 exec_lo, exec_lo, s3
	s_cbranch_execnz .LBB57_997
; %bb.998:
	s_or_b32 exec_lo, exec_lo, s3
.LBB57_999:
	s_delay_alu instid0(SALU_CYCLE_1) | instskip(SKIP_4) | instid1(VALU_DEP_1)
	s_or_b32 exec_lo, exec_lo, s2
	v_mov_b32_e32 v123, 0
	ds_load_b64 v[124:125], v123 offset:344
	s_wait_dscnt 0x0
	v_pk_mul_f32 v[126:127], v[120:121], v[124:125] op_sel:[1,1] op_sel_hi:[0,1]
	v_pk_fma_f32 v[128:129], v[120:121], v[124:125], v[126:127] op_sel_hi:[1,0,1]
	v_pk_fma_f32 v[120:121], v[120:121], v[124:125], v[126:127] neg_lo:[0,0,1] neg_hi:[0,0,1]
	s_delay_alu instid0(VALU_DEP_2)
	v_mov_b32_e32 v121, v129
	scratch_store_b64 off, v[120:121], off offset:344
.LBB57_1000:
	s_wait_xcnt 0x0
	s_or_b32 exec_lo, exec_lo, s0
	scratch_load_b64 v[120:121], off, off offset:352
	s_mov_b32 s0, exec_lo
	s_wait_loadcnt 0x0
	ds_store_b64 v1, v[120:121]
	s_wait_storecnt_dscnt 0x0
	s_barrier_signal -1
	s_barrier_wait -1
	s_wait_xcnt 0x0
	v_cmpx_gt_u32_e32 44, v0
	s_cbranch_execz .LBB57_1010
; %bb.1001:
	v_cmp_ne_u32_e32 vcc_lo, 1, v122
	s_cbranch_vccnz .LBB57_1003
; %bb.1002:
	scratch_load_b64 v[120:121], v57, off
	ds_load_b64 v[124:125], v1
	s_wait_loadcnt_dscnt 0x0
	v_pk_mul_f32 v[126:127], v[124:125], v[120:121] op_sel:[1,1] op_sel_hi:[0,1]
	s_delay_alu instid0(VALU_DEP_1) | instskip(SKIP_1) | instid1(VALU_DEP_2)
	v_pk_fma_f32 v[128:129], v[124:125], v[120:121], v[126:127] op_sel_hi:[1,0,1]
	v_pk_fma_f32 v[120:121], v[124:125], v[120:121], v[126:127] neg_lo:[0,0,1] neg_hi:[0,0,1]
	v_mov_b32_e32 v121, v129
	s_cbranch_execz .LBB57_1004
	s_branch .LBB57_1005
.LBB57_1003:
                                        ; implicit-def: $vgpr120_vgpr121
.LBB57_1004:
	ds_load_b64 v[120:121], v1
.LBB57_1005:
	s_mov_b32 s2, exec_lo
	v_cmpx_ne_u32_e32 43, v0
	s_cbranch_execz .LBB57_1009
; %bb.1006:
	v_add_nc_u32_e32 v123, 0x1d8, v56
	v_add3_u32 v124, 0, v56, 8
	v_mov_b32_e32 v125, v0
	s_mov_b32 s3, 0
.LBB57_1007:                            ; =>This Inner Loop Header: Depth=1
	scratch_load_b64 v[126:127], v124, off
	ds_load_b64 v[128:129], v123
	s_wait_xcnt 0x0
	v_dual_add_nc_u32 v123, 8, v123 :: v_dual_add_nc_u32 v124, 8, v124
	s_wait_loadcnt_dscnt 0x0
	v_pk_mul_f32 v[130:131], v[128:129], v[126:127] op_sel:[1,1] op_sel_hi:[0,1]
	s_delay_alu instid0(VALU_DEP_1) | instskip(SKIP_2) | instid1(VALU_DEP_3)
	v_pk_fma_f32 v[132:133], v[128:129], v[126:127], v[130:131] op_sel_hi:[1,0,1]
	v_add_nc_u32_e32 v125, 1, v125
	v_pk_fma_f32 v[126:127], v[128:129], v[126:127], v[130:131] neg_lo:[0,0,1] neg_hi:[0,0,1]
	v_mov_b32_e32 v127, v133
	s_delay_alu instid0(VALU_DEP_3) | instskip(NEXT) | instid1(VALU_DEP_2)
	v_cmp_lt_u32_e32 vcc_lo, 42, v125
	v_pk_add_f32 v[120:121], v[120:121], v[126:127]
	s_or_b32 s3, vcc_lo, s3
	s_delay_alu instid0(SALU_CYCLE_1)
	s_and_not1_b32 exec_lo, exec_lo, s3
	s_cbranch_execnz .LBB57_1007
; %bb.1008:
	s_or_b32 exec_lo, exec_lo, s3
.LBB57_1009:
	s_delay_alu instid0(SALU_CYCLE_1) | instskip(SKIP_4) | instid1(VALU_DEP_1)
	s_or_b32 exec_lo, exec_lo, s2
	v_mov_b32_e32 v123, 0
	ds_load_b64 v[124:125], v123 offset:352
	s_wait_dscnt 0x0
	v_pk_mul_f32 v[126:127], v[120:121], v[124:125] op_sel:[1,1] op_sel_hi:[0,1]
	v_pk_fma_f32 v[128:129], v[120:121], v[124:125], v[126:127] op_sel_hi:[1,0,1]
	v_pk_fma_f32 v[120:121], v[120:121], v[124:125], v[126:127] neg_lo:[0,0,1] neg_hi:[0,0,1]
	s_delay_alu instid0(VALU_DEP_2)
	v_mov_b32_e32 v121, v129
	scratch_store_b64 off, v[120:121], off offset:352
.LBB57_1010:
	s_wait_xcnt 0x0
	s_or_b32 exec_lo, exec_lo, s0
	scratch_load_b64 v[120:121], off, off offset:360
	s_mov_b32 s0, exec_lo
	s_wait_loadcnt 0x0
	ds_store_b64 v1, v[120:121]
	s_wait_storecnt_dscnt 0x0
	s_barrier_signal -1
	s_barrier_wait -1
	s_wait_xcnt 0x0
	v_cmpx_gt_u32_e32 45, v0
	s_cbranch_execz .LBB57_1020
; %bb.1011:
	v_cmp_ne_u32_e32 vcc_lo, 1, v122
	s_cbranch_vccnz .LBB57_1013
; %bb.1012:
	scratch_load_b64 v[120:121], v57, off
	ds_load_b64 v[124:125], v1
	s_wait_loadcnt_dscnt 0x0
	v_pk_mul_f32 v[126:127], v[124:125], v[120:121] op_sel:[1,1] op_sel_hi:[0,1]
	s_delay_alu instid0(VALU_DEP_1) | instskip(SKIP_1) | instid1(VALU_DEP_2)
	v_pk_fma_f32 v[128:129], v[124:125], v[120:121], v[126:127] op_sel_hi:[1,0,1]
	v_pk_fma_f32 v[120:121], v[124:125], v[120:121], v[126:127] neg_lo:[0,0,1] neg_hi:[0,0,1]
	v_mov_b32_e32 v121, v129
	s_cbranch_execz .LBB57_1014
	s_branch .LBB57_1015
.LBB57_1013:
                                        ; implicit-def: $vgpr120_vgpr121
.LBB57_1014:
	ds_load_b64 v[120:121], v1
.LBB57_1015:
	s_mov_b32 s2, exec_lo
	v_cmpx_ne_u32_e32 44, v0
	s_cbranch_execz .LBB57_1019
; %bb.1016:
	v_add_nc_u32_e32 v123, 0x1d8, v56
	v_add3_u32 v124, 0, v56, 8
	v_mov_b32_e32 v125, v0
	s_mov_b32 s3, 0
.LBB57_1017:                            ; =>This Inner Loop Header: Depth=1
	scratch_load_b64 v[126:127], v124, off
	ds_load_b64 v[128:129], v123
	s_wait_xcnt 0x0
	v_dual_add_nc_u32 v123, 8, v123 :: v_dual_add_nc_u32 v124, 8, v124
	s_wait_loadcnt_dscnt 0x0
	v_pk_mul_f32 v[130:131], v[128:129], v[126:127] op_sel:[1,1] op_sel_hi:[0,1]
	s_delay_alu instid0(VALU_DEP_1) | instskip(SKIP_2) | instid1(VALU_DEP_3)
	v_pk_fma_f32 v[132:133], v[128:129], v[126:127], v[130:131] op_sel_hi:[1,0,1]
	v_add_nc_u32_e32 v125, 1, v125
	v_pk_fma_f32 v[126:127], v[128:129], v[126:127], v[130:131] neg_lo:[0,0,1] neg_hi:[0,0,1]
	v_mov_b32_e32 v127, v133
	s_delay_alu instid0(VALU_DEP_3) | instskip(NEXT) | instid1(VALU_DEP_2)
	v_cmp_lt_u32_e32 vcc_lo, 43, v125
	v_pk_add_f32 v[120:121], v[120:121], v[126:127]
	s_or_b32 s3, vcc_lo, s3
	s_delay_alu instid0(SALU_CYCLE_1)
	s_and_not1_b32 exec_lo, exec_lo, s3
	s_cbranch_execnz .LBB57_1017
; %bb.1018:
	s_or_b32 exec_lo, exec_lo, s3
.LBB57_1019:
	s_delay_alu instid0(SALU_CYCLE_1) | instskip(SKIP_4) | instid1(VALU_DEP_1)
	s_or_b32 exec_lo, exec_lo, s2
	v_mov_b32_e32 v123, 0
	ds_load_b64 v[124:125], v123 offset:360
	s_wait_dscnt 0x0
	v_pk_mul_f32 v[126:127], v[120:121], v[124:125] op_sel:[1,1] op_sel_hi:[0,1]
	v_pk_fma_f32 v[128:129], v[120:121], v[124:125], v[126:127] op_sel_hi:[1,0,1]
	v_pk_fma_f32 v[120:121], v[120:121], v[124:125], v[126:127] neg_lo:[0,0,1] neg_hi:[0,0,1]
	s_delay_alu instid0(VALU_DEP_2)
	v_mov_b32_e32 v121, v129
	scratch_store_b64 off, v[120:121], off offset:360
.LBB57_1020:
	s_wait_xcnt 0x0
	s_or_b32 exec_lo, exec_lo, s0
	scratch_load_b64 v[120:121], off, off offset:368
	s_mov_b32 s0, exec_lo
	s_wait_loadcnt 0x0
	ds_store_b64 v1, v[120:121]
	s_wait_storecnt_dscnt 0x0
	s_barrier_signal -1
	s_barrier_wait -1
	s_wait_xcnt 0x0
	v_cmpx_gt_u32_e32 46, v0
	s_cbranch_execz .LBB57_1030
; %bb.1021:
	v_cmp_ne_u32_e32 vcc_lo, 1, v122
	s_cbranch_vccnz .LBB57_1023
; %bb.1022:
	scratch_load_b64 v[120:121], v57, off
	ds_load_b64 v[124:125], v1
	s_wait_loadcnt_dscnt 0x0
	v_pk_mul_f32 v[126:127], v[124:125], v[120:121] op_sel:[1,1] op_sel_hi:[0,1]
	s_delay_alu instid0(VALU_DEP_1) | instskip(SKIP_1) | instid1(VALU_DEP_2)
	v_pk_fma_f32 v[128:129], v[124:125], v[120:121], v[126:127] op_sel_hi:[1,0,1]
	v_pk_fma_f32 v[120:121], v[124:125], v[120:121], v[126:127] neg_lo:[0,0,1] neg_hi:[0,0,1]
	v_mov_b32_e32 v121, v129
	s_cbranch_execz .LBB57_1024
	s_branch .LBB57_1025
.LBB57_1023:
                                        ; implicit-def: $vgpr120_vgpr121
.LBB57_1024:
	ds_load_b64 v[120:121], v1
.LBB57_1025:
	s_mov_b32 s2, exec_lo
	v_cmpx_ne_u32_e32 45, v0
	s_cbranch_execz .LBB57_1029
; %bb.1026:
	v_add_nc_u32_e32 v123, 0x1d8, v56
	v_add3_u32 v124, 0, v56, 8
	v_mov_b32_e32 v125, v0
	s_mov_b32 s3, 0
.LBB57_1027:                            ; =>This Inner Loop Header: Depth=1
	scratch_load_b64 v[126:127], v124, off
	ds_load_b64 v[128:129], v123
	s_wait_xcnt 0x0
	v_dual_add_nc_u32 v123, 8, v123 :: v_dual_add_nc_u32 v124, 8, v124
	s_wait_loadcnt_dscnt 0x0
	v_pk_mul_f32 v[130:131], v[128:129], v[126:127] op_sel:[1,1] op_sel_hi:[0,1]
	s_delay_alu instid0(VALU_DEP_1) | instskip(SKIP_2) | instid1(VALU_DEP_3)
	v_pk_fma_f32 v[132:133], v[128:129], v[126:127], v[130:131] op_sel_hi:[1,0,1]
	v_add_nc_u32_e32 v125, 1, v125
	v_pk_fma_f32 v[126:127], v[128:129], v[126:127], v[130:131] neg_lo:[0,0,1] neg_hi:[0,0,1]
	v_mov_b32_e32 v127, v133
	s_delay_alu instid0(VALU_DEP_3) | instskip(NEXT) | instid1(VALU_DEP_2)
	v_cmp_lt_u32_e32 vcc_lo, 44, v125
	v_pk_add_f32 v[120:121], v[120:121], v[126:127]
	s_or_b32 s3, vcc_lo, s3
	s_delay_alu instid0(SALU_CYCLE_1)
	s_and_not1_b32 exec_lo, exec_lo, s3
	s_cbranch_execnz .LBB57_1027
; %bb.1028:
	s_or_b32 exec_lo, exec_lo, s3
.LBB57_1029:
	s_delay_alu instid0(SALU_CYCLE_1) | instskip(SKIP_4) | instid1(VALU_DEP_1)
	s_or_b32 exec_lo, exec_lo, s2
	v_mov_b32_e32 v123, 0
	ds_load_b64 v[124:125], v123 offset:368
	s_wait_dscnt 0x0
	v_pk_mul_f32 v[126:127], v[120:121], v[124:125] op_sel:[1,1] op_sel_hi:[0,1]
	v_pk_fma_f32 v[128:129], v[120:121], v[124:125], v[126:127] op_sel_hi:[1,0,1]
	v_pk_fma_f32 v[120:121], v[120:121], v[124:125], v[126:127] neg_lo:[0,0,1] neg_hi:[0,0,1]
	s_delay_alu instid0(VALU_DEP_2)
	v_mov_b32_e32 v121, v129
	scratch_store_b64 off, v[120:121], off offset:368
.LBB57_1030:
	s_wait_xcnt 0x0
	s_or_b32 exec_lo, exec_lo, s0
	scratch_load_b64 v[120:121], off, off offset:376
	s_mov_b32 s0, exec_lo
	s_wait_loadcnt 0x0
	ds_store_b64 v1, v[120:121]
	s_wait_storecnt_dscnt 0x0
	s_barrier_signal -1
	s_barrier_wait -1
	s_wait_xcnt 0x0
	v_cmpx_gt_u32_e32 47, v0
	s_cbranch_execz .LBB57_1040
; %bb.1031:
	v_cmp_ne_u32_e32 vcc_lo, 1, v122
	s_cbranch_vccnz .LBB57_1033
; %bb.1032:
	scratch_load_b64 v[120:121], v57, off
	ds_load_b64 v[124:125], v1
	s_wait_loadcnt_dscnt 0x0
	v_pk_mul_f32 v[126:127], v[124:125], v[120:121] op_sel:[1,1] op_sel_hi:[0,1]
	s_delay_alu instid0(VALU_DEP_1) | instskip(SKIP_1) | instid1(VALU_DEP_2)
	v_pk_fma_f32 v[128:129], v[124:125], v[120:121], v[126:127] op_sel_hi:[1,0,1]
	v_pk_fma_f32 v[120:121], v[124:125], v[120:121], v[126:127] neg_lo:[0,0,1] neg_hi:[0,0,1]
	v_mov_b32_e32 v121, v129
	s_cbranch_execz .LBB57_1034
	s_branch .LBB57_1035
.LBB57_1033:
                                        ; implicit-def: $vgpr120_vgpr121
.LBB57_1034:
	ds_load_b64 v[120:121], v1
.LBB57_1035:
	s_mov_b32 s2, exec_lo
	v_cmpx_ne_u32_e32 46, v0
	s_cbranch_execz .LBB57_1039
; %bb.1036:
	v_add_nc_u32_e32 v123, 0x1d8, v56
	v_add3_u32 v124, 0, v56, 8
	v_mov_b32_e32 v125, v0
	s_mov_b32 s3, 0
.LBB57_1037:                            ; =>This Inner Loop Header: Depth=1
	scratch_load_b64 v[126:127], v124, off
	ds_load_b64 v[128:129], v123
	s_wait_xcnt 0x0
	v_dual_add_nc_u32 v123, 8, v123 :: v_dual_add_nc_u32 v124, 8, v124
	s_wait_loadcnt_dscnt 0x0
	v_pk_mul_f32 v[130:131], v[128:129], v[126:127] op_sel:[1,1] op_sel_hi:[0,1]
	s_delay_alu instid0(VALU_DEP_1) | instskip(SKIP_2) | instid1(VALU_DEP_3)
	v_pk_fma_f32 v[132:133], v[128:129], v[126:127], v[130:131] op_sel_hi:[1,0,1]
	v_add_nc_u32_e32 v125, 1, v125
	v_pk_fma_f32 v[126:127], v[128:129], v[126:127], v[130:131] neg_lo:[0,0,1] neg_hi:[0,0,1]
	v_mov_b32_e32 v127, v133
	s_delay_alu instid0(VALU_DEP_3) | instskip(NEXT) | instid1(VALU_DEP_2)
	v_cmp_lt_u32_e32 vcc_lo, 45, v125
	v_pk_add_f32 v[120:121], v[120:121], v[126:127]
	s_or_b32 s3, vcc_lo, s3
	s_delay_alu instid0(SALU_CYCLE_1)
	s_and_not1_b32 exec_lo, exec_lo, s3
	s_cbranch_execnz .LBB57_1037
; %bb.1038:
	s_or_b32 exec_lo, exec_lo, s3
.LBB57_1039:
	s_delay_alu instid0(SALU_CYCLE_1) | instskip(SKIP_4) | instid1(VALU_DEP_1)
	s_or_b32 exec_lo, exec_lo, s2
	v_mov_b32_e32 v123, 0
	ds_load_b64 v[124:125], v123 offset:376
	s_wait_dscnt 0x0
	v_pk_mul_f32 v[126:127], v[120:121], v[124:125] op_sel:[1,1] op_sel_hi:[0,1]
	v_pk_fma_f32 v[128:129], v[120:121], v[124:125], v[126:127] op_sel_hi:[1,0,1]
	v_pk_fma_f32 v[120:121], v[120:121], v[124:125], v[126:127] neg_lo:[0,0,1] neg_hi:[0,0,1]
	s_delay_alu instid0(VALU_DEP_2)
	v_mov_b32_e32 v121, v129
	scratch_store_b64 off, v[120:121], off offset:376
.LBB57_1040:
	s_wait_xcnt 0x0
	s_or_b32 exec_lo, exec_lo, s0
	scratch_load_b64 v[120:121], off, off offset:384
	s_mov_b32 s0, exec_lo
	s_wait_loadcnt 0x0
	ds_store_b64 v1, v[120:121]
	s_wait_storecnt_dscnt 0x0
	s_barrier_signal -1
	s_barrier_wait -1
	s_wait_xcnt 0x0
	v_cmpx_gt_u32_e32 48, v0
	s_cbranch_execz .LBB57_1050
; %bb.1041:
	v_cmp_ne_u32_e32 vcc_lo, 1, v122
	s_cbranch_vccnz .LBB57_1043
; %bb.1042:
	scratch_load_b64 v[120:121], v57, off
	ds_load_b64 v[124:125], v1
	s_wait_loadcnt_dscnt 0x0
	v_pk_mul_f32 v[126:127], v[124:125], v[120:121] op_sel:[1,1] op_sel_hi:[0,1]
	s_delay_alu instid0(VALU_DEP_1) | instskip(SKIP_1) | instid1(VALU_DEP_2)
	v_pk_fma_f32 v[128:129], v[124:125], v[120:121], v[126:127] op_sel_hi:[1,0,1]
	v_pk_fma_f32 v[120:121], v[124:125], v[120:121], v[126:127] neg_lo:[0,0,1] neg_hi:[0,0,1]
	v_mov_b32_e32 v121, v129
	s_cbranch_execz .LBB57_1044
	s_branch .LBB57_1045
.LBB57_1043:
                                        ; implicit-def: $vgpr120_vgpr121
.LBB57_1044:
	ds_load_b64 v[120:121], v1
.LBB57_1045:
	s_mov_b32 s2, exec_lo
	v_cmpx_ne_u32_e32 47, v0
	s_cbranch_execz .LBB57_1049
; %bb.1046:
	v_add_nc_u32_e32 v123, 0x1d8, v56
	v_add3_u32 v124, 0, v56, 8
	v_mov_b32_e32 v125, v0
	s_mov_b32 s3, 0
.LBB57_1047:                            ; =>This Inner Loop Header: Depth=1
	scratch_load_b64 v[126:127], v124, off
	ds_load_b64 v[128:129], v123
	s_wait_xcnt 0x0
	v_dual_add_nc_u32 v123, 8, v123 :: v_dual_add_nc_u32 v124, 8, v124
	s_wait_loadcnt_dscnt 0x0
	v_pk_mul_f32 v[130:131], v[128:129], v[126:127] op_sel:[1,1] op_sel_hi:[0,1]
	s_delay_alu instid0(VALU_DEP_1) | instskip(SKIP_2) | instid1(VALU_DEP_3)
	v_pk_fma_f32 v[132:133], v[128:129], v[126:127], v[130:131] op_sel_hi:[1,0,1]
	v_add_nc_u32_e32 v125, 1, v125
	v_pk_fma_f32 v[126:127], v[128:129], v[126:127], v[130:131] neg_lo:[0,0,1] neg_hi:[0,0,1]
	v_mov_b32_e32 v127, v133
	s_delay_alu instid0(VALU_DEP_3) | instskip(NEXT) | instid1(VALU_DEP_2)
	v_cmp_lt_u32_e32 vcc_lo, 46, v125
	v_pk_add_f32 v[120:121], v[120:121], v[126:127]
	s_or_b32 s3, vcc_lo, s3
	s_delay_alu instid0(SALU_CYCLE_1)
	s_and_not1_b32 exec_lo, exec_lo, s3
	s_cbranch_execnz .LBB57_1047
; %bb.1048:
	s_or_b32 exec_lo, exec_lo, s3
.LBB57_1049:
	s_delay_alu instid0(SALU_CYCLE_1) | instskip(SKIP_4) | instid1(VALU_DEP_1)
	s_or_b32 exec_lo, exec_lo, s2
	v_mov_b32_e32 v123, 0
	ds_load_b64 v[124:125], v123 offset:384
	s_wait_dscnt 0x0
	v_pk_mul_f32 v[126:127], v[120:121], v[124:125] op_sel:[1,1] op_sel_hi:[0,1]
	v_pk_fma_f32 v[128:129], v[120:121], v[124:125], v[126:127] op_sel_hi:[1,0,1]
	v_pk_fma_f32 v[120:121], v[120:121], v[124:125], v[126:127] neg_lo:[0,0,1] neg_hi:[0,0,1]
	s_delay_alu instid0(VALU_DEP_2)
	v_mov_b32_e32 v121, v129
	scratch_store_b64 off, v[120:121], off offset:384
.LBB57_1050:
	s_wait_xcnt 0x0
	s_or_b32 exec_lo, exec_lo, s0
	scratch_load_b64 v[120:121], off, off offset:392
	s_mov_b32 s0, exec_lo
	s_wait_loadcnt 0x0
	ds_store_b64 v1, v[120:121]
	s_wait_storecnt_dscnt 0x0
	s_barrier_signal -1
	s_barrier_wait -1
	s_wait_xcnt 0x0
	v_cmpx_gt_u32_e32 49, v0
	s_cbranch_execz .LBB57_1060
; %bb.1051:
	v_cmp_ne_u32_e32 vcc_lo, 1, v122
	s_cbranch_vccnz .LBB57_1053
; %bb.1052:
	scratch_load_b64 v[120:121], v57, off
	ds_load_b64 v[124:125], v1
	s_wait_loadcnt_dscnt 0x0
	v_pk_mul_f32 v[126:127], v[124:125], v[120:121] op_sel:[1,1] op_sel_hi:[0,1]
	s_delay_alu instid0(VALU_DEP_1) | instskip(SKIP_1) | instid1(VALU_DEP_2)
	v_pk_fma_f32 v[128:129], v[124:125], v[120:121], v[126:127] op_sel_hi:[1,0,1]
	v_pk_fma_f32 v[120:121], v[124:125], v[120:121], v[126:127] neg_lo:[0,0,1] neg_hi:[0,0,1]
	v_mov_b32_e32 v121, v129
	s_cbranch_execz .LBB57_1054
	s_branch .LBB57_1055
.LBB57_1053:
                                        ; implicit-def: $vgpr120_vgpr121
.LBB57_1054:
	ds_load_b64 v[120:121], v1
.LBB57_1055:
	s_mov_b32 s2, exec_lo
	v_cmpx_ne_u32_e32 48, v0
	s_cbranch_execz .LBB57_1059
; %bb.1056:
	v_add_nc_u32_e32 v123, 0x1d8, v56
	v_add3_u32 v124, 0, v56, 8
	v_mov_b32_e32 v125, v0
	s_mov_b32 s3, 0
.LBB57_1057:                            ; =>This Inner Loop Header: Depth=1
	scratch_load_b64 v[126:127], v124, off
	ds_load_b64 v[128:129], v123
	s_wait_xcnt 0x0
	v_dual_add_nc_u32 v123, 8, v123 :: v_dual_add_nc_u32 v124, 8, v124
	s_wait_loadcnt_dscnt 0x0
	v_pk_mul_f32 v[130:131], v[128:129], v[126:127] op_sel:[1,1] op_sel_hi:[0,1]
	s_delay_alu instid0(VALU_DEP_1) | instskip(SKIP_2) | instid1(VALU_DEP_3)
	v_pk_fma_f32 v[132:133], v[128:129], v[126:127], v[130:131] op_sel_hi:[1,0,1]
	v_add_nc_u32_e32 v125, 1, v125
	v_pk_fma_f32 v[126:127], v[128:129], v[126:127], v[130:131] neg_lo:[0,0,1] neg_hi:[0,0,1]
	v_mov_b32_e32 v127, v133
	s_delay_alu instid0(VALU_DEP_3) | instskip(NEXT) | instid1(VALU_DEP_2)
	v_cmp_lt_u32_e32 vcc_lo, 47, v125
	v_pk_add_f32 v[120:121], v[120:121], v[126:127]
	s_or_b32 s3, vcc_lo, s3
	s_delay_alu instid0(SALU_CYCLE_1)
	s_and_not1_b32 exec_lo, exec_lo, s3
	s_cbranch_execnz .LBB57_1057
; %bb.1058:
	s_or_b32 exec_lo, exec_lo, s3
.LBB57_1059:
	s_delay_alu instid0(SALU_CYCLE_1) | instskip(SKIP_4) | instid1(VALU_DEP_1)
	s_or_b32 exec_lo, exec_lo, s2
	v_mov_b32_e32 v123, 0
	ds_load_b64 v[124:125], v123 offset:392
	s_wait_dscnt 0x0
	v_pk_mul_f32 v[126:127], v[120:121], v[124:125] op_sel:[1,1] op_sel_hi:[0,1]
	v_pk_fma_f32 v[128:129], v[120:121], v[124:125], v[126:127] op_sel_hi:[1,0,1]
	v_pk_fma_f32 v[120:121], v[120:121], v[124:125], v[126:127] neg_lo:[0,0,1] neg_hi:[0,0,1]
	s_delay_alu instid0(VALU_DEP_2)
	v_mov_b32_e32 v121, v129
	scratch_store_b64 off, v[120:121], off offset:392
.LBB57_1060:
	s_wait_xcnt 0x0
	s_or_b32 exec_lo, exec_lo, s0
	scratch_load_b64 v[120:121], off, off offset:400
	s_mov_b32 s0, exec_lo
	s_wait_loadcnt 0x0
	ds_store_b64 v1, v[120:121]
	s_wait_storecnt_dscnt 0x0
	s_barrier_signal -1
	s_barrier_wait -1
	s_wait_xcnt 0x0
	v_cmpx_gt_u32_e32 50, v0
	s_cbranch_execz .LBB57_1070
; %bb.1061:
	v_cmp_ne_u32_e32 vcc_lo, 1, v122
	s_cbranch_vccnz .LBB57_1063
; %bb.1062:
	scratch_load_b64 v[120:121], v57, off
	ds_load_b64 v[124:125], v1
	s_wait_loadcnt_dscnt 0x0
	v_pk_mul_f32 v[126:127], v[124:125], v[120:121] op_sel:[1,1] op_sel_hi:[0,1]
	s_delay_alu instid0(VALU_DEP_1) | instskip(SKIP_1) | instid1(VALU_DEP_2)
	v_pk_fma_f32 v[128:129], v[124:125], v[120:121], v[126:127] op_sel_hi:[1,0,1]
	v_pk_fma_f32 v[120:121], v[124:125], v[120:121], v[126:127] neg_lo:[0,0,1] neg_hi:[0,0,1]
	v_mov_b32_e32 v121, v129
	s_cbranch_execz .LBB57_1064
	s_branch .LBB57_1065
.LBB57_1063:
                                        ; implicit-def: $vgpr120_vgpr121
.LBB57_1064:
	ds_load_b64 v[120:121], v1
.LBB57_1065:
	s_mov_b32 s2, exec_lo
	v_cmpx_ne_u32_e32 49, v0
	s_cbranch_execz .LBB57_1069
; %bb.1066:
	v_add_nc_u32_e32 v123, 0x1d8, v56
	v_add3_u32 v124, 0, v56, 8
	v_mov_b32_e32 v125, v0
	s_mov_b32 s3, 0
.LBB57_1067:                            ; =>This Inner Loop Header: Depth=1
	scratch_load_b64 v[126:127], v124, off
	ds_load_b64 v[128:129], v123
	s_wait_xcnt 0x0
	v_dual_add_nc_u32 v123, 8, v123 :: v_dual_add_nc_u32 v124, 8, v124
	s_wait_loadcnt_dscnt 0x0
	v_pk_mul_f32 v[130:131], v[128:129], v[126:127] op_sel:[1,1] op_sel_hi:[0,1]
	s_delay_alu instid0(VALU_DEP_1) | instskip(SKIP_2) | instid1(VALU_DEP_3)
	v_pk_fma_f32 v[132:133], v[128:129], v[126:127], v[130:131] op_sel_hi:[1,0,1]
	v_add_nc_u32_e32 v125, 1, v125
	v_pk_fma_f32 v[126:127], v[128:129], v[126:127], v[130:131] neg_lo:[0,0,1] neg_hi:[0,0,1]
	v_mov_b32_e32 v127, v133
	s_delay_alu instid0(VALU_DEP_3) | instskip(NEXT) | instid1(VALU_DEP_2)
	v_cmp_lt_u32_e32 vcc_lo, 48, v125
	v_pk_add_f32 v[120:121], v[120:121], v[126:127]
	s_or_b32 s3, vcc_lo, s3
	s_delay_alu instid0(SALU_CYCLE_1)
	s_and_not1_b32 exec_lo, exec_lo, s3
	s_cbranch_execnz .LBB57_1067
; %bb.1068:
	s_or_b32 exec_lo, exec_lo, s3
.LBB57_1069:
	s_delay_alu instid0(SALU_CYCLE_1) | instskip(SKIP_4) | instid1(VALU_DEP_1)
	s_or_b32 exec_lo, exec_lo, s2
	v_mov_b32_e32 v123, 0
	ds_load_b64 v[124:125], v123 offset:400
	s_wait_dscnt 0x0
	v_pk_mul_f32 v[126:127], v[120:121], v[124:125] op_sel:[1,1] op_sel_hi:[0,1]
	v_pk_fma_f32 v[128:129], v[120:121], v[124:125], v[126:127] op_sel_hi:[1,0,1]
	v_pk_fma_f32 v[120:121], v[120:121], v[124:125], v[126:127] neg_lo:[0,0,1] neg_hi:[0,0,1]
	s_delay_alu instid0(VALU_DEP_2)
	v_mov_b32_e32 v121, v129
	scratch_store_b64 off, v[120:121], off offset:400
.LBB57_1070:
	s_wait_xcnt 0x0
	s_or_b32 exec_lo, exec_lo, s0
	scratch_load_b64 v[120:121], off, off offset:408
	s_mov_b32 s0, exec_lo
	s_wait_loadcnt 0x0
	ds_store_b64 v1, v[120:121]
	s_wait_storecnt_dscnt 0x0
	s_barrier_signal -1
	s_barrier_wait -1
	s_wait_xcnt 0x0
	v_cmpx_gt_u32_e32 51, v0
	s_cbranch_execz .LBB57_1080
; %bb.1071:
	v_cmp_ne_u32_e32 vcc_lo, 1, v122
	s_cbranch_vccnz .LBB57_1073
; %bb.1072:
	scratch_load_b64 v[120:121], v57, off
	ds_load_b64 v[124:125], v1
	s_wait_loadcnt_dscnt 0x0
	v_pk_mul_f32 v[126:127], v[124:125], v[120:121] op_sel:[1,1] op_sel_hi:[0,1]
	s_delay_alu instid0(VALU_DEP_1) | instskip(SKIP_1) | instid1(VALU_DEP_2)
	v_pk_fma_f32 v[128:129], v[124:125], v[120:121], v[126:127] op_sel_hi:[1,0,1]
	v_pk_fma_f32 v[120:121], v[124:125], v[120:121], v[126:127] neg_lo:[0,0,1] neg_hi:[0,0,1]
	v_mov_b32_e32 v121, v129
	s_cbranch_execz .LBB57_1074
	s_branch .LBB57_1075
.LBB57_1073:
                                        ; implicit-def: $vgpr120_vgpr121
.LBB57_1074:
	ds_load_b64 v[120:121], v1
.LBB57_1075:
	s_mov_b32 s2, exec_lo
	v_cmpx_ne_u32_e32 50, v0
	s_cbranch_execz .LBB57_1079
; %bb.1076:
	v_add_nc_u32_e32 v123, 0x1d8, v56
	v_add3_u32 v124, 0, v56, 8
	v_mov_b32_e32 v125, v0
	s_mov_b32 s3, 0
.LBB57_1077:                            ; =>This Inner Loop Header: Depth=1
	scratch_load_b64 v[126:127], v124, off
	ds_load_b64 v[128:129], v123
	s_wait_xcnt 0x0
	v_dual_add_nc_u32 v123, 8, v123 :: v_dual_add_nc_u32 v124, 8, v124
	s_wait_loadcnt_dscnt 0x0
	v_pk_mul_f32 v[130:131], v[128:129], v[126:127] op_sel:[1,1] op_sel_hi:[0,1]
	s_delay_alu instid0(VALU_DEP_1) | instskip(SKIP_2) | instid1(VALU_DEP_3)
	v_pk_fma_f32 v[132:133], v[128:129], v[126:127], v[130:131] op_sel_hi:[1,0,1]
	v_add_nc_u32_e32 v125, 1, v125
	v_pk_fma_f32 v[126:127], v[128:129], v[126:127], v[130:131] neg_lo:[0,0,1] neg_hi:[0,0,1]
	v_mov_b32_e32 v127, v133
	s_delay_alu instid0(VALU_DEP_3) | instskip(NEXT) | instid1(VALU_DEP_2)
	v_cmp_lt_u32_e32 vcc_lo, 49, v125
	v_pk_add_f32 v[120:121], v[120:121], v[126:127]
	s_or_b32 s3, vcc_lo, s3
	s_delay_alu instid0(SALU_CYCLE_1)
	s_and_not1_b32 exec_lo, exec_lo, s3
	s_cbranch_execnz .LBB57_1077
; %bb.1078:
	s_or_b32 exec_lo, exec_lo, s3
.LBB57_1079:
	s_delay_alu instid0(SALU_CYCLE_1) | instskip(SKIP_4) | instid1(VALU_DEP_1)
	s_or_b32 exec_lo, exec_lo, s2
	v_mov_b32_e32 v123, 0
	ds_load_b64 v[124:125], v123 offset:408
	s_wait_dscnt 0x0
	v_pk_mul_f32 v[126:127], v[120:121], v[124:125] op_sel:[1,1] op_sel_hi:[0,1]
	v_pk_fma_f32 v[128:129], v[120:121], v[124:125], v[126:127] op_sel_hi:[1,0,1]
	v_pk_fma_f32 v[120:121], v[120:121], v[124:125], v[126:127] neg_lo:[0,0,1] neg_hi:[0,0,1]
	s_delay_alu instid0(VALU_DEP_2)
	v_mov_b32_e32 v121, v129
	scratch_store_b64 off, v[120:121], off offset:408
.LBB57_1080:
	s_wait_xcnt 0x0
	s_or_b32 exec_lo, exec_lo, s0
	scratch_load_b64 v[120:121], off, off offset:416
	s_mov_b32 s0, exec_lo
	s_wait_loadcnt 0x0
	ds_store_b64 v1, v[120:121]
	s_wait_storecnt_dscnt 0x0
	s_barrier_signal -1
	s_barrier_wait -1
	s_wait_xcnt 0x0
	v_cmpx_gt_u32_e32 52, v0
	s_cbranch_execz .LBB57_1090
; %bb.1081:
	v_cmp_ne_u32_e32 vcc_lo, 1, v122
	s_cbranch_vccnz .LBB57_1083
; %bb.1082:
	scratch_load_b64 v[120:121], v57, off
	ds_load_b64 v[124:125], v1
	s_wait_loadcnt_dscnt 0x0
	v_pk_mul_f32 v[126:127], v[124:125], v[120:121] op_sel:[1,1] op_sel_hi:[0,1]
	s_delay_alu instid0(VALU_DEP_1) | instskip(SKIP_1) | instid1(VALU_DEP_2)
	v_pk_fma_f32 v[128:129], v[124:125], v[120:121], v[126:127] op_sel_hi:[1,0,1]
	v_pk_fma_f32 v[120:121], v[124:125], v[120:121], v[126:127] neg_lo:[0,0,1] neg_hi:[0,0,1]
	v_mov_b32_e32 v121, v129
	s_cbranch_execz .LBB57_1084
	s_branch .LBB57_1085
.LBB57_1083:
                                        ; implicit-def: $vgpr120_vgpr121
.LBB57_1084:
	ds_load_b64 v[120:121], v1
.LBB57_1085:
	s_mov_b32 s2, exec_lo
	v_cmpx_ne_u32_e32 51, v0
	s_cbranch_execz .LBB57_1089
; %bb.1086:
	v_add_nc_u32_e32 v123, 0x1d8, v56
	v_add3_u32 v124, 0, v56, 8
	v_mov_b32_e32 v125, v0
	s_mov_b32 s3, 0
.LBB57_1087:                            ; =>This Inner Loop Header: Depth=1
	scratch_load_b64 v[126:127], v124, off
	ds_load_b64 v[128:129], v123
	s_wait_xcnt 0x0
	v_dual_add_nc_u32 v123, 8, v123 :: v_dual_add_nc_u32 v124, 8, v124
	s_wait_loadcnt_dscnt 0x0
	v_pk_mul_f32 v[130:131], v[128:129], v[126:127] op_sel:[1,1] op_sel_hi:[0,1]
	s_delay_alu instid0(VALU_DEP_1) | instskip(SKIP_2) | instid1(VALU_DEP_3)
	v_pk_fma_f32 v[132:133], v[128:129], v[126:127], v[130:131] op_sel_hi:[1,0,1]
	v_add_nc_u32_e32 v125, 1, v125
	v_pk_fma_f32 v[126:127], v[128:129], v[126:127], v[130:131] neg_lo:[0,0,1] neg_hi:[0,0,1]
	v_mov_b32_e32 v127, v133
	s_delay_alu instid0(VALU_DEP_3) | instskip(NEXT) | instid1(VALU_DEP_2)
	v_cmp_lt_u32_e32 vcc_lo, 50, v125
	v_pk_add_f32 v[120:121], v[120:121], v[126:127]
	s_or_b32 s3, vcc_lo, s3
	s_delay_alu instid0(SALU_CYCLE_1)
	s_and_not1_b32 exec_lo, exec_lo, s3
	s_cbranch_execnz .LBB57_1087
; %bb.1088:
	s_or_b32 exec_lo, exec_lo, s3
.LBB57_1089:
	s_delay_alu instid0(SALU_CYCLE_1) | instskip(SKIP_4) | instid1(VALU_DEP_1)
	s_or_b32 exec_lo, exec_lo, s2
	v_mov_b32_e32 v123, 0
	ds_load_b64 v[124:125], v123 offset:416
	s_wait_dscnt 0x0
	v_pk_mul_f32 v[126:127], v[120:121], v[124:125] op_sel:[1,1] op_sel_hi:[0,1]
	v_pk_fma_f32 v[128:129], v[120:121], v[124:125], v[126:127] op_sel_hi:[1,0,1]
	v_pk_fma_f32 v[120:121], v[120:121], v[124:125], v[126:127] neg_lo:[0,0,1] neg_hi:[0,0,1]
	s_delay_alu instid0(VALU_DEP_2)
	v_mov_b32_e32 v121, v129
	scratch_store_b64 off, v[120:121], off offset:416
.LBB57_1090:
	s_wait_xcnt 0x0
	s_or_b32 exec_lo, exec_lo, s0
	scratch_load_b64 v[120:121], off, off offset:424
	s_mov_b32 s0, exec_lo
	s_wait_loadcnt 0x0
	ds_store_b64 v1, v[120:121]
	s_wait_storecnt_dscnt 0x0
	s_barrier_signal -1
	s_barrier_wait -1
	s_wait_xcnt 0x0
	v_cmpx_gt_u32_e32 53, v0
	s_cbranch_execz .LBB57_1100
; %bb.1091:
	v_cmp_ne_u32_e32 vcc_lo, 1, v122
	s_cbranch_vccnz .LBB57_1093
; %bb.1092:
	scratch_load_b64 v[120:121], v57, off
	ds_load_b64 v[124:125], v1
	s_wait_loadcnt_dscnt 0x0
	v_pk_mul_f32 v[126:127], v[124:125], v[120:121] op_sel:[1,1] op_sel_hi:[0,1]
	s_delay_alu instid0(VALU_DEP_1) | instskip(SKIP_1) | instid1(VALU_DEP_2)
	v_pk_fma_f32 v[128:129], v[124:125], v[120:121], v[126:127] op_sel_hi:[1,0,1]
	v_pk_fma_f32 v[120:121], v[124:125], v[120:121], v[126:127] neg_lo:[0,0,1] neg_hi:[0,0,1]
	v_mov_b32_e32 v121, v129
	s_cbranch_execz .LBB57_1094
	s_branch .LBB57_1095
.LBB57_1093:
                                        ; implicit-def: $vgpr120_vgpr121
.LBB57_1094:
	ds_load_b64 v[120:121], v1
.LBB57_1095:
	s_mov_b32 s2, exec_lo
	v_cmpx_ne_u32_e32 52, v0
	s_cbranch_execz .LBB57_1099
; %bb.1096:
	v_add_nc_u32_e32 v123, 0x1d8, v56
	v_add3_u32 v124, 0, v56, 8
	v_mov_b32_e32 v125, v0
	s_mov_b32 s3, 0
.LBB57_1097:                            ; =>This Inner Loop Header: Depth=1
	scratch_load_b64 v[126:127], v124, off
	ds_load_b64 v[128:129], v123
	s_wait_xcnt 0x0
	v_dual_add_nc_u32 v123, 8, v123 :: v_dual_add_nc_u32 v124, 8, v124
	s_wait_loadcnt_dscnt 0x0
	v_pk_mul_f32 v[130:131], v[128:129], v[126:127] op_sel:[1,1] op_sel_hi:[0,1]
	s_delay_alu instid0(VALU_DEP_1) | instskip(SKIP_2) | instid1(VALU_DEP_3)
	v_pk_fma_f32 v[132:133], v[128:129], v[126:127], v[130:131] op_sel_hi:[1,0,1]
	v_add_nc_u32_e32 v125, 1, v125
	v_pk_fma_f32 v[126:127], v[128:129], v[126:127], v[130:131] neg_lo:[0,0,1] neg_hi:[0,0,1]
	v_mov_b32_e32 v127, v133
	s_delay_alu instid0(VALU_DEP_3) | instskip(NEXT) | instid1(VALU_DEP_2)
	v_cmp_lt_u32_e32 vcc_lo, 51, v125
	v_pk_add_f32 v[120:121], v[120:121], v[126:127]
	s_or_b32 s3, vcc_lo, s3
	s_delay_alu instid0(SALU_CYCLE_1)
	s_and_not1_b32 exec_lo, exec_lo, s3
	s_cbranch_execnz .LBB57_1097
; %bb.1098:
	s_or_b32 exec_lo, exec_lo, s3
.LBB57_1099:
	s_delay_alu instid0(SALU_CYCLE_1) | instskip(SKIP_4) | instid1(VALU_DEP_1)
	s_or_b32 exec_lo, exec_lo, s2
	v_mov_b32_e32 v123, 0
	ds_load_b64 v[124:125], v123 offset:424
	s_wait_dscnt 0x0
	v_pk_mul_f32 v[126:127], v[120:121], v[124:125] op_sel:[1,1] op_sel_hi:[0,1]
	v_pk_fma_f32 v[128:129], v[120:121], v[124:125], v[126:127] op_sel_hi:[1,0,1]
	v_pk_fma_f32 v[120:121], v[120:121], v[124:125], v[126:127] neg_lo:[0,0,1] neg_hi:[0,0,1]
	s_delay_alu instid0(VALU_DEP_2)
	v_mov_b32_e32 v121, v129
	scratch_store_b64 off, v[120:121], off offset:424
.LBB57_1100:
	s_wait_xcnt 0x0
	s_or_b32 exec_lo, exec_lo, s0
	scratch_load_b64 v[120:121], off, off offset:432
	s_mov_b32 s0, exec_lo
	s_wait_loadcnt 0x0
	ds_store_b64 v1, v[120:121]
	s_wait_storecnt_dscnt 0x0
	s_barrier_signal -1
	s_barrier_wait -1
	s_wait_xcnt 0x0
	v_cmpx_gt_u32_e32 54, v0
	s_cbranch_execz .LBB57_1110
; %bb.1101:
	v_cmp_ne_u32_e32 vcc_lo, 1, v122
	s_cbranch_vccnz .LBB57_1103
; %bb.1102:
	scratch_load_b64 v[120:121], v57, off
	ds_load_b64 v[124:125], v1
	s_wait_loadcnt_dscnt 0x0
	v_pk_mul_f32 v[126:127], v[124:125], v[120:121] op_sel:[1,1] op_sel_hi:[0,1]
	s_delay_alu instid0(VALU_DEP_1) | instskip(SKIP_1) | instid1(VALU_DEP_2)
	v_pk_fma_f32 v[128:129], v[124:125], v[120:121], v[126:127] op_sel_hi:[1,0,1]
	v_pk_fma_f32 v[120:121], v[124:125], v[120:121], v[126:127] neg_lo:[0,0,1] neg_hi:[0,0,1]
	v_mov_b32_e32 v121, v129
	s_cbranch_execz .LBB57_1104
	s_branch .LBB57_1105
.LBB57_1103:
                                        ; implicit-def: $vgpr120_vgpr121
.LBB57_1104:
	ds_load_b64 v[120:121], v1
.LBB57_1105:
	s_mov_b32 s2, exec_lo
	v_cmpx_ne_u32_e32 53, v0
	s_cbranch_execz .LBB57_1109
; %bb.1106:
	v_add_nc_u32_e32 v123, 0x1d8, v56
	v_add3_u32 v124, 0, v56, 8
	v_mov_b32_e32 v125, v0
	s_mov_b32 s3, 0
.LBB57_1107:                            ; =>This Inner Loop Header: Depth=1
	scratch_load_b64 v[126:127], v124, off
	ds_load_b64 v[128:129], v123
	s_wait_xcnt 0x0
	v_dual_add_nc_u32 v123, 8, v123 :: v_dual_add_nc_u32 v124, 8, v124
	s_wait_loadcnt_dscnt 0x0
	v_pk_mul_f32 v[130:131], v[128:129], v[126:127] op_sel:[1,1] op_sel_hi:[0,1]
	s_delay_alu instid0(VALU_DEP_1) | instskip(SKIP_2) | instid1(VALU_DEP_3)
	v_pk_fma_f32 v[132:133], v[128:129], v[126:127], v[130:131] op_sel_hi:[1,0,1]
	v_add_nc_u32_e32 v125, 1, v125
	v_pk_fma_f32 v[126:127], v[128:129], v[126:127], v[130:131] neg_lo:[0,0,1] neg_hi:[0,0,1]
	v_mov_b32_e32 v127, v133
	s_delay_alu instid0(VALU_DEP_3) | instskip(NEXT) | instid1(VALU_DEP_2)
	v_cmp_lt_u32_e32 vcc_lo, 52, v125
	v_pk_add_f32 v[120:121], v[120:121], v[126:127]
	s_or_b32 s3, vcc_lo, s3
	s_delay_alu instid0(SALU_CYCLE_1)
	s_and_not1_b32 exec_lo, exec_lo, s3
	s_cbranch_execnz .LBB57_1107
; %bb.1108:
	s_or_b32 exec_lo, exec_lo, s3
.LBB57_1109:
	s_delay_alu instid0(SALU_CYCLE_1) | instskip(SKIP_4) | instid1(VALU_DEP_1)
	s_or_b32 exec_lo, exec_lo, s2
	v_mov_b32_e32 v123, 0
	ds_load_b64 v[124:125], v123 offset:432
	s_wait_dscnt 0x0
	v_pk_mul_f32 v[126:127], v[120:121], v[124:125] op_sel:[1,1] op_sel_hi:[0,1]
	v_pk_fma_f32 v[128:129], v[120:121], v[124:125], v[126:127] op_sel_hi:[1,0,1]
	v_pk_fma_f32 v[120:121], v[120:121], v[124:125], v[126:127] neg_lo:[0,0,1] neg_hi:[0,0,1]
	s_delay_alu instid0(VALU_DEP_2)
	v_mov_b32_e32 v121, v129
	scratch_store_b64 off, v[120:121], off offset:432
.LBB57_1110:
	s_wait_xcnt 0x0
	s_or_b32 exec_lo, exec_lo, s0
	scratch_load_b64 v[120:121], off, off offset:440
	s_mov_b32 s0, exec_lo
	s_wait_loadcnt 0x0
	ds_store_b64 v1, v[120:121]
	s_wait_storecnt_dscnt 0x0
	s_barrier_signal -1
	s_barrier_wait -1
	s_wait_xcnt 0x0
	v_cmpx_gt_u32_e32 55, v0
	s_cbranch_execz .LBB57_1120
; %bb.1111:
	v_cmp_ne_u32_e32 vcc_lo, 1, v122
	s_cbranch_vccnz .LBB57_1113
; %bb.1112:
	scratch_load_b64 v[120:121], v57, off
	ds_load_b64 v[124:125], v1
	s_wait_loadcnt_dscnt 0x0
	v_pk_mul_f32 v[126:127], v[124:125], v[120:121] op_sel:[1,1] op_sel_hi:[0,1]
	s_delay_alu instid0(VALU_DEP_1) | instskip(SKIP_1) | instid1(VALU_DEP_2)
	v_pk_fma_f32 v[128:129], v[124:125], v[120:121], v[126:127] op_sel_hi:[1,0,1]
	v_pk_fma_f32 v[120:121], v[124:125], v[120:121], v[126:127] neg_lo:[0,0,1] neg_hi:[0,0,1]
	v_mov_b32_e32 v121, v129
	s_cbranch_execz .LBB57_1114
	s_branch .LBB57_1115
.LBB57_1113:
                                        ; implicit-def: $vgpr120_vgpr121
.LBB57_1114:
	ds_load_b64 v[120:121], v1
.LBB57_1115:
	s_mov_b32 s2, exec_lo
	v_cmpx_ne_u32_e32 54, v0
	s_cbranch_execz .LBB57_1119
; %bb.1116:
	v_add_nc_u32_e32 v123, 0x1d8, v56
	v_add3_u32 v124, 0, v56, 8
	v_mov_b32_e32 v125, v0
	s_mov_b32 s3, 0
.LBB57_1117:                            ; =>This Inner Loop Header: Depth=1
	scratch_load_b64 v[126:127], v124, off
	ds_load_b64 v[128:129], v123
	s_wait_xcnt 0x0
	v_dual_add_nc_u32 v123, 8, v123 :: v_dual_add_nc_u32 v124, 8, v124
	s_wait_loadcnt_dscnt 0x0
	v_pk_mul_f32 v[130:131], v[128:129], v[126:127] op_sel:[1,1] op_sel_hi:[0,1]
	s_delay_alu instid0(VALU_DEP_1) | instskip(SKIP_2) | instid1(VALU_DEP_3)
	v_pk_fma_f32 v[132:133], v[128:129], v[126:127], v[130:131] op_sel_hi:[1,0,1]
	v_add_nc_u32_e32 v125, 1, v125
	v_pk_fma_f32 v[126:127], v[128:129], v[126:127], v[130:131] neg_lo:[0,0,1] neg_hi:[0,0,1]
	v_mov_b32_e32 v127, v133
	s_delay_alu instid0(VALU_DEP_3) | instskip(NEXT) | instid1(VALU_DEP_2)
	v_cmp_lt_u32_e32 vcc_lo, 53, v125
	v_pk_add_f32 v[120:121], v[120:121], v[126:127]
	s_or_b32 s3, vcc_lo, s3
	s_delay_alu instid0(SALU_CYCLE_1)
	s_and_not1_b32 exec_lo, exec_lo, s3
	s_cbranch_execnz .LBB57_1117
; %bb.1118:
	s_or_b32 exec_lo, exec_lo, s3
.LBB57_1119:
	s_delay_alu instid0(SALU_CYCLE_1) | instskip(SKIP_4) | instid1(VALU_DEP_1)
	s_or_b32 exec_lo, exec_lo, s2
	v_mov_b32_e32 v123, 0
	ds_load_b64 v[124:125], v123 offset:440
	s_wait_dscnt 0x0
	v_pk_mul_f32 v[126:127], v[120:121], v[124:125] op_sel:[1,1] op_sel_hi:[0,1]
	v_pk_fma_f32 v[128:129], v[120:121], v[124:125], v[126:127] op_sel_hi:[1,0,1]
	v_pk_fma_f32 v[120:121], v[120:121], v[124:125], v[126:127] neg_lo:[0,0,1] neg_hi:[0,0,1]
	s_delay_alu instid0(VALU_DEP_2)
	v_mov_b32_e32 v121, v129
	scratch_store_b64 off, v[120:121], off offset:440
.LBB57_1120:
	s_wait_xcnt 0x0
	s_or_b32 exec_lo, exec_lo, s0
	scratch_load_b64 v[120:121], off, off offset:448
	v_cmp_gt_u32_e64 s0, 56, v0
	s_wait_loadcnt 0x0
	ds_store_b64 v1, v[120:121]
	s_wait_storecnt_dscnt 0x0
	s_barrier_signal -1
	s_barrier_wait -1
	s_wait_xcnt 0x0
	s_and_saveexec_b32 s2, s0
	s_cbranch_execz .LBB57_1130
; %bb.1121:
	v_cmp_ne_u32_e32 vcc_lo, 1, v122
	s_cbranch_vccnz .LBB57_1123
; %bb.1122:
	scratch_load_b64 v[120:121], v57, off
	ds_load_b64 v[124:125], v1
	s_wait_loadcnt_dscnt 0x0
	v_pk_mul_f32 v[126:127], v[124:125], v[120:121] op_sel:[1,1] op_sel_hi:[0,1]
	s_delay_alu instid0(VALU_DEP_1) | instskip(SKIP_1) | instid1(VALU_DEP_2)
	v_pk_fma_f32 v[128:129], v[124:125], v[120:121], v[126:127] op_sel_hi:[1,0,1]
	v_pk_fma_f32 v[120:121], v[124:125], v[120:121], v[126:127] neg_lo:[0,0,1] neg_hi:[0,0,1]
	v_mov_b32_e32 v121, v129
	s_cbranch_execz .LBB57_1124
	s_branch .LBB57_1125
.LBB57_1123:
                                        ; implicit-def: $vgpr120_vgpr121
.LBB57_1124:
	ds_load_b64 v[120:121], v1
.LBB57_1125:
	s_mov_b32 s3, exec_lo
	v_cmpx_ne_u32_e32 55, v0
	s_cbranch_execz .LBB57_1129
; %bb.1126:
	v_add_nc_u32_e32 v123, 0x1d8, v56
	v_add3_u32 v124, 0, v56, 8
	v_mov_b32_e32 v125, v0
	s_mov_b32 s4, 0
.LBB57_1127:                            ; =>This Inner Loop Header: Depth=1
	scratch_load_b64 v[126:127], v124, off
	ds_load_b64 v[128:129], v123
	s_wait_xcnt 0x0
	v_dual_add_nc_u32 v123, 8, v123 :: v_dual_add_nc_u32 v124, 8, v124
	s_wait_loadcnt_dscnt 0x0
	v_pk_mul_f32 v[130:131], v[128:129], v[126:127] op_sel:[1,1] op_sel_hi:[0,1]
	s_delay_alu instid0(VALU_DEP_1) | instskip(SKIP_2) | instid1(VALU_DEP_3)
	v_pk_fma_f32 v[132:133], v[128:129], v[126:127], v[130:131] op_sel_hi:[1,0,1]
	v_add_nc_u32_e32 v125, 1, v125
	v_pk_fma_f32 v[126:127], v[128:129], v[126:127], v[130:131] neg_lo:[0,0,1] neg_hi:[0,0,1]
	v_mov_b32_e32 v127, v133
	s_delay_alu instid0(VALU_DEP_3) | instskip(NEXT) | instid1(VALU_DEP_2)
	v_cmp_lt_u32_e32 vcc_lo, 54, v125
	v_pk_add_f32 v[120:121], v[120:121], v[126:127]
	s_or_b32 s4, vcc_lo, s4
	s_delay_alu instid0(SALU_CYCLE_1)
	s_and_not1_b32 exec_lo, exec_lo, s4
	s_cbranch_execnz .LBB57_1127
; %bb.1128:
	s_or_b32 exec_lo, exec_lo, s4
.LBB57_1129:
	s_delay_alu instid0(SALU_CYCLE_1) | instskip(SKIP_4) | instid1(VALU_DEP_1)
	s_or_b32 exec_lo, exec_lo, s3
	v_mov_b32_e32 v123, 0
	ds_load_b64 v[124:125], v123 offset:448
	s_wait_dscnt 0x0
	v_pk_mul_f32 v[126:127], v[120:121], v[124:125] op_sel:[1,1] op_sel_hi:[0,1]
	v_pk_fma_f32 v[128:129], v[120:121], v[124:125], v[126:127] op_sel_hi:[1,0,1]
	v_pk_fma_f32 v[120:121], v[120:121], v[124:125], v[126:127] neg_lo:[0,0,1] neg_hi:[0,0,1]
	s_delay_alu instid0(VALU_DEP_2)
	v_mov_b32_e32 v121, v129
	scratch_store_b64 off, v[120:121], off offset:448
.LBB57_1130:
	s_wait_xcnt 0x0
	s_or_b32 exec_lo, exec_lo, s2
	scratch_load_b64 v[120:121], off, off offset:456
	s_mov_b32 s2, exec_lo
                                        ; implicit-def: $vgpr164
                                        ; implicit-def: $sgpr4
	s_wait_loadcnt 0x0
	ds_store_b64 v1, v[120:121]
	s_wait_storecnt_dscnt 0x0
	s_barrier_signal -1
	s_barrier_wait -1
	s_wait_xcnt 0x0
	v_cmpx_ne_u32_e32 57, v0
	s_cbranch_execz .LBB57_1140
; %bb.1131:
	v_cmp_ne_u32_e32 vcc_lo, 1, v122
	s_cbranch_vccnz .LBB57_1133
; %bb.1132:
	scratch_load_b64 v[122:123], v57, off
	ds_load_b64 v[124:125], v1
	s_wait_loadcnt_dscnt 0x0
	v_dual_mul_f32 v57, v125, v123 :: v_dual_mul_f32 v121, v124, v123
	s_delay_alu instid0(VALU_DEP_1) | instskip(NEXT) | instid1(VALU_DEP_2)
	v_fma_f32 v120, v124, v122, -v57
	v_fmac_f32_e32 v121, v125, v122
	s_cbranch_execz .LBB57_1134
	s_branch .LBB57_1135
.LBB57_1133:
                                        ; implicit-def: $vgpr121
.LBB57_1134:
	ds_load_b64 v[120:121], v1
.LBB57_1135:
	s_and_saveexec_b32 s3, s0
	s_cbranch_execz .LBB57_1139
; %bb.1136:
	v_add_nc_u32_e32 v1, 0x1d8, v56
	v_add3_u32 v56, 0, v56, 8
	s_mov_b32 s0, 0
.LBB57_1137:                            ; =>This Inner Loop Header: Depth=1
	scratch_load_b64 v[122:123], v56, off
	ds_load_b64 v[124:125], v1
	s_wait_loadcnt_dscnt 0x0
	v_dual_add_nc_u32 v1, 8, v1 :: v_dual_mul_f32 v57, v125, v123
	v_dual_mul_f32 v123, v124, v123 :: v_dual_add_nc_u32 v0, 1, v0
	s_delay_alu instid0(VALU_DEP_1) | instskip(NEXT) | instid1(VALU_DEP_2)
	v_dual_fma_f32 v57, v124, v122, -v57 :: v_dual_fmac_f32 v123, v125, v122
	v_cmp_lt_u32_e32 vcc_lo, 55, v0
	s_delay_alu instid0(VALU_DEP_2) | instskip(NEXT) | instid1(VALU_DEP_3)
	v_dual_add_nc_u32 v56, 8, v56 :: v_dual_add_f32 v120, v120, v57
	v_add_f32_e32 v121, v121, v123
	s_or_b32 s0, vcc_lo, s0
	s_delay_alu instid0(SALU_CYCLE_1)
	s_and_not1_b32 exec_lo, exec_lo, s0
	s_cbranch_execnz .LBB57_1137
; %bb.1138:
	s_or_b32 exec_lo, exec_lo, s0
.LBB57_1139:
	s_delay_alu instid0(SALU_CYCLE_1)
	s_or_b32 exec_lo, exec_lo, s3
	v_mov_b32_e32 v0, 0
	s_movk_i32 s4, 0x1cc
	s_or_b32 s1, s1, exec_lo
	ds_load_b64 v[0:1], v0 offset:456
	s_wait_dscnt 0x0
	v_dual_mul_f32 v56, v121, v1 :: v_dual_mul_f32 v164, v120, v1
	s_delay_alu instid0(VALU_DEP_1) | instskip(NEXT) | instid1(VALU_DEP_2)
	v_fma_f32 v1, v120, v0, -v56
	v_fmac_f32_e32 v164, v121, v0
	scratch_store_b32 off, v1, off offset:456
.LBB57_1140:
	s_wait_xcnt 0x0
	s_or_b32 exec_lo, exec_lo, s2
.LBB57_1141:
	v_lshl_add_u64 v[160:161], v[2:3], 3, s[6:7]
	v_lshl_add_u64 v[162:163], v[4:5], 3, s[6:7]
	;; [unrolled: 1-line block ×56, first 2 shown]
	s_and_saveexec_b32 s0, s1
	s_cbranch_execz .LBB57_1143
; %bb.1142:
	scratch_store_b32 off, v164, s4
.LBB57_1143:
	s_wait_xcnt 0x0
	s_or_b32 exec_lo, exec_lo, s0
	s_clause 0x5
	scratch_load_b128 v[72:75], off, off
	scratch_load_b128 v[76:79], off, off offset:16
	scratch_load_b128 v[80:83], off, off offset:32
	scratch_load_b128 v[84:87], off, off offset:48
	scratch_load_b128 v[88:91], off, off offset:64
	scratch_load_b128 v[92:95], off, off offset:80
	s_wait_loadcnt 0x5
	s_clause 0x1
	global_store_b64 v[6:7], v[72:73], off
	global_store_b64 v[16:17], v[74:75], off
	s_clause 0x1
	scratch_load_b128 v[72:75], off, off offset:96
	scratch_load_b128 v[96:99], off, off offset:112
	s_wait_loadcnt 0x6
	s_clause 0x1
	global_store_b64 v[160:161], v[76:77], off
	global_store_b64 v[162:163], v[78:79], off
	s_clause 0x1
	scratch_load_b128 v[76:79], off, off offset:128
	scratch_load_b128 v[100:103], off, off offset:144
	;; [unrolled: 7-line block ×11, first 2 shown]
	s_wait_loadcnt 0x10
	s_clause 0x1
	global_store_b64 v[120:121], v[104:105], off
	global_store_b64 v[122:123], v[106:107], off
	scratch_load_b128 v[104:107], off, off offset:448
	s_wait_loadcnt 0x10
	s_clause 0x1
	global_store_b64 v[4:5], v[84:85], off
	global_store_b64 v[8:9], v[86:87], off
	s_wait_loadcnt 0xf
	s_clause 0x1
	global_store_b64 v[10:11], v[108:109], off
	global_store_b64 v[12:13], v[110:111], off
	s_wait_loadcnt 0xe
	s_clause 0x1
	global_store_b64 v[14:15], v[88:89], off
	global_store_b64 v[18:19], v[90:91], off
	s_wait_loadcnt 0xd
	s_clause 0x1
	global_store_b64 v[20:21], v[112:113], off
	global_store_b64 v[22:23], v[114:115], off
	s_wait_loadcnt 0xc
	s_clause 0x1
	global_store_b64 v[24:25], v[92:93], off
	global_store_b64 v[26:27], v[94:95], off
	s_wait_loadcnt 0xb
	s_clause 0x1
	global_store_b64 v[28:29], v[116:117], off
	global_store_b64 v[30:31], v[118:119], off
	s_wait_loadcnt 0xa
	s_clause 0x1
	global_store_b64 v[32:33], v[72:73], off
	global_store_b64 v[34:35], v[74:75], off
	s_wait_loadcnt 0x9
	s_clause 0x1
	global_store_b64 v[36:37], v[140:141], off
	global_store_b64 v[38:39], v[142:143], off
	s_wait_loadcnt 0x8
	s_clause 0x1
	global_store_b64 v[40:41], v[96:97], off
	global_store_b64 v[42:43], v[98:99], off
	s_wait_loadcnt 0x7
	s_clause 0x1
	global_store_b64 v[44:45], v[136:137], off
	global_store_b64 v[46:47], v[138:139], off
	s_wait_loadcnt 0x6
	s_clause 0x1
	global_store_b64 v[48:49], v[76:77], off
	global_store_b64 v[50:51], v[78:79], off
	s_wait_loadcnt 0x5
	s_clause 0x1
	global_store_b64 v[52:53], v[132:133], off
	global_store_b64 v[54:55], v[134:135], off
	s_wait_loadcnt 0x4
	s_clause 0x1
	global_store_b64 v[56:57], v[100:101], off
	global_store_b64 v[58:59], v[102:103], off
	s_wait_loadcnt 0x3
	s_clause 0x1
	global_store_b64 v[60:61], v[128:129], off
	global_store_b64 v[62:63], v[130:131], off
	s_wait_loadcnt 0x2
	s_clause 0x1
	global_store_b64 v[64:65], v[80:81], off
	global_store_b64 v[66:67], v[82:83], off
	s_wait_loadcnt 0x1
	s_clause 0x1
	global_store_b64 v[68:69], v[124:125], off
	global_store_b64 v[70:71], v[126:127], off
	s_wait_loadcnt 0x0
	s_clause 0x1
	global_store_b64 v[0:1], v[104:105], off
	global_store_b64 v[2:3], v[106:107], off
.LBB57_1144:
	s_sendmsg sendmsg(MSG_DEALLOC_VGPRS)
	s_endpgm
	.section	.rodata,"a",@progbits
	.p2align	6, 0x0
	.amdhsa_kernel _ZN9rocsolver6v33100L18trti2_kernel_smallILi58E19rocblas_complex_numIfEPS3_EEv13rocblas_fill_17rocblas_diagonal_T1_iil
		.amdhsa_group_segment_fixed_size 928
		.amdhsa_private_segment_fixed_size 480
		.amdhsa_kernarg_size 32
		.amdhsa_user_sgpr_count 2
		.amdhsa_user_sgpr_dispatch_ptr 0
		.amdhsa_user_sgpr_queue_ptr 0
		.amdhsa_user_sgpr_kernarg_segment_ptr 1
		.amdhsa_user_sgpr_dispatch_id 0
		.amdhsa_user_sgpr_kernarg_preload_length 0
		.amdhsa_user_sgpr_kernarg_preload_offset 0
		.amdhsa_user_sgpr_private_segment_size 0
		.amdhsa_wavefront_size32 1
		.amdhsa_uses_dynamic_stack 0
		.amdhsa_enable_private_segment 1
		.amdhsa_system_sgpr_workgroup_id_x 1
		.amdhsa_system_sgpr_workgroup_id_y 0
		.amdhsa_system_sgpr_workgroup_id_z 0
		.amdhsa_system_sgpr_workgroup_info 0
		.amdhsa_system_vgpr_workitem_id 0
		.amdhsa_next_free_vgpr 165
		.amdhsa_next_free_sgpr 37
		.amdhsa_named_barrier_count 0
		.amdhsa_reserve_vcc 1
		.amdhsa_float_round_mode_32 0
		.amdhsa_float_round_mode_16_64 0
		.amdhsa_float_denorm_mode_32 3
		.amdhsa_float_denorm_mode_16_64 3
		.amdhsa_fp16_overflow 0
		.amdhsa_memory_ordered 1
		.amdhsa_forward_progress 1
		.amdhsa_inst_pref_size 255
		.amdhsa_round_robin_scheduling 0
		.amdhsa_exception_fp_ieee_invalid_op 0
		.amdhsa_exception_fp_denorm_src 0
		.amdhsa_exception_fp_ieee_div_zero 0
		.amdhsa_exception_fp_ieee_overflow 0
		.amdhsa_exception_fp_ieee_underflow 0
		.amdhsa_exception_fp_ieee_inexact 0
		.amdhsa_exception_int_div_zero 0
	.end_amdhsa_kernel
	.section	.text._ZN9rocsolver6v33100L18trti2_kernel_smallILi58E19rocblas_complex_numIfEPS3_EEv13rocblas_fill_17rocblas_diagonal_T1_iil,"axG",@progbits,_ZN9rocsolver6v33100L18trti2_kernel_smallILi58E19rocblas_complex_numIfEPS3_EEv13rocblas_fill_17rocblas_diagonal_T1_iil,comdat
.Lfunc_end57:
	.size	_ZN9rocsolver6v33100L18trti2_kernel_smallILi58E19rocblas_complex_numIfEPS3_EEv13rocblas_fill_17rocblas_diagonal_T1_iil, .Lfunc_end57-_ZN9rocsolver6v33100L18trti2_kernel_smallILi58E19rocblas_complex_numIfEPS3_EEv13rocblas_fill_17rocblas_diagonal_T1_iil
                                        ; -- End function
	.set _ZN9rocsolver6v33100L18trti2_kernel_smallILi58E19rocblas_complex_numIfEPS3_EEv13rocblas_fill_17rocblas_diagonal_T1_iil.num_vgpr, 165
	.set _ZN9rocsolver6v33100L18trti2_kernel_smallILi58E19rocblas_complex_numIfEPS3_EEv13rocblas_fill_17rocblas_diagonal_T1_iil.num_agpr, 0
	.set _ZN9rocsolver6v33100L18trti2_kernel_smallILi58E19rocblas_complex_numIfEPS3_EEv13rocblas_fill_17rocblas_diagonal_T1_iil.numbered_sgpr, 37
	.set _ZN9rocsolver6v33100L18trti2_kernel_smallILi58E19rocblas_complex_numIfEPS3_EEv13rocblas_fill_17rocblas_diagonal_T1_iil.num_named_barrier, 0
	.set _ZN9rocsolver6v33100L18trti2_kernel_smallILi58E19rocblas_complex_numIfEPS3_EEv13rocblas_fill_17rocblas_diagonal_T1_iil.private_seg_size, 480
	.set _ZN9rocsolver6v33100L18trti2_kernel_smallILi58E19rocblas_complex_numIfEPS3_EEv13rocblas_fill_17rocblas_diagonal_T1_iil.uses_vcc, 1
	.set _ZN9rocsolver6v33100L18trti2_kernel_smallILi58E19rocblas_complex_numIfEPS3_EEv13rocblas_fill_17rocblas_diagonal_T1_iil.uses_flat_scratch, 1
	.set _ZN9rocsolver6v33100L18trti2_kernel_smallILi58E19rocblas_complex_numIfEPS3_EEv13rocblas_fill_17rocblas_diagonal_T1_iil.has_dyn_sized_stack, 0
	.set _ZN9rocsolver6v33100L18trti2_kernel_smallILi58E19rocblas_complex_numIfEPS3_EEv13rocblas_fill_17rocblas_diagonal_T1_iil.has_recursion, 0
	.set _ZN9rocsolver6v33100L18trti2_kernel_smallILi58E19rocblas_complex_numIfEPS3_EEv13rocblas_fill_17rocblas_diagonal_T1_iil.has_indirect_call, 0
	.section	.AMDGPU.csdata,"",@progbits
; Kernel info:
; codeLenInByte = 44016
; TotalNumSgprs: 39
; NumVgprs: 165
; ScratchSize: 480
; MemoryBound: 0
; FloatMode: 240
; IeeeMode: 1
; LDSByteSize: 928 bytes/workgroup (compile time only)
; SGPRBlocks: 0
; VGPRBlocks: 10
; NumSGPRsForWavesPerEU: 39
; NumVGPRsForWavesPerEU: 165
; NamedBarCnt: 0
; Occupancy: 5
; WaveLimiterHint : 0
; COMPUTE_PGM_RSRC2:SCRATCH_EN: 1
; COMPUTE_PGM_RSRC2:USER_SGPR: 2
; COMPUTE_PGM_RSRC2:TRAP_HANDLER: 0
; COMPUTE_PGM_RSRC2:TGID_X_EN: 1
; COMPUTE_PGM_RSRC2:TGID_Y_EN: 0
; COMPUTE_PGM_RSRC2:TGID_Z_EN: 0
; COMPUTE_PGM_RSRC2:TIDIG_COMP_CNT: 0
	.section	.text._ZN9rocsolver6v33100L18trti2_kernel_smallILi59E19rocblas_complex_numIfEPS3_EEv13rocblas_fill_17rocblas_diagonal_T1_iil,"axG",@progbits,_ZN9rocsolver6v33100L18trti2_kernel_smallILi59E19rocblas_complex_numIfEPS3_EEv13rocblas_fill_17rocblas_diagonal_T1_iil,comdat
	.globl	_ZN9rocsolver6v33100L18trti2_kernel_smallILi59E19rocblas_complex_numIfEPS3_EEv13rocblas_fill_17rocblas_diagonal_T1_iil ; -- Begin function _ZN9rocsolver6v33100L18trti2_kernel_smallILi59E19rocblas_complex_numIfEPS3_EEv13rocblas_fill_17rocblas_diagonal_T1_iil
	.p2align	8
	.type	_ZN9rocsolver6v33100L18trti2_kernel_smallILi59E19rocblas_complex_numIfEPS3_EEv13rocblas_fill_17rocblas_diagonal_T1_iil,@function
_ZN9rocsolver6v33100L18trti2_kernel_smallILi59E19rocblas_complex_numIfEPS3_EEv13rocblas_fill_17rocblas_diagonal_T1_iil: ; @_ZN9rocsolver6v33100L18trti2_kernel_smallILi59E19rocblas_complex_numIfEPS3_EEv13rocblas_fill_17rocblas_diagonal_T1_iil
; %bb.0:
	s_mov_b32 s2, exec_lo
	v_cmpx_gt_u32_e32 59, v0
	s_cbranch_execz .LBB58_1164
; %bb.1:
	s_load_b256 s[4:11], s[0:1], 0x0
	s_wait_xcnt 0x0
	s_bfe_u32 s0, ttmp6, 0x4000c
	s_and_b32 s1, ttmp6, 15
	s_add_co_i32 s0, s0, 1
	s_getreg_b32 s2, hwreg(HW_REG_IB_STS2, 6, 4)
	s_mul_i32 s0, ttmp9, s0
	v_lshlrev_b32_e32 v58, 3, v0
	s_add_co_i32 s0, s1, s0
	v_mov_b32_e32 v59, 0
	s_wait_kmcnt 0x0
	v_add3_u32 v2, s9, s9, v0
	s_ashr_i32 s1, s8, 31
	s_cmp_eq_u32 s2, 0
	s_cselect_b32 s2, ttmp9, s0
	s_delay_alu instid0(VALU_DEP_1)
	v_add_nc_u32_e32 v4, s9, v2
	s_ashr_i32 s3, s2, 31
	s_mov_b32 s0, s8
	s_mul_u64 s[2:3], s[10:11], s[2:3]
	s_lshl_b64 s[0:1], s[0:1], 3
	v_add_nc_u32_e32 v8, s9, v4
	s_lshl_b64 s[2:3], s[2:3], 3
	s_delay_alu instid0(SALU_CYCLE_1) | instskip(NEXT) | instid1(VALU_DEP_1)
	s_add_nc_u64 s[2:3], s[6:7], s[2:3]
	v_add_nc_u32_e32 v10, s9, v8
	s_add_nc_u64 s[6:7], s[2:3], s[0:1]
	s_mov_b32 s0, s9
	s_ashr_i32 s1, s9, 31
	s_cmp_lg_u32 s5, 0x84
	v_add_nc_u32_e32 v14, s9, v10
	s_clause 0x1
	global_load_b64 v[76:77], v8, s[6:7] scale_offset
	global_load_b64 v[78:79], v10, s[6:7] scale_offset
	s_cselect_b32 s3, -1, 0
	v_add_nc_u64_e32 v[6:7], s[6:7], v[58:59]
	s_and_b32 vcc_lo, exec_lo, s3
	v_add_nc_u32_e32 v16, s9, v14
	s_delay_alu instid0(VALU_DEP_1) | instskip(NEXT) | instid1(VALU_DEP_3)
	v_add_nc_u32_e32 v18, s9, v16
	v_lshl_add_u64 v[12:13], s[0:1], 3, v[6:7]
	s_mov_b32 s0, -1
	s_clause 0x1
	global_load_b64 v[80:81], v0, s[6:7] scale_offset
	global_load_b64 v[82:83], v[12:13], off
	v_add_nc_u32_e32 v20, s9, v18
	s_clause 0x1
	global_load_b64 v[84:85], v2, s[6:7] scale_offset
	global_load_b64 v[86:87], v4, s[6:7] scale_offset
	v_add_nc_u32_e32 v22, s9, v20
	s_clause 0x1
	global_load_b64 v[88:89], v14, s[6:7] scale_offset
	global_load_b64 v[90:91], v16, s[6:7] scale_offset
	v_add_nc_u32_e32 v24, s9, v22
	s_delay_alu instid0(VALU_DEP_1)
	v_add_nc_u32_e32 v26, s9, v24
	s_clause 0x3
	global_load_b64 v[92:93], v18, s[6:7] scale_offset
	global_load_b64 v[94:95], v20, s[6:7] scale_offset
	;; [unrolled: 1-line block ×4, first 2 shown]
	v_add_nc_u32_e32 v28, s9, v26
	s_clause 0x1
	global_load_b64 v[100:101], v26, s[6:7] scale_offset
	global_load_b64 v[102:103], v28, s[6:7] scale_offset
	v_add_nc_u32_e32 v30, s9, v28
	s_delay_alu instid0(VALU_DEP_1) | instskip(NEXT) | instid1(VALU_DEP_1)
	v_add_nc_u32_e32 v32, s9, v30
	v_add_nc_u32_e32 v34, s9, v32
	s_delay_alu instid0(VALU_DEP_1) | instskip(NEXT) | instid1(VALU_DEP_1)
	v_add_nc_u32_e32 v36, s9, v34
	v_add_nc_u32_e32 v38, s9, v36
	s_clause 0x1
	global_load_b64 v[104:105], v30, s[6:7] scale_offset
	global_load_b64 v[106:107], v32, s[6:7] scale_offset
	v_add_nc_u32_e32 v40, s9, v38
	s_delay_alu instid0(VALU_DEP_1)
	v_add_nc_u32_e32 v42, s9, v40
	s_clause 0x3
	global_load_b64 v[108:109], v34, s[6:7] scale_offset
	global_load_b64 v[110:111], v36, s[6:7] scale_offset
	;; [unrolled: 1-line block ×4, first 2 shown]
	v_add_nc_u32_e32 v44, s9, v42
	s_delay_alu instid0(VALU_DEP_1) | instskip(NEXT) | instid1(VALU_DEP_1)
	v_add_nc_u32_e32 v46, s9, v44
	v_add_nc_u32_e32 v48, s9, v46
	s_delay_alu instid0(VALU_DEP_1) | instskip(NEXT) | instid1(VALU_DEP_1)
	v_add_nc_u32_e32 v50, s9, v48
	v_add_nc_u32_e32 v52, s9, v50
	s_delay_alu instid0(VALU_DEP_1)
	v_add_nc_u32_e32 v54, s9, v52
	s_clause 0x3
	global_load_b64 v[116:117], v42, s[6:7] scale_offset
	global_load_b64 v[118:119], v44, s[6:7] scale_offset
	;; [unrolled: 1-line block ×4, first 2 shown]
	v_add_nc_u32_e32 v56, s9, v54
	s_delay_alu instid0(VALU_DEP_1) | instskip(NEXT) | instid1(VALU_DEP_1)
	v_add_nc_u32_e32 v60, s9, v56
	v_add_nc_u32_e32 v62, s9, v60
	s_clause 0x3
	global_load_b64 v[124:125], v50, s[6:7] scale_offset
	global_load_b64 v[126:127], v52, s[6:7] scale_offset
	;; [unrolled: 1-line block ×4, first 2 shown]
	v_add_nc_u32_e32 v64, s9, v62
	s_clause 0x1
	global_load_b64 v[132:133], v60, s[6:7] scale_offset
	global_load_b64 v[134:135], v62, s[6:7] scale_offset
	v_add_nc_u32_e32 v66, s9, v64
	s_delay_alu instid0(VALU_DEP_1) | instskip(NEXT) | instid1(VALU_DEP_1)
	v_add_nc_u32_e32 v68, s9, v66
	v_add_nc_u32_e32 v70, s9, v68
	s_delay_alu instid0(VALU_DEP_1)
	v_add_nc_u32_e32 v72, s9, v70
	s_clause 0x1
	global_load_b64 v[136:137], v64, s[6:7] scale_offset
	global_load_b64 v[138:139], v66, s[6:7] scale_offset
	v_add_nc_u32_e32 v74, s9, v72
	s_wait_loadcnt 0x1e
	scratch_store_b128 off, v[76:79], off offset:32
	s_wait_xcnt 0x0
	v_add_nc_u32_e32 v76, s9, v74
	s_delay_alu instid0(VALU_DEP_1)
	v_add_nc_u32_e32 v78, s9, v76
	s_wait_loadcnt 0x1c
	scratch_store_b128 off, v[80:83], off
	s_wait_xcnt 0x0
	v_add_nc_u32_e32 v80, s9, v78
	s_wait_loadcnt 0x1a
	scratch_store_b128 off, v[84:87], off offset:16
	v_add_nc_u32_e32 v82, s9, v80
	s_wait_loadcnt 0x18
	scratch_store_b128 off, v[88:91], off offset:48
	s_clause 0x1
	global_load_b64 v[140:141], v68, s[6:7] scale_offset
	global_load_b64 v[142:143], v70, s[6:7] scale_offset
	s_wait_xcnt 0x3
	v_add_nc_u32_e32 v84, s9, v82
	s_delay_alu instid0(VALU_DEP_1)
	v_add_nc_u32_e32 v86, s9, v84
	s_wait_loadcnt 0x18
	scratch_store_b128 off, v[92:95], off offset:64
	s_wait_loadcnt 0x16
	scratch_store_b128 off, v[96:99], off offset:80
	s_clause 0x1
	global_load_b64 v[144:145], v72, s[6:7] scale_offset
	global_load_b64 v[146:147], v74, s[6:7] scale_offset
	s_wait_xcnt 0x6
	v_add_nc_u32_e32 v88, s9, v86
	s_wait_loadcnt 0x16
	scratch_store_b128 off, v[100:103], off offset:96
	v_add_nc_u32_e32 v90, s9, v88
	s_wait_xcnt 0x4
	s_delay_alu instid0(VALU_DEP_1) | instskip(NEXT) | instid1(VALU_DEP_1)
	v_add_nc_u32_e32 v92, s9, v90
	v_add_nc_u32_e32 v94, s9, v92
	s_wait_xcnt 0x3
	s_delay_alu instid0(VALU_DEP_1) | instskip(NEXT) | instid1(VALU_DEP_1)
	v_add_nc_u32_e32 v96, s9, v94
	v_add_nc_u32_e32 v98, s9, v96
	s_wait_loadcnt 0x14
	scratch_store_b128 off, v[104:107], off offset:112
	s_clause 0x1
	global_load_b64 v[148:149], v76, s[6:7] scale_offset
	global_load_b64 v[150:151], v78, s[6:7] scale_offset
	s_wait_xcnt 0x3
	v_add_nc_u32_e32 v100, s9, v98
	s_wait_loadcnt 0x14
	scratch_store_b128 off, v[108:111], off offset:128
	v_add_nc_u32_e32 v102, s9, v100
	s_wait_loadcnt 0x12
	scratch_store_b128 off, v[112:115], off offset:144
	s_clause 0x1
	global_load_b64 v[152:153], v80, s[6:7] scale_offset
	global_load_b64 v[154:155], v82, s[6:7] scale_offset
	s_wait_loadcnt 0x12
	scratch_store_b128 off, v[116:119], off offset:160
	s_wait_loadcnt 0x10
	scratch_store_b128 off, v[120:123], off offset:176
	s_clause 0x3
	global_load_b64 v[120:121], v84, s[6:7] scale_offset
	global_load_b64 v[122:123], v86, s[6:7] scale_offset
	global_load_b64 v[156:157], v88, s[6:7] scale_offset
	global_load_b64 v[158:159], v90, s[6:7] scale_offset
	v_add_nc_u32_e32 v104, s9, v102
	s_delay_alu instid0(VALU_DEP_1) | instskip(NEXT) | instid1(VALU_DEP_1)
	v_add_nc_u32_e32 v106, s9, v104
	v_add_nc_u32_e32 v108, s9, v106
	s_wait_loadcnt 0x12
	scratch_store_b128 off, v[124:127], off offset:192
	s_wait_loadcnt 0x10
	scratch_store_b128 off, v[128:131], off offset:208
	;; [unrolled: 2-line block ×3, first 2 shown]
	s_clause 0x3
	global_load_b64 v[124:125], v92, s[6:7] scale_offset
	global_load_b64 v[126:127], v94, s[6:7] scale_offset
	;; [unrolled: 1-line block ×4, first 2 shown]
	v_add_nc_u32_e32 v110, s9, v108
	s_delay_alu instid0(VALU_DEP_1) | instskip(NEXT) | instid1(VALU_DEP_1)
	v_add_nc_u32_e32 v112, s9, v110
	v_add_nc_u32_e32 v114, s9, v112
	s_delay_alu instid0(VALU_DEP_1)
	v_add_nc_u32_e32 v116, s9, v114
	s_wait_loadcnt 0x10
	scratch_store_b128 off, v[136:139], off offset:240
	s_clause 0x1
	global_load_b64 v[132:133], v100, s[6:7] scale_offset
	global_load_b64 v[134:135], v102, s[6:7] scale_offset
	v_add_nc_u32_e32 v118, s9, v116
	s_wait_loadcnt 0x10
	scratch_store_b128 off, v[140:143], off offset:256
	s_wait_loadcnt 0xe
	scratch_store_b128 off, v[144:147], off offset:272
	s_wait_loadcnt 0xc
	scratch_store_b128 off, v[148:151], off offset:288
	s_wait_loadcnt 0xa
	scratch_store_b128 off, v[152:155], off offset:304
	s_wait_loadcnt 0x8
	scratch_store_b128 off, v[120:123], off offset:320
	s_wait_xcnt 0x0
	v_add_nc_u32_e32 v120, s9, v118
	s_clause 0x1
	global_load_b64 v[136:137], v104, s[6:7] scale_offset
	global_load_b64 v[138:139], v106, s[6:7] scale_offset
	s_wait_loadcnt 0x8
	scratch_store_b128 off, v[156:159], off offset:336
	s_wait_loadcnt 0x6
	scratch_store_b128 off, v[124:127], off offset:352
	;; [unrolled: 2-line block ×3, first 2 shown]
	s_clause 0x3
	global_load_b64 v[122:123], v108, s[6:7] scale_offset
	global_load_b64 v[124:125], v110, s[6:7] scale_offset
	;; [unrolled: 1-line block ×4, first 2 shown]
	s_wait_loadcnt 0x6
	scratch_store_b128 off, v[132:135], off offset:384
	s_clause 0x2
	global_load_b64 v[130:131], v116, s[6:7] scale_offset
	global_load_b64 v[132:133], v118, s[6:7] scale_offset
	;; [unrolled: 1-line block ×3, first 2 shown]
	s_wait_loadcnt 0x7
	scratch_store_b128 off, v[136:139], off offset:400
	s_wait_loadcnt 0x5
	scratch_store_b128 off, v[122:125], off offset:416
	s_wait_loadcnt 0x3
	scratch_store_b128 off, v[126:129], off offset:432
	s_wait_loadcnt 0x1
	scratch_store_b128 off, v[130:133], off offset:448
	s_wait_loadcnt 0x0
	scratch_store_b64 off, v[134:135], off offset:464
	s_cbranch_vccz .LBB58_7
; %bb.2:
	scratch_load_b64 v[122:123], v0, off scale_offset
                                        ; implicit-def: $vgpr127
                                        ; implicit-def: $vgpr124
	s_wait_loadcnt 0x0
	v_cmp_ngt_f32_e64 s0, |v122|, |v123|
	s_wait_xcnt 0x0
	s_and_saveexec_b32 s1, s0
	s_delay_alu instid0(SALU_CYCLE_1)
	s_xor_b32 s0, exec_lo, s1
	s_cbranch_execz .LBB58_4
; %bb.3:
	v_div_scale_f32 v1, null, v123, v123, v122
	v_div_scale_f32 v9, vcc_lo, v122, v123, v122
	s_delay_alu instid0(VALU_DEP_2) | instskip(SKIP_1) | instid1(TRANS32_DEP_1)
	v_rcp_f32_e32 v3, v1
	v_nop
	v_fma_f32 v5, -v1, v3, 1.0
	s_delay_alu instid0(VALU_DEP_1) | instskip(NEXT) | instid1(VALU_DEP_1)
	v_fmac_f32_e32 v3, v5, v3
	v_mul_f32_e32 v5, v9, v3
	s_delay_alu instid0(VALU_DEP_1) | instskip(NEXT) | instid1(VALU_DEP_1)
	v_fma_f32 v11, -v1, v5, v9
	v_fmac_f32_e32 v5, v11, v3
	s_delay_alu instid0(VALU_DEP_1) | instskip(NEXT) | instid1(VALU_DEP_1)
	v_fma_f32 v1, -v1, v5, v9
	v_div_fmas_f32 v1, v1, v3, v5
	s_delay_alu instid0(VALU_DEP_1) | instskip(NEXT) | instid1(VALU_DEP_1)
	v_div_fixup_f32 v1, v1, v123, v122
	v_fmac_f32_e32 v123, v122, v1
	s_delay_alu instid0(VALU_DEP_1) | instskip(NEXT) | instid1(VALU_DEP_1)
	v_div_scale_f32 v3, null, v123, v123, -1.0
	v_rcp_f32_e32 v5, v3
	v_nop
	s_delay_alu instid0(TRANS32_DEP_1) | instskip(NEXT) | instid1(VALU_DEP_1)
	v_fma_f32 v9, -v3, v5, 1.0
	v_fmac_f32_e32 v5, v9, v5
	v_div_scale_f32 v9, vcc_lo, -1.0, v123, -1.0
	s_delay_alu instid0(VALU_DEP_1) | instskip(NEXT) | instid1(VALU_DEP_1)
	v_mul_f32_e32 v11, v9, v5
	v_fma_f32 v15, -v3, v11, v9
	s_delay_alu instid0(VALU_DEP_1) | instskip(NEXT) | instid1(VALU_DEP_1)
	v_fmac_f32_e32 v11, v15, v5
	v_fma_f32 v3, -v3, v11, v9
	s_delay_alu instid0(VALU_DEP_1) | instskip(NEXT) | instid1(VALU_DEP_1)
	v_div_fmas_f32 v3, v3, v5, v11
	v_div_fixup_f32 v127, v3, v123, -1.0
                                        ; implicit-def: $vgpr122_vgpr123
	s_delay_alu instid0(VALU_DEP_1) | instskip(NEXT) | instid1(VALU_DEP_1)
	v_mul_f32_e32 v124, v1, v127
	v_xor_b32_e32 v126, 0x80000000, v124
.LBB58_4:
	s_or_saveexec_b32 s0, s0
	v_lshl_add_u32 v1, v0, 3, 0
	s_xor_b32 exec_lo, exec_lo, s0
	s_cbranch_execz .LBB58_6
; %bb.5:
	v_div_scale_f32 v3, null, v122, v122, v123
	v_div_scale_f32 v11, vcc_lo, v123, v122, v123
	s_delay_alu instid0(VALU_DEP_2) | instskip(SKIP_1) | instid1(TRANS32_DEP_1)
	v_rcp_f32_e32 v5, v3
	v_nop
	v_fma_f32 v9, -v3, v5, 1.0
	s_delay_alu instid0(VALU_DEP_1) | instskip(NEXT) | instid1(VALU_DEP_1)
	v_fmac_f32_e32 v5, v9, v5
	v_mul_f32_e32 v9, v11, v5
	s_delay_alu instid0(VALU_DEP_1) | instskip(NEXT) | instid1(VALU_DEP_1)
	v_fma_f32 v15, -v3, v9, v11
	v_fmac_f32_e32 v9, v15, v5
	s_delay_alu instid0(VALU_DEP_1) | instskip(NEXT) | instid1(VALU_DEP_1)
	v_fma_f32 v3, -v3, v9, v11
	v_div_fmas_f32 v3, v3, v5, v9
	s_delay_alu instid0(VALU_DEP_1) | instskip(NEXT) | instid1(VALU_DEP_1)
	v_div_fixup_f32 v3, v3, v122, v123
	v_fmac_f32_e32 v122, v123, v3
	s_delay_alu instid0(VALU_DEP_1) | instskip(SKIP_1) | instid1(VALU_DEP_2)
	v_div_scale_f32 v5, null, v122, v122, 1.0
	v_div_scale_f32 v15, vcc_lo, 1.0, v122, 1.0
	v_rcp_f32_e32 v9, v5
	v_nop
	s_delay_alu instid0(TRANS32_DEP_1) | instskip(NEXT) | instid1(VALU_DEP_1)
	v_fma_f32 v11, -v5, v9, 1.0
	v_fmac_f32_e32 v9, v11, v9
	s_delay_alu instid0(VALU_DEP_1) | instskip(NEXT) | instid1(VALU_DEP_1)
	v_mul_f32_e32 v11, v15, v9
	v_fma_f32 v17, -v5, v11, v15
	s_delay_alu instid0(VALU_DEP_1) | instskip(NEXT) | instid1(VALU_DEP_1)
	v_fmac_f32_e32 v11, v17, v9
	v_fma_f32 v5, -v5, v11, v15
	s_delay_alu instid0(VALU_DEP_1) | instskip(NEXT) | instid1(VALU_DEP_1)
	v_div_fmas_f32 v5, v5, v9, v11
	v_div_fixup_f32 v126, v5, v122, 1.0
	s_delay_alu instid0(VALU_DEP_1)
	v_xor_b32_e32 v124, 0x80000000, v126
	v_mul_f32_e64 v127, v3, -v126
.LBB58_6:
	s_or_b32 exec_lo, exec_lo, s0
	s_delay_alu instid0(VALU_DEP_1)
	v_xor_b32_e32 v125, 0x80000000, v127
	s_mov_b32 s0, 0
	scratch_store_b64 v1, v[126:127], off
	ds_store_b64 v58, v[124:125]
.LBB58_7:
	s_and_b32 vcc_lo, exec_lo, s0
	s_cbranch_vccz .LBB58_9
; %bb.8:
	s_mov_b64 s[0:1], 0xbf800000
	s_wait_xcnt 0x3
	v_mov_b64_e32 v[122:123], s[0:1]
	ds_store_b64 v58, v[122:123]
.LBB58_9:
	v_dual_ashrrev_i32 v3, 31, v2 :: v_dual_ashrrev_i32 v5, 31, v4
	v_dual_ashrrev_i32 v9, 31, v8 :: v_dual_ashrrev_i32 v11, 31, v10
	;; [unrolled: 1-line block ×28, first 2 shown]
	v_dual_ashrrev_i32 v121, 31, v120 :: v_dual_mov_b32 v59, v58
	s_wait_xcnt 0x0
	v_add_nc_u32_e32 v1, 0x1e0, v58
	s_cmp_eq_u32 s4, 0x79
	s_cbranch_scc1 .LBB58_13
; %bb.10:
	scratch_load_b64 v[122:123], off, off offset:456
	v_cmp_eq_u32_e64 s0, 58, v0
	s_movk_i32 s1, 0x50
	s_movk_i32 s2, 0x60
	;; [unrolled: 1-line block ×24, first 2 shown]
	s_wait_loadcnt 0x0
	ds_store_b64 v1, v[122:123]
	s_wait_storecnt_dscnt 0x0
	s_barrier_signal -1
	s_barrier_wait -1
	s_wait_xcnt 0x0
	s_and_saveexec_b32 s4, s0
	s_cbranch_execz .LBB58_17
; %bb.11:
	s_and_b32 vcc_lo, exec_lo, s3
	s_cbranch_vccz .LBB58_14
; %bb.12:
	scratch_load_b64 v[122:123], v59, off
	ds_load_b64 v[124:125], v1
	s_wait_loadcnt_dscnt 0x0
	v_pk_mul_f32 v[126:127], v[124:125], v[122:123] op_sel:[1,1] op_sel_hi:[0,1]
	v_pk_mul_f32 v[128:129], v[124:125], v[122:123] op_sel_hi:[1,0]
	s_delay_alu instid0(VALU_DEP_2) | instskip(NEXT) | instid1(VALU_DEP_2)
	v_pk_fma_f32 v[122:123], v[124:125], v[122:123], v[126:127] op_sel_hi:[1,0,1]
	v_sub_f32_e32 v122, v128, v126
	s_cbranch_execz .LBB58_15
	s_branch .LBB58_16
.LBB58_13:
	s_mov_b32 s1, 0
                                        ; implicit-def: $vgpr166
                                        ; implicit-def: $sgpr4
	s_cbranch_execnz .LBB58_586
	s_branch .LBB58_1161
.LBB58_14:
                                        ; implicit-def: $vgpr123
.LBB58_15:
	ds_load_b64 v[122:123], v1
.LBB58_16:
	s_wait_dscnt 0x0
	v_dual_mov_b32 v124, 0 :: v_dual_mov_b32 v126, v123
	v_mov_b32_e32 v127, v122
	ds_load_b64 v[124:125], v124 offset:456
	s_wait_dscnt 0x0
	v_pk_mul_f32 v[126:127], v[126:127], v[124:125] op_sel:[0,1]
	s_delay_alu instid0(VALU_DEP_1) | instskip(SKIP_1) | instid1(VALU_DEP_2)
	v_pk_fma_f32 v[128:129], v[122:123], v[124:125], v[126:127] op_sel_hi:[1,0,1]
	v_pk_fma_f32 v[122:123], v[122:123], v[124:125], v[126:127] neg_lo:[0,0,1] neg_hi:[0,0,1]
	v_mov_b32_e32 v123, v129
	scratch_store_b64 off, v[122:123], off offset:456
.LBB58_17:
	s_wait_xcnt 0x0
	s_or_b32 exec_lo, exec_lo, s4
	scratch_load_b64 v[122:123], off, off offset:448
	s_mov_b32 s11, s2
	v_cmp_lt_u32_e64 s2, 56, v0
	s_mov_b32 s4, 16
	s_mov_b32 s5, 32
	;; [unrolled: 1-line block ×5, first 2 shown]
	s_wait_loadcnt 0x0
	ds_store_b64 v1, v[122:123]
	s_wait_storecnt_dscnt 0x0
	s_barrier_signal -1
	s_barrier_wait -1
	s_wait_xcnt 0x0
	s_and_saveexec_b32 s1, s2
	s_cbranch_execz .LBB58_25
; %bb.18:
	s_and_not1_b32 vcc_lo, exec_lo, s3
	s_cbranch_vccnz .LBB58_20
; %bb.19:
	scratch_load_b64 v[122:123], v59, off
	ds_load_b64 v[124:125], v1
	s_wait_loadcnt_dscnt 0x0
	v_pk_mul_f32 v[126:127], v[124:125], v[122:123] op_sel:[1,1] op_sel_hi:[0,1]
	s_delay_alu instid0(VALU_DEP_1) | instskip(SKIP_1) | instid1(VALU_DEP_2)
	v_pk_fma_f32 v[128:129], v[124:125], v[122:123], v[126:127] op_sel_hi:[1,0,1]
	v_pk_fma_f32 v[122:123], v[124:125], v[122:123], v[126:127] neg_lo:[0,0,1] neg_hi:[0,0,1]
	v_mov_b32_e32 v123, v129
	s_cbranch_execz .LBB58_21
	s_branch .LBB58_22
.LBB58_20:
                                        ; implicit-def: $vgpr122_vgpr123
.LBB58_21:
	ds_load_b64 v[122:123], v1
.LBB58_22:
	s_and_saveexec_b32 s35, s0
	s_cbranch_execz .LBB58_24
; %bb.23:
	scratch_load_b64 v[124:125], off, off offset:456
	v_mov_b32_e32 v126, 0
	ds_load_b64 v[126:127], v126 offset:936
	s_wait_loadcnt_dscnt 0x0
	v_pk_mul_f32 v[128:129], v[126:127], v[124:125] op_sel:[1,1] op_sel_hi:[0,1]
	s_delay_alu instid0(VALU_DEP_1) | instskip(SKIP_1) | instid1(VALU_DEP_2)
	v_pk_fma_f32 v[130:131], v[126:127], v[124:125], v[128:129] op_sel_hi:[1,0,1]
	v_pk_fma_f32 v[124:125], v[126:127], v[124:125], v[128:129] neg_lo:[0,0,1] neg_hi:[0,0,1]
	v_mov_b32_e32 v125, v131
	s_delay_alu instid0(VALU_DEP_1)
	v_pk_add_f32 v[122:123], v[122:123], v[124:125]
.LBB58_24:
	s_or_b32 exec_lo, exec_lo, s35
	v_mov_b32_e32 v124, 0
	ds_load_b64 v[124:125], v124 offset:448
	s_wait_dscnt 0x0
	v_pk_mul_f32 v[126:127], v[122:123], v[124:125] op_sel:[1,1] op_sel_hi:[0,1]
	s_delay_alu instid0(VALU_DEP_1) | instskip(SKIP_1) | instid1(VALU_DEP_2)
	v_pk_fma_f32 v[128:129], v[122:123], v[124:125], v[126:127] op_sel_hi:[1,0,1]
	v_pk_fma_f32 v[122:123], v[122:123], v[124:125], v[126:127] neg_lo:[0,0,1] neg_hi:[0,0,1]
	v_mov_b32_e32 v123, v129
	scratch_store_b64 off, v[122:123], off offset:448
.LBB58_25:
	s_wait_xcnt 0x0
	s_or_b32 exec_lo, exec_lo, s1
	scratch_load_b64 v[122:123], off, off offset:440
	v_cmp_lt_u32_e64 s1, 55, v0
	s_wait_loadcnt 0x0
	ds_store_b64 v1, v[122:123]
	s_wait_storecnt_dscnt 0x0
	s_barrier_signal -1
	s_barrier_wait -1
	s_wait_xcnt 0x0
	s_and_saveexec_b32 s0, s1
	s_cbranch_execz .LBB58_35
; %bb.26:
	s_and_not1_b32 vcc_lo, exec_lo, s3
	s_cbranch_vccnz .LBB58_28
; %bb.27:
	scratch_load_b64 v[122:123], v59, off
	ds_load_b64 v[124:125], v1
	s_wait_loadcnt_dscnt 0x0
	v_pk_mul_f32 v[126:127], v[124:125], v[122:123] op_sel:[1,1] op_sel_hi:[0,1]
	s_delay_alu instid0(VALU_DEP_1) | instskip(SKIP_1) | instid1(VALU_DEP_2)
	v_pk_fma_f32 v[128:129], v[124:125], v[122:123], v[126:127] op_sel_hi:[1,0,1]
	v_pk_fma_f32 v[122:123], v[124:125], v[122:123], v[126:127] neg_lo:[0,0,1] neg_hi:[0,0,1]
	v_mov_b32_e32 v123, v129
	s_cbranch_execz .LBB58_29
	s_branch .LBB58_30
.LBB58_28:
                                        ; implicit-def: $vgpr122_vgpr123
.LBB58_29:
	ds_load_b64 v[122:123], v1
.LBB58_30:
	s_and_saveexec_b32 s35, s2
	s_cbranch_execz .LBB58_34
; %bb.31:
	v_subrev_nc_u32_e32 v124, 56, v0
	s_movk_i32 s36, 0x3a0
	s_mov_b32 s2, 0
.LBB58_32:                              ; =>This Inner Loop Header: Depth=1
	scratch_load_b64 v[126:127], off, s34
	v_dual_mov_b32 v125, s36 :: v_dual_add_nc_u32 v124, -1, v124
	s_add_co_i32 s36, s36, 8
	s_wait_xcnt 0x0
	s_add_co_i32 s34, s34, 8
	ds_load_b64 v[128:129], v125
	v_cmp_eq_u32_e32 vcc_lo, 0, v124
	s_or_b32 s2, vcc_lo, s2
	s_wait_loadcnt_dscnt 0x0
	v_pk_mul_f32 v[130:131], v[128:129], v[126:127] op_sel:[1,1] op_sel_hi:[0,1]
	s_delay_alu instid0(VALU_DEP_1) | instskip(SKIP_1) | instid1(VALU_DEP_2)
	v_pk_fma_f32 v[132:133], v[128:129], v[126:127], v[130:131] op_sel_hi:[1,0,1]
	v_pk_fma_f32 v[126:127], v[128:129], v[126:127], v[130:131] neg_lo:[0,0,1] neg_hi:[0,0,1]
	v_mov_b32_e32 v127, v133
	s_delay_alu instid0(VALU_DEP_1)
	v_pk_add_f32 v[122:123], v[122:123], v[126:127]
	s_and_not1_b32 exec_lo, exec_lo, s2
	s_cbranch_execnz .LBB58_32
; %bb.33:
	s_or_b32 exec_lo, exec_lo, s2
.LBB58_34:
	s_delay_alu instid0(SALU_CYCLE_1) | instskip(SKIP_4) | instid1(VALU_DEP_1)
	s_or_b32 exec_lo, exec_lo, s35
	v_mov_b32_e32 v124, 0
	ds_load_b64 v[124:125], v124 offset:440
	s_wait_dscnt 0x0
	v_pk_mul_f32 v[126:127], v[122:123], v[124:125] op_sel:[1,1] op_sel_hi:[0,1]
	v_pk_fma_f32 v[128:129], v[122:123], v[124:125], v[126:127] op_sel_hi:[1,0,1]
	v_pk_fma_f32 v[122:123], v[122:123], v[124:125], v[126:127] neg_lo:[0,0,1] neg_hi:[0,0,1]
	s_delay_alu instid0(VALU_DEP_2)
	v_mov_b32_e32 v123, v129
	scratch_store_b64 off, v[122:123], off offset:440
.LBB58_35:
	s_wait_xcnt 0x0
	s_or_b32 exec_lo, exec_lo, s0
	scratch_load_b64 v[122:123], off, off offset:432
	v_cmp_lt_u32_e64 s0, 54, v0
	s_wait_loadcnt 0x0
	ds_store_b64 v1, v[122:123]
	s_wait_storecnt_dscnt 0x0
	s_barrier_signal -1
	s_barrier_wait -1
	s_wait_xcnt 0x0
	s_and_saveexec_b32 s2, s0
	s_cbranch_execz .LBB58_45
; %bb.36:
	s_and_not1_b32 vcc_lo, exec_lo, s3
	s_cbranch_vccnz .LBB58_38
; %bb.37:
	scratch_load_b64 v[122:123], v59, off
	ds_load_b64 v[124:125], v1
	s_wait_loadcnt_dscnt 0x0
	v_pk_mul_f32 v[126:127], v[124:125], v[122:123] op_sel:[1,1] op_sel_hi:[0,1]
	s_delay_alu instid0(VALU_DEP_1) | instskip(SKIP_1) | instid1(VALU_DEP_2)
	v_pk_fma_f32 v[128:129], v[124:125], v[122:123], v[126:127] op_sel_hi:[1,0,1]
	v_pk_fma_f32 v[122:123], v[124:125], v[122:123], v[126:127] neg_lo:[0,0,1] neg_hi:[0,0,1]
	v_mov_b32_e32 v123, v129
	s_cbranch_execz .LBB58_39
	s_branch .LBB58_40
.LBB58_38:
                                        ; implicit-def: $vgpr122_vgpr123
.LBB58_39:
	ds_load_b64 v[122:123], v1
.LBB58_40:
	s_and_saveexec_b32 s34, s1
	s_cbranch_execz .LBB58_44
; %bb.41:
	v_subrev_nc_u32_e32 v124, 55, v0
	s_movk_i32 s1, 0x1b8
	s_movk_i32 s36, 0x398
	s_mov_b32 s35, 0
.LBB58_42:                              ; =>This Inner Loop Header: Depth=1
	scratch_load_b64 v[126:127], off, s1
	v_dual_mov_b32 v125, s36 :: v_dual_add_nc_u32 v124, -1, v124
	s_add_co_i32 s36, s36, 8
	s_wait_xcnt 0x0
	s_add_co_i32 s1, s1, 8
	ds_load_b64 v[128:129], v125
	v_cmp_eq_u32_e32 vcc_lo, 0, v124
	s_or_b32 s35, vcc_lo, s35
	s_wait_loadcnt_dscnt 0x0
	v_pk_mul_f32 v[130:131], v[128:129], v[126:127] op_sel:[1,1] op_sel_hi:[0,1]
	s_delay_alu instid0(VALU_DEP_1) | instskip(SKIP_1) | instid1(VALU_DEP_2)
	v_pk_fma_f32 v[132:133], v[128:129], v[126:127], v[130:131] op_sel_hi:[1,0,1]
	v_pk_fma_f32 v[126:127], v[128:129], v[126:127], v[130:131] neg_lo:[0,0,1] neg_hi:[0,0,1]
	v_mov_b32_e32 v127, v133
	s_delay_alu instid0(VALU_DEP_1)
	v_pk_add_f32 v[122:123], v[122:123], v[126:127]
	s_and_not1_b32 exec_lo, exec_lo, s35
	s_cbranch_execnz .LBB58_42
; %bb.43:
	s_or_b32 exec_lo, exec_lo, s35
.LBB58_44:
	s_delay_alu instid0(SALU_CYCLE_1) | instskip(SKIP_4) | instid1(VALU_DEP_1)
	s_or_b32 exec_lo, exec_lo, s34
	v_mov_b32_e32 v124, 0
	ds_load_b64 v[124:125], v124 offset:432
	s_wait_dscnt 0x0
	v_pk_mul_f32 v[126:127], v[122:123], v[124:125] op_sel:[1,1] op_sel_hi:[0,1]
	v_pk_fma_f32 v[128:129], v[122:123], v[124:125], v[126:127] op_sel_hi:[1,0,1]
	v_pk_fma_f32 v[122:123], v[122:123], v[124:125], v[126:127] neg_lo:[0,0,1] neg_hi:[0,0,1]
	s_delay_alu instid0(VALU_DEP_2)
	v_mov_b32_e32 v123, v129
	scratch_store_b64 off, v[122:123], off offset:432
.LBB58_45:
	s_wait_xcnt 0x0
	s_or_b32 exec_lo, exec_lo, s2
	scratch_load_b64 v[122:123], off, off offset:424
	v_cmp_lt_u32_e64 s1, 53, v0
	s_wait_loadcnt 0x0
	ds_store_b64 v1, v[122:123]
	s_wait_storecnt_dscnt 0x0
	s_barrier_signal -1
	s_barrier_wait -1
	s_wait_xcnt 0x0
	s_and_saveexec_b32 s2, s1
	s_cbranch_execz .LBB58_55
; %bb.46:
	s_and_not1_b32 vcc_lo, exec_lo, s3
	s_cbranch_vccnz .LBB58_48
; %bb.47:
	scratch_load_b64 v[122:123], v59, off
	ds_load_b64 v[124:125], v1
	s_wait_loadcnt_dscnt 0x0
	v_pk_mul_f32 v[126:127], v[124:125], v[122:123] op_sel:[1,1] op_sel_hi:[0,1]
	s_delay_alu instid0(VALU_DEP_1) | instskip(SKIP_1) | instid1(VALU_DEP_2)
	v_pk_fma_f32 v[128:129], v[124:125], v[122:123], v[126:127] op_sel_hi:[1,0,1]
	v_pk_fma_f32 v[122:123], v[124:125], v[122:123], v[126:127] neg_lo:[0,0,1] neg_hi:[0,0,1]
	v_mov_b32_e32 v123, v129
	s_cbranch_execz .LBB58_49
	s_branch .LBB58_50
.LBB58_48:
                                        ; implicit-def: $vgpr122_vgpr123
.LBB58_49:
	ds_load_b64 v[122:123], v1
.LBB58_50:
	s_and_saveexec_b32 s34, s0
	s_cbranch_execz .LBB58_54
; %bb.51:
	v_subrev_nc_u32_e32 v124, 54, v0
	s_movk_i32 s35, 0x390
	s_mov_b32 s0, 0
.LBB58_52:                              ; =>This Inner Loop Header: Depth=1
	scratch_load_b64 v[126:127], off, s33
	v_dual_mov_b32 v125, s35 :: v_dual_add_nc_u32 v124, -1, v124
	s_add_co_i32 s35, s35, 8
	s_wait_xcnt 0x0
	s_add_co_i32 s33, s33, 8
	ds_load_b64 v[128:129], v125
	v_cmp_eq_u32_e32 vcc_lo, 0, v124
	s_or_b32 s0, vcc_lo, s0
	s_wait_loadcnt_dscnt 0x0
	v_pk_mul_f32 v[130:131], v[128:129], v[126:127] op_sel:[1,1] op_sel_hi:[0,1]
	s_delay_alu instid0(VALU_DEP_1) | instskip(SKIP_1) | instid1(VALU_DEP_2)
	v_pk_fma_f32 v[132:133], v[128:129], v[126:127], v[130:131] op_sel_hi:[1,0,1]
	v_pk_fma_f32 v[126:127], v[128:129], v[126:127], v[130:131] neg_lo:[0,0,1] neg_hi:[0,0,1]
	v_mov_b32_e32 v127, v133
	s_delay_alu instid0(VALU_DEP_1)
	v_pk_add_f32 v[122:123], v[122:123], v[126:127]
	s_and_not1_b32 exec_lo, exec_lo, s0
	s_cbranch_execnz .LBB58_52
; %bb.53:
	s_or_b32 exec_lo, exec_lo, s0
.LBB58_54:
	s_delay_alu instid0(SALU_CYCLE_1) | instskip(SKIP_4) | instid1(VALU_DEP_1)
	s_or_b32 exec_lo, exec_lo, s34
	v_mov_b32_e32 v124, 0
	ds_load_b64 v[124:125], v124 offset:424
	s_wait_dscnt 0x0
	v_pk_mul_f32 v[126:127], v[122:123], v[124:125] op_sel:[1,1] op_sel_hi:[0,1]
	v_pk_fma_f32 v[128:129], v[122:123], v[124:125], v[126:127] op_sel_hi:[1,0,1]
	v_pk_fma_f32 v[122:123], v[122:123], v[124:125], v[126:127] neg_lo:[0,0,1] neg_hi:[0,0,1]
	s_delay_alu instid0(VALU_DEP_2)
	v_mov_b32_e32 v123, v129
	scratch_store_b64 off, v[122:123], off offset:424
.LBB58_55:
	s_wait_xcnt 0x0
	s_or_b32 exec_lo, exec_lo, s2
	scratch_load_b64 v[122:123], off, off offset:416
	v_cmp_lt_u32_e64 s0, 52, v0
	s_wait_loadcnt 0x0
	ds_store_b64 v1, v[122:123]
	s_wait_storecnt_dscnt 0x0
	s_barrier_signal -1
	s_barrier_wait -1
	s_wait_xcnt 0x0
	s_and_saveexec_b32 s2, s0
	s_cbranch_execz .LBB58_65
; %bb.56:
	s_and_not1_b32 vcc_lo, exec_lo, s3
	s_cbranch_vccnz .LBB58_58
; %bb.57:
	scratch_load_b64 v[122:123], v59, off
	ds_load_b64 v[124:125], v1
	s_wait_loadcnt_dscnt 0x0
	v_pk_mul_f32 v[126:127], v[124:125], v[122:123] op_sel:[1,1] op_sel_hi:[0,1]
	s_delay_alu instid0(VALU_DEP_1) | instskip(SKIP_1) | instid1(VALU_DEP_2)
	v_pk_fma_f32 v[128:129], v[124:125], v[122:123], v[126:127] op_sel_hi:[1,0,1]
	v_pk_fma_f32 v[122:123], v[124:125], v[122:123], v[126:127] neg_lo:[0,0,1] neg_hi:[0,0,1]
	v_mov_b32_e32 v123, v129
	s_cbranch_execz .LBB58_59
	s_branch .LBB58_60
.LBB58_58:
                                        ; implicit-def: $vgpr122_vgpr123
.LBB58_59:
	ds_load_b64 v[122:123], v1
.LBB58_60:
	s_and_saveexec_b32 s33, s1
	s_cbranch_execz .LBB58_64
; %bb.61:
	v_subrev_nc_u32_e32 v124, 53, v0
	s_movk_i32 s1, 0x1a8
	s_movk_i32 s35, 0x388
	s_mov_b32 s34, 0
.LBB58_62:                              ; =>This Inner Loop Header: Depth=1
	scratch_load_b64 v[126:127], off, s1
	v_dual_mov_b32 v125, s35 :: v_dual_add_nc_u32 v124, -1, v124
	s_add_co_i32 s35, s35, 8
	s_wait_xcnt 0x0
	s_add_co_i32 s1, s1, 8
	ds_load_b64 v[128:129], v125
	v_cmp_eq_u32_e32 vcc_lo, 0, v124
	s_or_b32 s34, vcc_lo, s34
	s_wait_loadcnt_dscnt 0x0
	v_pk_mul_f32 v[130:131], v[128:129], v[126:127] op_sel:[1,1] op_sel_hi:[0,1]
	s_delay_alu instid0(VALU_DEP_1) | instskip(SKIP_1) | instid1(VALU_DEP_2)
	v_pk_fma_f32 v[132:133], v[128:129], v[126:127], v[130:131] op_sel_hi:[1,0,1]
	v_pk_fma_f32 v[126:127], v[128:129], v[126:127], v[130:131] neg_lo:[0,0,1] neg_hi:[0,0,1]
	v_mov_b32_e32 v127, v133
	s_delay_alu instid0(VALU_DEP_1)
	v_pk_add_f32 v[122:123], v[122:123], v[126:127]
	s_and_not1_b32 exec_lo, exec_lo, s34
	s_cbranch_execnz .LBB58_62
; %bb.63:
	s_or_b32 exec_lo, exec_lo, s34
.LBB58_64:
	s_delay_alu instid0(SALU_CYCLE_1) | instskip(SKIP_4) | instid1(VALU_DEP_1)
	s_or_b32 exec_lo, exec_lo, s33
	v_mov_b32_e32 v124, 0
	ds_load_b64 v[124:125], v124 offset:416
	s_wait_dscnt 0x0
	v_pk_mul_f32 v[126:127], v[122:123], v[124:125] op_sel:[1,1] op_sel_hi:[0,1]
	v_pk_fma_f32 v[128:129], v[122:123], v[124:125], v[126:127] op_sel_hi:[1,0,1]
	v_pk_fma_f32 v[122:123], v[122:123], v[124:125], v[126:127] neg_lo:[0,0,1] neg_hi:[0,0,1]
	s_delay_alu instid0(VALU_DEP_2)
	v_mov_b32_e32 v123, v129
	scratch_store_b64 off, v[122:123], off offset:416
.LBB58_65:
	s_wait_xcnt 0x0
	s_or_b32 exec_lo, exec_lo, s2
	scratch_load_b64 v[122:123], off, off offset:408
	v_cmp_lt_u32_e64 s1, 51, v0
	s_wait_loadcnt 0x0
	ds_store_b64 v1, v[122:123]
	s_wait_storecnt_dscnt 0x0
	s_barrier_signal -1
	s_barrier_wait -1
	s_wait_xcnt 0x0
	s_and_saveexec_b32 s2, s1
	s_cbranch_execz .LBB58_75
; %bb.66:
	s_and_not1_b32 vcc_lo, exec_lo, s3
	s_cbranch_vccnz .LBB58_68
; %bb.67:
	scratch_load_b64 v[122:123], v59, off
	ds_load_b64 v[124:125], v1
	s_wait_loadcnt_dscnt 0x0
	v_pk_mul_f32 v[126:127], v[124:125], v[122:123] op_sel:[1,1] op_sel_hi:[0,1]
	s_delay_alu instid0(VALU_DEP_1) | instskip(SKIP_1) | instid1(VALU_DEP_2)
	v_pk_fma_f32 v[128:129], v[124:125], v[122:123], v[126:127] op_sel_hi:[1,0,1]
	v_pk_fma_f32 v[122:123], v[124:125], v[122:123], v[126:127] neg_lo:[0,0,1] neg_hi:[0,0,1]
	v_mov_b32_e32 v123, v129
	s_cbranch_execz .LBB58_69
	s_branch .LBB58_70
.LBB58_68:
                                        ; implicit-def: $vgpr122_vgpr123
.LBB58_69:
	ds_load_b64 v[122:123], v1
.LBB58_70:
	s_and_saveexec_b32 s33, s0
	s_cbranch_execz .LBB58_74
; %bb.71:
	v_subrev_nc_u32_e32 v124, 52, v0
	s_movk_i32 s34, 0x380
	s_mov_b32 s0, 0
.LBB58_72:                              ; =>This Inner Loop Header: Depth=1
	scratch_load_b64 v[126:127], off, s31
	v_dual_mov_b32 v125, s34 :: v_dual_add_nc_u32 v124, -1, v124
	s_add_co_i32 s34, s34, 8
	s_wait_xcnt 0x0
	s_add_co_i32 s31, s31, 8
	ds_load_b64 v[128:129], v125
	v_cmp_eq_u32_e32 vcc_lo, 0, v124
	s_or_b32 s0, vcc_lo, s0
	s_wait_loadcnt_dscnt 0x0
	v_pk_mul_f32 v[130:131], v[128:129], v[126:127] op_sel:[1,1] op_sel_hi:[0,1]
	s_delay_alu instid0(VALU_DEP_1) | instskip(SKIP_1) | instid1(VALU_DEP_2)
	v_pk_fma_f32 v[132:133], v[128:129], v[126:127], v[130:131] op_sel_hi:[1,0,1]
	v_pk_fma_f32 v[126:127], v[128:129], v[126:127], v[130:131] neg_lo:[0,0,1] neg_hi:[0,0,1]
	v_mov_b32_e32 v127, v133
	s_delay_alu instid0(VALU_DEP_1)
	v_pk_add_f32 v[122:123], v[122:123], v[126:127]
	s_and_not1_b32 exec_lo, exec_lo, s0
	s_cbranch_execnz .LBB58_72
; %bb.73:
	s_or_b32 exec_lo, exec_lo, s0
.LBB58_74:
	s_delay_alu instid0(SALU_CYCLE_1) | instskip(SKIP_4) | instid1(VALU_DEP_1)
	s_or_b32 exec_lo, exec_lo, s33
	v_mov_b32_e32 v124, 0
	ds_load_b64 v[124:125], v124 offset:408
	s_wait_dscnt 0x0
	v_pk_mul_f32 v[126:127], v[122:123], v[124:125] op_sel:[1,1] op_sel_hi:[0,1]
	v_pk_fma_f32 v[128:129], v[122:123], v[124:125], v[126:127] op_sel_hi:[1,0,1]
	v_pk_fma_f32 v[122:123], v[122:123], v[124:125], v[126:127] neg_lo:[0,0,1] neg_hi:[0,0,1]
	s_delay_alu instid0(VALU_DEP_2)
	v_mov_b32_e32 v123, v129
	scratch_store_b64 off, v[122:123], off offset:408
.LBB58_75:
	s_wait_xcnt 0x0
	s_or_b32 exec_lo, exec_lo, s2
	scratch_load_b64 v[122:123], off, off offset:400
	v_cmp_lt_u32_e64 s0, 50, v0
	s_wait_loadcnt 0x0
	ds_store_b64 v1, v[122:123]
	s_wait_storecnt_dscnt 0x0
	s_barrier_signal -1
	s_barrier_wait -1
	s_wait_xcnt 0x0
	s_and_saveexec_b32 s2, s0
	s_cbranch_execz .LBB58_85
; %bb.76:
	s_and_not1_b32 vcc_lo, exec_lo, s3
	s_cbranch_vccnz .LBB58_78
; %bb.77:
	scratch_load_b64 v[122:123], v59, off
	ds_load_b64 v[124:125], v1
	s_wait_loadcnt_dscnt 0x0
	v_pk_mul_f32 v[126:127], v[124:125], v[122:123] op_sel:[1,1] op_sel_hi:[0,1]
	s_delay_alu instid0(VALU_DEP_1) | instskip(SKIP_1) | instid1(VALU_DEP_2)
	v_pk_fma_f32 v[128:129], v[124:125], v[122:123], v[126:127] op_sel_hi:[1,0,1]
	v_pk_fma_f32 v[122:123], v[124:125], v[122:123], v[126:127] neg_lo:[0,0,1] neg_hi:[0,0,1]
	v_mov_b32_e32 v123, v129
	s_cbranch_execz .LBB58_79
	s_branch .LBB58_80
.LBB58_78:
                                        ; implicit-def: $vgpr122_vgpr123
.LBB58_79:
	ds_load_b64 v[122:123], v1
.LBB58_80:
	s_and_saveexec_b32 s31, s1
	s_cbranch_execz .LBB58_84
; %bb.81:
	v_subrev_nc_u32_e32 v124, 51, v0
	s_movk_i32 s1, 0x198
	s_movk_i32 s34, 0x378
	s_mov_b32 s33, 0
.LBB58_82:                              ; =>This Inner Loop Header: Depth=1
	scratch_load_b64 v[126:127], off, s1
	v_dual_mov_b32 v125, s34 :: v_dual_add_nc_u32 v124, -1, v124
	s_add_co_i32 s34, s34, 8
	s_wait_xcnt 0x0
	s_add_co_i32 s1, s1, 8
	ds_load_b64 v[128:129], v125
	v_cmp_eq_u32_e32 vcc_lo, 0, v124
	s_or_b32 s33, vcc_lo, s33
	s_wait_loadcnt_dscnt 0x0
	v_pk_mul_f32 v[130:131], v[128:129], v[126:127] op_sel:[1,1] op_sel_hi:[0,1]
	s_delay_alu instid0(VALU_DEP_1) | instskip(SKIP_1) | instid1(VALU_DEP_2)
	v_pk_fma_f32 v[132:133], v[128:129], v[126:127], v[130:131] op_sel_hi:[1,0,1]
	v_pk_fma_f32 v[126:127], v[128:129], v[126:127], v[130:131] neg_lo:[0,0,1] neg_hi:[0,0,1]
	v_mov_b32_e32 v127, v133
	s_delay_alu instid0(VALU_DEP_1)
	v_pk_add_f32 v[122:123], v[122:123], v[126:127]
	s_and_not1_b32 exec_lo, exec_lo, s33
	s_cbranch_execnz .LBB58_82
; %bb.83:
	s_or_b32 exec_lo, exec_lo, s33
.LBB58_84:
	s_delay_alu instid0(SALU_CYCLE_1) | instskip(SKIP_4) | instid1(VALU_DEP_1)
	s_or_b32 exec_lo, exec_lo, s31
	v_mov_b32_e32 v124, 0
	ds_load_b64 v[124:125], v124 offset:400
	s_wait_dscnt 0x0
	v_pk_mul_f32 v[126:127], v[122:123], v[124:125] op_sel:[1,1] op_sel_hi:[0,1]
	v_pk_fma_f32 v[128:129], v[122:123], v[124:125], v[126:127] op_sel_hi:[1,0,1]
	v_pk_fma_f32 v[122:123], v[122:123], v[124:125], v[126:127] neg_lo:[0,0,1] neg_hi:[0,0,1]
	s_delay_alu instid0(VALU_DEP_2)
	v_mov_b32_e32 v123, v129
	scratch_store_b64 off, v[122:123], off offset:400
.LBB58_85:
	s_wait_xcnt 0x0
	s_or_b32 exec_lo, exec_lo, s2
	scratch_load_b64 v[122:123], off, off offset:392
	v_cmp_lt_u32_e64 s1, 49, v0
	s_wait_loadcnt 0x0
	ds_store_b64 v1, v[122:123]
	s_wait_storecnt_dscnt 0x0
	s_barrier_signal -1
	s_barrier_wait -1
	s_wait_xcnt 0x0
	s_and_saveexec_b32 s2, s1
	s_cbranch_execz .LBB58_95
; %bb.86:
	s_and_not1_b32 vcc_lo, exec_lo, s3
	s_cbranch_vccnz .LBB58_88
; %bb.87:
	scratch_load_b64 v[122:123], v59, off
	ds_load_b64 v[124:125], v1
	s_wait_loadcnt_dscnt 0x0
	v_pk_mul_f32 v[126:127], v[124:125], v[122:123] op_sel:[1,1] op_sel_hi:[0,1]
	s_delay_alu instid0(VALU_DEP_1) | instskip(SKIP_1) | instid1(VALU_DEP_2)
	v_pk_fma_f32 v[128:129], v[124:125], v[122:123], v[126:127] op_sel_hi:[1,0,1]
	v_pk_fma_f32 v[122:123], v[124:125], v[122:123], v[126:127] neg_lo:[0,0,1] neg_hi:[0,0,1]
	v_mov_b32_e32 v123, v129
	s_cbranch_execz .LBB58_89
	s_branch .LBB58_90
.LBB58_88:
                                        ; implicit-def: $vgpr122_vgpr123
.LBB58_89:
	ds_load_b64 v[122:123], v1
.LBB58_90:
	s_and_saveexec_b32 s31, s0
	s_cbranch_execz .LBB58_94
; %bb.91:
	v_subrev_nc_u32_e32 v124, 50, v0
	s_movk_i32 s33, 0x370
	s_mov_b32 s0, 0
.LBB58_92:                              ; =>This Inner Loop Header: Depth=1
	scratch_load_b64 v[126:127], off, s30
	v_dual_mov_b32 v125, s33 :: v_dual_add_nc_u32 v124, -1, v124
	s_add_co_i32 s33, s33, 8
	s_wait_xcnt 0x0
	s_add_co_i32 s30, s30, 8
	ds_load_b64 v[128:129], v125
	v_cmp_eq_u32_e32 vcc_lo, 0, v124
	s_or_b32 s0, vcc_lo, s0
	s_wait_loadcnt_dscnt 0x0
	v_pk_mul_f32 v[130:131], v[128:129], v[126:127] op_sel:[1,1] op_sel_hi:[0,1]
	s_delay_alu instid0(VALU_DEP_1) | instskip(SKIP_1) | instid1(VALU_DEP_2)
	v_pk_fma_f32 v[132:133], v[128:129], v[126:127], v[130:131] op_sel_hi:[1,0,1]
	v_pk_fma_f32 v[126:127], v[128:129], v[126:127], v[130:131] neg_lo:[0,0,1] neg_hi:[0,0,1]
	v_mov_b32_e32 v127, v133
	s_delay_alu instid0(VALU_DEP_1)
	v_pk_add_f32 v[122:123], v[122:123], v[126:127]
	s_and_not1_b32 exec_lo, exec_lo, s0
	s_cbranch_execnz .LBB58_92
; %bb.93:
	s_or_b32 exec_lo, exec_lo, s0
.LBB58_94:
	s_delay_alu instid0(SALU_CYCLE_1) | instskip(SKIP_4) | instid1(VALU_DEP_1)
	s_or_b32 exec_lo, exec_lo, s31
	v_mov_b32_e32 v124, 0
	ds_load_b64 v[124:125], v124 offset:392
	s_wait_dscnt 0x0
	v_pk_mul_f32 v[126:127], v[122:123], v[124:125] op_sel:[1,1] op_sel_hi:[0,1]
	v_pk_fma_f32 v[128:129], v[122:123], v[124:125], v[126:127] op_sel_hi:[1,0,1]
	v_pk_fma_f32 v[122:123], v[122:123], v[124:125], v[126:127] neg_lo:[0,0,1] neg_hi:[0,0,1]
	s_delay_alu instid0(VALU_DEP_2)
	v_mov_b32_e32 v123, v129
	scratch_store_b64 off, v[122:123], off offset:392
.LBB58_95:
	s_wait_xcnt 0x0
	s_or_b32 exec_lo, exec_lo, s2
	scratch_load_b64 v[122:123], off, off offset:384
	v_cmp_lt_u32_e64 s0, 48, v0
	s_wait_loadcnt 0x0
	ds_store_b64 v1, v[122:123]
	s_wait_storecnt_dscnt 0x0
	s_barrier_signal -1
	s_barrier_wait -1
	s_wait_xcnt 0x0
	s_and_saveexec_b32 s2, s0
	s_cbranch_execz .LBB58_105
; %bb.96:
	s_and_not1_b32 vcc_lo, exec_lo, s3
	s_cbranch_vccnz .LBB58_98
; %bb.97:
	scratch_load_b64 v[122:123], v59, off
	ds_load_b64 v[124:125], v1
	s_wait_loadcnt_dscnt 0x0
	v_pk_mul_f32 v[126:127], v[124:125], v[122:123] op_sel:[1,1] op_sel_hi:[0,1]
	s_delay_alu instid0(VALU_DEP_1) | instskip(SKIP_1) | instid1(VALU_DEP_2)
	v_pk_fma_f32 v[128:129], v[124:125], v[122:123], v[126:127] op_sel_hi:[1,0,1]
	v_pk_fma_f32 v[122:123], v[124:125], v[122:123], v[126:127] neg_lo:[0,0,1] neg_hi:[0,0,1]
	v_mov_b32_e32 v123, v129
	s_cbranch_execz .LBB58_99
	s_branch .LBB58_100
.LBB58_98:
                                        ; implicit-def: $vgpr122_vgpr123
.LBB58_99:
	ds_load_b64 v[122:123], v1
.LBB58_100:
	s_and_saveexec_b32 s30, s1
	s_cbranch_execz .LBB58_104
; %bb.101:
	v_subrev_nc_u32_e32 v124, 49, v0
	s_movk_i32 s1, 0x188
	s_movk_i32 s33, 0x368
	s_mov_b32 s31, 0
.LBB58_102:                             ; =>This Inner Loop Header: Depth=1
	scratch_load_b64 v[126:127], off, s1
	v_dual_mov_b32 v125, s33 :: v_dual_add_nc_u32 v124, -1, v124
	s_add_co_i32 s33, s33, 8
	s_wait_xcnt 0x0
	s_add_co_i32 s1, s1, 8
	ds_load_b64 v[128:129], v125
	v_cmp_eq_u32_e32 vcc_lo, 0, v124
	s_or_b32 s31, vcc_lo, s31
	s_wait_loadcnt_dscnt 0x0
	v_pk_mul_f32 v[130:131], v[128:129], v[126:127] op_sel:[1,1] op_sel_hi:[0,1]
	s_delay_alu instid0(VALU_DEP_1) | instskip(SKIP_1) | instid1(VALU_DEP_2)
	v_pk_fma_f32 v[132:133], v[128:129], v[126:127], v[130:131] op_sel_hi:[1,0,1]
	v_pk_fma_f32 v[126:127], v[128:129], v[126:127], v[130:131] neg_lo:[0,0,1] neg_hi:[0,0,1]
	v_mov_b32_e32 v127, v133
	s_delay_alu instid0(VALU_DEP_1)
	v_pk_add_f32 v[122:123], v[122:123], v[126:127]
	s_and_not1_b32 exec_lo, exec_lo, s31
	s_cbranch_execnz .LBB58_102
; %bb.103:
	s_or_b32 exec_lo, exec_lo, s31
.LBB58_104:
	s_delay_alu instid0(SALU_CYCLE_1) | instskip(SKIP_4) | instid1(VALU_DEP_1)
	s_or_b32 exec_lo, exec_lo, s30
	v_mov_b32_e32 v124, 0
	ds_load_b64 v[124:125], v124 offset:384
	s_wait_dscnt 0x0
	v_pk_mul_f32 v[126:127], v[122:123], v[124:125] op_sel:[1,1] op_sel_hi:[0,1]
	v_pk_fma_f32 v[128:129], v[122:123], v[124:125], v[126:127] op_sel_hi:[1,0,1]
	v_pk_fma_f32 v[122:123], v[122:123], v[124:125], v[126:127] neg_lo:[0,0,1] neg_hi:[0,0,1]
	s_delay_alu instid0(VALU_DEP_2)
	v_mov_b32_e32 v123, v129
	scratch_store_b64 off, v[122:123], off offset:384
.LBB58_105:
	s_wait_xcnt 0x0
	s_or_b32 exec_lo, exec_lo, s2
	scratch_load_b64 v[122:123], off, off offset:376
	v_cmp_lt_u32_e64 s1, 47, v0
	s_wait_loadcnt 0x0
	ds_store_b64 v1, v[122:123]
	s_wait_storecnt_dscnt 0x0
	s_barrier_signal -1
	s_barrier_wait -1
	s_wait_xcnt 0x0
	s_and_saveexec_b32 s2, s1
	s_cbranch_execz .LBB58_115
; %bb.106:
	s_and_not1_b32 vcc_lo, exec_lo, s3
	s_cbranch_vccnz .LBB58_108
; %bb.107:
	scratch_load_b64 v[122:123], v59, off
	ds_load_b64 v[124:125], v1
	s_wait_loadcnt_dscnt 0x0
	v_pk_mul_f32 v[126:127], v[124:125], v[122:123] op_sel:[1,1] op_sel_hi:[0,1]
	s_delay_alu instid0(VALU_DEP_1) | instskip(SKIP_1) | instid1(VALU_DEP_2)
	v_pk_fma_f32 v[128:129], v[124:125], v[122:123], v[126:127] op_sel_hi:[1,0,1]
	v_pk_fma_f32 v[122:123], v[124:125], v[122:123], v[126:127] neg_lo:[0,0,1] neg_hi:[0,0,1]
	v_mov_b32_e32 v123, v129
	s_cbranch_execz .LBB58_109
	s_branch .LBB58_110
.LBB58_108:
                                        ; implicit-def: $vgpr122_vgpr123
.LBB58_109:
	ds_load_b64 v[122:123], v1
.LBB58_110:
	s_and_saveexec_b32 s30, s0
	s_cbranch_execz .LBB58_114
; %bb.111:
	v_subrev_nc_u32_e32 v124, 48, v0
	s_movk_i32 s31, 0x360
	s_mov_b32 s0, 0
.LBB58_112:                             ; =>This Inner Loop Header: Depth=1
	scratch_load_b64 v[126:127], off, s29
	v_dual_mov_b32 v125, s31 :: v_dual_add_nc_u32 v124, -1, v124
	s_add_co_i32 s31, s31, 8
	s_wait_xcnt 0x0
	s_add_co_i32 s29, s29, 8
	ds_load_b64 v[128:129], v125
	v_cmp_eq_u32_e32 vcc_lo, 0, v124
	s_or_b32 s0, vcc_lo, s0
	s_wait_loadcnt_dscnt 0x0
	v_pk_mul_f32 v[130:131], v[128:129], v[126:127] op_sel:[1,1] op_sel_hi:[0,1]
	s_delay_alu instid0(VALU_DEP_1) | instskip(SKIP_1) | instid1(VALU_DEP_2)
	v_pk_fma_f32 v[132:133], v[128:129], v[126:127], v[130:131] op_sel_hi:[1,0,1]
	v_pk_fma_f32 v[126:127], v[128:129], v[126:127], v[130:131] neg_lo:[0,0,1] neg_hi:[0,0,1]
	v_mov_b32_e32 v127, v133
	s_delay_alu instid0(VALU_DEP_1)
	v_pk_add_f32 v[122:123], v[122:123], v[126:127]
	s_and_not1_b32 exec_lo, exec_lo, s0
	s_cbranch_execnz .LBB58_112
; %bb.113:
	s_or_b32 exec_lo, exec_lo, s0
.LBB58_114:
	s_delay_alu instid0(SALU_CYCLE_1) | instskip(SKIP_4) | instid1(VALU_DEP_1)
	s_or_b32 exec_lo, exec_lo, s30
	v_mov_b32_e32 v124, 0
	ds_load_b64 v[124:125], v124 offset:376
	s_wait_dscnt 0x0
	v_pk_mul_f32 v[126:127], v[122:123], v[124:125] op_sel:[1,1] op_sel_hi:[0,1]
	v_pk_fma_f32 v[128:129], v[122:123], v[124:125], v[126:127] op_sel_hi:[1,0,1]
	v_pk_fma_f32 v[122:123], v[122:123], v[124:125], v[126:127] neg_lo:[0,0,1] neg_hi:[0,0,1]
	s_delay_alu instid0(VALU_DEP_2)
	v_mov_b32_e32 v123, v129
	scratch_store_b64 off, v[122:123], off offset:376
.LBB58_115:
	s_wait_xcnt 0x0
	s_or_b32 exec_lo, exec_lo, s2
	scratch_load_b64 v[122:123], off, off offset:368
	v_cmp_lt_u32_e64 s0, 46, v0
	s_wait_loadcnt 0x0
	ds_store_b64 v1, v[122:123]
	s_wait_storecnt_dscnt 0x0
	s_barrier_signal -1
	s_barrier_wait -1
	s_wait_xcnt 0x0
	s_and_saveexec_b32 s2, s0
	s_cbranch_execz .LBB58_125
; %bb.116:
	s_and_not1_b32 vcc_lo, exec_lo, s3
	s_cbranch_vccnz .LBB58_118
; %bb.117:
	scratch_load_b64 v[122:123], v59, off
	ds_load_b64 v[124:125], v1
	s_wait_loadcnt_dscnt 0x0
	v_pk_mul_f32 v[126:127], v[124:125], v[122:123] op_sel:[1,1] op_sel_hi:[0,1]
	s_delay_alu instid0(VALU_DEP_1) | instskip(SKIP_1) | instid1(VALU_DEP_2)
	v_pk_fma_f32 v[128:129], v[124:125], v[122:123], v[126:127] op_sel_hi:[1,0,1]
	v_pk_fma_f32 v[122:123], v[124:125], v[122:123], v[126:127] neg_lo:[0,0,1] neg_hi:[0,0,1]
	v_mov_b32_e32 v123, v129
	s_cbranch_execz .LBB58_119
	s_branch .LBB58_120
.LBB58_118:
                                        ; implicit-def: $vgpr122_vgpr123
.LBB58_119:
	ds_load_b64 v[122:123], v1
.LBB58_120:
	s_and_saveexec_b32 s29, s1
	s_cbranch_execz .LBB58_124
; %bb.121:
	v_subrev_nc_u32_e32 v124, 47, v0
	s_movk_i32 s1, 0x178
	s_movk_i32 s31, 0x358
	s_mov_b32 s30, 0
.LBB58_122:                             ; =>This Inner Loop Header: Depth=1
	scratch_load_b64 v[126:127], off, s1
	v_dual_mov_b32 v125, s31 :: v_dual_add_nc_u32 v124, -1, v124
	s_add_co_i32 s31, s31, 8
	s_wait_xcnt 0x0
	s_add_co_i32 s1, s1, 8
	ds_load_b64 v[128:129], v125
	v_cmp_eq_u32_e32 vcc_lo, 0, v124
	s_or_b32 s30, vcc_lo, s30
	s_wait_loadcnt_dscnt 0x0
	v_pk_mul_f32 v[130:131], v[128:129], v[126:127] op_sel:[1,1] op_sel_hi:[0,1]
	s_delay_alu instid0(VALU_DEP_1) | instskip(SKIP_1) | instid1(VALU_DEP_2)
	v_pk_fma_f32 v[132:133], v[128:129], v[126:127], v[130:131] op_sel_hi:[1,0,1]
	v_pk_fma_f32 v[126:127], v[128:129], v[126:127], v[130:131] neg_lo:[0,0,1] neg_hi:[0,0,1]
	v_mov_b32_e32 v127, v133
	s_delay_alu instid0(VALU_DEP_1)
	v_pk_add_f32 v[122:123], v[122:123], v[126:127]
	s_and_not1_b32 exec_lo, exec_lo, s30
	s_cbranch_execnz .LBB58_122
; %bb.123:
	s_or_b32 exec_lo, exec_lo, s30
.LBB58_124:
	s_delay_alu instid0(SALU_CYCLE_1) | instskip(SKIP_4) | instid1(VALU_DEP_1)
	s_or_b32 exec_lo, exec_lo, s29
	v_mov_b32_e32 v124, 0
	ds_load_b64 v[124:125], v124 offset:368
	s_wait_dscnt 0x0
	v_pk_mul_f32 v[126:127], v[122:123], v[124:125] op_sel:[1,1] op_sel_hi:[0,1]
	v_pk_fma_f32 v[128:129], v[122:123], v[124:125], v[126:127] op_sel_hi:[1,0,1]
	v_pk_fma_f32 v[122:123], v[122:123], v[124:125], v[126:127] neg_lo:[0,0,1] neg_hi:[0,0,1]
	s_delay_alu instid0(VALU_DEP_2)
	v_mov_b32_e32 v123, v129
	scratch_store_b64 off, v[122:123], off offset:368
.LBB58_125:
	s_wait_xcnt 0x0
	s_or_b32 exec_lo, exec_lo, s2
	scratch_load_b64 v[122:123], off, off offset:360
	v_cmp_lt_u32_e64 s1, 45, v0
	s_wait_loadcnt 0x0
	ds_store_b64 v1, v[122:123]
	s_wait_storecnt_dscnt 0x0
	s_barrier_signal -1
	s_barrier_wait -1
	s_wait_xcnt 0x0
	s_and_saveexec_b32 s2, s1
	s_cbranch_execz .LBB58_135
; %bb.126:
	s_and_not1_b32 vcc_lo, exec_lo, s3
	s_cbranch_vccnz .LBB58_128
; %bb.127:
	scratch_load_b64 v[122:123], v59, off
	ds_load_b64 v[124:125], v1
	s_wait_loadcnt_dscnt 0x0
	v_pk_mul_f32 v[126:127], v[124:125], v[122:123] op_sel:[1,1] op_sel_hi:[0,1]
	s_delay_alu instid0(VALU_DEP_1) | instskip(SKIP_1) | instid1(VALU_DEP_2)
	v_pk_fma_f32 v[128:129], v[124:125], v[122:123], v[126:127] op_sel_hi:[1,0,1]
	v_pk_fma_f32 v[122:123], v[124:125], v[122:123], v[126:127] neg_lo:[0,0,1] neg_hi:[0,0,1]
	v_mov_b32_e32 v123, v129
	s_cbranch_execz .LBB58_129
	s_branch .LBB58_130
.LBB58_128:
                                        ; implicit-def: $vgpr122_vgpr123
.LBB58_129:
	ds_load_b64 v[122:123], v1
.LBB58_130:
	s_and_saveexec_b32 s29, s0
	s_cbranch_execz .LBB58_134
; %bb.131:
	v_subrev_nc_u32_e32 v124, 46, v0
	s_movk_i32 s30, 0x350
	s_mov_b32 s0, 0
.LBB58_132:                             ; =>This Inner Loop Header: Depth=1
	scratch_load_b64 v[126:127], off, s28
	v_dual_mov_b32 v125, s30 :: v_dual_add_nc_u32 v124, -1, v124
	s_add_co_i32 s30, s30, 8
	s_wait_xcnt 0x0
	s_add_co_i32 s28, s28, 8
	ds_load_b64 v[128:129], v125
	v_cmp_eq_u32_e32 vcc_lo, 0, v124
	s_or_b32 s0, vcc_lo, s0
	s_wait_loadcnt_dscnt 0x0
	v_pk_mul_f32 v[130:131], v[128:129], v[126:127] op_sel:[1,1] op_sel_hi:[0,1]
	s_delay_alu instid0(VALU_DEP_1) | instskip(SKIP_1) | instid1(VALU_DEP_2)
	v_pk_fma_f32 v[132:133], v[128:129], v[126:127], v[130:131] op_sel_hi:[1,0,1]
	v_pk_fma_f32 v[126:127], v[128:129], v[126:127], v[130:131] neg_lo:[0,0,1] neg_hi:[0,0,1]
	v_mov_b32_e32 v127, v133
	s_delay_alu instid0(VALU_DEP_1)
	v_pk_add_f32 v[122:123], v[122:123], v[126:127]
	s_and_not1_b32 exec_lo, exec_lo, s0
	s_cbranch_execnz .LBB58_132
; %bb.133:
	s_or_b32 exec_lo, exec_lo, s0
.LBB58_134:
	s_delay_alu instid0(SALU_CYCLE_1) | instskip(SKIP_4) | instid1(VALU_DEP_1)
	s_or_b32 exec_lo, exec_lo, s29
	v_mov_b32_e32 v124, 0
	ds_load_b64 v[124:125], v124 offset:360
	s_wait_dscnt 0x0
	v_pk_mul_f32 v[126:127], v[122:123], v[124:125] op_sel:[1,1] op_sel_hi:[0,1]
	v_pk_fma_f32 v[128:129], v[122:123], v[124:125], v[126:127] op_sel_hi:[1,0,1]
	v_pk_fma_f32 v[122:123], v[122:123], v[124:125], v[126:127] neg_lo:[0,0,1] neg_hi:[0,0,1]
	s_delay_alu instid0(VALU_DEP_2)
	v_mov_b32_e32 v123, v129
	scratch_store_b64 off, v[122:123], off offset:360
.LBB58_135:
	s_wait_xcnt 0x0
	s_or_b32 exec_lo, exec_lo, s2
	scratch_load_b64 v[122:123], off, off offset:352
	v_cmp_lt_u32_e64 s0, 44, v0
	s_wait_loadcnt 0x0
	ds_store_b64 v1, v[122:123]
	s_wait_storecnt_dscnt 0x0
	s_barrier_signal -1
	s_barrier_wait -1
	s_wait_xcnt 0x0
	s_and_saveexec_b32 s2, s0
	s_cbranch_execz .LBB58_145
; %bb.136:
	s_and_not1_b32 vcc_lo, exec_lo, s3
	s_cbranch_vccnz .LBB58_138
; %bb.137:
	scratch_load_b64 v[122:123], v59, off
	ds_load_b64 v[124:125], v1
	s_wait_loadcnt_dscnt 0x0
	v_pk_mul_f32 v[126:127], v[124:125], v[122:123] op_sel:[1,1] op_sel_hi:[0,1]
	s_delay_alu instid0(VALU_DEP_1) | instskip(SKIP_1) | instid1(VALU_DEP_2)
	v_pk_fma_f32 v[128:129], v[124:125], v[122:123], v[126:127] op_sel_hi:[1,0,1]
	v_pk_fma_f32 v[122:123], v[124:125], v[122:123], v[126:127] neg_lo:[0,0,1] neg_hi:[0,0,1]
	v_mov_b32_e32 v123, v129
	s_cbranch_execz .LBB58_139
	s_branch .LBB58_140
.LBB58_138:
                                        ; implicit-def: $vgpr122_vgpr123
.LBB58_139:
	ds_load_b64 v[122:123], v1
.LBB58_140:
	s_and_saveexec_b32 s28, s1
	s_cbranch_execz .LBB58_144
; %bb.141:
	v_subrev_nc_u32_e32 v124, 45, v0
	s_movk_i32 s1, 0x168
	s_movk_i32 s30, 0x348
	s_mov_b32 s29, 0
.LBB58_142:                             ; =>This Inner Loop Header: Depth=1
	scratch_load_b64 v[126:127], off, s1
	v_dual_mov_b32 v125, s30 :: v_dual_add_nc_u32 v124, -1, v124
	s_add_co_i32 s30, s30, 8
	s_wait_xcnt 0x0
	s_add_co_i32 s1, s1, 8
	ds_load_b64 v[128:129], v125
	v_cmp_eq_u32_e32 vcc_lo, 0, v124
	s_or_b32 s29, vcc_lo, s29
	s_wait_loadcnt_dscnt 0x0
	v_pk_mul_f32 v[130:131], v[128:129], v[126:127] op_sel:[1,1] op_sel_hi:[0,1]
	s_delay_alu instid0(VALU_DEP_1) | instskip(SKIP_1) | instid1(VALU_DEP_2)
	v_pk_fma_f32 v[132:133], v[128:129], v[126:127], v[130:131] op_sel_hi:[1,0,1]
	v_pk_fma_f32 v[126:127], v[128:129], v[126:127], v[130:131] neg_lo:[0,0,1] neg_hi:[0,0,1]
	v_mov_b32_e32 v127, v133
	s_delay_alu instid0(VALU_DEP_1)
	v_pk_add_f32 v[122:123], v[122:123], v[126:127]
	s_and_not1_b32 exec_lo, exec_lo, s29
	s_cbranch_execnz .LBB58_142
; %bb.143:
	s_or_b32 exec_lo, exec_lo, s29
.LBB58_144:
	s_delay_alu instid0(SALU_CYCLE_1) | instskip(SKIP_4) | instid1(VALU_DEP_1)
	s_or_b32 exec_lo, exec_lo, s28
	v_mov_b32_e32 v124, 0
	ds_load_b64 v[124:125], v124 offset:352
	s_wait_dscnt 0x0
	v_pk_mul_f32 v[126:127], v[122:123], v[124:125] op_sel:[1,1] op_sel_hi:[0,1]
	v_pk_fma_f32 v[128:129], v[122:123], v[124:125], v[126:127] op_sel_hi:[1,0,1]
	v_pk_fma_f32 v[122:123], v[122:123], v[124:125], v[126:127] neg_lo:[0,0,1] neg_hi:[0,0,1]
	s_delay_alu instid0(VALU_DEP_2)
	v_mov_b32_e32 v123, v129
	scratch_store_b64 off, v[122:123], off offset:352
.LBB58_145:
	s_wait_xcnt 0x0
	s_or_b32 exec_lo, exec_lo, s2
	scratch_load_b64 v[122:123], off, off offset:344
	v_cmp_lt_u32_e64 s1, 43, v0
	s_wait_loadcnt 0x0
	ds_store_b64 v1, v[122:123]
	s_wait_storecnt_dscnt 0x0
	s_barrier_signal -1
	s_barrier_wait -1
	s_wait_xcnt 0x0
	s_and_saveexec_b32 s2, s1
	s_cbranch_execz .LBB58_155
; %bb.146:
	s_and_not1_b32 vcc_lo, exec_lo, s3
	s_cbranch_vccnz .LBB58_148
; %bb.147:
	scratch_load_b64 v[122:123], v59, off
	ds_load_b64 v[124:125], v1
	s_wait_loadcnt_dscnt 0x0
	v_pk_mul_f32 v[126:127], v[124:125], v[122:123] op_sel:[1,1] op_sel_hi:[0,1]
	s_delay_alu instid0(VALU_DEP_1) | instskip(SKIP_1) | instid1(VALU_DEP_2)
	v_pk_fma_f32 v[128:129], v[124:125], v[122:123], v[126:127] op_sel_hi:[1,0,1]
	v_pk_fma_f32 v[122:123], v[124:125], v[122:123], v[126:127] neg_lo:[0,0,1] neg_hi:[0,0,1]
	v_mov_b32_e32 v123, v129
	s_cbranch_execz .LBB58_149
	s_branch .LBB58_150
.LBB58_148:
                                        ; implicit-def: $vgpr122_vgpr123
.LBB58_149:
	ds_load_b64 v[122:123], v1
.LBB58_150:
	s_and_saveexec_b32 s28, s0
	s_cbranch_execz .LBB58_154
; %bb.151:
	v_subrev_nc_u32_e32 v124, 44, v0
	s_movk_i32 s29, 0x340
	s_mov_b32 s0, 0
.LBB58_152:                             ; =>This Inner Loop Header: Depth=1
	scratch_load_b64 v[126:127], off, s27
	v_dual_mov_b32 v125, s29 :: v_dual_add_nc_u32 v124, -1, v124
	s_add_co_i32 s29, s29, 8
	s_wait_xcnt 0x0
	s_add_co_i32 s27, s27, 8
	ds_load_b64 v[128:129], v125
	v_cmp_eq_u32_e32 vcc_lo, 0, v124
	s_or_b32 s0, vcc_lo, s0
	s_wait_loadcnt_dscnt 0x0
	v_pk_mul_f32 v[130:131], v[128:129], v[126:127] op_sel:[1,1] op_sel_hi:[0,1]
	s_delay_alu instid0(VALU_DEP_1) | instskip(SKIP_1) | instid1(VALU_DEP_2)
	v_pk_fma_f32 v[132:133], v[128:129], v[126:127], v[130:131] op_sel_hi:[1,0,1]
	v_pk_fma_f32 v[126:127], v[128:129], v[126:127], v[130:131] neg_lo:[0,0,1] neg_hi:[0,0,1]
	v_mov_b32_e32 v127, v133
	s_delay_alu instid0(VALU_DEP_1)
	v_pk_add_f32 v[122:123], v[122:123], v[126:127]
	s_and_not1_b32 exec_lo, exec_lo, s0
	s_cbranch_execnz .LBB58_152
; %bb.153:
	s_or_b32 exec_lo, exec_lo, s0
.LBB58_154:
	s_delay_alu instid0(SALU_CYCLE_1) | instskip(SKIP_4) | instid1(VALU_DEP_1)
	s_or_b32 exec_lo, exec_lo, s28
	v_mov_b32_e32 v124, 0
	ds_load_b64 v[124:125], v124 offset:344
	s_wait_dscnt 0x0
	v_pk_mul_f32 v[126:127], v[122:123], v[124:125] op_sel:[1,1] op_sel_hi:[0,1]
	v_pk_fma_f32 v[128:129], v[122:123], v[124:125], v[126:127] op_sel_hi:[1,0,1]
	v_pk_fma_f32 v[122:123], v[122:123], v[124:125], v[126:127] neg_lo:[0,0,1] neg_hi:[0,0,1]
	s_delay_alu instid0(VALU_DEP_2)
	v_mov_b32_e32 v123, v129
	scratch_store_b64 off, v[122:123], off offset:344
.LBB58_155:
	s_wait_xcnt 0x0
	s_or_b32 exec_lo, exec_lo, s2
	scratch_load_b64 v[122:123], off, off offset:336
	v_cmp_lt_u32_e64 s0, 42, v0
	s_wait_loadcnt 0x0
	ds_store_b64 v1, v[122:123]
	s_wait_storecnt_dscnt 0x0
	s_barrier_signal -1
	s_barrier_wait -1
	s_wait_xcnt 0x0
	s_and_saveexec_b32 s2, s0
	s_cbranch_execz .LBB58_165
; %bb.156:
	s_and_not1_b32 vcc_lo, exec_lo, s3
	s_cbranch_vccnz .LBB58_158
; %bb.157:
	scratch_load_b64 v[122:123], v59, off
	ds_load_b64 v[124:125], v1
	s_wait_loadcnt_dscnt 0x0
	v_pk_mul_f32 v[126:127], v[124:125], v[122:123] op_sel:[1,1] op_sel_hi:[0,1]
	s_delay_alu instid0(VALU_DEP_1) | instskip(SKIP_1) | instid1(VALU_DEP_2)
	v_pk_fma_f32 v[128:129], v[124:125], v[122:123], v[126:127] op_sel_hi:[1,0,1]
	v_pk_fma_f32 v[122:123], v[124:125], v[122:123], v[126:127] neg_lo:[0,0,1] neg_hi:[0,0,1]
	v_mov_b32_e32 v123, v129
	s_cbranch_execz .LBB58_159
	s_branch .LBB58_160
.LBB58_158:
                                        ; implicit-def: $vgpr122_vgpr123
.LBB58_159:
	ds_load_b64 v[122:123], v1
.LBB58_160:
	s_and_saveexec_b32 s27, s1
	s_cbranch_execz .LBB58_164
; %bb.161:
	v_subrev_nc_u32_e32 v124, 43, v0
	s_movk_i32 s1, 0x158
	s_movk_i32 s29, 0x338
	s_mov_b32 s28, 0
.LBB58_162:                             ; =>This Inner Loop Header: Depth=1
	scratch_load_b64 v[126:127], off, s1
	v_dual_mov_b32 v125, s29 :: v_dual_add_nc_u32 v124, -1, v124
	s_add_co_i32 s29, s29, 8
	s_wait_xcnt 0x0
	s_add_co_i32 s1, s1, 8
	ds_load_b64 v[128:129], v125
	v_cmp_eq_u32_e32 vcc_lo, 0, v124
	s_or_b32 s28, vcc_lo, s28
	s_wait_loadcnt_dscnt 0x0
	v_pk_mul_f32 v[130:131], v[128:129], v[126:127] op_sel:[1,1] op_sel_hi:[0,1]
	s_delay_alu instid0(VALU_DEP_1) | instskip(SKIP_1) | instid1(VALU_DEP_2)
	v_pk_fma_f32 v[132:133], v[128:129], v[126:127], v[130:131] op_sel_hi:[1,0,1]
	v_pk_fma_f32 v[126:127], v[128:129], v[126:127], v[130:131] neg_lo:[0,0,1] neg_hi:[0,0,1]
	v_mov_b32_e32 v127, v133
	s_delay_alu instid0(VALU_DEP_1)
	v_pk_add_f32 v[122:123], v[122:123], v[126:127]
	s_and_not1_b32 exec_lo, exec_lo, s28
	s_cbranch_execnz .LBB58_162
; %bb.163:
	s_or_b32 exec_lo, exec_lo, s28
.LBB58_164:
	s_delay_alu instid0(SALU_CYCLE_1) | instskip(SKIP_4) | instid1(VALU_DEP_1)
	s_or_b32 exec_lo, exec_lo, s27
	v_mov_b32_e32 v124, 0
	ds_load_b64 v[124:125], v124 offset:336
	s_wait_dscnt 0x0
	v_pk_mul_f32 v[126:127], v[122:123], v[124:125] op_sel:[1,1] op_sel_hi:[0,1]
	v_pk_fma_f32 v[128:129], v[122:123], v[124:125], v[126:127] op_sel_hi:[1,0,1]
	v_pk_fma_f32 v[122:123], v[122:123], v[124:125], v[126:127] neg_lo:[0,0,1] neg_hi:[0,0,1]
	s_delay_alu instid0(VALU_DEP_2)
	v_mov_b32_e32 v123, v129
	scratch_store_b64 off, v[122:123], off offset:336
.LBB58_165:
	s_wait_xcnt 0x0
	s_or_b32 exec_lo, exec_lo, s2
	scratch_load_b64 v[122:123], off, off offset:328
	v_cmp_lt_u32_e64 s1, 41, v0
	s_wait_loadcnt 0x0
	ds_store_b64 v1, v[122:123]
	s_wait_storecnt_dscnt 0x0
	s_barrier_signal -1
	s_barrier_wait -1
	s_wait_xcnt 0x0
	s_and_saveexec_b32 s2, s1
	s_cbranch_execz .LBB58_175
; %bb.166:
	s_and_not1_b32 vcc_lo, exec_lo, s3
	s_cbranch_vccnz .LBB58_168
; %bb.167:
	scratch_load_b64 v[122:123], v59, off
	ds_load_b64 v[124:125], v1
	s_wait_loadcnt_dscnt 0x0
	v_pk_mul_f32 v[126:127], v[124:125], v[122:123] op_sel:[1,1] op_sel_hi:[0,1]
	s_delay_alu instid0(VALU_DEP_1) | instskip(SKIP_1) | instid1(VALU_DEP_2)
	v_pk_fma_f32 v[128:129], v[124:125], v[122:123], v[126:127] op_sel_hi:[1,0,1]
	v_pk_fma_f32 v[122:123], v[124:125], v[122:123], v[126:127] neg_lo:[0,0,1] neg_hi:[0,0,1]
	v_mov_b32_e32 v123, v129
	s_cbranch_execz .LBB58_169
	s_branch .LBB58_170
.LBB58_168:
                                        ; implicit-def: $vgpr122_vgpr123
.LBB58_169:
	ds_load_b64 v[122:123], v1
.LBB58_170:
	s_and_saveexec_b32 s27, s0
	s_cbranch_execz .LBB58_174
; %bb.171:
	v_subrev_nc_u32_e32 v124, 42, v0
	s_movk_i32 s28, 0x330
	s_mov_b32 s0, 0
.LBB58_172:                             ; =>This Inner Loop Header: Depth=1
	scratch_load_b64 v[126:127], off, s26
	v_dual_mov_b32 v125, s28 :: v_dual_add_nc_u32 v124, -1, v124
	s_add_co_i32 s28, s28, 8
	s_wait_xcnt 0x0
	s_add_co_i32 s26, s26, 8
	ds_load_b64 v[128:129], v125
	v_cmp_eq_u32_e32 vcc_lo, 0, v124
	s_or_b32 s0, vcc_lo, s0
	s_wait_loadcnt_dscnt 0x0
	v_pk_mul_f32 v[130:131], v[128:129], v[126:127] op_sel:[1,1] op_sel_hi:[0,1]
	s_delay_alu instid0(VALU_DEP_1) | instskip(SKIP_1) | instid1(VALU_DEP_2)
	v_pk_fma_f32 v[132:133], v[128:129], v[126:127], v[130:131] op_sel_hi:[1,0,1]
	v_pk_fma_f32 v[126:127], v[128:129], v[126:127], v[130:131] neg_lo:[0,0,1] neg_hi:[0,0,1]
	v_mov_b32_e32 v127, v133
	s_delay_alu instid0(VALU_DEP_1)
	v_pk_add_f32 v[122:123], v[122:123], v[126:127]
	s_and_not1_b32 exec_lo, exec_lo, s0
	s_cbranch_execnz .LBB58_172
; %bb.173:
	s_or_b32 exec_lo, exec_lo, s0
.LBB58_174:
	s_delay_alu instid0(SALU_CYCLE_1) | instskip(SKIP_4) | instid1(VALU_DEP_1)
	s_or_b32 exec_lo, exec_lo, s27
	v_mov_b32_e32 v124, 0
	ds_load_b64 v[124:125], v124 offset:328
	s_wait_dscnt 0x0
	v_pk_mul_f32 v[126:127], v[122:123], v[124:125] op_sel:[1,1] op_sel_hi:[0,1]
	v_pk_fma_f32 v[128:129], v[122:123], v[124:125], v[126:127] op_sel_hi:[1,0,1]
	v_pk_fma_f32 v[122:123], v[122:123], v[124:125], v[126:127] neg_lo:[0,0,1] neg_hi:[0,0,1]
	s_delay_alu instid0(VALU_DEP_2)
	v_mov_b32_e32 v123, v129
	scratch_store_b64 off, v[122:123], off offset:328
.LBB58_175:
	s_wait_xcnt 0x0
	s_or_b32 exec_lo, exec_lo, s2
	scratch_load_b64 v[122:123], off, off offset:320
	v_cmp_lt_u32_e64 s0, 40, v0
	s_wait_loadcnt 0x0
	ds_store_b64 v1, v[122:123]
	s_wait_storecnt_dscnt 0x0
	s_barrier_signal -1
	s_barrier_wait -1
	s_wait_xcnt 0x0
	s_and_saveexec_b32 s2, s0
	s_cbranch_execz .LBB58_185
; %bb.176:
	s_and_not1_b32 vcc_lo, exec_lo, s3
	s_cbranch_vccnz .LBB58_178
; %bb.177:
	scratch_load_b64 v[122:123], v59, off
	ds_load_b64 v[124:125], v1
	s_wait_loadcnt_dscnt 0x0
	v_pk_mul_f32 v[126:127], v[124:125], v[122:123] op_sel:[1,1] op_sel_hi:[0,1]
	s_delay_alu instid0(VALU_DEP_1) | instskip(SKIP_1) | instid1(VALU_DEP_2)
	v_pk_fma_f32 v[128:129], v[124:125], v[122:123], v[126:127] op_sel_hi:[1,0,1]
	v_pk_fma_f32 v[122:123], v[124:125], v[122:123], v[126:127] neg_lo:[0,0,1] neg_hi:[0,0,1]
	v_mov_b32_e32 v123, v129
	s_cbranch_execz .LBB58_179
	s_branch .LBB58_180
.LBB58_178:
                                        ; implicit-def: $vgpr122_vgpr123
.LBB58_179:
	ds_load_b64 v[122:123], v1
.LBB58_180:
	s_and_saveexec_b32 s26, s1
	s_cbranch_execz .LBB58_184
; %bb.181:
	v_subrev_nc_u32_e32 v124, 41, v0
	s_movk_i32 s1, 0x148
	s_movk_i32 s28, 0x328
	s_mov_b32 s27, 0
.LBB58_182:                             ; =>This Inner Loop Header: Depth=1
	scratch_load_b64 v[126:127], off, s1
	v_dual_mov_b32 v125, s28 :: v_dual_add_nc_u32 v124, -1, v124
	s_add_co_i32 s28, s28, 8
	s_wait_xcnt 0x0
	s_add_co_i32 s1, s1, 8
	ds_load_b64 v[128:129], v125
	v_cmp_eq_u32_e32 vcc_lo, 0, v124
	s_or_b32 s27, vcc_lo, s27
	s_wait_loadcnt_dscnt 0x0
	v_pk_mul_f32 v[130:131], v[128:129], v[126:127] op_sel:[1,1] op_sel_hi:[0,1]
	s_delay_alu instid0(VALU_DEP_1) | instskip(SKIP_1) | instid1(VALU_DEP_2)
	v_pk_fma_f32 v[132:133], v[128:129], v[126:127], v[130:131] op_sel_hi:[1,0,1]
	v_pk_fma_f32 v[126:127], v[128:129], v[126:127], v[130:131] neg_lo:[0,0,1] neg_hi:[0,0,1]
	v_mov_b32_e32 v127, v133
	s_delay_alu instid0(VALU_DEP_1)
	v_pk_add_f32 v[122:123], v[122:123], v[126:127]
	s_and_not1_b32 exec_lo, exec_lo, s27
	s_cbranch_execnz .LBB58_182
; %bb.183:
	s_or_b32 exec_lo, exec_lo, s27
.LBB58_184:
	s_delay_alu instid0(SALU_CYCLE_1) | instskip(SKIP_4) | instid1(VALU_DEP_1)
	s_or_b32 exec_lo, exec_lo, s26
	v_mov_b32_e32 v124, 0
	ds_load_b64 v[124:125], v124 offset:320
	s_wait_dscnt 0x0
	v_pk_mul_f32 v[126:127], v[122:123], v[124:125] op_sel:[1,1] op_sel_hi:[0,1]
	v_pk_fma_f32 v[128:129], v[122:123], v[124:125], v[126:127] op_sel_hi:[1,0,1]
	v_pk_fma_f32 v[122:123], v[122:123], v[124:125], v[126:127] neg_lo:[0,0,1] neg_hi:[0,0,1]
	s_delay_alu instid0(VALU_DEP_2)
	v_mov_b32_e32 v123, v129
	scratch_store_b64 off, v[122:123], off offset:320
.LBB58_185:
	s_wait_xcnt 0x0
	s_or_b32 exec_lo, exec_lo, s2
	scratch_load_b64 v[122:123], off, off offset:312
	v_cmp_lt_u32_e64 s1, 39, v0
	s_wait_loadcnt 0x0
	ds_store_b64 v1, v[122:123]
	s_wait_storecnt_dscnt 0x0
	s_barrier_signal -1
	s_barrier_wait -1
	s_wait_xcnt 0x0
	s_and_saveexec_b32 s2, s1
	s_cbranch_execz .LBB58_195
; %bb.186:
	s_and_not1_b32 vcc_lo, exec_lo, s3
	s_cbranch_vccnz .LBB58_188
; %bb.187:
	scratch_load_b64 v[122:123], v59, off
	ds_load_b64 v[124:125], v1
	s_wait_loadcnt_dscnt 0x0
	v_pk_mul_f32 v[126:127], v[124:125], v[122:123] op_sel:[1,1] op_sel_hi:[0,1]
	s_delay_alu instid0(VALU_DEP_1) | instskip(SKIP_1) | instid1(VALU_DEP_2)
	v_pk_fma_f32 v[128:129], v[124:125], v[122:123], v[126:127] op_sel_hi:[1,0,1]
	v_pk_fma_f32 v[122:123], v[124:125], v[122:123], v[126:127] neg_lo:[0,0,1] neg_hi:[0,0,1]
	v_mov_b32_e32 v123, v129
	s_cbranch_execz .LBB58_189
	s_branch .LBB58_190
.LBB58_188:
                                        ; implicit-def: $vgpr122_vgpr123
.LBB58_189:
	ds_load_b64 v[122:123], v1
.LBB58_190:
	s_and_saveexec_b32 s26, s0
	s_cbranch_execz .LBB58_194
; %bb.191:
	v_subrev_nc_u32_e32 v124, 40, v0
	s_movk_i32 s27, 0x320
	s_mov_b32 s0, 0
.LBB58_192:                             ; =>This Inner Loop Header: Depth=1
	scratch_load_b64 v[126:127], off, s25
	v_dual_mov_b32 v125, s27 :: v_dual_add_nc_u32 v124, -1, v124
	s_add_co_i32 s27, s27, 8
	s_wait_xcnt 0x0
	s_add_co_i32 s25, s25, 8
	ds_load_b64 v[128:129], v125
	v_cmp_eq_u32_e32 vcc_lo, 0, v124
	s_or_b32 s0, vcc_lo, s0
	s_wait_loadcnt_dscnt 0x0
	v_pk_mul_f32 v[130:131], v[128:129], v[126:127] op_sel:[1,1] op_sel_hi:[0,1]
	s_delay_alu instid0(VALU_DEP_1) | instskip(SKIP_1) | instid1(VALU_DEP_2)
	v_pk_fma_f32 v[132:133], v[128:129], v[126:127], v[130:131] op_sel_hi:[1,0,1]
	v_pk_fma_f32 v[126:127], v[128:129], v[126:127], v[130:131] neg_lo:[0,0,1] neg_hi:[0,0,1]
	v_mov_b32_e32 v127, v133
	s_delay_alu instid0(VALU_DEP_1)
	v_pk_add_f32 v[122:123], v[122:123], v[126:127]
	s_and_not1_b32 exec_lo, exec_lo, s0
	s_cbranch_execnz .LBB58_192
; %bb.193:
	s_or_b32 exec_lo, exec_lo, s0
.LBB58_194:
	s_delay_alu instid0(SALU_CYCLE_1) | instskip(SKIP_4) | instid1(VALU_DEP_1)
	s_or_b32 exec_lo, exec_lo, s26
	v_mov_b32_e32 v124, 0
	ds_load_b64 v[124:125], v124 offset:312
	s_wait_dscnt 0x0
	v_pk_mul_f32 v[126:127], v[122:123], v[124:125] op_sel:[1,1] op_sel_hi:[0,1]
	v_pk_fma_f32 v[128:129], v[122:123], v[124:125], v[126:127] op_sel_hi:[1,0,1]
	v_pk_fma_f32 v[122:123], v[122:123], v[124:125], v[126:127] neg_lo:[0,0,1] neg_hi:[0,0,1]
	s_delay_alu instid0(VALU_DEP_2)
	v_mov_b32_e32 v123, v129
	scratch_store_b64 off, v[122:123], off offset:312
.LBB58_195:
	s_wait_xcnt 0x0
	s_or_b32 exec_lo, exec_lo, s2
	scratch_load_b64 v[122:123], off, off offset:304
	v_cmp_lt_u32_e64 s0, 38, v0
	s_wait_loadcnt 0x0
	ds_store_b64 v1, v[122:123]
	s_wait_storecnt_dscnt 0x0
	s_barrier_signal -1
	s_barrier_wait -1
	s_wait_xcnt 0x0
	s_and_saveexec_b32 s2, s0
	s_cbranch_execz .LBB58_205
; %bb.196:
	s_and_not1_b32 vcc_lo, exec_lo, s3
	s_cbranch_vccnz .LBB58_198
; %bb.197:
	scratch_load_b64 v[122:123], v59, off
	ds_load_b64 v[124:125], v1
	s_wait_loadcnt_dscnt 0x0
	v_pk_mul_f32 v[126:127], v[124:125], v[122:123] op_sel:[1,1] op_sel_hi:[0,1]
	s_delay_alu instid0(VALU_DEP_1) | instskip(SKIP_1) | instid1(VALU_DEP_2)
	v_pk_fma_f32 v[128:129], v[124:125], v[122:123], v[126:127] op_sel_hi:[1,0,1]
	v_pk_fma_f32 v[122:123], v[124:125], v[122:123], v[126:127] neg_lo:[0,0,1] neg_hi:[0,0,1]
	v_mov_b32_e32 v123, v129
	s_cbranch_execz .LBB58_199
	s_branch .LBB58_200
.LBB58_198:
                                        ; implicit-def: $vgpr122_vgpr123
.LBB58_199:
	ds_load_b64 v[122:123], v1
.LBB58_200:
	s_and_saveexec_b32 s25, s1
	s_cbranch_execz .LBB58_204
; %bb.201:
	v_subrev_nc_u32_e32 v124, 39, v0
	s_movk_i32 s1, 0x138
	s_movk_i32 s27, 0x318
	s_mov_b32 s26, 0
.LBB58_202:                             ; =>This Inner Loop Header: Depth=1
	scratch_load_b64 v[126:127], off, s1
	v_dual_mov_b32 v125, s27 :: v_dual_add_nc_u32 v124, -1, v124
	s_add_co_i32 s27, s27, 8
	s_wait_xcnt 0x0
	s_add_co_i32 s1, s1, 8
	ds_load_b64 v[128:129], v125
	v_cmp_eq_u32_e32 vcc_lo, 0, v124
	s_or_b32 s26, vcc_lo, s26
	s_wait_loadcnt_dscnt 0x0
	v_pk_mul_f32 v[130:131], v[128:129], v[126:127] op_sel:[1,1] op_sel_hi:[0,1]
	s_delay_alu instid0(VALU_DEP_1) | instskip(SKIP_1) | instid1(VALU_DEP_2)
	v_pk_fma_f32 v[132:133], v[128:129], v[126:127], v[130:131] op_sel_hi:[1,0,1]
	v_pk_fma_f32 v[126:127], v[128:129], v[126:127], v[130:131] neg_lo:[0,0,1] neg_hi:[0,0,1]
	v_mov_b32_e32 v127, v133
	s_delay_alu instid0(VALU_DEP_1)
	v_pk_add_f32 v[122:123], v[122:123], v[126:127]
	s_and_not1_b32 exec_lo, exec_lo, s26
	s_cbranch_execnz .LBB58_202
; %bb.203:
	s_or_b32 exec_lo, exec_lo, s26
.LBB58_204:
	s_delay_alu instid0(SALU_CYCLE_1) | instskip(SKIP_4) | instid1(VALU_DEP_1)
	s_or_b32 exec_lo, exec_lo, s25
	v_mov_b32_e32 v124, 0
	ds_load_b64 v[124:125], v124 offset:304
	s_wait_dscnt 0x0
	v_pk_mul_f32 v[126:127], v[122:123], v[124:125] op_sel:[1,1] op_sel_hi:[0,1]
	v_pk_fma_f32 v[128:129], v[122:123], v[124:125], v[126:127] op_sel_hi:[1,0,1]
	v_pk_fma_f32 v[122:123], v[122:123], v[124:125], v[126:127] neg_lo:[0,0,1] neg_hi:[0,0,1]
	s_delay_alu instid0(VALU_DEP_2)
	v_mov_b32_e32 v123, v129
	scratch_store_b64 off, v[122:123], off offset:304
.LBB58_205:
	s_wait_xcnt 0x0
	s_or_b32 exec_lo, exec_lo, s2
	scratch_load_b64 v[122:123], off, off offset:296
	v_cmp_lt_u32_e64 s1, 37, v0
	s_wait_loadcnt 0x0
	ds_store_b64 v1, v[122:123]
	s_wait_storecnt_dscnt 0x0
	s_barrier_signal -1
	s_barrier_wait -1
	s_wait_xcnt 0x0
	s_and_saveexec_b32 s2, s1
	s_cbranch_execz .LBB58_215
; %bb.206:
	s_and_not1_b32 vcc_lo, exec_lo, s3
	s_cbranch_vccnz .LBB58_208
; %bb.207:
	scratch_load_b64 v[122:123], v59, off
	ds_load_b64 v[124:125], v1
	s_wait_loadcnt_dscnt 0x0
	v_pk_mul_f32 v[126:127], v[124:125], v[122:123] op_sel:[1,1] op_sel_hi:[0,1]
	s_delay_alu instid0(VALU_DEP_1) | instskip(SKIP_1) | instid1(VALU_DEP_2)
	v_pk_fma_f32 v[128:129], v[124:125], v[122:123], v[126:127] op_sel_hi:[1,0,1]
	v_pk_fma_f32 v[122:123], v[124:125], v[122:123], v[126:127] neg_lo:[0,0,1] neg_hi:[0,0,1]
	v_mov_b32_e32 v123, v129
	s_cbranch_execz .LBB58_209
	s_branch .LBB58_210
.LBB58_208:
                                        ; implicit-def: $vgpr122_vgpr123
.LBB58_209:
	ds_load_b64 v[122:123], v1
.LBB58_210:
	s_and_saveexec_b32 s25, s0
	s_cbranch_execz .LBB58_214
; %bb.211:
	v_subrev_nc_u32_e32 v124, 38, v0
	s_movk_i32 s26, 0x310
	s_mov_b32 s0, 0
.LBB58_212:                             ; =>This Inner Loop Header: Depth=1
	scratch_load_b64 v[126:127], off, s24
	v_dual_mov_b32 v125, s26 :: v_dual_add_nc_u32 v124, -1, v124
	s_add_co_i32 s26, s26, 8
	s_wait_xcnt 0x0
	s_add_co_i32 s24, s24, 8
	ds_load_b64 v[128:129], v125
	v_cmp_eq_u32_e32 vcc_lo, 0, v124
	s_or_b32 s0, vcc_lo, s0
	s_wait_loadcnt_dscnt 0x0
	v_pk_mul_f32 v[130:131], v[128:129], v[126:127] op_sel:[1,1] op_sel_hi:[0,1]
	s_delay_alu instid0(VALU_DEP_1) | instskip(SKIP_1) | instid1(VALU_DEP_2)
	v_pk_fma_f32 v[132:133], v[128:129], v[126:127], v[130:131] op_sel_hi:[1,0,1]
	v_pk_fma_f32 v[126:127], v[128:129], v[126:127], v[130:131] neg_lo:[0,0,1] neg_hi:[0,0,1]
	v_mov_b32_e32 v127, v133
	s_delay_alu instid0(VALU_DEP_1)
	v_pk_add_f32 v[122:123], v[122:123], v[126:127]
	s_and_not1_b32 exec_lo, exec_lo, s0
	s_cbranch_execnz .LBB58_212
; %bb.213:
	s_or_b32 exec_lo, exec_lo, s0
.LBB58_214:
	s_delay_alu instid0(SALU_CYCLE_1) | instskip(SKIP_4) | instid1(VALU_DEP_1)
	s_or_b32 exec_lo, exec_lo, s25
	v_mov_b32_e32 v124, 0
	ds_load_b64 v[124:125], v124 offset:296
	s_wait_dscnt 0x0
	v_pk_mul_f32 v[126:127], v[122:123], v[124:125] op_sel:[1,1] op_sel_hi:[0,1]
	v_pk_fma_f32 v[128:129], v[122:123], v[124:125], v[126:127] op_sel_hi:[1,0,1]
	v_pk_fma_f32 v[122:123], v[122:123], v[124:125], v[126:127] neg_lo:[0,0,1] neg_hi:[0,0,1]
	s_delay_alu instid0(VALU_DEP_2)
	v_mov_b32_e32 v123, v129
	scratch_store_b64 off, v[122:123], off offset:296
.LBB58_215:
	s_wait_xcnt 0x0
	s_or_b32 exec_lo, exec_lo, s2
	scratch_load_b64 v[122:123], off, off offset:288
	v_cmp_lt_u32_e64 s0, 36, v0
	s_wait_loadcnt 0x0
	ds_store_b64 v1, v[122:123]
	s_wait_storecnt_dscnt 0x0
	s_barrier_signal -1
	s_barrier_wait -1
	s_wait_xcnt 0x0
	s_and_saveexec_b32 s2, s0
	s_cbranch_execz .LBB58_225
; %bb.216:
	s_and_not1_b32 vcc_lo, exec_lo, s3
	s_cbranch_vccnz .LBB58_218
; %bb.217:
	scratch_load_b64 v[122:123], v59, off
	ds_load_b64 v[124:125], v1
	s_wait_loadcnt_dscnt 0x0
	v_pk_mul_f32 v[126:127], v[124:125], v[122:123] op_sel:[1,1] op_sel_hi:[0,1]
	s_delay_alu instid0(VALU_DEP_1) | instskip(SKIP_1) | instid1(VALU_DEP_2)
	v_pk_fma_f32 v[128:129], v[124:125], v[122:123], v[126:127] op_sel_hi:[1,0,1]
	v_pk_fma_f32 v[122:123], v[124:125], v[122:123], v[126:127] neg_lo:[0,0,1] neg_hi:[0,0,1]
	v_mov_b32_e32 v123, v129
	s_cbranch_execz .LBB58_219
	s_branch .LBB58_220
.LBB58_218:
                                        ; implicit-def: $vgpr122_vgpr123
.LBB58_219:
	ds_load_b64 v[122:123], v1
.LBB58_220:
	s_and_saveexec_b32 s24, s1
	s_cbranch_execz .LBB58_224
; %bb.221:
	v_subrev_nc_u32_e32 v124, 37, v0
	s_movk_i32 s1, 0x128
	s_movk_i32 s26, 0x308
	s_mov_b32 s25, 0
.LBB58_222:                             ; =>This Inner Loop Header: Depth=1
	scratch_load_b64 v[126:127], off, s1
	v_dual_mov_b32 v125, s26 :: v_dual_add_nc_u32 v124, -1, v124
	s_add_co_i32 s26, s26, 8
	s_wait_xcnt 0x0
	s_add_co_i32 s1, s1, 8
	ds_load_b64 v[128:129], v125
	v_cmp_eq_u32_e32 vcc_lo, 0, v124
	s_or_b32 s25, vcc_lo, s25
	s_wait_loadcnt_dscnt 0x0
	v_pk_mul_f32 v[130:131], v[128:129], v[126:127] op_sel:[1,1] op_sel_hi:[0,1]
	s_delay_alu instid0(VALU_DEP_1) | instskip(SKIP_1) | instid1(VALU_DEP_2)
	v_pk_fma_f32 v[132:133], v[128:129], v[126:127], v[130:131] op_sel_hi:[1,0,1]
	v_pk_fma_f32 v[126:127], v[128:129], v[126:127], v[130:131] neg_lo:[0,0,1] neg_hi:[0,0,1]
	v_mov_b32_e32 v127, v133
	s_delay_alu instid0(VALU_DEP_1)
	v_pk_add_f32 v[122:123], v[122:123], v[126:127]
	s_and_not1_b32 exec_lo, exec_lo, s25
	s_cbranch_execnz .LBB58_222
; %bb.223:
	s_or_b32 exec_lo, exec_lo, s25
.LBB58_224:
	s_delay_alu instid0(SALU_CYCLE_1) | instskip(SKIP_4) | instid1(VALU_DEP_1)
	s_or_b32 exec_lo, exec_lo, s24
	v_mov_b32_e32 v124, 0
	ds_load_b64 v[124:125], v124 offset:288
	s_wait_dscnt 0x0
	v_pk_mul_f32 v[126:127], v[122:123], v[124:125] op_sel:[1,1] op_sel_hi:[0,1]
	v_pk_fma_f32 v[128:129], v[122:123], v[124:125], v[126:127] op_sel_hi:[1,0,1]
	v_pk_fma_f32 v[122:123], v[122:123], v[124:125], v[126:127] neg_lo:[0,0,1] neg_hi:[0,0,1]
	s_delay_alu instid0(VALU_DEP_2)
	v_mov_b32_e32 v123, v129
	scratch_store_b64 off, v[122:123], off offset:288
.LBB58_225:
	s_wait_xcnt 0x0
	s_or_b32 exec_lo, exec_lo, s2
	scratch_load_b64 v[122:123], off, off offset:280
	v_cmp_lt_u32_e64 s1, 35, v0
	s_wait_loadcnt 0x0
	ds_store_b64 v1, v[122:123]
	s_wait_storecnt_dscnt 0x0
	s_barrier_signal -1
	s_barrier_wait -1
	s_wait_xcnt 0x0
	s_and_saveexec_b32 s2, s1
	s_cbranch_execz .LBB58_235
; %bb.226:
	s_and_not1_b32 vcc_lo, exec_lo, s3
	s_cbranch_vccnz .LBB58_228
; %bb.227:
	scratch_load_b64 v[122:123], v59, off
	ds_load_b64 v[124:125], v1
	s_wait_loadcnt_dscnt 0x0
	v_pk_mul_f32 v[126:127], v[124:125], v[122:123] op_sel:[1,1] op_sel_hi:[0,1]
	s_delay_alu instid0(VALU_DEP_1) | instskip(SKIP_1) | instid1(VALU_DEP_2)
	v_pk_fma_f32 v[128:129], v[124:125], v[122:123], v[126:127] op_sel_hi:[1,0,1]
	v_pk_fma_f32 v[122:123], v[124:125], v[122:123], v[126:127] neg_lo:[0,0,1] neg_hi:[0,0,1]
	v_mov_b32_e32 v123, v129
	s_cbranch_execz .LBB58_229
	s_branch .LBB58_230
.LBB58_228:
                                        ; implicit-def: $vgpr122_vgpr123
.LBB58_229:
	ds_load_b64 v[122:123], v1
.LBB58_230:
	s_and_saveexec_b32 s24, s0
	s_cbranch_execz .LBB58_234
; %bb.231:
	v_subrev_nc_u32_e32 v124, 36, v0
	s_movk_i32 s25, 0x300
	s_mov_b32 s0, 0
.LBB58_232:                             ; =>This Inner Loop Header: Depth=1
	scratch_load_b64 v[126:127], off, s23
	v_dual_mov_b32 v125, s25 :: v_dual_add_nc_u32 v124, -1, v124
	s_add_co_i32 s25, s25, 8
	s_wait_xcnt 0x0
	s_add_co_i32 s23, s23, 8
	ds_load_b64 v[128:129], v125
	v_cmp_eq_u32_e32 vcc_lo, 0, v124
	s_or_b32 s0, vcc_lo, s0
	s_wait_loadcnt_dscnt 0x0
	v_pk_mul_f32 v[130:131], v[128:129], v[126:127] op_sel:[1,1] op_sel_hi:[0,1]
	s_delay_alu instid0(VALU_DEP_1) | instskip(SKIP_1) | instid1(VALU_DEP_2)
	v_pk_fma_f32 v[132:133], v[128:129], v[126:127], v[130:131] op_sel_hi:[1,0,1]
	v_pk_fma_f32 v[126:127], v[128:129], v[126:127], v[130:131] neg_lo:[0,0,1] neg_hi:[0,0,1]
	v_mov_b32_e32 v127, v133
	s_delay_alu instid0(VALU_DEP_1)
	v_pk_add_f32 v[122:123], v[122:123], v[126:127]
	s_and_not1_b32 exec_lo, exec_lo, s0
	s_cbranch_execnz .LBB58_232
; %bb.233:
	s_or_b32 exec_lo, exec_lo, s0
.LBB58_234:
	s_delay_alu instid0(SALU_CYCLE_1) | instskip(SKIP_4) | instid1(VALU_DEP_1)
	s_or_b32 exec_lo, exec_lo, s24
	v_mov_b32_e32 v124, 0
	ds_load_b64 v[124:125], v124 offset:280
	s_wait_dscnt 0x0
	v_pk_mul_f32 v[126:127], v[122:123], v[124:125] op_sel:[1,1] op_sel_hi:[0,1]
	v_pk_fma_f32 v[128:129], v[122:123], v[124:125], v[126:127] op_sel_hi:[1,0,1]
	v_pk_fma_f32 v[122:123], v[122:123], v[124:125], v[126:127] neg_lo:[0,0,1] neg_hi:[0,0,1]
	s_delay_alu instid0(VALU_DEP_2)
	v_mov_b32_e32 v123, v129
	scratch_store_b64 off, v[122:123], off offset:280
.LBB58_235:
	s_wait_xcnt 0x0
	s_or_b32 exec_lo, exec_lo, s2
	scratch_load_b64 v[122:123], off, off offset:272
	v_cmp_lt_u32_e64 s0, 34, v0
	s_wait_loadcnt 0x0
	ds_store_b64 v1, v[122:123]
	s_wait_storecnt_dscnt 0x0
	s_barrier_signal -1
	s_barrier_wait -1
	s_wait_xcnt 0x0
	s_and_saveexec_b32 s2, s0
	s_cbranch_execz .LBB58_245
; %bb.236:
	s_and_not1_b32 vcc_lo, exec_lo, s3
	s_cbranch_vccnz .LBB58_238
; %bb.237:
	scratch_load_b64 v[122:123], v59, off
	ds_load_b64 v[124:125], v1
	s_wait_loadcnt_dscnt 0x0
	v_pk_mul_f32 v[126:127], v[124:125], v[122:123] op_sel:[1,1] op_sel_hi:[0,1]
	s_delay_alu instid0(VALU_DEP_1) | instskip(SKIP_1) | instid1(VALU_DEP_2)
	v_pk_fma_f32 v[128:129], v[124:125], v[122:123], v[126:127] op_sel_hi:[1,0,1]
	v_pk_fma_f32 v[122:123], v[124:125], v[122:123], v[126:127] neg_lo:[0,0,1] neg_hi:[0,0,1]
	v_mov_b32_e32 v123, v129
	s_cbranch_execz .LBB58_239
	s_branch .LBB58_240
.LBB58_238:
                                        ; implicit-def: $vgpr122_vgpr123
.LBB58_239:
	ds_load_b64 v[122:123], v1
.LBB58_240:
	s_and_saveexec_b32 s23, s1
	s_cbranch_execz .LBB58_244
; %bb.241:
	v_subrev_nc_u32_e32 v124, 35, v0
	s_movk_i32 s1, 0x118
	s_movk_i32 s25, 0x2f8
	s_mov_b32 s24, 0
.LBB58_242:                             ; =>This Inner Loop Header: Depth=1
	scratch_load_b64 v[126:127], off, s1
	v_dual_mov_b32 v125, s25 :: v_dual_add_nc_u32 v124, -1, v124
	s_add_co_i32 s25, s25, 8
	s_wait_xcnt 0x0
	s_add_co_i32 s1, s1, 8
	ds_load_b64 v[128:129], v125
	v_cmp_eq_u32_e32 vcc_lo, 0, v124
	s_or_b32 s24, vcc_lo, s24
	s_wait_loadcnt_dscnt 0x0
	v_pk_mul_f32 v[130:131], v[128:129], v[126:127] op_sel:[1,1] op_sel_hi:[0,1]
	s_delay_alu instid0(VALU_DEP_1) | instskip(SKIP_1) | instid1(VALU_DEP_2)
	v_pk_fma_f32 v[132:133], v[128:129], v[126:127], v[130:131] op_sel_hi:[1,0,1]
	v_pk_fma_f32 v[126:127], v[128:129], v[126:127], v[130:131] neg_lo:[0,0,1] neg_hi:[0,0,1]
	v_mov_b32_e32 v127, v133
	s_delay_alu instid0(VALU_DEP_1)
	v_pk_add_f32 v[122:123], v[122:123], v[126:127]
	s_and_not1_b32 exec_lo, exec_lo, s24
	s_cbranch_execnz .LBB58_242
; %bb.243:
	s_or_b32 exec_lo, exec_lo, s24
.LBB58_244:
	s_delay_alu instid0(SALU_CYCLE_1) | instskip(SKIP_4) | instid1(VALU_DEP_1)
	s_or_b32 exec_lo, exec_lo, s23
	v_mov_b32_e32 v124, 0
	ds_load_b64 v[124:125], v124 offset:272
	s_wait_dscnt 0x0
	v_pk_mul_f32 v[126:127], v[122:123], v[124:125] op_sel:[1,1] op_sel_hi:[0,1]
	v_pk_fma_f32 v[128:129], v[122:123], v[124:125], v[126:127] op_sel_hi:[1,0,1]
	v_pk_fma_f32 v[122:123], v[122:123], v[124:125], v[126:127] neg_lo:[0,0,1] neg_hi:[0,0,1]
	s_delay_alu instid0(VALU_DEP_2)
	v_mov_b32_e32 v123, v129
	scratch_store_b64 off, v[122:123], off offset:272
.LBB58_245:
	s_wait_xcnt 0x0
	s_or_b32 exec_lo, exec_lo, s2
	scratch_load_b64 v[122:123], off, off offset:264
	v_cmp_lt_u32_e64 s1, 33, v0
	s_wait_loadcnt 0x0
	ds_store_b64 v1, v[122:123]
	s_wait_storecnt_dscnt 0x0
	s_barrier_signal -1
	s_barrier_wait -1
	s_wait_xcnt 0x0
	s_and_saveexec_b32 s2, s1
	s_cbranch_execz .LBB58_255
; %bb.246:
	s_and_not1_b32 vcc_lo, exec_lo, s3
	s_cbranch_vccnz .LBB58_248
; %bb.247:
	scratch_load_b64 v[122:123], v59, off
	ds_load_b64 v[124:125], v1
	s_wait_loadcnt_dscnt 0x0
	v_pk_mul_f32 v[126:127], v[124:125], v[122:123] op_sel:[1,1] op_sel_hi:[0,1]
	s_delay_alu instid0(VALU_DEP_1) | instskip(SKIP_1) | instid1(VALU_DEP_2)
	v_pk_fma_f32 v[128:129], v[124:125], v[122:123], v[126:127] op_sel_hi:[1,0,1]
	v_pk_fma_f32 v[122:123], v[124:125], v[122:123], v[126:127] neg_lo:[0,0,1] neg_hi:[0,0,1]
	v_mov_b32_e32 v123, v129
	s_cbranch_execz .LBB58_249
	s_branch .LBB58_250
.LBB58_248:
                                        ; implicit-def: $vgpr122_vgpr123
.LBB58_249:
	ds_load_b64 v[122:123], v1
.LBB58_250:
	s_and_saveexec_b32 s23, s0
	s_cbranch_execz .LBB58_254
; %bb.251:
	v_subrev_nc_u32_e32 v124, 34, v0
	s_movk_i32 s24, 0x2f0
	s_mov_b32 s0, 0
.LBB58_252:                             ; =>This Inner Loop Header: Depth=1
	scratch_load_b64 v[126:127], off, s22
	v_dual_mov_b32 v125, s24 :: v_dual_add_nc_u32 v124, -1, v124
	s_add_co_i32 s24, s24, 8
	s_wait_xcnt 0x0
	s_add_co_i32 s22, s22, 8
	ds_load_b64 v[128:129], v125
	v_cmp_eq_u32_e32 vcc_lo, 0, v124
	s_or_b32 s0, vcc_lo, s0
	s_wait_loadcnt_dscnt 0x0
	v_pk_mul_f32 v[130:131], v[128:129], v[126:127] op_sel:[1,1] op_sel_hi:[0,1]
	s_delay_alu instid0(VALU_DEP_1) | instskip(SKIP_1) | instid1(VALU_DEP_2)
	v_pk_fma_f32 v[132:133], v[128:129], v[126:127], v[130:131] op_sel_hi:[1,0,1]
	v_pk_fma_f32 v[126:127], v[128:129], v[126:127], v[130:131] neg_lo:[0,0,1] neg_hi:[0,0,1]
	v_mov_b32_e32 v127, v133
	s_delay_alu instid0(VALU_DEP_1)
	v_pk_add_f32 v[122:123], v[122:123], v[126:127]
	s_and_not1_b32 exec_lo, exec_lo, s0
	s_cbranch_execnz .LBB58_252
; %bb.253:
	s_or_b32 exec_lo, exec_lo, s0
.LBB58_254:
	s_delay_alu instid0(SALU_CYCLE_1) | instskip(SKIP_4) | instid1(VALU_DEP_1)
	s_or_b32 exec_lo, exec_lo, s23
	v_mov_b32_e32 v124, 0
	ds_load_b64 v[124:125], v124 offset:264
	s_wait_dscnt 0x0
	v_pk_mul_f32 v[126:127], v[122:123], v[124:125] op_sel:[1,1] op_sel_hi:[0,1]
	v_pk_fma_f32 v[128:129], v[122:123], v[124:125], v[126:127] op_sel_hi:[1,0,1]
	v_pk_fma_f32 v[122:123], v[122:123], v[124:125], v[126:127] neg_lo:[0,0,1] neg_hi:[0,0,1]
	s_delay_alu instid0(VALU_DEP_2)
	v_mov_b32_e32 v123, v129
	scratch_store_b64 off, v[122:123], off offset:264
.LBB58_255:
	s_wait_xcnt 0x0
	s_or_b32 exec_lo, exec_lo, s2
	scratch_load_b64 v[122:123], off, off offset:256
	v_cmp_lt_u32_e64 s0, 32, v0
	s_wait_loadcnt 0x0
	ds_store_b64 v1, v[122:123]
	s_wait_storecnt_dscnt 0x0
	s_barrier_signal -1
	s_barrier_wait -1
	s_wait_xcnt 0x0
	s_and_saveexec_b32 s2, s0
	s_cbranch_execz .LBB58_265
; %bb.256:
	s_and_not1_b32 vcc_lo, exec_lo, s3
	s_cbranch_vccnz .LBB58_258
; %bb.257:
	scratch_load_b64 v[122:123], v59, off
	ds_load_b64 v[124:125], v1
	s_wait_loadcnt_dscnt 0x0
	v_pk_mul_f32 v[126:127], v[124:125], v[122:123] op_sel:[1,1] op_sel_hi:[0,1]
	s_delay_alu instid0(VALU_DEP_1) | instskip(SKIP_1) | instid1(VALU_DEP_2)
	v_pk_fma_f32 v[128:129], v[124:125], v[122:123], v[126:127] op_sel_hi:[1,0,1]
	v_pk_fma_f32 v[122:123], v[124:125], v[122:123], v[126:127] neg_lo:[0,0,1] neg_hi:[0,0,1]
	v_mov_b32_e32 v123, v129
	s_cbranch_execz .LBB58_259
	s_branch .LBB58_260
.LBB58_258:
                                        ; implicit-def: $vgpr122_vgpr123
.LBB58_259:
	ds_load_b64 v[122:123], v1
.LBB58_260:
	s_and_saveexec_b32 s22, s1
	s_cbranch_execz .LBB58_264
; %bb.261:
	v_subrev_nc_u32_e32 v124, 33, v0
	s_movk_i32 s1, 0x108
	s_movk_i32 s24, 0x2e8
	s_mov_b32 s23, 0
.LBB58_262:                             ; =>This Inner Loop Header: Depth=1
	scratch_load_b64 v[126:127], off, s1
	v_dual_mov_b32 v125, s24 :: v_dual_add_nc_u32 v124, -1, v124
	s_add_co_i32 s24, s24, 8
	s_wait_xcnt 0x0
	s_add_co_i32 s1, s1, 8
	ds_load_b64 v[128:129], v125
	v_cmp_eq_u32_e32 vcc_lo, 0, v124
	s_or_b32 s23, vcc_lo, s23
	s_wait_loadcnt_dscnt 0x0
	v_pk_mul_f32 v[130:131], v[128:129], v[126:127] op_sel:[1,1] op_sel_hi:[0,1]
	s_delay_alu instid0(VALU_DEP_1) | instskip(SKIP_1) | instid1(VALU_DEP_2)
	v_pk_fma_f32 v[132:133], v[128:129], v[126:127], v[130:131] op_sel_hi:[1,0,1]
	v_pk_fma_f32 v[126:127], v[128:129], v[126:127], v[130:131] neg_lo:[0,0,1] neg_hi:[0,0,1]
	v_mov_b32_e32 v127, v133
	s_delay_alu instid0(VALU_DEP_1)
	v_pk_add_f32 v[122:123], v[122:123], v[126:127]
	s_and_not1_b32 exec_lo, exec_lo, s23
	s_cbranch_execnz .LBB58_262
; %bb.263:
	s_or_b32 exec_lo, exec_lo, s23
.LBB58_264:
	s_delay_alu instid0(SALU_CYCLE_1) | instskip(SKIP_4) | instid1(VALU_DEP_1)
	s_or_b32 exec_lo, exec_lo, s22
	v_mov_b32_e32 v124, 0
	ds_load_b64 v[124:125], v124 offset:256
	s_wait_dscnt 0x0
	v_pk_mul_f32 v[126:127], v[122:123], v[124:125] op_sel:[1,1] op_sel_hi:[0,1]
	v_pk_fma_f32 v[128:129], v[122:123], v[124:125], v[126:127] op_sel_hi:[1,0,1]
	v_pk_fma_f32 v[122:123], v[122:123], v[124:125], v[126:127] neg_lo:[0,0,1] neg_hi:[0,0,1]
	s_delay_alu instid0(VALU_DEP_2)
	v_mov_b32_e32 v123, v129
	scratch_store_b64 off, v[122:123], off offset:256
.LBB58_265:
	s_wait_xcnt 0x0
	s_or_b32 exec_lo, exec_lo, s2
	scratch_load_b64 v[122:123], off, off offset:248
	v_cmp_lt_u32_e64 s1, 31, v0
	s_wait_loadcnt 0x0
	ds_store_b64 v1, v[122:123]
	s_wait_storecnt_dscnt 0x0
	s_barrier_signal -1
	s_barrier_wait -1
	s_wait_xcnt 0x0
	s_and_saveexec_b32 s2, s1
	s_cbranch_execz .LBB58_275
; %bb.266:
	s_and_not1_b32 vcc_lo, exec_lo, s3
	s_cbranch_vccnz .LBB58_268
; %bb.267:
	scratch_load_b64 v[122:123], v59, off
	ds_load_b64 v[124:125], v1
	s_wait_loadcnt_dscnt 0x0
	v_pk_mul_f32 v[126:127], v[124:125], v[122:123] op_sel:[1,1] op_sel_hi:[0,1]
	s_delay_alu instid0(VALU_DEP_1) | instskip(SKIP_1) | instid1(VALU_DEP_2)
	v_pk_fma_f32 v[128:129], v[124:125], v[122:123], v[126:127] op_sel_hi:[1,0,1]
	v_pk_fma_f32 v[122:123], v[124:125], v[122:123], v[126:127] neg_lo:[0,0,1] neg_hi:[0,0,1]
	v_mov_b32_e32 v123, v129
	s_cbranch_execz .LBB58_269
	s_branch .LBB58_270
.LBB58_268:
                                        ; implicit-def: $vgpr122_vgpr123
.LBB58_269:
	ds_load_b64 v[122:123], v1
.LBB58_270:
	s_and_saveexec_b32 s22, s0
	s_cbranch_execz .LBB58_274
; %bb.271:
	v_subrev_nc_u32_e32 v124, 32, v0
	s_movk_i32 s23, 0x2e0
	s_mov_b32 s0, 0
.LBB58_272:                             ; =>This Inner Loop Header: Depth=1
	scratch_load_b64 v[126:127], off, s21
	v_dual_mov_b32 v125, s23 :: v_dual_add_nc_u32 v124, -1, v124
	s_add_co_i32 s23, s23, 8
	s_wait_xcnt 0x0
	s_add_co_i32 s21, s21, 8
	ds_load_b64 v[128:129], v125
	v_cmp_eq_u32_e32 vcc_lo, 0, v124
	s_or_b32 s0, vcc_lo, s0
	s_wait_loadcnt_dscnt 0x0
	v_pk_mul_f32 v[130:131], v[128:129], v[126:127] op_sel:[1,1] op_sel_hi:[0,1]
	s_delay_alu instid0(VALU_DEP_1) | instskip(SKIP_1) | instid1(VALU_DEP_2)
	v_pk_fma_f32 v[132:133], v[128:129], v[126:127], v[130:131] op_sel_hi:[1,0,1]
	v_pk_fma_f32 v[126:127], v[128:129], v[126:127], v[130:131] neg_lo:[0,0,1] neg_hi:[0,0,1]
	v_mov_b32_e32 v127, v133
	s_delay_alu instid0(VALU_DEP_1)
	v_pk_add_f32 v[122:123], v[122:123], v[126:127]
	s_and_not1_b32 exec_lo, exec_lo, s0
	s_cbranch_execnz .LBB58_272
; %bb.273:
	s_or_b32 exec_lo, exec_lo, s0
.LBB58_274:
	s_delay_alu instid0(SALU_CYCLE_1) | instskip(SKIP_4) | instid1(VALU_DEP_1)
	s_or_b32 exec_lo, exec_lo, s22
	v_mov_b32_e32 v124, 0
	ds_load_b64 v[124:125], v124 offset:248
	s_wait_dscnt 0x0
	v_pk_mul_f32 v[126:127], v[122:123], v[124:125] op_sel:[1,1] op_sel_hi:[0,1]
	v_pk_fma_f32 v[128:129], v[122:123], v[124:125], v[126:127] op_sel_hi:[1,0,1]
	v_pk_fma_f32 v[122:123], v[122:123], v[124:125], v[126:127] neg_lo:[0,0,1] neg_hi:[0,0,1]
	s_delay_alu instid0(VALU_DEP_2)
	v_mov_b32_e32 v123, v129
	scratch_store_b64 off, v[122:123], off offset:248
.LBB58_275:
	s_wait_xcnt 0x0
	s_or_b32 exec_lo, exec_lo, s2
	scratch_load_b64 v[122:123], off, off offset:240
	v_cmp_lt_u32_e64 s0, 30, v0
	s_wait_loadcnt 0x0
	ds_store_b64 v1, v[122:123]
	s_wait_storecnt_dscnt 0x0
	s_barrier_signal -1
	s_barrier_wait -1
	s_wait_xcnt 0x0
	s_and_saveexec_b32 s2, s0
	s_cbranch_execz .LBB58_285
; %bb.276:
	s_and_not1_b32 vcc_lo, exec_lo, s3
	s_cbranch_vccnz .LBB58_278
; %bb.277:
	scratch_load_b64 v[122:123], v59, off
	ds_load_b64 v[124:125], v1
	s_wait_loadcnt_dscnt 0x0
	v_pk_mul_f32 v[126:127], v[124:125], v[122:123] op_sel:[1,1] op_sel_hi:[0,1]
	s_delay_alu instid0(VALU_DEP_1) | instskip(SKIP_1) | instid1(VALU_DEP_2)
	v_pk_fma_f32 v[128:129], v[124:125], v[122:123], v[126:127] op_sel_hi:[1,0,1]
	v_pk_fma_f32 v[122:123], v[124:125], v[122:123], v[126:127] neg_lo:[0,0,1] neg_hi:[0,0,1]
	v_mov_b32_e32 v123, v129
	s_cbranch_execz .LBB58_279
	s_branch .LBB58_280
.LBB58_278:
                                        ; implicit-def: $vgpr122_vgpr123
.LBB58_279:
	ds_load_b64 v[122:123], v1
.LBB58_280:
	s_and_saveexec_b32 s21, s1
	s_cbranch_execz .LBB58_284
; %bb.281:
	v_subrev_nc_u32_e32 v124, 31, v0
	s_movk_i32 s1, 0xf8
	s_movk_i32 s23, 0x2d8
	s_mov_b32 s22, 0
.LBB58_282:                             ; =>This Inner Loop Header: Depth=1
	scratch_load_b64 v[126:127], off, s1
	v_dual_mov_b32 v125, s23 :: v_dual_add_nc_u32 v124, -1, v124
	s_add_co_i32 s23, s23, 8
	s_wait_xcnt 0x0
	s_add_co_i32 s1, s1, 8
	ds_load_b64 v[128:129], v125
	v_cmp_eq_u32_e32 vcc_lo, 0, v124
	s_or_b32 s22, vcc_lo, s22
	s_wait_loadcnt_dscnt 0x0
	v_pk_mul_f32 v[130:131], v[128:129], v[126:127] op_sel:[1,1] op_sel_hi:[0,1]
	s_delay_alu instid0(VALU_DEP_1) | instskip(SKIP_1) | instid1(VALU_DEP_2)
	v_pk_fma_f32 v[132:133], v[128:129], v[126:127], v[130:131] op_sel_hi:[1,0,1]
	v_pk_fma_f32 v[126:127], v[128:129], v[126:127], v[130:131] neg_lo:[0,0,1] neg_hi:[0,0,1]
	v_mov_b32_e32 v127, v133
	s_delay_alu instid0(VALU_DEP_1)
	v_pk_add_f32 v[122:123], v[122:123], v[126:127]
	s_and_not1_b32 exec_lo, exec_lo, s22
	s_cbranch_execnz .LBB58_282
; %bb.283:
	s_or_b32 exec_lo, exec_lo, s22
.LBB58_284:
	s_delay_alu instid0(SALU_CYCLE_1) | instskip(SKIP_4) | instid1(VALU_DEP_1)
	s_or_b32 exec_lo, exec_lo, s21
	v_mov_b32_e32 v124, 0
	ds_load_b64 v[124:125], v124 offset:240
	s_wait_dscnt 0x0
	v_pk_mul_f32 v[126:127], v[122:123], v[124:125] op_sel:[1,1] op_sel_hi:[0,1]
	v_pk_fma_f32 v[128:129], v[122:123], v[124:125], v[126:127] op_sel_hi:[1,0,1]
	v_pk_fma_f32 v[122:123], v[122:123], v[124:125], v[126:127] neg_lo:[0,0,1] neg_hi:[0,0,1]
	s_delay_alu instid0(VALU_DEP_2)
	v_mov_b32_e32 v123, v129
	scratch_store_b64 off, v[122:123], off offset:240
.LBB58_285:
	s_wait_xcnt 0x0
	s_or_b32 exec_lo, exec_lo, s2
	scratch_load_b64 v[122:123], off, off offset:232
	v_cmp_lt_u32_e64 s1, 29, v0
	s_wait_loadcnt 0x0
	ds_store_b64 v1, v[122:123]
	s_wait_storecnt_dscnt 0x0
	s_barrier_signal -1
	s_barrier_wait -1
	s_wait_xcnt 0x0
	s_and_saveexec_b32 s2, s1
	s_cbranch_execz .LBB58_295
; %bb.286:
	s_and_not1_b32 vcc_lo, exec_lo, s3
	s_cbranch_vccnz .LBB58_288
; %bb.287:
	scratch_load_b64 v[122:123], v59, off
	ds_load_b64 v[124:125], v1
	s_wait_loadcnt_dscnt 0x0
	v_pk_mul_f32 v[126:127], v[124:125], v[122:123] op_sel:[1,1] op_sel_hi:[0,1]
	s_delay_alu instid0(VALU_DEP_1) | instskip(SKIP_1) | instid1(VALU_DEP_2)
	v_pk_fma_f32 v[128:129], v[124:125], v[122:123], v[126:127] op_sel_hi:[1,0,1]
	v_pk_fma_f32 v[122:123], v[124:125], v[122:123], v[126:127] neg_lo:[0,0,1] neg_hi:[0,0,1]
	v_mov_b32_e32 v123, v129
	s_cbranch_execz .LBB58_289
	s_branch .LBB58_290
.LBB58_288:
                                        ; implicit-def: $vgpr122_vgpr123
.LBB58_289:
	ds_load_b64 v[122:123], v1
.LBB58_290:
	s_and_saveexec_b32 s21, s0
	s_cbranch_execz .LBB58_294
; %bb.291:
	v_subrev_nc_u32_e32 v124, 30, v0
	s_movk_i32 s22, 0x2d0
	s_mov_b32 s0, 0
.LBB58_292:                             ; =>This Inner Loop Header: Depth=1
	scratch_load_b64 v[126:127], off, s20
	v_dual_mov_b32 v125, s22 :: v_dual_add_nc_u32 v124, -1, v124
	s_add_co_i32 s22, s22, 8
	s_wait_xcnt 0x0
	s_add_co_i32 s20, s20, 8
	ds_load_b64 v[128:129], v125
	v_cmp_eq_u32_e32 vcc_lo, 0, v124
	s_or_b32 s0, vcc_lo, s0
	s_wait_loadcnt_dscnt 0x0
	v_pk_mul_f32 v[130:131], v[128:129], v[126:127] op_sel:[1,1] op_sel_hi:[0,1]
	s_delay_alu instid0(VALU_DEP_1) | instskip(SKIP_1) | instid1(VALU_DEP_2)
	v_pk_fma_f32 v[132:133], v[128:129], v[126:127], v[130:131] op_sel_hi:[1,0,1]
	v_pk_fma_f32 v[126:127], v[128:129], v[126:127], v[130:131] neg_lo:[0,0,1] neg_hi:[0,0,1]
	v_mov_b32_e32 v127, v133
	s_delay_alu instid0(VALU_DEP_1)
	v_pk_add_f32 v[122:123], v[122:123], v[126:127]
	s_and_not1_b32 exec_lo, exec_lo, s0
	s_cbranch_execnz .LBB58_292
; %bb.293:
	s_or_b32 exec_lo, exec_lo, s0
.LBB58_294:
	s_delay_alu instid0(SALU_CYCLE_1) | instskip(SKIP_4) | instid1(VALU_DEP_1)
	s_or_b32 exec_lo, exec_lo, s21
	v_mov_b32_e32 v124, 0
	ds_load_b64 v[124:125], v124 offset:232
	s_wait_dscnt 0x0
	v_pk_mul_f32 v[126:127], v[122:123], v[124:125] op_sel:[1,1] op_sel_hi:[0,1]
	v_pk_fma_f32 v[128:129], v[122:123], v[124:125], v[126:127] op_sel_hi:[1,0,1]
	v_pk_fma_f32 v[122:123], v[122:123], v[124:125], v[126:127] neg_lo:[0,0,1] neg_hi:[0,0,1]
	s_delay_alu instid0(VALU_DEP_2)
	v_mov_b32_e32 v123, v129
	scratch_store_b64 off, v[122:123], off offset:232
.LBB58_295:
	s_wait_xcnt 0x0
	s_or_b32 exec_lo, exec_lo, s2
	scratch_load_b64 v[122:123], off, off offset:224
	v_cmp_lt_u32_e64 s0, 28, v0
	s_wait_loadcnt 0x0
	ds_store_b64 v1, v[122:123]
	s_wait_storecnt_dscnt 0x0
	s_barrier_signal -1
	s_barrier_wait -1
	s_wait_xcnt 0x0
	s_and_saveexec_b32 s2, s0
	s_cbranch_execz .LBB58_305
; %bb.296:
	s_and_not1_b32 vcc_lo, exec_lo, s3
	s_cbranch_vccnz .LBB58_298
; %bb.297:
	scratch_load_b64 v[122:123], v59, off
	ds_load_b64 v[124:125], v1
	s_wait_loadcnt_dscnt 0x0
	v_pk_mul_f32 v[126:127], v[124:125], v[122:123] op_sel:[1,1] op_sel_hi:[0,1]
	s_delay_alu instid0(VALU_DEP_1) | instskip(SKIP_1) | instid1(VALU_DEP_2)
	v_pk_fma_f32 v[128:129], v[124:125], v[122:123], v[126:127] op_sel_hi:[1,0,1]
	v_pk_fma_f32 v[122:123], v[124:125], v[122:123], v[126:127] neg_lo:[0,0,1] neg_hi:[0,0,1]
	v_mov_b32_e32 v123, v129
	s_cbranch_execz .LBB58_299
	s_branch .LBB58_300
.LBB58_298:
                                        ; implicit-def: $vgpr122_vgpr123
.LBB58_299:
	ds_load_b64 v[122:123], v1
.LBB58_300:
	s_and_saveexec_b32 s20, s1
	s_cbranch_execz .LBB58_304
; %bb.301:
	v_subrev_nc_u32_e32 v124, 29, v0
	s_movk_i32 s1, 0xe8
	s_movk_i32 s22, 0x2c8
	s_mov_b32 s21, 0
.LBB58_302:                             ; =>This Inner Loop Header: Depth=1
	scratch_load_b64 v[126:127], off, s1
	v_dual_mov_b32 v125, s22 :: v_dual_add_nc_u32 v124, -1, v124
	s_add_co_i32 s22, s22, 8
	s_wait_xcnt 0x0
	s_add_co_i32 s1, s1, 8
	ds_load_b64 v[128:129], v125
	v_cmp_eq_u32_e32 vcc_lo, 0, v124
	s_or_b32 s21, vcc_lo, s21
	s_wait_loadcnt_dscnt 0x0
	v_pk_mul_f32 v[130:131], v[128:129], v[126:127] op_sel:[1,1] op_sel_hi:[0,1]
	s_delay_alu instid0(VALU_DEP_1) | instskip(SKIP_1) | instid1(VALU_DEP_2)
	v_pk_fma_f32 v[132:133], v[128:129], v[126:127], v[130:131] op_sel_hi:[1,0,1]
	v_pk_fma_f32 v[126:127], v[128:129], v[126:127], v[130:131] neg_lo:[0,0,1] neg_hi:[0,0,1]
	v_mov_b32_e32 v127, v133
	s_delay_alu instid0(VALU_DEP_1)
	v_pk_add_f32 v[122:123], v[122:123], v[126:127]
	s_and_not1_b32 exec_lo, exec_lo, s21
	s_cbranch_execnz .LBB58_302
; %bb.303:
	s_or_b32 exec_lo, exec_lo, s21
.LBB58_304:
	s_delay_alu instid0(SALU_CYCLE_1) | instskip(SKIP_4) | instid1(VALU_DEP_1)
	s_or_b32 exec_lo, exec_lo, s20
	v_mov_b32_e32 v124, 0
	ds_load_b64 v[124:125], v124 offset:224
	s_wait_dscnt 0x0
	v_pk_mul_f32 v[126:127], v[122:123], v[124:125] op_sel:[1,1] op_sel_hi:[0,1]
	v_pk_fma_f32 v[128:129], v[122:123], v[124:125], v[126:127] op_sel_hi:[1,0,1]
	v_pk_fma_f32 v[122:123], v[122:123], v[124:125], v[126:127] neg_lo:[0,0,1] neg_hi:[0,0,1]
	s_delay_alu instid0(VALU_DEP_2)
	v_mov_b32_e32 v123, v129
	scratch_store_b64 off, v[122:123], off offset:224
.LBB58_305:
	s_wait_xcnt 0x0
	s_or_b32 exec_lo, exec_lo, s2
	scratch_load_b64 v[122:123], off, off offset:216
	v_cmp_lt_u32_e64 s1, 27, v0
	s_wait_loadcnt 0x0
	ds_store_b64 v1, v[122:123]
	s_wait_storecnt_dscnt 0x0
	s_barrier_signal -1
	s_barrier_wait -1
	s_wait_xcnt 0x0
	s_and_saveexec_b32 s2, s1
	s_cbranch_execz .LBB58_315
; %bb.306:
	s_and_not1_b32 vcc_lo, exec_lo, s3
	s_cbranch_vccnz .LBB58_308
; %bb.307:
	scratch_load_b64 v[122:123], v59, off
	ds_load_b64 v[124:125], v1
	s_wait_loadcnt_dscnt 0x0
	v_pk_mul_f32 v[126:127], v[124:125], v[122:123] op_sel:[1,1] op_sel_hi:[0,1]
	s_delay_alu instid0(VALU_DEP_1) | instskip(SKIP_1) | instid1(VALU_DEP_2)
	v_pk_fma_f32 v[128:129], v[124:125], v[122:123], v[126:127] op_sel_hi:[1,0,1]
	v_pk_fma_f32 v[122:123], v[124:125], v[122:123], v[126:127] neg_lo:[0,0,1] neg_hi:[0,0,1]
	v_mov_b32_e32 v123, v129
	s_cbranch_execz .LBB58_309
	s_branch .LBB58_310
.LBB58_308:
                                        ; implicit-def: $vgpr122_vgpr123
.LBB58_309:
	ds_load_b64 v[122:123], v1
.LBB58_310:
	s_and_saveexec_b32 s20, s0
	s_cbranch_execz .LBB58_314
; %bb.311:
	v_subrev_nc_u32_e32 v124, 28, v0
	s_movk_i32 s21, 0x2c0
	s_mov_b32 s0, 0
.LBB58_312:                             ; =>This Inner Loop Header: Depth=1
	scratch_load_b64 v[126:127], off, s19
	v_dual_mov_b32 v125, s21 :: v_dual_add_nc_u32 v124, -1, v124
	s_add_co_i32 s21, s21, 8
	s_wait_xcnt 0x0
	s_add_co_i32 s19, s19, 8
	ds_load_b64 v[128:129], v125
	v_cmp_eq_u32_e32 vcc_lo, 0, v124
	s_or_b32 s0, vcc_lo, s0
	s_wait_loadcnt_dscnt 0x0
	v_pk_mul_f32 v[130:131], v[128:129], v[126:127] op_sel:[1,1] op_sel_hi:[0,1]
	s_delay_alu instid0(VALU_DEP_1) | instskip(SKIP_1) | instid1(VALU_DEP_2)
	v_pk_fma_f32 v[132:133], v[128:129], v[126:127], v[130:131] op_sel_hi:[1,0,1]
	v_pk_fma_f32 v[126:127], v[128:129], v[126:127], v[130:131] neg_lo:[0,0,1] neg_hi:[0,0,1]
	v_mov_b32_e32 v127, v133
	s_delay_alu instid0(VALU_DEP_1)
	v_pk_add_f32 v[122:123], v[122:123], v[126:127]
	s_and_not1_b32 exec_lo, exec_lo, s0
	s_cbranch_execnz .LBB58_312
; %bb.313:
	s_or_b32 exec_lo, exec_lo, s0
.LBB58_314:
	s_delay_alu instid0(SALU_CYCLE_1) | instskip(SKIP_4) | instid1(VALU_DEP_1)
	s_or_b32 exec_lo, exec_lo, s20
	v_mov_b32_e32 v124, 0
	ds_load_b64 v[124:125], v124 offset:216
	s_wait_dscnt 0x0
	v_pk_mul_f32 v[126:127], v[122:123], v[124:125] op_sel:[1,1] op_sel_hi:[0,1]
	v_pk_fma_f32 v[128:129], v[122:123], v[124:125], v[126:127] op_sel_hi:[1,0,1]
	v_pk_fma_f32 v[122:123], v[122:123], v[124:125], v[126:127] neg_lo:[0,0,1] neg_hi:[0,0,1]
	s_delay_alu instid0(VALU_DEP_2)
	v_mov_b32_e32 v123, v129
	scratch_store_b64 off, v[122:123], off offset:216
.LBB58_315:
	s_wait_xcnt 0x0
	s_or_b32 exec_lo, exec_lo, s2
	scratch_load_b64 v[122:123], off, off offset:208
	v_cmp_lt_u32_e64 s0, 26, v0
	s_wait_loadcnt 0x0
	ds_store_b64 v1, v[122:123]
	s_wait_storecnt_dscnt 0x0
	s_barrier_signal -1
	s_barrier_wait -1
	s_wait_xcnt 0x0
	s_and_saveexec_b32 s2, s0
	s_cbranch_execz .LBB58_325
; %bb.316:
	s_and_not1_b32 vcc_lo, exec_lo, s3
	s_cbranch_vccnz .LBB58_318
; %bb.317:
	scratch_load_b64 v[122:123], v59, off
	ds_load_b64 v[124:125], v1
	s_wait_loadcnt_dscnt 0x0
	v_pk_mul_f32 v[126:127], v[124:125], v[122:123] op_sel:[1,1] op_sel_hi:[0,1]
	s_delay_alu instid0(VALU_DEP_1) | instskip(SKIP_1) | instid1(VALU_DEP_2)
	v_pk_fma_f32 v[128:129], v[124:125], v[122:123], v[126:127] op_sel_hi:[1,0,1]
	v_pk_fma_f32 v[122:123], v[124:125], v[122:123], v[126:127] neg_lo:[0,0,1] neg_hi:[0,0,1]
	v_mov_b32_e32 v123, v129
	s_cbranch_execz .LBB58_319
	s_branch .LBB58_320
.LBB58_318:
                                        ; implicit-def: $vgpr122_vgpr123
.LBB58_319:
	ds_load_b64 v[122:123], v1
.LBB58_320:
	s_and_saveexec_b32 s19, s1
	s_cbranch_execz .LBB58_324
; %bb.321:
	v_subrev_nc_u32_e32 v124, 27, v0
	s_movk_i32 s1, 0xd8
	s_movk_i32 s21, 0x2b8
	s_mov_b32 s20, 0
.LBB58_322:                             ; =>This Inner Loop Header: Depth=1
	scratch_load_b64 v[126:127], off, s1
	v_dual_mov_b32 v125, s21 :: v_dual_add_nc_u32 v124, -1, v124
	s_add_co_i32 s21, s21, 8
	s_wait_xcnt 0x0
	s_add_co_i32 s1, s1, 8
	ds_load_b64 v[128:129], v125
	v_cmp_eq_u32_e32 vcc_lo, 0, v124
	s_or_b32 s20, vcc_lo, s20
	s_wait_loadcnt_dscnt 0x0
	v_pk_mul_f32 v[130:131], v[128:129], v[126:127] op_sel:[1,1] op_sel_hi:[0,1]
	s_delay_alu instid0(VALU_DEP_1) | instskip(SKIP_1) | instid1(VALU_DEP_2)
	v_pk_fma_f32 v[132:133], v[128:129], v[126:127], v[130:131] op_sel_hi:[1,0,1]
	v_pk_fma_f32 v[126:127], v[128:129], v[126:127], v[130:131] neg_lo:[0,0,1] neg_hi:[0,0,1]
	v_mov_b32_e32 v127, v133
	s_delay_alu instid0(VALU_DEP_1)
	v_pk_add_f32 v[122:123], v[122:123], v[126:127]
	s_and_not1_b32 exec_lo, exec_lo, s20
	s_cbranch_execnz .LBB58_322
; %bb.323:
	s_or_b32 exec_lo, exec_lo, s20
.LBB58_324:
	s_delay_alu instid0(SALU_CYCLE_1) | instskip(SKIP_4) | instid1(VALU_DEP_1)
	s_or_b32 exec_lo, exec_lo, s19
	v_mov_b32_e32 v124, 0
	ds_load_b64 v[124:125], v124 offset:208
	s_wait_dscnt 0x0
	v_pk_mul_f32 v[126:127], v[122:123], v[124:125] op_sel:[1,1] op_sel_hi:[0,1]
	v_pk_fma_f32 v[128:129], v[122:123], v[124:125], v[126:127] op_sel_hi:[1,0,1]
	v_pk_fma_f32 v[122:123], v[122:123], v[124:125], v[126:127] neg_lo:[0,0,1] neg_hi:[0,0,1]
	s_delay_alu instid0(VALU_DEP_2)
	v_mov_b32_e32 v123, v129
	scratch_store_b64 off, v[122:123], off offset:208
.LBB58_325:
	s_wait_xcnt 0x0
	s_or_b32 exec_lo, exec_lo, s2
	scratch_load_b64 v[122:123], off, off offset:200
	v_cmp_lt_u32_e64 s1, 25, v0
	s_wait_loadcnt 0x0
	ds_store_b64 v1, v[122:123]
	s_wait_storecnt_dscnt 0x0
	s_barrier_signal -1
	s_barrier_wait -1
	s_wait_xcnt 0x0
	s_and_saveexec_b32 s2, s1
	s_cbranch_execz .LBB58_335
; %bb.326:
	s_and_not1_b32 vcc_lo, exec_lo, s3
	s_cbranch_vccnz .LBB58_328
; %bb.327:
	scratch_load_b64 v[122:123], v59, off
	ds_load_b64 v[124:125], v1
	s_wait_loadcnt_dscnt 0x0
	v_pk_mul_f32 v[126:127], v[124:125], v[122:123] op_sel:[1,1] op_sel_hi:[0,1]
	s_delay_alu instid0(VALU_DEP_1) | instskip(SKIP_1) | instid1(VALU_DEP_2)
	v_pk_fma_f32 v[128:129], v[124:125], v[122:123], v[126:127] op_sel_hi:[1,0,1]
	v_pk_fma_f32 v[122:123], v[124:125], v[122:123], v[126:127] neg_lo:[0,0,1] neg_hi:[0,0,1]
	v_mov_b32_e32 v123, v129
	s_cbranch_execz .LBB58_329
	s_branch .LBB58_330
.LBB58_328:
                                        ; implicit-def: $vgpr122_vgpr123
.LBB58_329:
	ds_load_b64 v[122:123], v1
.LBB58_330:
	s_and_saveexec_b32 s19, s0
	s_cbranch_execz .LBB58_334
; %bb.331:
	v_subrev_nc_u32_e32 v124, 26, v0
	s_movk_i32 s20, 0x2b0
	s_mov_b32 s0, 0
.LBB58_332:                             ; =>This Inner Loop Header: Depth=1
	scratch_load_b64 v[126:127], off, s18
	v_dual_mov_b32 v125, s20 :: v_dual_add_nc_u32 v124, -1, v124
	s_add_co_i32 s20, s20, 8
	s_wait_xcnt 0x0
	s_add_co_i32 s18, s18, 8
	ds_load_b64 v[128:129], v125
	v_cmp_eq_u32_e32 vcc_lo, 0, v124
	s_or_b32 s0, vcc_lo, s0
	s_wait_loadcnt_dscnt 0x0
	v_pk_mul_f32 v[130:131], v[128:129], v[126:127] op_sel:[1,1] op_sel_hi:[0,1]
	s_delay_alu instid0(VALU_DEP_1) | instskip(SKIP_1) | instid1(VALU_DEP_2)
	v_pk_fma_f32 v[132:133], v[128:129], v[126:127], v[130:131] op_sel_hi:[1,0,1]
	v_pk_fma_f32 v[126:127], v[128:129], v[126:127], v[130:131] neg_lo:[0,0,1] neg_hi:[0,0,1]
	v_mov_b32_e32 v127, v133
	s_delay_alu instid0(VALU_DEP_1)
	v_pk_add_f32 v[122:123], v[122:123], v[126:127]
	s_and_not1_b32 exec_lo, exec_lo, s0
	s_cbranch_execnz .LBB58_332
; %bb.333:
	s_or_b32 exec_lo, exec_lo, s0
.LBB58_334:
	s_delay_alu instid0(SALU_CYCLE_1) | instskip(SKIP_4) | instid1(VALU_DEP_1)
	s_or_b32 exec_lo, exec_lo, s19
	v_mov_b32_e32 v124, 0
	ds_load_b64 v[124:125], v124 offset:200
	s_wait_dscnt 0x0
	v_pk_mul_f32 v[126:127], v[122:123], v[124:125] op_sel:[1,1] op_sel_hi:[0,1]
	v_pk_fma_f32 v[128:129], v[122:123], v[124:125], v[126:127] op_sel_hi:[1,0,1]
	v_pk_fma_f32 v[122:123], v[122:123], v[124:125], v[126:127] neg_lo:[0,0,1] neg_hi:[0,0,1]
	s_delay_alu instid0(VALU_DEP_2)
	v_mov_b32_e32 v123, v129
	scratch_store_b64 off, v[122:123], off offset:200
.LBB58_335:
	s_wait_xcnt 0x0
	s_or_b32 exec_lo, exec_lo, s2
	scratch_load_b64 v[122:123], off, off offset:192
	v_cmp_lt_u32_e64 s0, 24, v0
	s_wait_loadcnt 0x0
	ds_store_b64 v1, v[122:123]
	s_wait_storecnt_dscnt 0x0
	s_barrier_signal -1
	s_barrier_wait -1
	s_wait_xcnt 0x0
	s_and_saveexec_b32 s2, s0
	s_cbranch_execz .LBB58_345
; %bb.336:
	s_and_not1_b32 vcc_lo, exec_lo, s3
	s_cbranch_vccnz .LBB58_338
; %bb.337:
	scratch_load_b64 v[122:123], v59, off
	ds_load_b64 v[124:125], v1
	s_wait_loadcnt_dscnt 0x0
	v_pk_mul_f32 v[126:127], v[124:125], v[122:123] op_sel:[1,1] op_sel_hi:[0,1]
	s_delay_alu instid0(VALU_DEP_1) | instskip(SKIP_1) | instid1(VALU_DEP_2)
	v_pk_fma_f32 v[128:129], v[124:125], v[122:123], v[126:127] op_sel_hi:[1,0,1]
	v_pk_fma_f32 v[122:123], v[124:125], v[122:123], v[126:127] neg_lo:[0,0,1] neg_hi:[0,0,1]
	v_mov_b32_e32 v123, v129
	s_cbranch_execz .LBB58_339
	s_branch .LBB58_340
.LBB58_338:
                                        ; implicit-def: $vgpr122_vgpr123
.LBB58_339:
	ds_load_b64 v[122:123], v1
.LBB58_340:
	s_and_saveexec_b32 s18, s1
	s_cbranch_execz .LBB58_344
; %bb.341:
	v_subrev_nc_u32_e32 v124, 25, v0
	s_movk_i32 s1, 0xc8
	s_movk_i32 s20, 0x2a8
	s_mov_b32 s19, 0
.LBB58_342:                             ; =>This Inner Loop Header: Depth=1
	scratch_load_b64 v[126:127], off, s1
	v_dual_mov_b32 v125, s20 :: v_dual_add_nc_u32 v124, -1, v124
	s_add_co_i32 s20, s20, 8
	s_wait_xcnt 0x0
	s_add_co_i32 s1, s1, 8
	ds_load_b64 v[128:129], v125
	v_cmp_eq_u32_e32 vcc_lo, 0, v124
	s_or_b32 s19, vcc_lo, s19
	s_wait_loadcnt_dscnt 0x0
	v_pk_mul_f32 v[130:131], v[128:129], v[126:127] op_sel:[1,1] op_sel_hi:[0,1]
	s_delay_alu instid0(VALU_DEP_1) | instskip(SKIP_1) | instid1(VALU_DEP_2)
	v_pk_fma_f32 v[132:133], v[128:129], v[126:127], v[130:131] op_sel_hi:[1,0,1]
	v_pk_fma_f32 v[126:127], v[128:129], v[126:127], v[130:131] neg_lo:[0,0,1] neg_hi:[0,0,1]
	v_mov_b32_e32 v127, v133
	s_delay_alu instid0(VALU_DEP_1)
	v_pk_add_f32 v[122:123], v[122:123], v[126:127]
	s_and_not1_b32 exec_lo, exec_lo, s19
	s_cbranch_execnz .LBB58_342
; %bb.343:
	s_or_b32 exec_lo, exec_lo, s19
.LBB58_344:
	s_delay_alu instid0(SALU_CYCLE_1) | instskip(SKIP_4) | instid1(VALU_DEP_1)
	s_or_b32 exec_lo, exec_lo, s18
	v_mov_b32_e32 v124, 0
	ds_load_b64 v[124:125], v124 offset:192
	s_wait_dscnt 0x0
	v_pk_mul_f32 v[126:127], v[122:123], v[124:125] op_sel:[1,1] op_sel_hi:[0,1]
	v_pk_fma_f32 v[128:129], v[122:123], v[124:125], v[126:127] op_sel_hi:[1,0,1]
	v_pk_fma_f32 v[122:123], v[122:123], v[124:125], v[126:127] neg_lo:[0,0,1] neg_hi:[0,0,1]
	s_delay_alu instid0(VALU_DEP_2)
	v_mov_b32_e32 v123, v129
	scratch_store_b64 off, v[122:123], off offset:192
.LBB58_345:
	s_wait_xcnt 0x0
	s_or_b32 exec_lo, exec_lo, s2
	scratch_load_b64 v[122:123], off, off offset:184
	v_cmp_lt_u32_e64 s1, 23, v0
	s_wait_loadcnt 0x0
	ds_store_b64 v1, v[122:123]
	s_wait_storecnt_dscnt 0x0
	s_barrier_signal -1
	s_barrier_wait -1
	s_wait_xcnt 0x0
	s_and_saveexec_b32 s2, s1
	s_cbranch_execz .LBB58_355
; %bb.346:
	s_and_not1_b32 vcc_lo, exec_lo, s3
	s_cbranch_vccnz .LBB58_348
; %bb.347:
	scratch_load_b64 v[122:123], v59, off
	ds_load_b64 v[124:125], v1
	s_wait_loadcnt_dscnt 0x0
	v_pk_mul_f32 v[126:127], v[124:125], v[122:123] op_sel:[1,1] op_sel_hi:[0,1]
	s_delay_alu instid0(VALU_DEP_1) | instskip(SKIP_1) | instid1(VALU_DEP_2)
	v_pk_fma_f32 v[128:129], v[124:125], v[122:123], v[126:127] op_sel_hi:[1,0,1]
	v_pk_fma_f32 v[122:123], v[124:125], v[122:123], v[126:127] neg_lo:[0,0,1] neg_hi:[0,0,1]
	v_mov_b32_e32 v123, v129
	s_cbranch_execz .LBB58_349
	s_branch .LBB58_350
.LBB58_348:
                                        ; implicit-def: $vgpr122_vgpr123
.LBB58_349:
	ds_load_b64 v[122:123], v1
.LBB58_350:
	s_and_saveexec_b32 s18, s0
	s_cbranch_execz .LBB58_354
; %bb.351:
	v_subrev_nc_u32_e32 v124, 24, v0
	s_movk_i32 s19, 0x2a0
	s_mov_b32 s0, 0
.LBB58_352:                             ; =>This Inner Loop Header: Depth=1
	scratch_load_b64 v[126:127], off, s17
	v_dual_mov_b32 v125, s19 :: v_dual_add_nc_u32 v124, -1, v124
	s_add_co_i32 s19, s19, 8
	s_wait_xcnt 0x0
	s_add_co_i32 s17, s17, 8
	ds_load_b64 v[128:129], v125
	v_cmp_eq_u32_e32 vcc_lo, 0, v124
	s_or_b32 s0, vcc_lo, s0
	s_wait_loadcnt_dscnt 0x0
	v_pk_mul_f32 v[130:131], v[128:129], v[126:127] op_sel:[1,1] op_sel_hi:[0,1]
	s_delay_alu instid0(VALU_DEP_1) | instskip(SKIP_1) | instid1(VALU_DEP_2)
	v_pk_fma_f32 v[132:133], v[128:129], v[126:127], v[130:131] op_sel_hi:[1,0,1]
	v_pk_fma_f32 v[126:127], v[128:129], v[126:127], v[130:131] neg_lo:[0,0,1] neg_hi:[0,0,1]
	v_mov_b32_e32 v127, v133
	s_delay_alu instid0(VALU_DEP_1)
	v_pk_add_f32 v[122:123], v[122:123], v[126:127]
	s_and_not1_b32 exec_lo, exec_lo, s0
	s_cbranch_execnz .LBB58_352
; %bb.353:
	s_or_b32 exec_lo, exec_lo, s0
.LBB58_354:
	s_delay_alu instid0(SALU_CYCLE_1) | instskip(SKIP_4) | instid1(VALU_DEP_1)
	s_or_b32 exec_lo, exec_lo, s18
	v_mov_b32_e32 v124, 0
	ds_load_b64 v[124:125], v124 offset:184
	s_wait_dscnt 0x0
	v_pk_mul_f32 v[126:127], v[122:123], v[124:125] op_sel:[1,1] op_sel_hi:[0,1]
	v_pk_fma_f32 v[128:129], v[122:123], v[124:125], v[126:127] op_sel_hi:[1,0,1]
	v_pk_fma_f32 v[122:123], v[122:123], v[124:125], v[126:127] neg_lo:[0,0,1] neg_hi:[0,0,1]
	s_delay_alu instid0(VALU_DEP_2)
	v_mov_b32_e32 v123, v129
	scratch_store_b64 off, v[122:123], off offset:184
.LBB58_355:
	s_wait_xcnt 0x0
	s_or_b32 exec_lo, exec_lo, s2
	scratch_load_b64 v[122:123], off, off offset:176
	v_cmp_lt_u32_e64 s0, 22, v0
	s_wait_loadcnt 0x0
	ds_store_b64 v1, v[122:123]
	s_wait_storecnt_dscnt 0x0
	s_barrier_signal -1
	s_barrier_wait -1
	s_wait_xcnt 0x0
	s_and_saveexec_b32 s2, s0
	s_cbranch_execz .LBB58_365
; %bb.356:
	s_and_not1_b32 vcc_lo, exec_lo, s3
	s_cbranch_vccnz .LBB58_358
; %bb.357:
	scratch_load_b64 v[122:123], v59, off
	ds_load_b64 v[124:125], v1
	s_wait_loadcnt_dscnt 0x0
	v_pk_mul_f32 v[126:127], v[124:125], v[122:123] op_sel:[1,1] op_sel_hi:[0,1]
	s_delay_alu instid0(VALU_DEP_1) | instskip(SKIP_1) | instid1(VALU_DEP_2)
	v_pk_fma_f32 v[128:129], v[124:125], v[122:123], v[126:127] op_sel_hi:[1,0,1]
	v_pk_fma_f32 v[122:123], v[124:125], v[122:123], v[126:127] neg_lo:[0,0,1] neg_hi:[0,0,1]
	v_mov_b32_e32 v123, v129
	s_cbranch_execz .LBB58_359
	s_branch .LBB58_360
.LBB58_358:
                                        ; implicit-def: $vgpr122_vgpr123
.LBB58_359:
	ds_load_b64 v[122:123], v1
.LBB58_360:
	s_and_saveexec_b32 s17, s1
	s_cbranch_execz .LBB58_364
; %bb.361:
	v_subrev_nc_u32_e32 v124, 23, v0
	s_movk_i32 s1, 0xb8
	s_movk_i32 s19, 0x298
	s_mov_b32 s18, 0
.LBB58_362:                             ; =>This Inner Loop Header: Depth=1
	scratch_load_b64 v[126:127], off, s1
	v_dual_mov_b32 v125, s19 :: v_dual_add_nc_u32 v124, -1, v124
	s_add_co_i32 s19, s19, 8
	s_wait_xcnt 0x0
	s_add_co_i32 s1, s1, 8
	ds_load_b64 v[128:129], v125
	v_cmp_eq_u32_e32 vcc_lo, 0, v124
	s_or_b32 s18, vcc_lo, s18
	s_wait_loadcnt_dscnt 0x0
	v_pk_mul_f32 v[130:131], v[128:129], v[126:127] op_sel:[1,1] op_sel_hi:[0,1]
	s_delay_alu instid0(VALU_DEP_1) | instskip(SKIP_1) | instid1(VALU_DEP_2)
	v_pk_fma_f32 v[132:133], v[128:129], v[126:127], v[130:131] op_sel_hi:[1,0,1]
	v_pk_fma_f32 v[126:127], v[128:129], v[126:127], v[130:131] neg_lo:[0,0,1] neg_hi:[0,0,1]
	v_mov_b32_e32 v127, v133
	s_delay_alu instid0(VALU_DEP_1)
	v_pk_add_f32 v[122:123], v[122:123], v[126:127]
	s_and_not1_b32 exec_lo, exec_lo, s18
	s_cbranch_execnz .LBB58_362
; %bb.363:
	s_or_b32 exec_lo, exec_lo, s18
.LBB58_364:
	s_delay_alu instid0(SALU_CYCLE_1) | instskip(SKIP_4) | instid1(VALU_DEP_1)
	s_or_b32 exec_lo, exec_lo, s17
	v_mov_b32_e32 v124, 0
	ds_load_b64 v[124:125], v124 offset:176
	s_wait_dscnt 0x0
	v_pk_mul_f32 v[126:127], v[122:123], v[124:125] op_sel:[1,1] op_sel_hi:[0,1]
	v_pk_fma_f32 v[128:129], v[122:123], v[124:125], v[126:127] op_sel_hi:[1,0,1]
	v_pk_fma_f32 v[122:123], v[122:123], v[124:125], v[126:127] neg_lo:[0,0,1] neg_hi:[0,0,1]
	s_delay_alu instid0(VALU_DEP_2)
	v_mov_b32_e32 v123, v129
	scratch_store_b64 off, v[122:123], off offset:176
.LBB58_365:
	s_wait_xcnt 0x0
	s_or_b32 exec_lo, exec_lo, s2
	scratch_load_b64 v[122:123], off, off offset:168
	v_cmp_lt_u32_e64 s1, 21, v0
	s_wait_loadcnt 0x0
	ds_store_b64 v1, v[122:123]
	s_wait_storecnt_dscnt 0x0
	s_barrier_signal -1
	s_barrier_wait -1
	s_wait_xcnt 0x0
	s_and_saveexec_b32 s2, s1
	s_cbranch_execz .LBB58_375
; %bb.366:
	s_and_not1_b32 vcc_lo, exec_lo, s3
	s_cbranch_vccnz .LBB58_368
; %bb.367:
	scratch_load_b64 v[122:123], v59, off
	ds_load_b64 v[124:125], v1
	s_wait_loadcnt_dscnt 0x0
	v_pk_mul_f32 v[126:127], v[124:125], v[122:123] op_sel:[1,1] op_sel_hi:[0,1]
	s_delay_alu instid0(VALU_DEP_1) | instskip(SKIP_1) | instid1(VALU_DEP_2)
	v_pk_fma_f32 v[128:129], v[124:125], v[122:123], v[126:127] op_sel_hi:[1,0,1]
	v_pk_fma_f32 v[122:123], v[124:125], v[122:123], v[126:127] neg_lo:[0,0,1] neg_hi:[0,0,1]
	v_mov_b32_e32 v123, v129
	s_cbranch_execz .LBB58_369
	s_branch .LBB58_370
.LBB58_368:
                                        ; implicit-def: $vgpr122_vgpr123
.LBB58_369:
	ds_load_b64 v[122:123], v1
.LBB58_370:
	s_and_saveexec_b32 s17, s0
	s_cbranch_execz .LBB58_374
; %bb.371:
	v_subrev_nc_u32_e32 v124, 22, v0
	s_movk_i32 s18, 0x290
	s_mov_b32 s0, 0
.LBB58_372:                             ; =>This Inner Loop Header: Depth=1
	scratch_load_b64 v[126:127], off, s16
	v_dual_mov_b32 v125, s18 :: v_dual_add_nc_u32 v124, -1, v124
	s_add_co_i32 s18, s18, 8
	s_wait_xcnt 0x0
	s_add_co_i32 s16, s16, 8
	ds_load_b64 v[128:129], v125
	v_cmp_eq_u32_e32 vcc_lo, 0, v124
	s_or_b32 s0, vcc_lo, s0
	s_wait_loadcnt_dscnt 0x0
	v_pk_mul_f32 v[130:131], v[128:129], v[126:127] op_sel:[1,1] op_sel_hi:[0,1]
	s_delay_alu instid0(VALU_DEP_1) | instskip(SKIP_1) | instid1(VALU_DEP_2)
	v_pk_fma_f32 v[132:133], v[128:129], v[126:127], v[130:131] op_sel_hi:[1,0,1]
	v_pk_fma_f32 v[126:127], v[128:129], v[126:127], v[130:131] neg_lo:[0,0,1] neg_hi:[0,0,1]
	v_mov_b32_e32 v127, v133
	s_delay_alu instid0(VALU_DEP_1)
	v_pk_add_f32 v[122:123], v[122:123], v[126:127]
	s_and_not1_b32 exec_lo, exec_lo, s0
	s_cbranch_execnz .LBB58_372
; %bb.373:
	s_or_b32 exec_lo, exec_lo, s0
.LBB58_374:
	s_delay_alu instid0(SALU_CYCLE_1) | instskip(SKIP_4) | instid1(VALU_DEP_1)
	s_or_b32 exec_lo, exec_lo, s17
	v_mov_b32_e32 v124, 0
	ds_load_b64 v[124:125], v124 offset:168
	s_wait_dscnt 0x0
	v_pk_mul_f32 v[126:127], v[122:123], v[124:125] op_sel:[1,1] op_sel_hi:[0,1]
	v_pk_fma_f32 v[128:129], v[122:123], v[124:125], v[126:127] op_sel_hi:[1,0,1]
	v_pk_fma_f32 v[122:123], v[122:123], v[124:125], v[126:127] neg_lo:[0,0,1] neg_hi:[0,0,1]
	s_delay_alu instid0(VALU_DEP_2)
	v_mov_b32_e32 v123, v129
	scratch_store_b64 off, v[122:123], off offset:168
.LBB58_375:
	s_wait_xcnt 0x0
	s_or_b32 exec_lo, exec_lo, s2
	scratch_load_b64 v[122:123], off, off offset:160
	v_cmp_lt_u32_e64 s0, 20, v0
	s_wait_loadcnt 0x0
	ds_store_b64 v1, v[122:123]
	s_wait_storecnt_dscnt 0x0
	s_barrier_signal -1
	s_barrier_wait -1
	s_wait_xcnt 0x0
	s_and_saveexec_b32 s2, s0
	s_cbranch_execz .LBB58_385
; %bb.376:
	s_and_not1_b32 vcc_lo, exec_lo, s3
	s_cbranch_vccnz .LBB58_378
; %bb.377:
	scratch_load_b64 v[122:123], v59, off
	ds_load_b64 v[124:125], v1
	s_wait_loadcnt_dscnt 0x0
	v_pk_mul_f32 v[126:127], v[124:125], v[122:123] op_sel:[1,1] op_sel_hi:[0,1]
	s_delay_alu instid0(VALU_DEP_1) | instskip(SKIP_1) | instid1(VALU_DEP_2)
	v_pk_fma_f32 v[128:129], v[124:125], v[122:123], v[126:127] op_sel_hi:[1,0,1]
	v_pk_fma_f32 v[122:123], v[124:125], v[122:123], v[126:127] neg_lo:[0,0,1] neg_hi:[0,0,1]
	v_mov_b32_e32 v123, v129
	s_cbranch_execz .LBB58_379
	s_branch .LBB58_380
.LBB58_378:
                                        ; implicit-def: $vgpr122_vgpr123
.LBB58_379:
	ds_load_b64 v[122:123], v1
.LBB58_380:
	s_and_saveexec_b32 s16, s1
	s_cbranch_execz .LBB58_384
; %bb.381:
	v_subrev_nc_u32_e32 v124, 21, v0
	s_movk_i32 s1, 0xa8
	s_movk_i32 s18, 0x288
	s_mov_b32 s17, 0
.LBB58_382:                             ; =>This Inner Loop Header: Depth=1
	scratch_load_b64 v[126:127], off, s1
	v_dual_mov_b32 v125, s18 :: v_dual_add_nc_u32 v124, -1, v124
	s_add_co_i32 s18, s18, 8
	s_wait_xcnt 0x0
	s_add_co_i32 s1, s1, 8
	ds_load_b64 v[128:129], v125
	v_cmp_eq_u32_e32 vcc_lo, 0, v124
	s_or_b32 s17, vcc_lo, s17
	s_wait_loadcnt_dscnt 0x0
	v_pk_mul_f32 v[130:131], v[128:129], v[126:127] op_sel:[1,1] op_sel_hi:[0,1]
	s_delay_alu instid0(VALU_DEP_1) | instskip(SKIP_1) | instid1(VALU_DEP_2)
	v_pk_fma_f32 v[132:133], v[128:129], v[126:127], v[130:131] op_sel_hi:[1,0,1]
	v_pk_fma_f32 v[126:127], v[128:129], v[126:127], v[130:131] neg_lo:[0,0,1] neg_hi:[0,0,1]
	v_mov_b32_e32 v127, v133
	s_delay_alu instid0(VALU_DEP_1)
	v_pk_add_f32 v[122:123], v[122:123], v[126:127]
	s_and_not1_b32 exec_lo, exec_lo, s17
	s_cbranch_execnz .LBB58_382
; %bb.383:
	s_or_b32 exec_lo, exec_lo, s17
.LBB58_384:
	s_delay_alu instid0(SALU_CYCLE_1) | instskip(SKIP_4) | instid1(VALU_DEP_1)
	s_or_b32 exec_lo, exec_lo, s16
	v_mov_b32_e32 v124, 0
	ds_load_b64 v[124:125], v124 offset:160
	s_wait_dscnt 0x0
	v_pk_mul_f32 v[126:127], v[122:123], v[124:125] op_sel:[1,1] op_sel_hi:[0,1]
	v_pk_fma_f32 v[128:129], v[122:123], v[124:125], v[126:127] op_sel_hi:[1,0,1]
	v_pk_fma_f32 v[122:123], v[122:123], v[124:125], v[126:127] neg_lo:[0,0,1] neg_hi:[0,0,1]
	s_delay_alu instid0(VALU_DEP_2)
	v_mov_b32_e32 v123, v129
	scratch_store_b64 off, v[122:123], off offset:160
.LBB58_385:
	s_wait_xcnt 0x0
	s_or_b32 exec_lo, exec_lo, s2
	scratch_load_b64 v[122:123], off, off offset:152
	v_cmp_lt_u32_e64 s1, 19, v0
	s_wait_loadcnt 0x0
	ds_store_b64 v1, v[122:123]
	s_wait_storecnt_dscnt 0x0
	s_barrier_signal -1
	s_barrier_wait -1
	s_wait_xcnt 0x0
	s_and_saveexec_b32 s2, s1
	s_cbranch_execz .LBB58_395
; %bb.386:
	s_and_not1_b32 vcc_lo, exec_lo, s3
	s_cbranch_vccnz .LBB58_388
; %bb.387:
	scratch_load_b64 v[122:123], v59, off
	ds_load_b64 v[124:125], v1
	s_wait_loadcnt_dscnt 0x0
	v_pk_mul_f32 v[126:127], v[124:125], v[122:123] op_sel:[1,1] op_sel_hi:[0,1]
	s_delay_alu instid0(VALU_DEP_1) | instskip(SKIP_1) | instid1(VALU_DEP_2)
	v_pk_fma_f32 v[128:129], v[124:125], v[122:123], v[126:127] op_sel_hi:[1,0,1]
	v_pk_fma_f32 v[122:123], v[124:125], v[122:123], v[126:127] neg_lo:[0,0,1] neg_hi:[0,0,1]
	v_mov_b32_e32 v123, v129
	s_cbranch_execz .LBB58_389
	s_branch .LBB58_390
.LBB58_388:
                                        ; implicit-def: $vgpr122_vgpr123
.LBB58_389:
	ds_load_b64 v[122:123], v1
.LBB58_390:
	s_and_saveexec_b32 s16, s0
	s_cbranch_execz .LBB58_394
; %bb.391:
	v_subrev_nc_u32_e32 v124, 20, v0
	s_movk_i32 s17, 0x280
	s_mov_b32 s0, 0
.LBB58_392:                             ; =>This Inner Loop Header: Depth=1
	scratch_load_b64 v[126:127], off, s15
	v_dual_mov_b32 v125, s17 :: v_dual_add_nc_u32 v124, -1, v124
	s_add_co_i32 s17, s17, 8
	s_wait_xcnt 0x0
	s_add_co_i32 s15, s15, 8
	ds_load_b64 v[128:129], v125
	v_cmp_eq_u32_e32 vcc_lo, 0, v124
	s_or_b32 s0, vcc_lo, s0
	s_wait_loadcnt_dscnt 0x0
	v_pk_mul_f32 v[130:131], v[128:129], v[126:127] op_sel:[1,1] op_sel_hi:[0,1]
	s_delay_alu instid0(VALU_DEP_1) | instskip(SKIP_1) | instid1(VALU_DEP_2)
	v_pk_fma_f32 v[132:133], v[128:129], v[126:127], v[130:131] op_sel_hi:[1,0,1]
	v_pk_fma_f32 v[126:127], v[128:129], v[126:127], v[130:131] neg_lo:[0,0,1] neg_hi:[0,0,1]
	v_mov_b32_e32 v127, v133
	s_delay_alu instid0(VALU_DEP_1)
	v_pk_add_f32 v[122:123], v[122:123], v[126:127]
	s_and_not1_b32 exec_lo, exec_lo, s0
	s_cbranch_execnz .LBB58_392
; %bb.393:
	s_or_b32 exec_lo, exec_lo, s0
.LBB58_394:
	s_delay_alu instid0(SALU_CYCLE_1) | instskip(SKIP_4) | instid1(VALU_DEP_1)
	s_or_b32 exec_lo, exec_lo, s16
	v_mov_b32_e32 v124, 0
	ds_load_b64 v[124:125], v124 offset:152
	s_wait_dscnt 0x0
	v_pk_mul_f32 v[126:127], v[122:123], v[124:125] op_sel:[1,1] op_sel_hi:[0,1]
	v_pk_fma_f32 v[128:129], v[122:123], v[124:125], v[126:127] op_sel_hi:[1,0,1]
	v_pk_fma_f32 v[122:123], v[122:123], v[124:125], v[126:127] neg_lo:[0,0,1] neg_hi:[0,0,1]
	s_delay_alu instid0(VALU_DEP_2)
	v_mov_b32_e32 v123, v129
	scratch_store_b64 off, v[122:123], off offset:152
.LBB58_395:
	s_wait_xcnt 0x0
	s_or_b32 exec_lo, exec_lo, s2
	scratch_load_b64 v[122:123], off, off offset:144
	v_cmp_lt_u32_e64 s0, 18, v0
	s_wait_loadcnt 0x0
	ds_store_b64 v1, v[122:123]
	s_wait_storecnt_dscnt 0x0
	s_barrier_signal -1
	s_barrier_wait -1
	s_wait_xcnt 0x0
	s_and_saveexec_b32 s2, s0
	s_cbranch_execz .LBB58_405
; %bb.396:
	s_and_not1_b32 vcc_lo, exec_lo, s3
	s_cbranch_vccnz .LBB58_398
; %bb.397:
	scratch_load_b64 v[122:123], v59, off
	ds_load_b64 v[124:125], v1
	s_wait_loadcnt_dscnt 0x0
	v_pk_mul_f32 v[126:127], v[124:125], v[122:123] op_sel:[1,1] op_sel_hi:[0,1]
	s_delay_alu instid0(VALU_DEP_1) | instskip(SKIP_1) | instid1(VALU_DEP_2)
	v_pk_fma_f32 v[128:129], v[124:125], v[122:123], v[126:127] op_sel_hi:[1,0,1]
	v_pk_fma_f32 v[122:123], v[124:125], v[122:123], v[126:127] neg_lo:[0,0,1] neg_hi:[0,0,1]
	v_mov_b32_e32 v123, v129
	s_cbranch_execz .LBB58_399
	s_branch .LBB58_400
.LBB58_398:
                                        ; implicit-def: $vgpr122_vgpr123
.LBB58_399:
	ds_load_b64 v[122:123], v1
.LBB58_400:
	s_and_saveexec_b32 s15, s1
	s_cbranch_execz .LBB58_404
; %bb.401:
	v_subrev_nc_u32_e32 v124, 19, v0
	s_movk_i32 s1, 0x98
	s_movk_i32 s17, 0x278
	s_mov_b32 s16, 0
.LBB58_402:                             ; =>This Inner Loop Header: Depth=1
	scratch_load_b64 v[126:127], off, s1
	v_dual_mov_b32 v125, s17 :: v_dual_add_nc_u32 v124, -1, v124
	s_add_co_i32 s17, s17, 8
	s_wait_xcnt 0x0
	s_add_co_i32 s1, s1, 8
	ds_load_b64 v[128:129], v125
	v_cmp_eq_u32_e32 vcc_lo, 0, v124
	s_or_b32 s16, vcc_lo, s16
	s_wait_loadcnt_dscnt 0x0
	v_pk_mul_f32 v[130:131], v[128:129], v[126:127] op_sel:[1,1] op_sel_hi:[0,1]
	s_delay_alu instid0(VALU_DEP_1) | instskip(SKIP_1) | instid1(VALU_DEP_2)
	v_pk_fma_f32 v[132:133], v[128:129], v[126:127], v[130:131] op_sel_hi:[1,0,1]
	v_pk_fma_f32 v[126:127], v[128:129], v[126:127], v[130:131] neg_lo:[0,0,1] neg_hi:[0,0,1]
	v_mov_b32_e32 v127, v133
	s_delay_alu instid0(VALU_DEP_1)
	v_pk_add_f32 v[122:123], v[122:123], v[126:127]
	s_and_not1_b32 exec_lo, exec_lo, s16
	s_cbranch_execnz .LBB58_402
; %bb.403:
	s_or_b32 exec_lo, exec_lo, s16
.LBB58_404:
	s_delay_alu instid0(SALU_CYCLE_1) | instskip(SKIP_4) | instid1(VALU_DEP_1)
	s_or_b32 exec_lo, exec_lo, s15
	v_mov_b32_e32 v124, 0
	ds_load_b64 v[124:125], v124 offset:144
	s_wait_dscnt 0x0
	v_pk_mul_f32 v[126:127], v[122:123], v[124:125] op_sel:[1,1] op_sel_hi:[0,1]
	v_pk_fma_f32 v[128:129], v[122:123], v[124:125], v[126:127] op_sel_hi:[1,0,1]
	v_pk_fma_f32 v[122:123], v[122:123], v[124:125], v[126:127] neg_lo:[0,0,1] neg_hi:[0,0,1]
	s_delay_alu instid0(VALU_DEP_2)
	v_mov_b32_e32 v123, v129
	scratch_store_b64 off, v[122:123], off offset:144
.LBB58_405:
	s_wait_xcnt 0x0
	s_or_b32 exec_lo, exec_lo, s2
	scratch_load_b64 v[122:123], off, off offset:136
	v_cmp_lt_u32_e64 s1, 17, v0
	s_wait_loadcnt 0x0
	ds_store_b64 v1, v[122:123]
	s_wait_storecnt_dscnt 0x0
	s_barrier_signal -1
	s_barrier_wait -1
	s_wait_xcnt 0x0
	s_and_saveexec_b32 s2, s1
	s_cbranch_execz .LBB58_415
; %bb.406:
	s_and_not1_b32 vcc_lo, exec_lo, s3
	s_cbranch_vccnz .LBB58_408
; %bb.407:
	scratch_load_b64 v[122:123], v59, off
	ds_load_b64 v[124:125], v1
	s_wait_loadcnt_dscnt 0x0
	v_pk_mul_f32 v[126:127], v[124:125], v[122:123] op_sel:[1,1] op_sel_hi:[0,1]
	s_delay_alu instid0(VALU_DEP_1) | instskip(SKIP_1) | instid1(VALU_DEP_2)
	v_pk_fma_f32 v[128:129], v[124:125], v[122:123], v[126:127] op_sel_hi:[1,0,1]
	v_pk_fma_f32 v[122:123], v[124:125], v[122:123], v[126:127] neg_lo:[0,0,1] neg_hi:[0,0,1]
	v_mov_b32_e32 v123, v129
	s_cbranch_execz .LBB58_409
	s_branch .LBB58_410
.LBB58_408:
                                        ; implicit-def: $vgpr122_vgpr123
.LBB58_409:
	ds_load_b64 v[122:123], v1
.LBB58_410:
	s_and_saveexec_b32 s15, s0
	s_cbranch_execz .LBB58_414
; %bb.411:
	v_subrev_nc_u32_e32 v124, 18, v0
	s_movk_i32 s16, 0x270
	s_mov_b32 s0, 0
.LBB58_412:                             ; =>This Inner Loop Header: Depth=1
	scratch_load_b64 v[126:127], off, s14
	v_dual_mov_b32 v125, s16 :: v_dual_add_nc_u32 v124, -1, v124
	s_add_co_i32 s16, s16, 8
	s_wait_xcnt 0x0
	s_add_co_i32 s14, s14, 8
	ds_load_b64 v[128:129], v125
	v_cmp_eq_u32_e32 vcc_lo, 0, v124
	s_or_b32 s0, vcc_lo, s0
	s_wait_loadcnt_dscnt 0x0
	v_pk_mul_f32 v[130:131], v[128:129], v[126:127] op_sel:[1,1] op_sel_hi:[0,1]
	s_delay_alu instid0(VALU_DEP_1) | instskip(SKIP_1) | instid1(VALU_DEP_2)
	v_pk_fma_f32 v[132:133], v[128:129], v[126:127], v[130:131] op_sel_hi:[1,0,1]
	v_pk_fma_f32 v[126:127], v[128:129], v[126:127], v[130:131] neg_lo:[0,0,1] neg_hi:[0,0,1]
	v_mov_b32_e32 v127, v133
	s_delay_alu instid0(VALU_DEP_1)
	v_pk_add_f32 v[122:123], v[122:123], v[126:127]
	s_and_not1_b32 exec_lo, exec_lo, s0
	s_cbranch_execnz .LBB58_412
; %bb.413:
	s_or_b32 exec_lo, exec_lo, s0
.LBB58_414:
	s_delay_alu instid0(SALU_CYCLE_1) | instskip(SKIP_4) | instid1(VALU_DEP_1)
	s_or_b32 exec_lo, exec_lo, s15
	v_mov_b32_e32 v124, 0
	ds_load_b64 v[124:125], v124 offset:136
	s_wait_dscnt 0x0
	v_pk_mul_f32 v[126:127], v[122:123], v[124:125] op_sel:[1,1] op_sel_hi:[0,1]
	v_pk_fma_f32 v[128:129], v[122:123], v[124:125], v[126:127] op_sel_hi:[1,0,1]
	v_pk_fma_f32 v[122:123], v[122:123], v[124:125], v[126:127] neg_lo:[0,0,1] neg_hi:[0,0,1]
	s_delay_alu instid0(VALU_DEP_2)
	v_mov_b32_e32 v123, v129
	scratch_store_b64 off, v[122:123], off offset:136
.LBB58_415:
	s_wait_xcnt 0x0
	s_or_b32 exec_lo, exec_lo, s2
	scratch_load_b64 v[122:123], off, off offset:128
	v_cmp_lt_u32_e64 s0, 16, v0
	s_wait_loadcnt 0x0
	ds_store_b64 v1, v[122:123]
	s_wait_storecnt_dscnt 0x0
	s_barrier_signal -1
	s_barrier_wait -1
	s_wait_xcnt 0x0
	s_and_saveexec_b32 s2, s0
	s_cbranch_execz .LBB58_425
; %bb.416:
	s_and_not1_b32 vcc_lo, exec_lo, s3
	s_cbranch_vccnz .LBB58_418
; %bb.417:
	scratch_load_b64 v[122:123], v59, off
	ds_load_b64 v[124:125], v1
	s_wait_loadcnt_dscnt 0x0
	v_pk_mul_f32 v[126:127], v[124:125], v[122:123] op_sel:[1,1] op_sel_hi:[0,1]
	s_delay_alu instid0(VALU_DEP_1) | instskip(SKIP_1) | instid1(VALU_DEP_2)
	v_pk_fma_f32 v[128:129], v[124:125], v[122:123], v[126:127] op_sel_hi:[1,0,1]
	v_pk_fma_f32 v[122:123], v[124:125], v[122:123], v[126:127] neg_lo:[0,0,1] neg_hi:[0,0,1]
	v_mov_b32_e32 v123, v129
	s_cbranch_execz .LBB58_419
	s_branch .LBB58_420
.LBB58_418:
                                        ; implicit-def: $vgpr122_vgpr123
.LBB58_419:
	ds_load_b64 v[122:123], v1
.LBB58_420:
	s_and_saveexec_b32 s14, s1
	s_cbranch_execz .LBB58_424
; %bb.421:
	v_subrev_nc_u32_e32 v124, 17, v0
	s_movk_i32 s1, 0x88
	s_movk_i32 s16, 0x268
	s_mov_b32 s15, 0
.LBB58_422:                             ; =>This Inner Loop Header: Depth=1
	scratch_load_b64 v[126:127], off, s1
	v_dual_mov_b32 v125, s16 :: v_dual_add_nc_u32 v124, -1, v124
	s_add_co_i32 s16, s16, 8
	s_wait_xcnt 0x0
	s_add_co_i32 s1, s1, 8
	ds_load_b64 v[128:129], v125
	v_cmp_eq_u32_e32 vcc_lo, 0, v124
	s_or_b32 s15, vcc_lo, s15
	s_wait_loadcnt_dscnt 0x0
	v_pk_mul_f32 v[130:131], v[128:129], v[126:127] op_sel:[1,1] op_sel_hi:[0,1]
	s_delay_alu instid0(VALU_DEP_1) | instskip(SKIP_1) | instid1(VALU_DEP_2)
	v_pk_fma_f32 v[132:133], v[128:129], v[126:127], v[130:131] op_sel_hi:[1,0,1]
	v_pk_fma_f32 v[126:127], v[128:129], v[126:127], v[130:131] neg_lo:[0,0,1] neg_hi:[0,0,1]
	v_mov_b32_e32 v127, v133
	s_delay_alu instid0(VALU_DEP_1)
	v_pk_add_f32 v[122:123], v[122:123], v[126:127]
	s_and_not1_b32 exec_lo, exec_lo, s15
	s_cbranch_execnz .LBB58_422
; %bb.423:
	s_or_b32 exec_lo, exec_lo, s15
.LBB58_424:
	s_delay_alu instid0(SALU_CYCLE_1) | instskip(SKIP_4) | instid1(VALU_DEP_1)
	s_or_b32 exec_lo, exec_lo, s14
	v_mov_b32_e32 v124, 0
	ds_load_b64 v[124:125], v124 offset:128
	s_wait_dscnt 0x0
	v_pk_mul_f32 v[126:127], v[122:123], v[124:125] op_sel:[1,1] op_sel_hi:[0,1]
	v_pk_fma_f32 v[128:129], v[122:123], v[124:125], v[126:127] op_sel_hi:[1,0,1]
	v_pk_fma_f32 v[122:123], v[122:123], v[124:125], v[126:127] neg_lo:[0,0,1] neg_hi:[0,0,1]
	s_delay_alu instid0(VALU_DEP_2)
	v_mov_b32_e32 v123, v129
	scratch_store_b64 off, v[122:123], off offset:128
.LBB58_425:
	s_wait_xcnt 0x0
	s_or_b32 exec_lo, exec_lo, s2
	scratch_load_b64 v[122:123], off, off offset:120
	v_cmp_lt_u32_e64 s1, 15, v0
	s_wait_loadcnt 0x0
	ds_store_b64 v1, v[122:123]
	s_wait_storecnt_dscnt 0x0
	s_barrier_signal -1
	s_barrier_wait -1
	s_wait_xcnt 0x0
	s_and_saveexec_b32 s2, s1
	s_cbranch_execz .LBB58_435
; %bb.426:
	s_and_not1_b32 vcc_lo, exec_lo, s3
	s_cbranch_vccnz .LBB58_428
; %bb.427:
	scratch_load_b64 v[122:123], v59, off
	ds_load_b64 v[124:125], v1
	s_wait_loadcnt_dscnt 0x0
	v_pk_mul_f32 v[126:127], v[124:125], v[122:123] op_sel:[1,1] op_sel_hi:[0,1]
	s_delay_alu instid0(VALU_DEP_1) | instskip(SKIP_1) | instid1(VALU_DEP_2)
	v_pk_fma_f32 v[128:129], v[124:125], v[122:123], v[126:127] op_sel_hi:[1,0,1]
	v_pk_fma_f32 v[122:123], v[124:125], v[122:123], v[126:127] neg_lo:[0,0,1] neg_hi:[0,0,1]
	v_mov_b32_e32 v123, v129
	s_cbranch_execz .LBB58_429
	s_branch .LBB58_430
.LBB58_428:
                                        ; implicit-def: $vgpr122_vgpr123
.LBB58_429:
	ds_load_b64 v[122:123], v1
.LBB58_430:
	s_and_saveexec_b32 s14, s0
	s_cbranch_execz .LBB58_434
; %bb.431:
	v_add_nc_u32_e32 v124, -16, v0
	s_movk_i32 s15, 0x260
	s_mov_b32 s0, 0
.LBB58_432:                             ; =>This Inner Loop Header: Depth=1
	scratch_load_b64 v[126:127], off, s13
	v_dual_mov_b32 v125, s15 :: v_dual_add_nc_u32 v124, -1, v124
	s_add_co_i32 s15, s15, 8
	s_wait_xcnt 0x0
	s_add_co_i32 s13, s13, 8
	ds_load_b64 v[128:129], v125
	v_cmp_eq_u32_e32 vcc_lo, 0, v124
	s_or_b32 s0, vcc_lo, s0
	s_wait_loadcnt_dscnt 0x0
	v_pk_mul_f32 v[130:131], v[128:129], v[126:127] op_sel:[1,1] op_sel_hi:[0,1]
	s_delay_alu instid0(VALU_DEP_1) | instskip(SKIP_1) | instid1(VALU_DEP_2)
	v_pk_fma_f32 v[132:133], v[128:129], v[126:127], v[130:131] op_sel_hi:[1,0,1]
	v_pk_fma_f32 v[126:127], v[128:129], v[126:127], v[130:131] neg_lo:[0,0,1] neg_hi:[0,0,1]
	v_mov_b32_e32 v127, v133
	s_delay_alu instid0(VALU_DEP_1)
	v_pk_add_f32 v[122:123], v[122:123], v[126:127]
	s_and_not1_b32 exec_lo, exec_lo, s0
	s_cbranch_execnz .LBB58_432
; %bb.433:
	s_or_b32 exec_lo, exec_lo, s0
.LBB58_434:
	s_delay_alu instid0(SALU_CYCLE_1) | instskip(SKIP_4) | instid1(VALU_DEP_1)
	s_or_b32 exec_lo, exec_lo, s14
	v_mov_b32_e32 v124, 0
	ds_load_b64 v[124:125], v124 offset:120
	s_wait_dscnt 0x0
	v_pk_mul_f32 v[126:127], v[122:123], v[124:125] op_sel:[1,1] op_sel_hi:[0,1]
	v_pk_fma_f32 v[128:129], v[122:123], v[124:125], v[126:127] op_sel_hi:[1,0,1]
	v_pk_fma_f32 v[122:123], v[122:123], v[124:125], v[126:127] neg_lo:[0,0,1] neg_hi:[0,0,1]
	s_delay_alu instid0(VALU_DEP_2)
	v_mov_b32_e32 v123, v129
	scratch_store_b64 off, v[122:123], off offset:120
.LBB58_435:
	s_wait_xcnt 0x0
	s_or_b32 exec_lo, exec_lo, s2
	scratch_load_b64 v[122:123], off, off offset:112
	v_cmp_lt_u32_e64 s0, 14, v0
	s_wait_loadcnt 0x0
	ds_store_b64 v1, v[122:123]
	s_wait_storecnt_dscnt 0x0
	s_barrier_signal -1
	s_barrier_wait -1
	s_wait_xcnt 0x0
	s_and_saveexec_b32 s2, s0
	s_cbranch_execz .LBB58_445
; %bb.436:
	s_and_not1_b32 vcc_lo, exec_lo, s3
	s_cbranch_vccnz .LBB58_438
; %bb.437:
	scratch_load_b64 v[122:123], v59, off
	ds_load_b64 v[124:125], v1
	s_wait_loadcnt_dscnt 0x0
	v_pk_mul_f32 v[126:127], v[124:125], v[122:123] op_sel:[1,1] op_sel_hi:[0,1]
	s_delay_alu instid0(VALU_DEP_1) | instskip(SKIP_1) | instid1(VALU_DEP_2)
	v_pk_fma_f32 v[128:129], v[124:125], v[122:123], v[126:127] op_sel_hi:[1,0,1]
	v_pk_fma_f32 v[122:123], v[124:125], v[122:123], v[126:127] neg_lo:[0,0,1] neg_hi:[0,0,1]
	v_mov_b32_e32 v123, v129
	s_cbranch_execz .LBB58_439
	s_branch .LBB58_440
.LBB58_438:
                                        ; implicit-def: $vgpr122_vgpr123
.LBB58_439:
	ds_load_b64 v[122:123], v1
.LBB58_440:
	s_and_saveexec_b32 s13, s1
	s_cbranch_execz .LBB58_444
; %bb.441:
	v_add_nc_u32_e32 v124, -15, v0
	s_movk_i32 s1, 0x78
	s_movk_i32 s15, 0x258
	s_mov_b32 s14, 0
.LBB58_442:                             ; =>This Inner Loop Header: Depth=1
	scratch_load_b64 v[126:127], off, s1
	v_dual_mov_b32 v125, s15 :: v_dual_add_nc_u32 v124, -1, v124
	s_add_co_i32 s15, s15, 8
	s_wait_xcnt 0x0
	s_add_co_i32 s1, s1, 8
	ds_load_b64 v[128:129], v125
	v_cmp_eq_u32_e32 vcc_lo, 0, v124
	s_or_b32 s14, vcc_lo, s14
	s_wait_loadcnt_dscnt 0x0
	v_pk_mul_f32 v[130:131], v[128:129], v[126:127] op_sel:[1,1] op_sel_hi:[0,1]
	s_delay_alu instid0(VALU_DEP_1) | instskip(SKIP_1) | instid1(VALU_DEP_2)
	v_pk_fma_f32 v[132:133], v[128:129], v[126:127], v[130:131] op_sel_hi:[1,0,1]
	v_pk_fma_f32 v[126:127], v[128:129], v[126:127], v[130:131] neg_lo:[0,0,1] neg_hi:[0,0,1]
	v_mov_b32_e32 v127, v133
	s_delay_alu instid0(VALU_DEP_1)
	v_pk_add_f32 v[122:123], v[122:123], v[126:127]
	s_and_not1_b32 exec_lo, exec_lo, s14
	s_cbranch_execnz .LBB58_442
; %bb.443:
	s_or_b32 exec_lo, exec_lo, s14
.LBB58_444:
	s_delay_alu instid0(SALU_CYCLE_1) | instskip(SKIP_4) | instid1(VALU_DEP_1)
	s_or_b32 exec_lo, exec_lo, s13
	v_mov_b32_e32 v124, 0
	ds_load_b64 v[124:125], v124 offset:112
	s_wait_dscnt 0x0
	v_pk_mul_f32 v[126:127], v[122:123], v[124:125] op_sel:[1,1] op_sel_hi:[0,1]
	v_pk_fma_f32 v[128:129], v[122:123], v[124:125], v[126:127] op_sel_hi:[1,0,1]
	v_pk_fma_f32 v[122:123], v[122:123], v[124:125], v[126:127] neg_lo:[0,0,1] neg_hi:[0,0,1]
	s_delay_alu instid0(VALU_DEP_2)
	v_mov_b32_e32 v123, v129
	scratch_store_b64 off, v[122:123], off offset:112
.LBB58_445:
	s_wait_xcnt 0x0
	s_or_b32 exec_lo, exec_lo, s2
	scratch_load_b64 v[122:123], off, off offset:104
	v_cmp_lt_u32_e64 s1, 13, v0
	s_wait_loadcnt 0x0
	ds_store_b64 v1, v[122:123]
	s_wait_storecnt_dscnt 0x0
	s_barrier_signal -1
	s_barrier_wait -1
	s_wait_xcnt 0x0
	s_and_saveexec_b32 s2, s1
	s_cbranch_execz .LBB58_455
; %bb.446:
	s_and_not1_b32 vcc_lo, exec_lo, s3
	s_cbranch_vccnz .LBB58_448
; %bb.447:
	scratch_load_b64 v[122:123], v59, off
	ds_load_b64 v[124:125], v1
	s_wait_loadcnt_dscnt 0x0
	v_pk_mul_f32 v[126:127], v[124:125], v[122:123] op_sel:[1,1] op_sel_hi:[0,1]
	s_delay_alu instid0(VALU_DEP_1) | instskip(SKIP_1) | instid1(VALU_DEP_2)
	v_pk_fma_f32 v[128:129], v[124:125], v[122:123], v[126:127] op_sel_hi:[1,0,1]
	v_pk_fma_f32 v[122:123], v[124:125], v[122:123], v[126:127] neg_lo:[0,0,1] neg_hi:[0,0,1]
	v_mov_b32_e32 v123, v129
	s_cbranch_execz .LBB58_449
	s_branch .LBB58_450
.LBB58_448:
                                        ; implicit-def: $vgpr122_vgpr123
.LBB58_449:
	ds_load_b64 v[122:123], v1
.LBB58_450:
	s_and_saveexec_b32 s13, s0
	s_cbranch_execz .LBB58_454
; %bb.451:
	v_add_nc_u32_e32 v124, -14, v0
	s_movk_i32 s14, 0x250
	s_mov_b32 s0, 0
.LBB58_452:                             ; =>This Inner Loop Header: Depth=1
	scratch_load_b64 v[126:127], off, s12
	v_dual_mov_b32 v125, s14 :: v_dual_add_nc_u32 v124, -1, v124
	s_add_co_i32 s14, s14, 8
	s_wait_xcnt 0x0
	s_add_co_i32 s12, s12, 8
	ds_load_b64 v[128:129], v125
	v_cmp_eq_u32_e32 vcc_lo, 0, v124
	s_or_b32 s0, vcc_lo, s0
	s_wait_loadcnt_dscnt 0x0
	v_pk_mul_f32 v[130:131], v[128:129], v[126:127] op_sel:[1,1] op_sel_hi:[0,1]
	s_delay_alu instid0(VALU_DEP_1) | instskip(SKIP_1) | instid1(VALU_DEP_2)
	v_pk_fma_f32 v[132:133], v[128:129], v[126:127], v[130:131] op_sel_hi:[1,0,1]
	v_pk_fma_f32 v[126:127], v[128:129], v[126:127], v[130:131] neg_lo:[0,0,1] neg_hi:[0,0,1]
	v_mov_b32_e32 v127, v133
	s_delay_alu instid0(VALU_DEP_1)
	v_pk_add_f32 v[122:123], v[122:123], v[126:127]
	s_and_not1_b32 exec_lo, exec_lo, s0
	s_cbranch_execnz .LBB58_452
; %bb.453:
	s_or_b32 exec_lo, exec_lo, s0
.LBB58_454:
	s_delay_alu instid0(SALU_CYCLE_1) | instskip(SKIP_4) | instid1(VALU_DEP_1)
	s_or_b32 exec_lo, exec_lo, s13
	v_mov_b32_e32 v124, 0
	ds_load_b64 v[124:125], v124 offset:104
	s_wait_dscnt 0x0
	v_pk_mul_f32 v[126:127], v[122:123], v[124:125] op_sel:[1,1] op_sel_hi:[0,1]
	v_pk_fma_f32 v[128:129], v[122:123], v[124:125], v[126:127] op_sel_hi:[1,0,1]
	v_pk_fma_f32 v[122:123], v[122:123], v[124:125], v[126:127] neg_lo:[0,0,1] neg_hi:[0,0,1]
	s_delay_alu instid0(VALU_DEP_2)
	v_mov_b32_e32 v123, v129
	scratch_store_b64 off, v[122:123], off offset:104
.LBB58_455:
	s_wait_xcnt 0x0
	s_or_b32 exec_lo, exec_lo, s2
	scratch_load_b64 v[122:123], off, off offset:96
	v_cmp_lt_u32_e64 s0, 12, v0
	s_wait_loadcnt 0x0
	ds_store_b64 v1, v[122:123]
	s_wait_storecnt_dscnt 0x0
	s_barrier_signal -1
	s_barrier_wait -1
	s_wait_xcnt 0x0
	s_and_saveexec_b32 s2, s0
	s_cbranch_execz .LBB58_465
; %bb.456:
	s_and_not1_b32 vcc_lo, exec_lo, s3
	s_cbranch_vccnz .LBB58_458
; %bb.457:
	scratch_load_b64 v[122:123], v59, off
	ds_load_b64 v[124:125], v1
	s_wait_loadcnt_dscnt 0x0
	v_pk_mul_f32 v[126:127], v[124:125], v[122:123] op_sel:[1,1] op_sel_hi:[0,1]
	s_delay_alu instid0(VALU_DEP_1) | instskip(SKIP_1) | instid1(VALU_DEP_2)
	v_pk_fma_f32 v[128:129], v[124:125], v[122:123], v[126:127] op_sel_hi:[1,0,1]
	v_pk_fma_f32 v[122:123], v[124:125], v[122:123], v[126:127] neg_lo:[0,0,1] neg_hi:[0,0,1]
	v_mov_b32_e32 v123, v129
	s_cbranch_execz .LBB58_459
	s_branch .LBB58_460
.LBB58_458:
                                        ; implicit-def: $vgpr122_vgpr123
.LBB58_459:
	ds_load_b64 v[122:123], v1
.LBB58_460:
	s_and_saveexec_b32 s12, s1
	s_cbranch_execz .LBB58_464
; %bb.461:
	v_add_nc_u32_e32 v124, -13, v0
	s_movk_i32 s1, 0x68
	s_movk_i32 s14, 0x248
	s_mov_b32 s13, 0
.LBB58_462:                             ; =>This Inner Loop Header: Depth=1
	scratch_load_b64 v[126:127], off, s1
	v_dual_mov_b32 v125, s14 :: v_dual_add_nc_u32 v124, -1, v124
	s_add_co_i32 s14, s14, 8
	s_wait_xcnt 0x0
	s_add_co_i32 s1, s1, 8
	ds_load_b64 v[128:129], v125
	v_cmp_eq_u32_e32 vcc_lo, 0, v124
	s_or_b32 s13, vcc_lo, s13
	s_wait_loadcnt_dscnt 0x0
	v_pk_mul_f32 v[130:131], v[128:129], v[126:127] op_sel:[1,1] op_sel_hi:[0,1]
	s_delay_alu instid0(VALU_DEP_1) | instskip(SKIP_1) | instid1(VALU_DEP_2)
	v_pk_fma_f32 v[132:133], v[128:129], v[126:127], v[130:131] op_sel_hi:[1,0,1]
	v_pk_fma_f32 v[126:127], v[128:129], v[126:127], v[130:131] neg_lo:[0,0,1] neg_hi:[0,0,1]
	v_mov_b32_e32 v127, v133
	s_delay_alu instid0(VALU_DEP_1)
	v_pk_add_f32 v[122:123], v[122:123], v[126:127]
	s_and_not1_b32 exec_lo, exec_lo, s13
	s_cbranch_execnz .LBB58_462
; %bb.463:
	s_or_b32 exec_lo, exec_lo, s13
.LBB58_464:
	s_delay_alu instid0(SALU_CYCLE_1) | instskip(SKIP_4) | instid1(VALU_DEP_1)
	s_or_b32 exec_lo, exec_lo, s12
	v_mov_b32_e32 v124, 0
	ds_load_b64 v[124:125], v124 offset:96
	s_wait_dscnt 0x0
	v_pk_mul_f32 v[126:127], v[122:123], v[124:125] op_sel:[1,1] op_sel_hi:[0,1]
	v_pk_fma_f32 v[128:129], v[122:123], v[124:125], v[126:127] op_sel_hi:[1,0,1]
	v_pk_fma_f32 v[122:123], v[122:123], v[124:125], v[126:127] neg_lo:[0,0,1] neg_hi:[0,0,1]
	s_delay_alu instid0(VALU_DEP_2)
	v_mov_b32_e32 v123, v129
	scratch_store_b64 off, v[122:123], off offset:96
.LBB58_465:
	s_wait_xcnt 0x0
	s_or_b32 exec_lo, exec_lo, s2
	scratch_load_b64 v[122:123], off, off offset:88
	v_cmp_lt_u32_e64 s1, 11, v0
	s_wait_loadcnt 0x0
	ds_store_b64 v1, v[122:123]
	s_wait_storecnt_dscnt 0x0
	s_barrier_signal -1
	s_barrier_wait -1
	s_wait_xcnt 0x0
	s_and_saveexec_b32 s2, s1
	s_cbranch_execz .LBB58_475
; %bb.466:
	s_and_not1_b32 vcc_lo, exec_lo, s3
	s_cbranch_vccnz .LBB58_468
; %bb.467:
	scratch_load_b64 v[122:123], v59, off
	ds_load_b64 v[124:125], v1
	s_wait_loadcnt_dscnt 0x0
	v_pk_mul_f32 v[126:127], v[124:125], v[122:123] op_sel:[1,1] op_sel_hi:[0,1]
	s_delay_alu instid0(VALU_DEP_1) | instskip(SKIP_1) | instid1(VALU_DEP_2)
	v_pk_fma_f32 v[128:129], v[124:125], v[122:123], v[126:127] op_sel_hi:[1,0,1]
	v_pk_fma_f32 v[122:123], v[124:125], v[122:123], v[126:127] neg_lo:[0,0,1] neg_hi:[0,0,1]
	v_mov_b32_e32 v123, v129
	s_cbranch_execz .LBB58_469
	s_branch .LBB58_470
.LBB58_468:
                                        ; implicit-def: $vgpr122_vgpr123
.LBB58_469:
	ds_load_b64 v[122:123], v1
.LBB58_470:
	s_and_saveexec_b32 s12, s0
	s_cbranch_execz .LBB58_474
; %bb.471:
	v_add_nc_u32_e32 v124, -12, v0
	s_movk_i32 s13, 0x240
	s_mov_b32 s0, 0
.LBB58_472:                             ; =>This Inner Loop Header: Depth=1
	scratch_load_b64 v[126:127], off, s11
	v_dual_mov_b32 v125, s13 :: v_dual_add_nc_u32 v124, -1, v124
	s_add_co_i32 s13, s13, 8
	s_wait_xcnt 0x0
	s_add_co_i32 s11, s11, 8
	ds_load_b64 v[128:129], v125
	v_cmp_eq_u32_e32 vcc_lo, 0, v124
	s_or_b32 s0, vcc_lo, s0
	s_wait_loadcnt_dscnt 0x0
	v_pk_mul_f32 v[130:131], v[128:129], v[126:127] op_sel:[1,1] op_sel_hi:[0,1]
	s_delay_alu instid0(VALU_DEP_1) | instskip(SKIP_1) | instid1(VALU_DEP_2)
	v_pk_fma_f32 v[132:133], v[128:129], v[126:127], v[130:131] op_sel_hi:[1,0,1]
	v_pk_fma_f32 v[126:127], v[128:129], v[126:127], v[130:131] neg_lo:[0,0,1] neg_hi:[0,0,1]
	v_mov_b32_e32 v127, v133
	s_delay_alu instid0(VALU_DEP_1)
	v_pk_add_f32 v[122:123], v[122:123], v[126:127]
	s_and_not1_b32 exec_lo, exec_lo, s0
	s_cbranch_execnz .LBB58_472
; %bb.473:
	s_or_b32 exec_lo, exec_lo, s0
.LBB58_474:
	s_delay_alu instid0(SALU_CYCLE_1) | instskip(SKIP_4) | instid1(VALU_DEP_1)
	s_or_b32 exec_lo, exec_lo, s12
	v_mov_b32_e32 v124, 0
	ds_load_b64 v[124:125], v124 offset:88
	s_wait_dscnt 0x0
	v_pk_mul_f32 v[126:127], v[122:123], v[124:125] op_sel:[1,1] op_sel_hi:[0,1]
	v_pk_fma_f32 v[128:129], v[122:123], v[124:125], v[126:127] op_sel_hi:[1,0,1]
	v_pk_fma_f32 v[122:123], v[122:123], v[124:125], v[126:127] neg_lo:[0,0,1] neg_hi:[0,0,1]
	s_delay_alu instid0(VALU_DEP_2)
	v_mov_b32_e32 v123, v129
	scratch_store_b64 off, v[122:123], off offset:88
.LBB58_475:
	s_wait_xcnt 0x0
	s_or_b32 exec_lo, exec_lo, s2
	scratch_load_b64 v[122:123], off, off offset:80
	v_cmp_lt_u32_e64 s0, 10, v0
	s_wait_loadcnt 0x0
	ds_store_b64 v1, v[122:123]
	s_wait_storecnt_dscnt 0x0
	s_barrier_signal -1
	s_barrier_wait -1
	s_wait_xcnt 0x0
	s_and_saveexec_b32 s2, s0
	s_cbranch_execz .LBB58_485
; %bb.476:
	s_and_not1_b32 vcc_lo, exec_lo, s3
	s_cbranch_vccnz .LBB58_478
; %bb.477:
	scratch_load_b64 v[122:123], v59, off
	ds_load_b64 v[124:125], v1
	s_wait_loadcnt_dscnt 0x0
	v_pk_mul_f32 v[126:127], v[124:125], v[122:123] op_sel:[1,1] op_sel_hi:[0,1]
	s_delay_alu instid0(VALU_DEP_1) | instskip(SKIP_1) | instid1(VALU_DEP_2)
	v_pk_fma_f32 v[128:129], v[124:125], v[122:123], v[126:127] op_sel_hi:[1,0,1]
	v_pk_fma_f32 v[122:123], v[124:125], v[122:123], v[126:127] neg_lo:[0,0,1] neg_hi:[0,0,1]
	v_mov_b32_e32 v123, v129
	s_cbranch_execz .LBB58_479
	s_branch .LBB58_480
.LBB58_478:
                                        ; implicit-def: $vgpr122_vgpr123
.LBB58_479:
	ds_load_b64 v[122:123], v1
.LBB58_480:
	s_and_saveexec_b32 s11, s1
	s_cbranch_execz .LBB58_484
; %bb.481:
	v_add_nc_u32_e32 v124, -11, v0
	s_movk_i32 s1, 0x58
	s_movk_i32 s13, 0x238
	s_mov_b32 s12, 0
.LBB58_482:                             ; =>This Inner Loop Header: Depth=1
	scratch_load_b64 v[126:127], off, s1
	v_dual_mov_b32 v125, s13 :: v_dual_add_nc_u32 v124, -1, v124
	s_add_co_i32 s13, s13, 8
	s_wait_xcnt 0x0
	s_add_co_i32 s1, s1, 8
	ds_load_b64 v[128:129], v125
	v_cmp_eq_u32_e32 vcc_lo, 0, v124
	s_or_b32 s12, vcc_lo, s12
	s_wait_loadcnt_dscnt 0x0
	v_pk_mul_f32 v[130:131], v[128:129], v[126:127] op_sel:[1,1] op_sel_hi:[0,1]
	s_delay_alu instid0(VALU_DEP_1) | instskip(SKIP_1) | instid1(VALU_DEP_2)
	v_pk_fma_f32 v[132:133], v[128:129], v[126:127], v[130:131] op_sel_hi:[1,0,1]
	v_pk_fma_f32 v[126:127], v[128:129], v[126:127], v[130:131] neg_lo:[0,0,1] neg_hi:[0,0,1]
	v_mov_b32_e32 v127, v133
	s_delay_alu instid0(VALU_DEP_1)
	v_pk_add_f32 v[122:123], v[122:123], v[126:127]
	s_and_not1_b32 exec_lo, exec_lo, s12
	s_cbranch_execnz .LBB58_482
; %bb.483:
	s_or_b32 exec_lo, exec_lo, s12
.LBB58_484:
	s_delay_alu instid0(SALU_CYCLE_1) | instskip(SKIP_4) | instid1(VALU_DEP_1)
	s_or_b32 exec_lo, exec_lo, s11
	v_mov_b32_e32 v124, 0
	ds_load_b64 v[124:125], v124 offset:80
	s_wait_dscnt 0x0
	v_pk_mul_f32 v[126:127], v[122:123], v[124:125] op_sel:[1,1] op_sel_hi:[0,1]
	v_pk_fma_f32 v[128:129], v[122:123], v[124:125], v[126:127] op_sel_hi:[1,0,1]
	v_pk_fma_f32 v[122:123], v[122:123], v[124:125], v[126:127] neg_lo:[0,0,1] neg_hi:[0,0,1]
	s_delay_alu instid0(VALU_DEP_2)
	v_mov_b32_e32 v123, v129
	scratch_store_b64 off, v[122:123], off offset:80
.LBB58_485:
	s_wait_xcnt 0x0
	s_or_b32 exec_lo, exec_lo, s2
	scratch_load_b64 v[122:123], off, off offset:72
	v_cmp_lt_u32_e64 s1, 9, v0
	s_wait_loadcnt 0x0
	ds_store_b64 v1, v[122:123]
	s_wait_storecnt_dscnt 0x0
	s_barrier_signal -1
	s_barrier_wait -1
	s_wait_xcnt 0x0
	s_and_saveexec_b32 s2, s1
	s_cbranch_execz .LBB58_495
; %bb.486:
	s_and_not1_b32 vcc_lo, exec_lo, s3
	s_cbranch_vccnz .LBB58_488
; %bb.487:
	scratch_load_b64 v[122:123], v59, off
	ds_load_b64 v[124:125], v1
	s_wait_loadcnt_dscnt 0x0
	v_pk_mul_f32 v[126:127], v[124:125], v[122:123] op_sel:[1,1] op_sel_hi:[0,1]
	s_delay_alu instid0(VALU_DEP_1) | instskip(SKIP_1) | instid1(VALU_DEP_2)
	v_pk_fma_f32 v[128:129], v[124:125], v[122:123], v[126:127] op_sel_hi:[1,0,1]
	v_pk_fma_f32 v[122:123], v[124:125], v[122:123], v[126:127] neg_lo:[0,0,1] neg_hi:[0,0,1]
	v_mov_b32_e32 v123, v129
	s_cbranch_execz .LBB58_489
	s_branch .LBB58_490
.LBB58_488:
                                        ; implicit-def: $vgpr122_vgpr123
.LBB58_489:
	ds_load_b64 v[122:123], v1
.LBB58_490:
	s_and_saveexec_b32 s11, s0
	s_cbranch_execz .LBB58_494
; %bb.491:
	v_add_nc_u32_e32 v124, -10, v0
	s_movk_i32 s12, 0x230
	s_mov_b32 s0, 0
.LBB58_492:                             ; =>This Inner Loop Header: Depth=1
	scratch_load_b64 v[126:127], off, s10
	v_dual_mov_b32 v125, s12 :: v_dual_add_nc_u32 v124, -1, v124
	s_add_co_i32 s12, s12, 8
	s_wait_xcnt 0x0
	s_add_co_i32 s10, s10, 8
	ds_load_b64 v[128:129], v125
	v_cmp_eq_u32_e32 vcc_lo, 0, v124
	s_or_b32 s0, vcc_lo, s0
	s_wait_loadcnt_dscnt 0x0
	v_pk_mul_f32 v[130:131], v[128:129], v[126:127] op_sel:[1,1] op_sel_hi:[0,1]
	s_delay_alu instid0(VALU_DEP_1) | instskip(SKIP_1) | instid1(VALU_DEP_2)
	v_pk_fma_f32 v[132:133], v[128:129], v[126:127], v[130:131] op_sel_hi:[1,0,1]
	v_pk_fma_f32 v[126:127], v[128:129], v[126:127], v[130:131] neg_lo:[0,0,1] neg_hi:[0,0,1]
	v_mov_b32_e32 v127, v133
	s_delay_alu instid0(VALU_DEP_1)
	v_pk_add_f32 v[122:123], v[122:123], v[126:127]
	s_and_not1_b32 exec_lo, exec_lo, s0
	s_cbranch_execnz .LBB58_492
; %bb.493:
	s_or_b32 exec_lo, exec_lo, s0
.LBB58_494:
	s_delay_alu instid0(SALU_CYCLE_1) | instskip(SKIP_4) | instid1(VALU_DEP_1)
	s_or_b32 exec_lo, exec_lo, s11
	v_mov_b32_e32 v124, 0
	ds_load_b64 v[124:125], v124 offset:72
	s_wait_dscnt 0x0
	v_pk_mul_f32 v[126:127], v[122:123], v[124:125] op_sel:[1,1] op_sel_hi:[0,1]
	v_pk_fma_f32 v[128:129], v[122:123], v[124:125], v[126:127] op_sel_hi:[1,0,1]
	v_pk_fma_f32 v[122:123], v[122:123], v[124:125], v[126:127] neg_lo:[0,0,1] neg_hi:[0,0,1]
	s_delay_alu instid0(VALU_DEP_2)
	v_mov_b32_e32 v123, v129
	scratch_store_b64 off, v[122:123], off offset:72
.LBB58_495:
	s_wait_xcnt 0x0
	s_or_b32 exec_lo, exec_lo, s2
	scratch_load_b64 v[122:123], off, off offset:64
	v_cmp_lt_u32_e64 s0, 8, v0
	s_wait_loadcnt 0x0
	ds_store_b64 v1, v[122:123]
	s_wait_storecnt_dscnt 0x0
	s_barrier_signal -1
	s_barrier_wait -1
	s_wait_xcnt 0x0
	s_and_saveexec_b32 s2, s0
	s_cbranch_execz .LBB58_505
; %bb.496:
	s_and_not1_b32 vcc_lo, exec_lo, s3
	s_cbranch_vccnz .LBB58_498
; %bb.497:
	scratch_load_b64 v[122:123], v59, off
	ds_load_b64 v[124:125], v1
	s_wait_loadcnt_dscnt 0x0
	v_pk_mul_f32 v[126:127], v[124:125], v[122:123] op_sel:[1,1] op_sel_hi:[0,1]
	s_delay_alu instid0(VALU_DEP_1) | instskip(SKIP_1) | instid1(VALU_DEP_2)
	v_pk_fma_f32 v[128:129], v[124:125], v[122:123], v[126:127] op_sel_hi:[1,0,1]
	v_pk_fma_f32 v[122:123], v[124:125], v[122:123], v[126:127] neg_lo:[0,0,1] neg_hi:[0,0,1]
	v_mov_b32_e32 v123, v129
	s_cbranch_execz .LBB58_499
	s_branch .LBB58_500
.LBB58_498:
                                        ; implicit-def: $vgpr122_vgpr123
.LBB58_499:
	ds_load_b64 v[122:123], v1
.LBB58_500:
	s_and_saveexec_b32 s10, s1
	s_cbranch_execz .LBB58_504
; %bb.501:
	v_add_nc_u32_e32 v124, -9, v0
	s_movk_i32 s1, 0x48
	s_movk_i32 s12, 0x228
	s_mov_b32 s11, 0
.LBB58_502:                             ; =>This Inner Loop Header: Depth=1
	scratch_load_b64 v[126:127], off, s1
	v_dual_mov_b32 v125, s12 :: v_dual_add_nc_u32 v124, -1, v124
	s_add_co_i32 s12, s12, 8
	s_wait_xcnt 0x0
	s_add_co_i32 s1, s1, 8
	ds_load_b64 v[128:129], v125
	v_cmp_eq_u32_e32 vcc_lo, 0, v124
	s_or_b32 s11, vcc_lo, s11
	s_wait_loadcnt_dscnt 0x0
	v_pk_mul_f32 v[130:131], v[128:129], v[126:127] op_sel:[1,1] op_sel_hi:[0,1]
	s_delay_alu instid0(VALU_DEP_1) | instskip(SKIP_1) | instid1(VALU_DEP_2)
	v_pk_fma_f32 v[132:133], v[128:129], v[126:127], v[130:131] op_sel_hi:[1,0,1]
	v_pk_fma_f32 v[126:127], v[128:129], v[126:127], v[130:131] neg_lo:[0,0,1] neg_hi:[0,0,1]
	v_mov_b32_e32 v127, v133
	s_delay_alu instid0(VALU_DEP_1)
	v_pk_add_f32 v[122:123], v[122:123], v[126:127]
	s_and_not1_b32 exec_lo, exec_lo, s11
	s_cbranch_execnz .LBB58_502
; %bb.503:
	s_or_b32 exec_lo, exec_lo, s11
.LBB58_504:
	s_delay_alu instid0(SALU_CYCLE_1) | instskip(SKIP_4) | instid1(VALU_DEP_1)
	s_or_b32 exec_lo, exec_lo, s10
	v_mov_b32_e32 v124, 0
	ds_load_b64 v[124:125], v124 offset:64
	s_wait_dscnt 0x0
	v_pk_mul_f32 v[126:127], v[122:123], v[124:125] op_sel:[1,1] op_sel_hi:[0,1]
	v_pk_fma_f32 v[128:129], v[122:123], v[124:125], v[126:127] op_sel_hi:[1,0,1]
	v_pk_fma_f32 v[122:123], v[122:123], v[124:125], v[126:127] neg_lo:[0,0,1] neg_hi:[0,0,1]
	s_delay_alu instid0(VALU_DEP_2)
	v_mov_b32_e32 v123, v129
	scratch_store_b64 off, v[122:123], off offset:64
.LBB58_505:
	s_wait_xcnt 0x0
	s_or_b32 exec_lo, exec_lo, s2
	scratch_load_b64 v[122:123], off, off offset:56
	v_cmp_lt_u32_e64 s1, 7, v0
	s_wait_loadcnt 0x0
	ds_store_b64 v1, v[122:123]
	s_wait_storecnt_dscnt 0x0
	s_barrier_signal -1
	s_barrier_wait -1
	s_wait_xcnt 0x0
	s_and_saveexec_b32 s2, s1
	s_cbranch_execz .LBB58_515
; %bb.506:
	s_and_not1_b32 vcc_lo, exec_lo, s3
	s_cbranch_vccnz .LBB58_508
; %bb.507:
	scratch_load_b64 v[122:123], v59, off
	ds_load_b64 v[124:125], v1
	s_wait_loadcnt_dscnt 0x0
	v_pk_mul_f32 v[126:127], v[124:125], v[122:123] op_sel:[1,1] op_sel_hi:[0,1]
	s_delay_alu instid0(VALU_DEP_1) | instskip(SKIP_1) | instid1(VALU_DEP_2)
	v_pk_fma_f32 v[128:129], v[124:125], v[122:123], v[126:127] op_sel_hi:[1,0,1]
	v_pk_fma_f32 v[122:123], v[124:125], v[122:123], v[126:127] neg_lo:[0,0,1] neg_hi:[0,0,1]
	v_mov_b32_e32 v123, v129
	s_cbranch_execz .LBB58_509
	s_branch .LBB58_510
.LBB58_508:
                                        ; implicit-def: $vgpr122_vgpr123
.LBB58_509:
	ds_load_b64 v[122:123], v1
.LBB58_510:
	s_and_saveexec_b32 s10, s0
	s_cbranch_execz .LBB58_514
; %bb.511:
	v_add_nc_u32_e32 v124, -8, v0
	s_movk_i32 s11, 0x220
	s_mov_b32 s0, 0
.LBB58_512:                             ; =>This Inner Loop Header: Depth=1
	scratch_load_b64 v[126:127], off, s9
	v_dual_mov_b32 v125, s11 :: v_dual_add_nc_u32 v124, -1, v124
	s_add_co_i32 s11, s11, 8
	s_wait_xcnt 0x0
	s_add_co_i32 s9, s9, 8
	ds_load_b64 v[128:129], v125
	v_cmp_eq_u32_e32 vcc_lo, 0, v124
	s_or_b32 s0, vcc_lo, s0
	s_wait_loadcnt_dscnt 0x0
	v_pk_mul_f32 v[130:131], v[128:129], v[126:127] op_sel:[1,1] op_sel_hi:[0,1]
	s_delay_alu instid0(VALU_DEP_1) | instskip(SKIP_1) | instid1(VALU_DEP_2)
	v_pk_fma_f32 v[132:133], v[128:129], v[126:127], v[130:131] op_sel_hi:[1,0,1]
	v_pk_fma_f32 v[126:127], v[128:129], v[126:127], v[130:131] neg_lo:[0,0,1] neg_hi:[0,0,1]
	v_mov_b32_e32 v127, v133
	s_delay_alu instid0(VALU_DEP_1)
	v_pk_add_f32 v[122:123], v[122:123], v[126:127]
	s_and_not1_b32 exec_lo, exec_lo, s0
	s_cbranch_execnz .LBB58_512
; %bb.513:
	s_or_b32 exec_lo, exec_lo, s0
.LBB58_514:
	s_delay_alu instid0(SALU_CYCLE_1) | instskip(SKIP_4) | instid1(VALU_DEP_1)
	s_or_b32 exec_lo, exec_lo, s10
	v_mov_b32_e32 v124, 0
	ds_load_b64 v[124:125], v124 offset:56
	s_wait_dscnt 0x0
	v_pk_mul_f32 v[126:127], v[122:123], v[124:125] op_sel:[1,1] op_sel_hi:[0,1]
	v_pk_fma_f32 v[128:129], v[122:123], v[124:125], v[126:127] op_sel_hi:[1,0,1]
	v_pk_fma_f32 v[122:123], v[122:123], v[124:125], v[126:127] neg_lo:[0,0,1] neg_hi:[0,0,1]
	s_delay_alu instid0(VALU_DEP_2)
	v_mov_b32_e32 v123, v129
	scratch_store_b64 off, v[122:123], off offset:56
.LBB58_515:
	s_wait_xcnt 0x0
	s_or_b32 exec_lo, exec_lo, s2
	scratch_load_b64 v[122:123], off, off offset:48
	v_cmp_lt_u32_e64 s0, 6, v0
	s_wait_loadcnt 0x0
	ds_store_b64 v1, v[122:123]
	s_wait_storecnt_dscnt 0x0
	s_barrier_signal -1
	s_barrier_wait -1
	s_wait_xcnt 0x0
	s_and_saveexec_b32 s2, s0
	s_cbranch_execz .LBB58_525
; %bb.516:
	s_and_not1_b32 vcc_lo, exec_lo, s3
	s_cbranch_vccnz .LBB58_518
; %bb.517:
	scratch_load_b64 v[122:123], v59, off
	ds_load_b64 v[124:125], v1
	s_wait_loadcnt_dscnt 0x0
	v_pk_mul_f32 v[126:127], v[124:125], v[122:123] op_sel:[1,1] op_sel_hi:[0,1]
	s_delay_alu instid0(VALU_DEP_1) | instskip(SKIP_1) | instid1(VALU_DEP_2)
	v_pk_fma_f32 v[128:129], v[124:125], v[122:123], v[126:127] op_sel_hi:[1,0,1]
	v_pk_fma_f32 v[122:123], v[124:125], v[122:123], v[126:127] neg_lo:[0,0,1] neg_hi:[0,0,1]
	v_mov_b32_e32 v123, v129
	s_cbranch_execz .LBB58_519
	s_branch .LBB58_520
.LBB58_518:
                                        ; implicit-def: $vgpr122_vgpr123
.LBB58_519:
	ds_load_b64 v[122:123], v1
.LBB58_520:
	s_and_saveexec_b32 s9, s1
	s_cbranch_execz .LBB58_524
; %bb.521:
	v_add_nc_u32_e32 v124, -7, v0
	s_mov_b32 s1, 56
	s_movk_i32 s11, 0x218
	s_mov_b32 s10, 0
.LBB58_522:                             ; =>This Inner Loop Header: Depth=1
	scratch_load_b64 v[126:127], off, s1
	v_dual_mov_b32 v125, s11 :: v_dual_add_nc_u32 v124, -1, v124
	s_add_co_i32 s11, s11, 8
	s_wait_xcnt 0x0
	s_add_co_i32 s1, s1, 8
	ds_load_b64 v[128:129], v125
	v_cmp_eq_u32_e32 vcc_lo, 0, v124
	s_or_b32 s10, vcc_lo, s10
	s_wait_loadcnt_dscnt 0x0
	v_pk_mul_f32 v[130:131], v[128:129], v[126:127] op_sel:[1,1] op_sel_hi:[0,1]
	s_delay_alu instid0(VALU_DEP_1) | instskip(SKIP_1) | instid1(VALU_DEP_2)
	v_pk_fma_f32 v[132:133], v[128:129], v[126:127], v[130:131] op_sel_hi:[1,0,1]
	v_pk_fma_f32 v[126:127], v[128:129], v[126:127], v[130:131] neg_lo:[0,0,1] neg_hi:[0,0,1]
	v_mov_b32_e32 v127, v133
	s_delay_alu instid0(VALU_DEP_1)
	v_pk_add_f32 v[122:123], v[122:123], v[126:127]
	s_and_not1_b32 exec_lo, exec_lo, s10
	s_cbranch_execnz .LBB58_522
; %bb.523:
	s_or_b32 exec_lo, exec_lo, s10
.LBB58_524:
	s_delay_alu instid0(SALU_CYCLE_1) | instskip(SKIP_4) | instid1(VALU_DEP_1)
	s_or_b32 exec_lo, exec_lo, s9
	v_mov_b32_e32 v124, 0
	ds_load_b64 v[124:125], v124 offset:48
	s_wait_dscnt 0x0
	v_pk_mul_f32 v[126:127], v[122:123], v[124:125] op_sel:[1,1] op_sel_hi:[0,1]
	v_pk_fma_f32 v[128:129], v[122:123], v[124:125], v[126:127] op_sel_hi:[1,0,1]
	v_pk_fma_f32 v[122:123], v[122:123], v[124:125], v[126:127] neg_lo:[0,0,1] neg_hi:[0,0,1]
	s_delay_alu instid0(VALU_DEP_2)
	v_mov_b32_e32 v123, v129
	scratch_store_b64 off, v[122:123], off offset:48
.LBB58_525:
	s_wait_xcnt 0x0
	s_or_b32 exec_lo, exec_lo, s2
	scratch_load_b64 v[122:123], off, off offset:40
	v_cmp_lt_u32_e64 s1, 5, v0
	s_wait_loadcnt 0x0
	ds_store_b64 v1, v[122:123]
	s_wait_storecnt_dscnt 0x0
	s_barrier_signal -1
	s_barrier_wait -1
	s_wait_xcnt 0x0
	s_and_saveexec_b32 s2, s1
	s_cbranch_execz .LBB58_535
; %bb.526:
	s_and_not1_b32 vcc_lo, exec_lo, s3
	s_cbranch_vccnz .LBB58_528
; %bb.527:
	scratch_load_b64 v[122:123], v59, off
	ds_load_b64 v[124:125], v1
	s_wait_loadcnt_dscnt 0x0
	v_pk_mul_f32 v[126:127], v[124:125], v[122:123] op_sel:[1,1] op_sel_hi:[0,1]
	s_delay_alu instid0(VALU_DEP_1) | instskip(SKIP_1) | instid1(VALU_DEP_2)
	v_pk_fma_f32 v[128:129], v[124:125], v[122:123], v[126:127] op_sel_hi:[1,0,1]
	v_pk_fma_f32 v[122:123], v[124:125], v[122:123], v[126:127] neg_lo:[0,0,1] neg_hi:[0,0,1]
	v_mov_b32_e32 v123, v129
	s_cbranch_execz .LBB58_529
	s_branch .LBB58_530
.LBB58_528:
                                        ; implicit-def: $vgpr122_vgpr123
.LBB58_529:
	ds_load_b64 v[122:123], v1
.LBB58_530:
	s_and_saveexec_b32 s9, s0
	s_cbranch_execz .LBB58_534
; %bb.531:
	v_add_nc_u32_e32 v124, -6, v0
	s_movk_i32 s10, 0x210
	s_mov_b32 s0, 0
.LBB58_532:                             ; =>This Inner Loop Header: Depth=1
	scratch_load_b64 v[126:127], off, s8
	v_dual_mov_b32 v125, s10 :: v_dual_add_nc_u32 v124, -1, v124
	s_add_co_i32 s10, s10, 8
	s_wait_xcnt 0x0
	s_add_co_i32 s8, s8, 8
	ds_load_b64 v[128:129], v125
	v_cmp_eq_u32_e32 vcc_lo, 0, v124
	s_or_b32 s0, vcc_lo, s0
	s_wait_loadcnt_dscnt 0x0
	v_pk_mul_f32 v[130:131], v[128:129], v[126:127] op_sel:[1,1] op_sel_hi:[0,1]
	s_delay_alu instid0(VALU_DEP_1) | instskip(SKIP_1) | instid1(VALU_DEP_2)
	v_pk_fma_f32 v[132:133], v[128:129], v[126:127], v[130:131] op_sel_hi:[1,0,1]
	v_pk_fma_f32 v[126:127], v[128:129], v[126:127], v[130:131] neg_lo:[0,0,1] neg_hi:[0,0,1]
	v_mov_b32_e32 v127, v133
	s_delay_alu instid0(VALU_DEP_1)
	v_pk_add_f32 v[122:123], v[122:123], v[126:127]
	s_and_not1_b32 exec_lo, exec_lo, s0
	s_cbranch_execnz .LBB58_532
; %bb.533:
	s_or_b32 exec_lo, exec_lo, s0
.LBB58_534:
	s_delay_alu instid0(SALU_CYCLE_1) | instskip(SKIP_4) | instid1(VALU_DEP_1)
	s_or_b32 exec_lo, exec_lo, s9
	v_mov_b32_e32 v124, 0
	ds_load_b64 v[124:125], v124 offset:40
	s_wait_dscnt 0x0
	v_pk_mul_f32 v[126:127], v[122:123], v[124:125] op_sel:[1,1] op_sel_hi:[0,1]
	v_pk_fma_f32 v[128:129], v[122:123], v[124:125], v[126:127] op_sel_hi:[1,0,1]
	v_pk_fma_f32 v[122:123], v[122:123], v[124:125], v[126:127] neg_lo:[0,0,1] neg_hi:[0,0,1]
	s_delay_alu instid0(VALU_DEP_2)
	v_mov_b32_e32 v123, v129
	scratch_store_b64 off, v[122:123], off offset:40
.LBB58_535:
	s_wait_xcnt 0x0
	s_or_b32 exec_lo, exec_lo, s2
	scratch_load_b64 v[122:123], off, off offset:32
	v_cmp_lt_u32_e64 s0, 4, v0
	s_wait_loadcnt 0x0
	ds_store_b64 v1, v[122:123]
	s_wait_storecnt_dscnt 0x0
	s_barrier_signal -1
	s_barrier_wait -1
	s_wait_xcnt 0x0
	s_and_saveexec_b32 s2, s0
	s_cbranch_execz .LBB58_545
; %bb.536:
	s_and_not1_b32 vcc_lo, exec_lo, s3
	s_cbranch_vccnz .LBB58_538
; %bb.537:
	scratch_load_b64 v[122:123], v59, off
	ds_load_b64 v[124:125], v1
	s_wait_loadcnt_dscnt 0x0
	v_pk_mul_f32 v[126:127], v[124:125], v[122:123] op_sel:[1,1] op_sel_hi:[0,1]
	s_delay_alu instid0(VALU_DEP_1) | instskip(SKIP_1) | instid1(VALU_DEP_2)
	v_pk_fma_f32 v[128:129], v[124:125], v[122:123], v[126:127] op_sel_hi:[1,0,1]
	v_pk_fma_f32 v[122:123], v[124:125], v[122:123], v[126:127] neg_lo:[0,0,1] neg_hi:[0,0,1]
	v_mov_b32_e32 v123, v129
	s_cbranch_execz .LBB58_539
	s_branch .LBB58_540
.LBB58_538:
                                        ; implicit-def: $vgpr122_vgpr123
.LBB58_539:
	ds_load_b64 v[122:123], v1
.LBB58_540:
	s_and_saveexec_b32 s8, s1
	s_cbranch_execz .LBB58_544
; %bb.541:
	v_add_nc_u32_e32 v124, -5, v0
	s_mov_b32 s1, 40
	s_movk_i32 s10, 0x208
	s_mov_b32 s9, 0
.LBB58_542:                             ; =>This Inner Loop Header: Depth=1
	scratch_load_b64 v[126:127], off, s1
	v_dual_mov_b32 v125, s10 :: v_dual_add_nc_u32 v124, -1, v124
	s_add_co_i32 s10, s10, 8
	s_wait_xcnt 0x0
	s_add_co_i32 s1, s1, 8
	ds_load_b64 v[128:129], v125
	v_cmp_eq_u32_e32 vcc_lo, 0, v124
	s_or_b32 s9, vcc_lo, s9
	s_wait_loadcnt_dscnt 0x0
	v_pk_mul_f32 v[130:131], v[128:129], v[126:127] op_sel:[1,1] op_sel_hi:[0,1]
	s_delay_alu instid0(VALU_DEP_1) | instskip(SKIP_1) | instid1(VALU_DEP_2)
	v_pk_fma_f32 v[132:133], v[128:129], v[126:127], v[130:131] op_sel_hi:[1,0,1]
	v_pk_fma_f32 v[126:127], v[128:129], v[126:127], v[130:131] neg_lo:[0,0,1] neg_hi:[0,0,1]
	v_mov_b32_e32 v127, v133
	s_delay_alu instid0(VALU_DEP_1)
	v_pk_add_f32 v[122:123], v[122:123], v[126:127]
	s_and_not1_b32 exec_lo, exec_lo, s9
	s_cbranch_execnz .LBB58_542
; %bb.543:
	s_or_b32 exec_lo, exec_lo, s9
.LBB58_544:
	s_delay_alu instid0(SALU_CYCLE_1) | instskip(SKIP_4) | instid1(VALU_DEP_1)
	s_or_b32 exec_lo, exec_lo, s8
	v_mov_b32_e32 v124, 0
	ds_load_b64 v[124:125], v124 offset:32
	s_wait_dscnt 0x0
	v_pk_mul_f32 v[126:127], v[122:123], v[124:125] op_sel:[1,1] op_sel_hi:[0,1]
	v_pk_fma_f32 v[128:129], v[122:123], v[124:125], v[126:127] op_sel_hi:[1,0,1]
	v_pk_fma_f32 v[122:123], v[122:123], v[124:125], v[126:127] neg_lo:[0,0,1] neg_hi:[0,0,1]
	s_delay_alu instid0(VALU_DEP_2)
	v_mov_b32_e32 v123, v129
	scratch_store_b64 off, v[122:123], off offset:32
.LBB58_545:
	s_wait_xcnt 0x0
	s_or_b32 exec_lo, exec_lo, s2
	scratch_load_b64 v[122:123], off, off offset:24
	v_cmp_lt_u32_e64 s2, 3, v0
	s_wait_loadcnt 0x0
	ds_store_b64 v1, v[122:123]
	s_wait_storecnt_dscnt 0x0
	s_barrier_signal -1
	s_barrier_wait -1
	s_wait_xcnt 0x0
	s_and_saveexec_b32 s1, s2
	s_cbranch_execz .LBB58_555
; %bb.546:
	s_and_not1_b32 vcc_lo, exec_lo, s3
	s_cbranch_vccnz .LBB58_548
; %bb.547:
	scratch_load_b64 v[122:123], v59, off
	ds_load_b64 v[124:125], v1
	s_wait_loadcnt_dscnt 0x0
	v_pk_mul_f32 v[126:127], v[124:125], v[122:123] op_sel:[1,1] op_sel_hi:[0,1]
	s_delay_alu instid0(VALU_DEP_1) | instskip(SKIP_1) | instid1(VALU_DEP_2)
	v_pk_fma_f32 v[128:129], v[124:125], v[122:123], v[126:127] op_sel_hi:[1,0,1]
	v_pk_fma_f32 v[122:123], v[124:125], v[122:123], v[126:127] neg_lo:[0,0,1] neg_hi:[0,0,1]
	v_mov_b32_e32 v123, v129
	s_cbranch_execz .LBB58_549
	s_branch .LBB58_550
.LBB58_548:
                                        ; implicit-def: $vgpr122_vgpr123
.LBB58_549:
	ds_load_b64 v[122:123], v1
.LBB58_550:
	s_and_saveexec_b32 s8, s0
	s_cbranch_execz .LBB58_554
; %bb.551:
	v_add_nc_u32_e32 v124, -4, v0
	s_movk_i32 s9, 0x200
	s_mov_b32 s0, 0
.LBB58_552:                             ; =>This Inner Loop Header: Depth=1
	scratch_load_b64 v[126:127], off, s5
	v_dual_mov_b32 v125, s9 :: v_dual_add_nc_u32 v124, -1, v124
	s_add_co_i32 s9, s9, 8
	s_wait_xcnt 0x0
	s_add_co_i32 s5, s5, 8
	ds_load_b64 v[128:129], v125
	v_cmp_eq_u32_e32 vcc_lo, 0, v124
	s_or_b32 s0, vcc_lo, s0
	s_wait_loadcnt_dscnt 0x0
	v_pk_mul_f32 v[130:131], v[128:129], v[126:127] op_sel:[1,1] op_sel_hi:[0,1]
	s_delay_alu instid0(VALU_DEP_1) | instskip(SKIP_1) | instid1(VALU_DEP_2)
	v_pk_fma_f32 v[132:133], v[128:129], v[126:127], v[130:131] op_sel_hi:[1,0,1]
	v_pk_fma_f32 v[126:127], v[128:129], v[126:127], v[130:131] neg_lo:[0,0,1] neg_hi:[0,0,1]
	v_mov_b32_e32 v127, v133
	s_delay_alu instid0(VALU_DEP_1)
	v_pk_add_f32 v[122:123], v[122:123], v[126:127]
	s_and_not1_b32 exec_lo, exec_lo, s0
	s_cbranch_execnz .LBB58_552
; %bb.553:
	s_or_b32 exec_lo, exec_lo, s0
.LBB58_554:
	s_delay_alu instid0(SALU_CYCLE_1) | instskip(SKIP_4) | instid1(VALU_DEP_1)
	s_or_b32 exec_lo, exec_lo, s8
	v_mov_b32_e32 v124, 0
	ds_load_b64 v[124:125], v124 offset:24
	s_wait_dscnt 0x0
	v_pk_mul_f32 v[126:127], v[122:123], v[124:125] op_sel:[1,1] op_sel_hi:[0,1]
	v_pk_fma_f32 v[128:129], v[122:123], v[124:125], v[126:127] op_sel_hi:[1,0,1]
	v_pk_fma_f32 v[122:123], v[122:123], v[124:125], v[126:127] neg_lo:[0,0,1] neg_hi:[0,0,1]
	s_delay_alu instid0(VALU_DEP_2)
	v_mov_b32_e32 v123, v129
	scratch_store_b64 off, v[122:123], off offset:24
.LBB58_555:
	s_wait_xcnt 0x0
	s_or_b32 exec_lo, exec_lo, s1
	scratch_load_b64 v[122:123], off, off offset:16
	v_cmp_lt_u32_e64 s1, 2, v0
	s_wait_loadcnt 0x0
	ds_store_b64 v1, v[122:123]
	s_wait_storecnt_dscnt 0x0
	s_barrier_signal -1
	s_barrier_wait -1
	s_wait_xcnt 0x0
	s_and_saveexec_b32 s0, s1
	s_cbranch_execz .LBB58_565
; %bb.556:
	s_and_not1_b32 vcc_lo, exec_lo, s3
	s_cbranch_vccnz .LBB58_558
; %bb.557:
	scratch_load_b64 v[122:123], v59, off
	ds_load_b64 v[124:125], v1
	s_wait_loadcnt_dscnt 0x0
	v_pk_mul_f32 v[126:127], v[124:125], v[122:123] op_sel:[1,1] op_sel_hi:[0,1]
	s_delay_alu instid0(VALU_DEP_1) | instskip(SKIP_1) | instid1(VALU_DEP_2)
	v_pk_fma_f32 v[128:129], v[124:125], v[122:123], v[126:127] op_sel_hi:[1,0,1]
	v_pk_fma_f32 v[122:123], v[124:125], v[122:123], v[126:127] neg_lo:[0,0,1] neg_hi:[0,0,1]
	v_mov_b32_e32 v123, v129
	s_cbranch_execz .LBB58_559
	s_branch .LBB58_560
.LBB58_558:
                                        ; implicit-def: $vgpr122_vgpr123
.LBB58_559:
	ds_load_b64 v[122:123], v1
.LBB58_560:
	s_and_saveexec_b32 s5, s2
	s_cbranch_execz .LBB58_564
; %bb.561:
	v_add_nc_u32_e32 v124, -3, v0
	s_mov_b32 s2, 24
	s_movk_i32 s9, 0x1f8
	s_mov_b32 s8, 0
.LBB58_562:                             ; =>This Inner Loop Header: Depth=1
	scratch_load_b64 v[126:127], off, s2
	v_dual_mov_b32 v125, s9 :: v_dual_add_nc_u32 v124, -1, v124
	s_add_co_i32 s9, s9, 8
	s_wait_xcnt 0x0
	s_add_co_i32 s2, s2, 8
	ds_load_b64 v[128:129], v125
	v_cmp_eq_u32_e32 vcc_lo, 0, v124
	s_or_b32 s8, vcc_lo, s8
	s_wait_loadcnt_dscnt 0x0
	v_pk_mul_f32 v[130:131], v[128:129], v[126:127] op_sel:[1,1] op_sel_hi:[0,1]
	s_delay_alu instid0(VALU_DEP_1) | instskip(SKIP_1) | instid1(VALU_DEP_2)
	v_pk_fma_f32 v[132:133], v[128:129], v[126:127], v[130:131] op_sel_hi:[1,0,1]
	v_pk_fma_f32 v[126:127], v[128:129], v[126:127], v[130:131] neg_lo:[0,0,1] neg_hi:[0,0,1]
	v_mov_b32_e32 v127, v133
	s_delay_alu instid0(VALU_DEP_1)
	v_pk_add_f32 v[122:123], v[122:123], v[126:127]
	s_and_not1_b32 exec_lo, exec_lo, s8
	s_cbranch_execnz .LBB58_562
; %bb.563:
	s_or_b32 exec_lo, exec_lo, s8
.LBB58_564:
	s_delay_alu instid0(SALU_CYCLE_1) | instskip(SKIP_4) | instid1(VALU_DEP_1)
	s_or_b32 exec_lo, exec_lo, s5
	v_mov_b32_e32 v124, 0
	ds_load_b64 v[124:125], v124 offset:16
	s_wait_dscnt 0x0
	v_pk_mul_f32 v[126:127], v[122:123], v[124:125] op_sel:[1,1] op_sel_hi:[0,1]
	v_pk_fma_f32 v[128:129], v[122:123], v[124:125], v[126:127] op_sel_hi:[1,0,1]
	v_pk_fma_f32 v[122:123], v[122:123], v[124:125], v[126:127] neg_lo:[0,0,1] neg_hi:[0,0,1]
	s_delay_alu instid0(VALU_DEP_2)
	v_mov_b32_e32 v123, v129
	scratch_store_b64 off, v[122:123], off offset:16
.LBB58_565:
	s_wait_xcnt 0x0
	s_or_b32 exec_lo, exec_lo, s0
	scratch_load_b64 v[122:123], off, off offset:8
	v_cmp_lt_u32_e64 s0, 1, v0
	s_wait_loadcnt 0x0
	ds_store_b64 v1, v[122:123]
	s_wait_storecnt_dscnt 0x0
	s_barrier_signal -1
	s_barrier_wait -1
	s_wait_xcnt 0x0
	s_and_saveexec_b32 s2, s0
	s_cbranch_execz .LBB58_575
; %bb.566:
	s_and_not1_b32 vcc_lo, exec_lo, s3
	s_cbranch_vccnz .LBB58_568
; %bb.567:
	scratch_load_b64 v[122:123], v59, off
	ds_load_b64 v[124:125], v1
	s_wait_loadcnt_dscnt 0x0
	v_pk_mul_f32 v[126:127], v[124:125], v[122:123] op_sel:[1,1] op_sel_hi:[0,1]
	s_delay_alu instid0(VALU_DEP_1) | instskip(SKIP_1) | instid1(VALU_DEP_2)
	v_pk_fma_f32 v[128:129], v[124:125], v[122:123], v[126:127] op_sel_hi:[1,0,1]
	v_pk_fma_f32 v[122:123], v[124:125], v[122:123], v[126:127] neg_lo:[0,0,1] neg_hi:[0,0,1]
	v_mov_b32_e32 v123, v129
	s_cbranch_execz .LBB58_569
	s_branch .LBB58_570
.LBB58_568:
                                        ; implicit-def: $vgpr122_vgpr123
.LBB58_569:
	ds_load_b64 v[122:123], v1
.LBB58_570:
	s_and_saveexec_b32 s5, s1
	s_cbranch_execz .LBB58_574
; %bb.571:
	v_add_nc_u32_e32 v124, -2, v0
	s_movk_i32 s8, 0x1f0
	s_mov_b32 s1, 0
.LBB58_572:                             ; =>This Inner Loop Header: Depth=1
	scratch_load_b64 v[126:127], off, s4
	v_dual_mov_b32 v125, s8 :: v_dual_add_nc_u32 v124, -1, v124
	s_add_co_i32 s8, s8, 8
	s_wait_xcnt 0x0
	s_add_co_i32 s4, s4, 8
	ds_load_b64 v[128:129], v125
	v_cmp_eq_u32_e32 vcc_lo, 0, v124
	s_or_b32 s1, vcc_lo, s1
	s_wait_loadcnt_dscnt 0x0
	v_pk_mul_f32 v[130:131], v[128:129], v[126:127] op_sel:[1,1] op_sel_hi:[0,1]
	s_delay_alu instid0(VALU_DEP_1) | instskip(SKIP_1) | instid1(VALU_DEP_2)
	v_pk_fma_f32 v[132:133], v[128:129], v[126:127], v[130:131] op_sel_hi:[1,0,1]
	v_pk_fma_f32 v[126:127], v[128:129], v[126:127], v[130:131] neg_lo:[0,0,1] neg_hi:[0,0,1]
	v_mov_b32_e32 v127, v133
	s_delay_alu instid0(VALU_DEP_1)
	v_pk_add_f32 v[122:123], v[122:123], v[126:127]
	s_and_not1_b32 exec_lo, exec_lo, s1
	s_cbranch_execnz .LBB58_572
; %bb.573:
	s_or_b32 exec_lo, exec_lo, s1
.LBB58_574:
	s_delay_alu instid0(SALU_CYCLE_1) | instskip(SKIP_4) | instid1(VALU_DEP_1)
	s_or_b32 exec_lo, exec_lo, s5
	v_mov_b32_e32 v124, 0
	ds_load_b64 v[124:125], v124 offset:8
	s_wait_dscnt 0x0
	v_pk_mul_f32 v[126:127], v[122:123], v[124:125] op_sel:[1,1] op_sel_hi:[0,1]
	v_pk_fma_f32 v[128:129], v[122:123], v[124:125], v[126:127] op_sel_hi:[1,0,1]
	v_pk_fma_f32 v[122:123], v[122:123], v[124:125], v[126:127] neg_lo:[0,0,1] neg_hi:[0,0,1]
	s_delay_alu instid0(VALU_DEP_2)
	v_mov_b32_e32 v123, v129
	scratch_store_b64 off, v[122:123], off offset:8
.LBB58_575:
	s_wait_xcnt 0x0
	s_or_b32 exec_lo, exec_lo, s2
	scratch_load_b64 v[122:123], off, off
	s_mov_b32 s2, 0
	s_mov_b32 s1, 0
	s_mov_b32 s5, exec_lo
                                        ; implicit-def: $vgpr166
                                        ; implicit-def: $sgpr4
	s_wait_loadcnt 0x0
	ds_store_b64 v1, v[122:123]
	s_wait_storecnt_dscnt 0x0
	s_barrier_signal -1
	s_barrier_wait -1
	s_wait_xcnt 0x0
	v_cmpx_ne_u32_e32 0, v0
	s_cbranch_execz .LBB58_585
; %bb.576:
	s_and_not1_b32 vcc_lo, exec_lo, s3
	s_cbranch_vccnz .LBB58_578
; %bb.577:
	scratch_load_b64 v[124:125], v59, off
	ds_load_b64 v[126:127], v1
	s_wait_loadcnt_dscnt 0x0
	v_dual_mul_f32 v122, v127, v125 :: v_dual_mul_f32 v123, v126, v125
	s_delay_alu instid0(VALU_DEP_1)
	v_dual_fma_f32 v122, v126, v124, -v122 :: v_dual_fmac_f32 v123, v127, v124
	s_and_not1_b32 vcc_lo, exec_lo, s1
	s_cbranch_vccz .LBB58_579
	s_branch .LBB58_580
.LBB58_578:
                                        ; implicit-def: $vgpr122
.LBB58_579:
	ds_load_b64 v[122:123], v1
.LBB58_580:
	s_and_saveexec_b32 s1, s0
	s_cbranch_execz .LBB58_584
; %bb.581:
	v_add_nc_u32_e32 v124, -1, v0
	s_or_b32 s0, 0, 8
	s_movk_i32 s8, 0x1e8
	s_mov_b32 s4, 0
.LBB58_582:                             ; =>This Inner Loop Header: Depth=1
	scratch_load_b64 v[126:127], off, s0
	v_mov_b32_e32 v125, s8
	s_add_co_i32 s8, s8, 8
	s_wait_xcnt 0x0
	s_add_co_i32 s0, s0, 8
	v_add_nc_u32_e32 v124, -1, v124
	ds_load_b64 v[128:129], v125
	v_cmp_eq_u32_e32 vcc_lo, 0, v124
	s_or_b32 s4, vcc_lo, s4
	s_wait_loadcnt_dscnt 0x0
	v_dual_mul_f32 v125, v129, v127 :: v_dual_mul_f32 v127, v128, v127
	s_delay_alu instid0(VALU_DEP_1) | instskip(NEXT) | instid1(VALU_DEP_1)
	v_dual_fma_f32 v125, v128, v126, -v125 :: v_dual_fmac_f32 v127, v129, v126
	v_dual_add_f32 v122, v122, v125 :: v_dual_add_f32 v123, v123, v127
	s_and_not1_b32 exec_lo, exec_lo, s4
	s_cbranch_execnz .LBB58_582
; %bb.583:
	s_or_b32 exec_lo, exec_lo, s4
.LBB58_584:
	s_delay_alu instid0(SALU_CYCLE_1)
	s_or_b32 exec_lo, exec_lo, s1
	v_mov_b32_e32 v124, 0
	s_mov_b32 s1, exec_lo
	s_or_b32 s4, 0, 4
	ds_load_b64 v[124:125], v124
	s_wait_dscnt 0x0
	v_dual_mul_f32 v126, v123, v125 :: v_dual_mul_f32 v166, v122, v125
	s_delay_alu instid0(VALU_DEP_1) | instskip(NEXT) | instid1(VALU_DEP_2)
	v_fma_f32 v122, v122, v124, -v126
	v_fmac_f32_e32 v166, v123, v124
	scratch_store_b32 off, v122, off
.LBB58_585:
	s_wait_xcnt 0x0
	s_or_b32 exec_lo, exec_lo, s5
	s_delay_alu instid0(SALU_CYCLE_1)
	s_and_b32 vcc_lo, exec_lo, s2
	s_cbranch_vccz .LBB58_1161
.LBB58_586:
	scratch_load_b64 v[122:123], off, off offset:8
	v_cmp_eq_u32_e64 s0, 0, v0
	s_wait_loadcnt 0x0
	ds_store_b64 v1, v[122:123]
	s_wait_storecnt_dscnt 0x0
	s_barrier_signal -1
	s_barrier_wait -1
	s_wait_xcnt 0x0
	s_and_saveexec_b32 s2, s0
	s_cbranch_execz .LBB58_592
; %bb.587:
	s_and_b32 vcc_lo, exec_lo, s3
	s_cbranch_vccz .LBB58_589
; %bb.588:
	scratch_load_b64 v[122:123], v59, off
	ds_load_b64 v[124:125], v1
	s_wait_loadcnt_dscnt 0x0
	v_pk_mul_f32 v[126:127], v[124:125], v[122:123] op_sel:[1,1] op_sel_hi:[0,1]
	v_pk_mul_f32 v[128:129], v[124:125], v[122:123] op_sel_hi:[1,0]
	s_delay_alu instid0(VALU_DEP_2) | instskip(NEXT) | instid1(VALU_DEP_2)
	v_pk_fma_f32 v[122:123], v[124:125], v[122:123], v[126:127] op_sel_hi:[1,0,1]
	v_sub_f32_e32 v122, v128, v126
	s_cbranch_execz .LBB58_590
	s_branch .LBB58_591
.LBB58_589:
                                        ; implicit-def: $vgpr123
.LBB58_590:
	ds_load_b64 v[122:123], v1
.LBB58_591:
	s_wait_dscnt 0x0
	v_dual_mov_b32 v124, 0 :: v_dual_mov_b32 v126, v123
	v_mov_b32_e32 v127, v122
	ds_load_b64 v[124:125], v124 offset:8
	s_wait_dscnt 0x0
	v_pk_mul_f32 v[126:127], v[126:127], v[124:125] op_sel:[0,1]
	s_delay_alu instid0(VALU_DEP_1) | instskip(SKIP_1) | instid1(VALU_DEP_2)
	v_pk_fma_f32 v[128:129], v[122:123], v[124:125], v[126:127] op_sel_hi:[1,0,1]
	v_pk_fma_f32 v[122:123], v[122:123], v[124:125], v[126:127] neg_lo:[0,0,1] neg_hi:[0,0,1]
	v_mov_b32_e32 v123, v129
	scratch_store_b64 off, v[122:123], off offset:8
.LBB58_592:
	s_wait_xcnt 0x0
	s_or_b32 exec_lo, exec_lo, s2
	scratch_load_b64 v[122:123], off, off offset:16
	v_cndmask_b32_e64 v124, 0, 1, s3
	s_mov_b32 s2, exec_lo
	s_wait_loadcnt 0x0
	ds_store_b64 v1, v[122:123]
	s_wait_storecnt_dscnt 0x0
	s_barrier_signal -1
	s_barrier_wait -1
	s_wait_xcnt 0x0
	v_cmpx_gt_u32_e32 2, v0
	s_cbranch_execz .LBB58_600
; %bb.593:
	s_and_not1_b32 vcc_lo, exec_lo, s3
	s_cbranch_vccnz .LBB58_595
; %bb.594:
	scratch_load_b64 v[122:123], v59, off
	ds_load_b64 v[126:127], v1
	s_wait_loadcnt_dscnt 0x0
	v_pk_mul_f32 v[128:129], v[126:127], v[122:123] op_sel:[1,1] op_sel_hi:[0,1]
	s_delay_alu instid0(VALU_DEP_1) | instskip(SKIP_1) | instid1(VALU_DEP_2)
	v_pk_fma_f32 v[130:131], v[126:127], v[122:123], v[128:129] op_sel_hi:[1,0,1]
	v_pk_fma_f32 v[122:123], v[126:127], v[122:123], v[128:129] neg_lo:[0,0,1] neg_hi:[0,0,1]
	v_mov_b32_e32 v123, v131
	s_cbranch_execz .LBB58_596
	s_branch .LBB58_597
.LBB58_595:
                                        ; implicit-def: $vgpr122_vgpr123
.LBB58_596:
	ds_load_b64 v[122:123], v1
.LBB58_597:
	s_and_saveexec_b32 s3, s0
	s_cbranch_execz .LBB58_599
; %bb.598:
	scratch_load_b64 v[126:127], off, off offset:8
	v_mov_b32_e32 v125, 0
	ds_load_b64 v[128:129], v125 offset:488
	s_wait_loadcnt_dscnt 0x0
	v_pk_mul_f32 v[130:131], v[128:129], v[126:127] op_sel:[1,1] op_sel_hi:[0,1]
	s_delay_alu instid0(VALU_DEP_1) | instskip(SKIP_1) | instid1(VALU_DEP_2)
	v_pk_fma_f32 v[132:133], v[128:129], v[126:127], v[130:131] op_sel_hi:[1,0,1]
	v_pk_fma_f32 v[126:127], v[128:129], v[126:127], v[130:131] neg_lo:[0,0,1] neg_hi:[0,0,1]
	v_mov_b32_e32 v127, v133
	s_delay_alu instid0(VALU_DEP_1)
	v_pk_add_f32 v[122:123], v[122:123], v[126:127]
.LBB58_599:
	s_or_b32 exec_lo, exec_lo, s3
	v_mov_b32_e32 v125, 0
	ds_load_b64 v[126:127], v125 offset:16
	s_wait_dscnt 0x0
	v_pk_mul_f32 v[128:129], v[122:123], v[126:127] op_sel:[1,1] op_sel_hi:[0,1]
	s_delay_alu instid0(VALU_DEP_1) | instskip(SKIP_1) | instid1(VALU_DEP_2)
	v_pk_fma_f32 v[130:131], v[122:123], v[126:127], v[128:129] op_sel_hi:[1,0,1]
	v_pk_fma_f32 v[122:123], v[122:123], v[126:127], v[128:129] neg_lo:[0,0,1] neg_hi:[0,0,1]
	v_mov_b32_e32 v123, v131
	scratch_store_b64 off, v[122:123], off offset:16
.LBB58_600:
	s_wait_xcnt 0x0
	s_or_b32 exec_lo, exec_lo, s2
	scratch_load_b64 v[122:123], off, off offset:24
	s_mov_b32 s2, exec_lo
	s_wait_loadcnt 0x0
	ds_store_b64 v1, v[122:123]
	s_wait_storecnt_dscnt 0x0
	s_barrier_signal -1
	s_barrier_wait -1
	s_wait_xcnt 0x0
	v_cmpx_gt_u32_e32 3, v0
	s_cbranch_execz .LBB58_610
; %bb.601:
	v_cmp_ne_u32_e32 vcc_lo, 1, v124
	s_cbranch_vccnz .LBB58_603
; %bb.602:
	scratch_load_b64 v[122:123], v59, off
	ds_load_b64 v[126:127], v1
	s_wait_loadcnt_dscnt 0x0
	v_pk_mul_f32 v[128:129], v[126:127], v[122:123] op_sel:[1,1] op_sel_hi:[0,1]
	s_delay_alu instid0(VALU_DEP_1) | instskip(SKIP_1) | instid1(VALU_DEP_2)
	v_pk_fma_f32 v[130:131], v[126:127], v[122:123], v[128:129] op_sel_hi:[1,0,1]
	v_pk_fma_f32 v[122:123], v[126:127], v[122:123], v[128:129] neg_lo:[0,0,1] neg_hi:[0,0,1]
	v_mov_b32_e32 v123, v131
	s_cbranch_execz .LBB58_604
	s_branch .LBB58_605
.LBB58_603:
                                        ; implicit-def: $vgpr122_vgpr123
.LBB58_604:
	ds_load_b64 v[122:123], v1
.LBB58_605:
	s_mov_b32 s3, exec_lo
	v_cmpx_ne_u32_e32 2, v0
	s_cbranch_execz .LBB58_609
; %bb.606:
	scratch_load_b64 v[126:127], v59, off offset:8
	ds_load_b64 v[128:129], v1 offset:8
	s_wait_loadcnt_dscnt 0x0
	v_pk_mul_f32 v[130:131], v[128:129], v[126:127] op_sel:[1,1] op_sel_hi:[0,1]
	s_delay_alu instid0(VALU_DEP_1) | instskip(SKIP_1) | instid1(VALU_DEP_2)
	v_pk_fma_f32 v[132:133], v[128:129], v[126:127], v[130:131] op_sel_hi:[1,0,1]
	v_pk_fma_f32 v[126:127], v[128:129], v[126:127], v[130:131] neg_lo:[0,0,1] neg_hi:[0,0,1]
	v_mov_b32_e32 v127, v133
	s_delay_alu instid0(VALU_DEP_1)
	v_pk_add_f32 v[122:123], v[122:123], v[126:127]
	s_and_saveexec_b32 s4, s0
	s_cbranch_execz .LBB58_608
; %bb.607:
	scratch_load_b64 v[126:127], off, off offset:16
	v_mov_b32_e32 v125, 0
	ds_load_b64 v[128:129], v125 offset:496
	s_wait_loadcnt_dscnt 0x0
	v_pk_mul_f32 v[130:131], v[128:129], v[126:127] op_sel:[1,1] op_sel_hi:[0,1]
	s_delay_alu instid0(VALU_DEP_1) | instskip(SKIP_1) | instid1(VALU_DEP_2)
	v_pk_fma_f32 v[132:133], v[128:129], v[126:127], v[130:131] op_sel_hi:[1,0,1]
	v_pk_fma_f32 v[126:127], v[128:129], v[126:127], v[130:131] neg_lo:[0,0,1] neg_hi:[0,0,1]
	v_mov_b32_e32 v127, v133
	s_delay_alu instid0(VALU_DEP_1)
	v_pk_add_f32 v[122:123], v[122:123], v[126:127]
.LBB58_608:
	s_or_b32 exec_lo, exec_lo, s4
.LBB58_609:
	s_delay_alu instid0(SALU_CYCLE_1) | instskip(SKIP_4) | instid1(VALU_DEP_1)
	s_or_b32 exec_lo, exec_lo, s3
	v_mov_b32_e32 v125, 0
	ds_load_b64 v[126:127], v125 offset:24
	s_wait_dscnt 0x0
	v_pk_mul_f32 v[128:129], v[122:123], v[126:127] op_sel:[1,1] op_sel_hi:[0,1]
	v_pk_fma_f32 v[130:131], v[122:123], v[126:127], v[128:129] op_sel_hi:[1,0,1]
	v_pk_fma_f32 v[122:123], v[122:123], v[126:127], v[128:129] neg_lo:[0,0,1] neg_hi:[0,0,1]
	s_delay_alu instid0(VALU_DEP_2)
	v_mov_b32_e32 v123, v131
	scratch_store_b64 off, v[122:123], off offset:24
.LBB58_610:
	s_wait_xcnt 0x0
	s_or_b32 exec_lo, exec_lo, s2
	scratch_load_b64 v[122:123], off, off offset:32
	s_mov_b32 s0, exec_lo
	s_wait_loadcnt 0x0
	ds_store_b64 v1, v[122:123]
	s_wait_storecnt_dscnt 0x0
	s_barrier_signal -1
	s_barrier_wait -1
	s_wait_xcnt 0x0
	v_cmpx_gt_u32_e32 4, v0
	s_cbranch_execz .LBB58_620
; %bb.611:
	v_cmp_ne_u32_e32 vcc_lo, 1, v124
	s_cbranch_vccnz .LBB58_613
; %bb.612:
	scratch_load_b64 v[122:123], v59, off
	ds_load_b64 v[126:127], v1
	s_wait_loadcnt_dscnt 0x0
	v_pk_mul_f32 v[128:129], v[126:127], v[122:123] op_sel:[1,1] op_sel_hi:[0,1]
	s_delay_alu instid0(VALU_DEP_1) | instskip(SKIP_1) | instid1(VALU_DEP_2)
	v_pk_fma_f32 v[130:131], v[126:127], v[122:123], v[128:129] op_sel_hi:[1,0,1]
	v_pk_fma_f32 v[122:123], v[126:127], v[122:123], v[128:129] neg_lo:[0,0,1] neg_hi:[0,0,1]
	v_mov_b32_e32 v123, v131
	s_cbranch_execz .LBB58_614
	s_branch .LBB58_615
.LBB58_613:
                                        ; implicit-def: $vgpr122_vgpr123
.LBB58_614:
	ds_load_b64 v[122:123], v1
.LBB58_615:
	s_mov_b32 s2, exec_lo
	v_cmpx_ne_u32_e32 3, v0
	s_cbranch_execz .LBB58_619
; %bb.616:
	v_add_nc_u32_e32 v125, 0x1e8, v58
	v_add3_u32 v126, 0, v58, 8
	v_mov_b32_e32 v127, v0
	s_mov_b32 s3, 0
.LBB58_617:                             ; =>This Inner Loop Header: Depth=1
	scratch_load_b64 v[128:129], v126, off
	ds_load_b64 v[130:131], v125
	s_wait_xcnt 0x0
	v_dual_add_nc_u32 v125, 8, v125 :: v_dual_add_nc_u32 v126, 8, v126
	s_wait_loadcnt_dscnt 0x0
	v_pk_mul_f32 v[132:133], v[130:131], v[128:129] op_sel:[1,1] op_sel_hi:[0,1]
	s_delay_alu instid0(VALU_DEP_1) | instskip(SKIP_2) | instid1(VALU_DEP_3)
	v_pk_fma_f32 v[134:135], v[130:131], v[128:129], v[132:133] op_sel_hi:[1,0,1]
	v_add_nc_u32_e32 v127, 1, v127
	v_pk_fma_f32 v[128:129], v[130:131], v[128:129], v[132:133] neg_lo:[0,0,1] neg_hi:[0,0,1]
	v_mov_b32_e32 v129, v135
	s_delay_alu instid0(VALU_DEP_3) | instskip(NEXT) | instid1(VALU_DEP_2)
	v_cmp_lt_u32_e32 vcc_lo, 2, v127
	v_pk_add_f32 v[122:123], v[122:123], v[128:129]
	s_or_b32 s3, vcc_lo, s3
	s_delay_alu instid0(SALU_CYCLE_1)
	s_and_not1_b32 exec_lo, exec_lo, s3
	s_cbranch_execnz .LBB58_617
; %bb.618:
	s_or_b32 exec_lo, exec_lo, s3
.LBB58_619:
	s_delay_alu instid0(SALU_CYCLE_1) | instskip(SKIP_4) | instid1(VALU_DEP_1)
	s_or_b32 exec_lo, exec_lo, s2
	v_mov_b32_e32 v125, 0
	ds_load_b64 v[126:127], v125 offset:32
	s_wait_dscnt 0x0
	v_pk_mul_f32 v[128:129], v[122:123], v[126:127] op_sel:[1,1] op_sel_hi:[0,1]
	v_pk_fma_f32 v[130:131], v[122:123], v[126:127], v[128:129] op_sel_hi:[1,0,1]
	v_pk_fma_f32 v[122:123], v[122:123], v[126:127], v[128:129] neg_lo:[0,0,1] neg_hi:[0,0,1]
	s_delay_alu instid0(VALU_DEP_2)
	v_mov_b32_e32 v123, v131
	scratch_store_b64 off, v[122:123], off offset:32
.LBB58_620:
	s_wait_xcnt 0x0
	s_or_b32 exec_lo, exec_lo, s0
	scratch_load_b64 v[122:123], off, off offset:40
	s_mov_b32 s0, exec_lo
	s_wait_loadcnt 0x0
	ds_store_b64 v1, v[122:123]
	s_wait_storecnt_dscnt 0x0
	s_barrier_signal -1
	s_barrier_wait -1
	s_wait_xcnt 0x0
	v_cmpx_gt_u32_e32 5, v0
	s_cbranch_execz .LBB58_630
; %bb.621:
	v_cmp_ne_u32_e32 vcc_lo, 1, v124
	s_cbranch_vccnz .LBB58_623
; %bb.622:
	scratch_load_b64 v[122:123], v59, off
	ds_load_b64 v[126:127], v1
	s_wait_loadcnt_dscnt 0x0
	v_pk_mul_f32 v[128:129], v[126:127], v[122:123] op_sel:[1,1] op_sel_hi:[0,1]
	s_delay_alu instid0(VALU_DEP_1) | instskip(SKIP_1) | instid1(VALU_DEP_2)
	v_pk_fma_f32 v[130:131], v[126:127], v[122:123], v[128:129] op_sel_hi:[1,0,1]
	v_pk_fma_f32 v[122:123], v[126:127], v[122:123], v[128:129] neg_lo:[0,0,1] neg_hi:[0,0,1]
	v_mov_b32_e32 v123, v131
	s_cbranch_execz .LBB58_624
	s_branch .LBB58_625
.LBB58_623:
                                        ; implicit-def: $vgpr122_vgpr123
.LBB58_624:
	ds_load_b64 v[122:123], v1
.LBB58_625:
	s_mov_b32 s2, exec_lo
	v_cmpx_ne_u32_e32 4, v0
	s_cbranch_execz .LBB58_629
; %bb.626:
	v_add_nc_u32_e32 v125, 0x1e8, v58
	v_add3_u32 v126, 0, v58, 8
	v_mov_b32_e32 v127, v0
	s_mov_b32 s3, 0
.LBB58_627:                             ; =>This Inner Loop Header: Depth=1
	scratch_load_b64 v[128:129], v126, off
	ds_load_b64 v[130:131], v125
	s_wait_xcnt 0x0
	v_dual_add_nc_u32 v125, 8, v125 :: v_dual_add_nc_u32 v126, 8, v126
	s_wait_loadcnt_dscnt 0x0
	v_pk_mul_f32 v[132:133], v[130:131], v[128:129] op_sel:[1,1] op_sel_hi:[0,1]
	s_delay_alu instid0(VALU_DEP_1) | instskip(SKIP_2) | instid1(VALU_DEP_3)
	v_pk_fma_f32 v[134:135], v[130:131], v[128:129], v[132:133] op_sel_hi:[1,0,1]
	v_add_nc_u32_e32 v127, 1, v127
	v_pk_fma_f32 v[128:129], v[130:131], v[128:129], v[132:133] neg_lo:[0,0,1] neg_hi:[0,0,1]
	v_mov_b32_e32 v129, v135
	s_delay_alu instid0(VALU_DEP_3) | instskip(NEXT) | instid1(VALU_DEP_2)
	v_cmp_lt_u32_e32 vcc_lo, 3, v127
	v_pk_add_f32 v[122:123], v[122:123], v[128:129]
	s_or_b32 s3, vcc_lo, s3
	s_delay_alu instid0(SALU_CYCLE_1)
	s_and_not1_b32 exec_lo, exec_lo, s3
	s_cbranch_execnz .LBB58_627
; %bb.628:
	s_or_b32 exec_lo, exec_lo, s3
.LBB58_629:
	s_delay_alu instid0(SALU_CYCLE_1) | instskip(SKIP_4) | instid1(VALU_DEP_1)
	s_or_b32 exec_lo, exec_lo, s2
	v_mov_b32_e32 v125, 0
	ds_load_b64 v[126:127], v125 offset:40
	s_wait_dscnt 0x0
	v_pk_mul_f32 v[128:129], v[122:123], v[126:127] op_sel:[1,1] op_sel_hi:[0,1]
	v_pk_fma_f32 v[130:131], v[122:123], v[126:127], v[128:129] op_sel_hi:[1,0,1]
	v_pk_fma_f32 v[122:123], v[122:123], v[126:127], v[128:129] neg_lo:[0,0,1] neg_hi:[0,0,1]
	s_delay_alu instid0(VALU_DEP_2)
	v_mov_b32_e32 v123, v131
	scratch_store_b64 off, v[122:123], off offset:40
.LBB58_630:
	s_wait_xcnt 0x0
	s_or_b32 exec_lo, exec_lo, s0
	scratch_load_b64 v[122:123], off, off offset:48
	s_mov_b32 s0, exec_lo
	s_wait_loadcnt 0x0
	ds_store_b64 v1, v[122:123]
	s_wait_storecnt_dscnt 0x0
	s_barrier_signal -1
	s_barrier_wait -1
	s_wait_xcnt 0x0
	v_cmpx_gt_u32_e32 6, v0
	s_cbranch_execz .LBB58_640
; %bb.631:
	v_cmp_ne_u32_e32 vcc_lo, 1, v124
	s_cbranch_vccnz .LBB58_633
; %bb.632:
	scratch_load_b64 v[122:123], v59, off
	ds_load_b64 v[126:127], v1
	s_wait_loadcnt_dscnt 0x0
	v_pk_mul_f32 v[128:129], v[126:127], v[122:123] op_sel:[1,1] op_sel_hi:[0,1]
	s_delay_alu instid0(VALU_DEP_1) | instskip(SKIP_1) | instid1(VALU_DEP_2)
	v_pk_fma_f32 v[130:131], v[126:127], v[122:123], v[128:129] op_sel_hi:[1,0,1]
	v_pk_fma_f32 v[122:123], v[126:127], v[122:123], v[128:129] neg_lo:[0,0,1] neg_hi:[0,0,1]
	v_mov_b32_e32 v123, v131
	s_cbranch_execz .LBB58_634
	s_branch .LBB58_635
.LBB58_633:
                                        ; implicit-def: $vgpr122_vgpr123
.LBB58_634:
	ds_load_b64 v[122:123], v1
.LBB58_635:
	s_mov_b32 s2, exec_lo
	v_cmpx_ne_u32_e32 5, v0
	s_cbranch_execz .LBB58_639
; %bb.636:
	v_add_nc_u32_e32 v125, 0x1e8, v58
	v_add3_u32 v126, 0, v58, 8
	v_mov_b32_e32 v127, v0
	s_mov_b32 s3, 0
.LBB58_637:                             ; =>This Inner Loop Header: Depth=1
	scratch_load_b64 v[128:129], v126, off
	ds_load_b64 v[130:131], v125
	s_wait_xcnt 0x0
	v_dual_add_nc_u32 v125, 8, v125 :: v_dual_add_nc_u32 v126, 8, v126
	s_wait_loadcnt_dscnt 0x0
	v_pk_mul_f32 v[132:133], v[130:131], v[128:129] op_sel:[1,1] op_sel_hi:[0,1]
	s_delay_alu instid0(VALU_DEP_1) | instskip(SKIP_2) | instid1(VALU_DEP_3)
	v_pk_fma_f32 v[134:135], v[130:131], v[128:129], v[132:133] op_sel_hi:[1,0,1]
	v_add_nc_u32_e32 v127, 1, v127
	v_pk_fma_f32 v[128:129], v[130:131], v[128:129], v[132:133] neg_lo:[0,0,1] neg_hi:[0,0,1]
	v_mov_b32_e32 v129, v135
	s_delay_alu instid0(VALU_DEP_3) | instskip(NEXT) | instid1(VALU_DEP_2)
	v_cmp_lt_u32_e32 vcc_lo, 4, v127
	v_pk_add_f32 v[122:123], v[122:123], v[128:129]
	s_or_b32 s3, vcc_lo, s3
	s_delay_alu instid0(SALU_CYCLE_1)
	s_and_not1_b32 exec_lo, exec_lo, s3
	s_cbranch_execnz .LBB58_637
; %bb.638:
	s_or_b32 exec_lo, exec_lo, s3
.LBB58_639:
	s_delay_alu instid0(SALU_CYCLE_1) | instskip(SKIP_4) | instid1(VALU_DEP_1)
	s_or_b32 exec_lo, exec_lo, s2
	v_mov_b32_e32 v125, 0
	ds_load_b64 v[126:127], v125 offset:48
	s_wait_dscnt 0x0
	v_pk_mul_f32 v[128:129], v[122:123], v[126:127] op_sel:[1,1] op_sel_hi:[0,1]
	v_pk_fma_f32 v[130:131], v[122:123], v[126:127], v[128:129] op_sel_hi:[1,0,1]
	v_pk_fma_f32 v[122:123], v[122:123], v[126:127], v[128:129] neg_lo:[0,0,1] neg_hi:[0,0,1]
	s_delay_alu instid0(VALU_DEP_2)
	v_mov_b32_e32 v123, v131
	scratch_store_b64 off, v[122:123], off offset:48
.LBB58_640:
	s_wait_xcnt 0x0
	s_or_b32 exec_lo, exec_lo, s0
	scratch_load_b64 v[122:123], off, off offset:56
	s_mov_b32 s0, exec_lo
	s_wait_loadcnt 0x0
	ds_store_b64 v1, v[122:123]
	s_wait_storecnt_dscnt 0x0
	s_barrier_signal -1
	s_barrier_wait -1
	s_wait_xcnt 0x0
	v_cmpx_gt_u32_e32 7, v0
	s_cbranch_execz .LBB58_650
; %bb.641:
	v_cmp_ne_u32_e32 vcc_lo, 1, v124
	s_cbranch_vccnz .LBB58_643
; %bb.642:
	scratch_load_b64 v[122:123], v59, off
	ds_load_b64 v[126:127], v1
	s_wait_loadcnt_dscnt 0x0
	v_pk_mul_f32 v[128:129], v[126:127], v[122:123] op_sel:[1,1] op_sel_hi:[0,1]
	s_delay_alu instid0(VALU_DEP_1) | instskip(SKIP_1) | instid1(VALU_DEP_2)
	v_pk_fma_f32 v[130:131], v[126:127], v[122:123], v[128:129] op_sel_hi:[1,0,1]
	v_pk_fma_f32 v[122:123], v[126:127], v[122:123], v[128:129] neg_lo:[0,0,1] neg_hi:[0,0,1]
	v_mov_b32_e32 v123, v131
	s_cbranch_execz .LBB58_644
	s_branch .LBB58_645
.LBB58_643:
                                        ; implicit-def: $vgpr122_vgpr123
.LBB58_644:
	ds_load_b64 v[122:123], v1
.LBB58_645:
	s_mov_b32 s2, exec_lo
	v_cmpx_ne_u32_e32 6, v0
	s_cbranch_execz .LBB58_649
; %bb.646:
	v_add_nc_u32_e32 v125, 0x1e8, v58
	v_add3_u32 v126, 0, v58, 8
	v_mov_b32_e32 v127, v0
	s_mov_b32 s3, 0
.LBB58_647:                             ; =>This Inner Loop Header: Depth=1
	scratch_load_b64 v[128:129], v126, off
	ds_load_b64 v[130:131], v125
	s_wait_xcnt 0x0
	v_dual_add_nc_u32 v125, 8, v125 :: v_dual_add_nc_u32 v126, 8, v126
	s_wait_loadcnt_dscnt 0x0
	v_pk_mul_f32 v[132:133], v[130:131], v[128:129] op_sel:[1,1] op_sel_hi:[0,1]
	s_delay_alu instid0(VALU_DEP_1) | instskip(SKIP_2) | instid1(VALU_DEP_3)
	v_pk_fma_f32 v[134:135], v[130:131], v[128:129], v[132:133] op_sel_hi:[1,0,1]
	v_add_nc_u32_e32 v127, 1, v127
	v_pk_fma_f32 v[128:129], v[130:131], v[128:129], v[132:133] neg_lo:[0,0,1] neg_hi:[0,0,1]
	v_mov_b32_e32 v129, v135
	s_delay_alu instid0(VALU_DEP_3) | instskip(NEXT) | instid1(VALU_DEP_2)
	v_cmp_lt_u32_e32 vcc_lo, 5, v127
	v_pk_add_f32 v[122:123], v[122:123], v[128:129]
	s_or_b32 s3, vcc_lo, s3
	s_delay_alu instid0(SALU_CYCLE_1)
	s_and_not1_b32 exec_lo, exec_lo, s3
	s_cbranch_execnz .LBB58_647
; %bb.648:
	s_or_b32 exec_lo, exec_lo, s3
.LBB58_649:
	s_delay_alu instid0(SALU_CYCLE_1) | instskip(SKIP_4) | instid1(VALU_DEP_1)
	s_or_b32 exec_lo, exec_lo, s2
	v_mov_b32_e32 v125, 0
	ds_load_b64 v[126:127], v125 offset:56
	s_wait_dscnt 0x0
	v_pk_mul_f32 v[128:129], v[122:123], v[126:127] op_sel:[1,1] op_sel_hi:[0,1]
	v_pk_fma_f32 v[130:131], v[122:123], v[126:127], v[128:129] op_sel_hi:[1,0,1]
	v_pk_fma_f32 v[122:123], v[122:123], v[126:127], v[128:129] neg_lo:[0,0,1] neg_hi:[0,0,1]
	s_delay_alu instid0(VALU_DEP_2)
	v_mov_b32_e32 v123, v131
	scratch_store_b64 off, v[122:123], off offset:56
.LBB58_650:
	s_wait_xcnt 0x0
	s_or_b32 exec_lo, exec_lo, s0
	scratch_load_b64 v[122:123], off, off offset:64
	s_mov_b32 s0, exec_lo
	s_wait_loadcnt 0x0
	ds_store_b64 v1, v[122:123]
	s_wait_storecnt_dscnt 0x0
	s_barrier_signal -1
	s_barrier_wait -1
	s_wait_xcnt 0x0
	v_cmpx_gt_u32_e32 8, v0
	s_cbranch_execz .LBB58_660
; %bb.651:
	v_cmp_ne_u32_e32 vcc_lo, 1, v124
	s_cbranch_vccnz .LBB58_653
; %bb.652:
	scratch_load_b64 v[122:123], v59, off
	ds_load_b64 v[126:127], v1
	s_wait_loadcnt_dscnt 0x0
	v_pk_mul_f32 v[128:129], v[126:127], v[122:123] op_sel:[1,1] op_sel_hi:[0,1]
	s_delay_alu instid0(VALU_DEP_1) | instskip(SKIP_1) | instid1(VALU_DEP_2)
	v_pk_fma_f32 v[130:131], v[126:127], v[122:123], v[128:129] op_sel_hi:[1,0,1]
	v_pk_fma_f32 v[122:123], v[126:127], v[122:123], v[128:129] neg_lo:[0,0,1] neg_hi:[0,0,1]
	v_mov_b32_e32 v123, v131
	s_cbranch_execz .LBB58_654
	s_branch .LBB58_655
.LBB58_653:
                                        ; implicit-def: $vgpr122_vgpr123
.LBB58_654:
	ds_load_b64 v[122:123], v1
.LBB58_655:
	s_mov_b32 s2, exec_lo
	v_cmpx_ne_u32_e32 7, v0
	s_cbranch_execz .LBB58_659
; %bb.656:
	v_add_nc_u32_e32 v125, 0x1e8, v58
	v_add3_u32 v126, 0, v58, 8
	v_mov_b32_e32 v127, v0
	s_mov_b32 s3, 0
.LBB58_657:                             ; =>This Inner Loop Header: Depth=1
	scratch_load_b64 v[128:129], v126, off
	ds_load_b64 v[130:131], v125
	s_wait_xcnt 0x0
	v_dual_add_nc_u32 v125, 8, v125 :: v_dual_add_nc_u32 v126, 8, v126
	s_wait_loadcnt_dscnt 0x0
	v_pk_mul_f32 v[132:133], v[130:131], v[128:129] op_sel:[1,1] op_sel_hi:[0,1]
	s_delay_alu instid0(VALU_DEP_1) | instskip(SKIP_2) | instid1(VALU_DEP_3)
	v_pk_fma_f32 v[134:135], v[130:131], v[128:129], v[132:133] op_sel_hi:[1,0,1]
	v_add_nc_u32_e32 v127, 1, v127
	v_pk_fma_f32 v[128:129], v[130:131], v[128:129], v[132:133] neg_lo:[0,0,1] neg_hi:[0,0,1]
	v_mov_b32_e32 v129, v135
	s_delay_alu instid0(VALU_DEP_3) | instskip(NEXT) | instid1(VALU_DEP_2)
	v_cmp_lt_u32_e32 vcc_lo, 6, v127
	v_pk_add_f32 v[122:123], v[122:123], v[128:129]
	s_or_b32 s3, vcc_lo, s3
	s_delay_alu instid0(SALU_CYCLE_1)
	s_and_not1_b32 exec_lo, exec_lo, s3
	s_cbranch_execnz .LBB58_657
; %bb.658:
	s_or_b32 exec_lo, exec_lo, s3
.LBB58_659:
	s_delay_alu instid0(SALU_CYCLE_1) | instskip(SKIP_4) | instid1(VALU_DEP_1)
	s_or_b32 exec_lo, exec_lo, s2
	v_mov_b32_e32 v125, 0
	ds_load_b64 v[126:127], v125 offset:64
	s_wait_dscnt 0x0
	v_pk_mul_f32 v[128:129], v[122:123], v[126:127] op_sel:[1,1] op_sel_hi:[0,1]
	v_pk_fma_f32 v[130:131], v[122:123], v[126:127], v[128:129] op_sel_hi:[1,0,1]
	v_pk_fma_f32 v[122:123], v[122:123], v[126:127], v[128:129] neg_lo:[0,0,1] neg_hi:[0,0,1]
	s_delay_alu instid0(VALU_DEP_2)
	v_mov_b32_e32 v123, v131
	scratch_store_b64 off, v[122:123], off offset:64
.LBB58_660:
	s_wait_xcnt 0x0
	s_or_b32 exec_lo, exec_lo, s0
	scratch_load_b64 v[122:123], off, off offset:72
	s_mov_b32 s0, exec_lo
	s_wait_loadcnt 0x0
	ds_store_b64 v1, v[122:123]
	s_wait_storecnt_dscnt 0x0
	s_barrier_signal -1
	s_barrier_wait -1
	s_wait_xcnt 0x0
	v_cmpx_gt_u32_e32 9, v0
	s_cbranch_execz .LBB58_670
; %bb.661:
	v_cmp_ne_u32_e32 vcc_lo, 1, v124
	s_cbranch_vccnz .LBB58_663
; %bb.662:
	scratch_load_b64 v[122:123], v59, off
	ds_load_b64 v[126:127], v1
	s_wait_loadcnt_dscnt 0x0
	v_pk_mul_f32 v[128:129], v[126:127], v[122:123] op_sel:[1,1] op_sel_hi:[0,1]
	s_delay_alu instid0(VALU_DEP_1) | instskip(SKIP_1) | instid1(VALU_DEP_2)
	v_pk_fma_f32 v[130:131], v[126:127], v[122:123], v[128:129] op_sel_hi:[1,0,1]
	v_pk_fma_f32 v[122:123], v[126:127], v[122:123], v[128:129] neg_lo:[0,0,1] neg_hi:[0,0,1]
	v_mov_b32_e32 v123, v131
	s_cbranch_execz .LBB58_664
	s_branch .LBB58_665
.LBB58_663:
                                        ; implicit-def: $vgpr122_vgpr123
.LBB58_664:
	ds_load_b64 v[122:123], v1
.LBB58_665:
	s_mov_b32 s2, exec_lo
	v_cmpx_ne_u32_e32 8, v0
	s_cbranch_execz .LBB58_669
; %bb.666:
	v_add_nc_u32_e32 v125, 0x1e8, v58
	v_add3_u32 v126, 0, v58, 8
	v_mov_b32_e32 v127, v0
	s_mov_b32 s3, 0
.LBB58_667:                             ; =>This Inner Loop Header: Depth=1
	scratch_load_b64 v[128:129], v126, off
	ds_load_b64 v[130:131], v125
	s_wait_xcnt 0x0
	v_dual_add_nc_u32 v125, 8, v125 :: v_dual_add_nc_u32 v126, 8, v126
	s_wait_loadcnt_dscnt 0x0
	v_pk_mul_f32 v[132:133], v[130:131], v[128:129] op_sel:[1,1] op_sel_hi:[0,1]
	s_delay_alu instid0(VALU_DEP_1) | instskip(SKIP_2) | instid1(VALU_DEP_3)
	v_pk_fma_f32 v[134:135], v[130:131], v[128:129], v[132:133] op_sel_hi:[1,0,1]
	v_add_nc_u32_e32 v127, 1, v127
	v_pk_fma_f32 v[128:129], v[130:131], v[128:129], v[132:133] neg_lo:[0,0,1] neg_hi:[0,0,1]
	v_mov_b32_e32 v129, v135
	s_delay_alu instid0(VALU_DEP_3) | instskip(NEXT) | instid1(VALU_DEP_2)
	v_cmp_lt_u32_e32 vcc_lo, 7, v127
	v_pk_add_f32 v[122:123], v[122:123], v[128:129]
	s_or_b32 s3, vcc_lo, s3
	s_delay_alu instid0(SALU_CYCLE_1)
	s_and_not1_b32 exec_lo, exec_lo, s3
	s_cbranch_execnz .LBB58_667
; %bb.668:
	s_or_b32 exec_lo, exec_lo, s3
.LBB58_669:
	s_delay_alu instid0(SALU_CYCLE_1) | instskip(SKIP_4) | instid1(VALU_DEP_1)
	s_or_b32 exec_lo, exec_lo, s2
	v_mov_b32_e32 v125, 0
	ds_load_b64 v[126:127], v125 offset:72
	s_wait_dscnt 0x0
	v_pk_mul_f32 v[128:129], v[122:123], v[126:127] op_sel:[1,1] op_sel_hi:[0,1]
	v_pk_fma_f32 v[130:131], v[122:123], v[126:127], v[128:129] op_sel_hi:[1,0,1]
	v_pk_fma_f32 v[122:123], v[122:123], v[126:127], v[128:129] neg_lo:[0,0,1] neg_hi:[0,0,1]
	s_delay_alu instid0(VALU_DEP_2)
	v_mov_b32_e32 v123, v131
	scratch_store_b64 off, v[122:123], off offset:72
.LBB58_670:
	s_wait_xcnt 0x0
	s_or_b32 exec_lo, exec_lo, s0
	scratch_load_b64 v[122:123], off, off offset:80
	s_mov_b32 s0, exec_lo
	s_wait_loadcnt 0x0
	ds_store_b64 v1, v[122:123]
	s_wait_storecnt_dscnt 0x0
	s_barrier_signal -1
	s_barrier_wait -1
	s_wait_xcnt 0x0
	v_cmpx_gt_u32_e32 10, v0
	s_cbranch_execz .LBB58_680
; %bb.671:
	v_cmp_ne_u32_e32 vcc_lo, 1, v124
	s_cbranch_vccnz .LBB58_673
; %bb.672:
	scratch_load_b64 v[122:123], v59, off
	ds_load_b64 v[126:127], v1
	s_wait_loadcnt_dscnt 0x0
	v_pk_mul_f32 v[128:129], v[126:127], v[122:123] op_sel:[1,1] op_sel_hi:[0,1]
	s_delay_alu instid0(VALU_DEP_1) | instskip(SKIP_1) | instid1(VALU_DEP_2)
	v_pk_fma_f32 v[130:131], v[126:127], v[122:123], v[128:129] op_sel_hi:[1,0,1]
	v_pk_fma_f32 v[122:123], v[126:127], v[122:123], v[128:129] neg_lo:[0,0,1] neg_hi:[0,0,1]
	v_mov_b32_e32 v123, v131
	s_cbranch_execz .LBB58_674
	s_branch .LBB58_675
.LBB58_673:
                                        ; implicit-def: $vgpr122_vgpr123
.LBB58_674:
	ds_load_b64 v[122:123], v1
.LBB58_675:
	s_mov_b32 s2, exec_lo
	v_cmpx_ne_u32_e32 9, v0
	s_cbranch_execz .LBB58_679
; %bb.676:
	v_add_nc_u32_e32 v125, 0x1e8, v58
	v_add3_u32 v126, 0, v58, 8
	v_mov_b32_e32 v127, v0
	s_mov_b32 s3, 0
.LBB58_677:                             ; =>This Inner Loop Header: Depth=1
	scratch_load_b64 v[128:129], v126, off
	ds_load_b64 v[130:131], v125
	s_wait_xcnt 0x0
	v_dual_add_nc_u32 v125, 8, v125 :: v_dual_add_nc_u32 v126, 8, v126
	s_wait_loadcnt_dscnt 0x0
	v_pk_mul_f32 v[132:133], v[130:131], v[128:129] op_sel:[1,1] op_sel_hi:[0,1]
	s_delay_alu instid0(VALU_DEP_1) | instskip(SKIP_2) | instid1(VALU_DEP_3)
	v_pk_fma_f32 v[134:135], v[130:131], v[128:129], v[132:133] op_sel_hi:[1,0,1]
	v_add_nc_u32_e32 v127, 1, v127
	v_pk_fma_f32 v[128:129], v[130:131], v[128:129], v[132:133] neg_lo:[0,0,1] neg_hi:[0,0,1]
	v_mov_b32_e32 v129, v135
	s_delay_alu instid0(VALU_DEP_3) | instskip(NEXT) | instid1(VALU_DEP_2)
	v_cmp_lt_u32_e32 vcc_lo, 8, v127
	v_pk_add_f32 v[122:123], v[122:123], v[128:129]
	s_or_b32 s3, vcc_lo, s3
	s_delay_alu instid0(SALU_CYCLE_1)
	s_and_not1_b32 exec_lo, exec_lo, s3
	s_cbranch_execnz .LBB58_677
; %bb.678:
	s_or_b32 exec_lo, exec_lo, s3
.LBB58_679:
	s_delay_alu instid0(SALU_CYCLE_1) | instskip(SKIP_4) | instid1(VALU_DEP_1)
	s_or_b32 exec_lo, exec_lo, s2
	v_mov_b32_e32 v125, 0
	ds_load_b64 v[126:127], v125 offset:80
	s_wait_dscnt 0x0
	v_pk_mul_f32 v[128:129], v[122:123], v[126:127] op_sel:[1,1] op_sel_hi:[0,1]
	v_pk_fma_f32 v[130:131], v[122:123], v[126:127], v[128:129] op_sel_hi:[1,0,1]
	v_pk_fma_f32 v[122:123], v[122:123], v[126:127], v[128:129] neg_lo:[0,0,1] neg_hi:[0,0,1]
	s_delay_alu instid0(VALU_DEP_2)
	v_mov_b32_e32 v123, v131
	scratch_store_b64 off, v[122:123], off offset:80
.LBB58_680:
	s_wait_xcnt 0x0
	s_or_b32 exec_lo, exec_lo, s0
	scratch_load_b64 v[122:123], off, off offset:88
	s_mov_b32 s0, exec_lo
	s_wait_loadcnt 0x0
	ds_store_b64 v1, v[122:123]
	s_wait_storecnt_dscnt 0x0
	s_barrier_signal -1
	s_barrier_wait -1
	s_wait_xcnt 0x0
	v_cmpx_gt_u32_e32 11, v0
	s_cbranch_execz .LBB58_690
; %bb.681:
	v_cmp_ne_u32_e32 vcc_lo, 1, v124
	s_cbranch_vccnz .LBB58_683
; %bb.682:
	scratch_load_b64 v[122:123], v59, off
	ds_load_b64 v[126:127], v1
	s_wait_loadcnt_dscnt 0x0
	v_pk_mul_f32 v[128:129], v[126:127], v[122:123] op_sel:[1,1] op_sel_hi:[0,1]
	s_delay_alu instid0(VALU_DEP_1) | instskip(SKIP_1) | instid1(VALU_DEP_2)
	v_pk_fma_f32 v[130:131], v[126:127], v[122:123], v[128:129] op_sel_hi:[1,0,1]
	v_pk_fma_f32 v[122:123], v[126:127], v[122:123], v[128:129] neg_lo:[0,0,1] neg_hi:[0,0,1]
	v_mov_b32_e32 v123, v131
	s_cbranch_execz .LBB58_684
	s_branch .LBB58_685
.LBB58_683:
                                        ; implicit-def: $vgpr122_vgpr123
.LBB58_684:
	ds_load_b64 v[122:123], v1
.LBB58_685:
	s_mov_b32 s2, exec_lo
	v_cmpx_ne_u32_e32 10, v0
	s_cbranch_execz .LBB58_689
; %bb.686:
	v_add_nc_u32_e32 v125, 0x1e8, v58
	v_add3_u32 v126, 0, v58, 8
	v_mov_b32_e32 v127, v0
	s_mov_b32 s3, 0
.LBB58_687:                             ; =>This Inner Loop Header: Depth=1
	scratch_load_b64 v[128:129], v126, off
	ds_load_b64 v[130:131], v125
	s_wait_xcnt 0x0
	v_dual_add_nc_u32 v125, 8, v125 :: v_dual_add_nc_u32 v126, 8, v126
	s_wait_loadcnt_dscnt 0x0
	v_pk_mul_f32 v[132:133], v[130:131], v[128:129] op_sel:[1,1] op_sel_hi:[0,1]
	s_delay_alu instid0(VALU_DEP_1) | instskip(SKIP_2) | instid1(VALU_DEP_3)
	v_pk_fma_f32 v[134:135], v[130:131], v[128:129], v[132:133] op_sel_hi:[1,0,1]
	v_add_nc_u32_e32 v127, 1, v127
	v_pk_fma_f32 v[128:129], v[130:131], v[128:129], v[132:133] neg_lo:[0,0,1] neg_hi:[0,0,1]
	v_mov_b32_e32 v129, v135
	s_delay_alu instid0(VALU_DEP_3) | instskip(NEXT) | instid1(VALU_DEP_2)
	v_cmp_lt_u32_e32 vcc_lo, 9, v127
	v_pk_add_f32 v[122:123], v[122:123], v[128:129]
	s_or_b32 s3, vcc_lo, s3
	s_delay_alu instid0(SALU_CYCLE_1)
	s_and_not1_b32 exec_lo, exec_lo, s3
	s_cbranch_execnz .LBB58_687
; %bb.688:
	s_or_b32 exec_lo, exec_lo, s3
.LBB58_689:
	s_delay_alu instid0(SALU_CYCLE_1) | instskip(SKIP_4) | instid1(VALU_DEP_1)
	s_or_b32 exec_lo, exec_lo, s2
	v_mov_b32_e32 v125, 0
	ds_load_b64 v[126:127], v125 offset:88
	s_wait_dscnt 0x0
	v_pk_mul_f32 v[128:129], v[122:123], v[126:127] op_sel:[1,1] op_sel_hi:[0,1]
	v_pk_fma_f32 v[130:131], v[122:123], v[126:127], v[128:129] op_sel_hi:[1,0,1]
	v_pk_fma_f32 v[122:123], v[122:123], v[126:127], v[128:129] neg_lo:[0,0,1] neg_hi:[0,0,1]
	s_delay_alu instid0(VALU_DEP_2)
	v_mov_b32_e32 v123, v131
	scratch_store_b64 off, v[122:123], off offset:88
.LBB58_690:
	s_wait_xcnt 0x0
	s_or_b32 exec_lo, exec_lo, s0
	scratch_load_b64 v[122:123], off, off offset:96
	s_mov_b32 s0, exec_lo
	s_wait_loadcnt 0x0
	ds_store_b64 v1, v[122:123]
	s_wait_storecnt_dscnt 0x0
	s_barrier_signal -1
	s_barrier_wait -1
	s_wait_xcnt 0x0
	v_cmpx_gt_u32_e32 12, v0
	s_cbranch_execz .LBB58_700
; %bb.691:
	v_cmp_ne_u32_e32 vcc_lo, 1, v124
	s_cbranch_vccnz .LBB58_693
; %bb.692:
	scratch_load_b64 v[122:123], v59, off
	ds_load_b64 v[126:127], v1
	s_wait_loadcnt_dscnt 0x0
	v_pk_mul_f32 v[128:129], v[126:127], v[122:123] op_sel:[1,1] op_sel_hi:[0,1]
	s_delay_alu instid0(VALU_DEP_1) | instskip(SKIP_1) | instid1(VALU_DEP_2)
	v_pk_fma_f32 v[130:131], v[126:127], v[122:123], v[128:129] op_sel_hi:[1,0,1]
	v_pk_fma_f32 v[122:123], v[126:127], v[122:123], v[128:129] neg_lo:[0,0,1] neg_hi:[0,0,1]
	v_mov_b32_e32 v123, v131
	s_cbranch_execz .LBB58_694
	s_branch .LBB58_695
.LBB58_693:
                                        ; implicit-def: $vgpr122_vgpr123
.LBB58_694:
	ds_load_b64 v[122:123], v1
.LBB58_695:
	s_mov_b32 s2, exec_lo
	v_cmpx_ne_u32_e32 11, v0
	s_cbranch_execz .LBB58_699
; %bb.696:
	v_add_nc_u32_e32 v125, 0x1e8, v58
	v_add3_u32 v126, 0, v58, 8
	v_mov_b32_e32 v127, v0
	s_mov_b32 s3, 0
.LBB58_697:                             ; =>This Inner Loop Header: Depth=1
	scratch_load_b64 v[128:129], v126, off
	ds_load_b64 v[130:131], v125
	s_wait_xcnt 0x0
	v_dual_add_nc_u32 v125, 8, v125 :: v_dual_add_nc_u32 v126, 8, v126
	s_wait_loadcnt_dscnt 0x0
	v_pk_mul_f32 v[132:133], v[130:131], v[128:129] op_sel:[1,1] op_sel_hi:[0,1]
	s_delay_alu instid0(VALU_DEP_1) | instskip(SKIP_2) | instid1(VALU_DEP_3)
	v_pk_fma_f32 v[134:135], v[130:131], v[128:129], v[132:133] op_sel_hi:[1,0,1]
	v_add_nc_u32_e32 v127, 1, v127
	v_pk_fma_f32 v[128:129], v[130:131], v[128:129], v[132:133] neg_lo:[0,0,1] neg_hi:[0,0,1]
	v_mov_b32_e32 v129, v135
	s_delay_alu instid0(VALU_DEP_3) | instskip(NEXT) | instid1(VALU_DEP_2)
	v_cmp_lt_u32_e32 vcc_lo, 10, v127
	v_pk_add_f32 v[122:123], v[122:123], v[128:129]
	s_or_b32 s3, vcc_lo, s3
	s_delay_alu instid0(SALU_CYCLE_1)
	s_and_not1_b32 exec_lo, exec_lo, s3
	s_cbranch_execnz .LBB58_697
; %bb.698:
	s_or_b32 exec_lo, exec_lo, s3
.LBB58_699:
	s_delay_alu instid0(SALU_CYCLE_1) | instskip(SKIP_4) | instid1(VALU_DEP_1)
	s_or_b32 exec_lo, exec_lo, s2
	v_mov_b32_e32 v125, 0
	ds_load_b64 v[126:127], v125 offset:96
	s_wait_dscnt 0x0
	v_pk_mul_f32 v[128:129], v[122:123], v[126:127] op_sel:[1,1] op_sel_hi:[0,1]
	v_pk_fma_f32 v[130:131], v[122:123], v[126:127], v[128:129] op_sel_hi:[1,0,1]
	v_pk_fma_f32 v[122:123], v[122:123], v[126:127], v[128:129] neg_lo:[0,0,1] neg_hi:[0,0,1]
	s_delay_alu instid0(VALU_DEP_2)
	v_mov_b32_e32 v123, v131
	scratch_store_b64 off, v[122:123], off offset:96
.LBB58_700:
	s_wait_xcnt 0x0
	s_or_b32 exec_lo, exec_lo, s0
	scratch_load_b64 v[122:123], off, off offset:104
	s_mov_b32 s0, exec_lo
	s_wait_loadcnt 0x0
	ds_store_b64 v1, v[122:123]
	s_wait_storecnt_dscnt 0x0
	s_barrier_signal -1
	s_barrier_wait -1
	s_wait_xcnt 0x0
	v_cmpx_gt_u32_e32 13, v0
	s_cbranch_execz .LBB58_710
; %bb.701:
	v_cmp_ne_u32_e32 vcc_lo, 1, v124
	s_cbranch_vccnz .LBB58_703
; %bb.702:
	scratch_load_b64 v[122:123], v59, off
	ds_load_b64 v[126:127], v1
	s_wait_loadcnt_dscnt 0x0
	v_pk_mul_f32 v[128:129], v[126:127], v[122:123] op_sel:[1,1] op_sel_hi:[0,1]
	s_delay_alu instid0(VALU_DEP_1) | instskip(SKIP_1) | instid1(VALU_DEP_2)
	v_pk_fma_f32 v[130:131], v[126:127], v[122:123], v[128:129] op_sel_hi:[1,0,1]
	v_pk_fma_f32 v[122:123], v[126:127], v[122:123], v[128:129] neg_lo:[0,0,1] neg_hi:[0,0,1]
	v_mov_b32_e32 v123, v131
	s_cbranch_execz .LBB58_704
	s_branch .LBB58_705
.LBB58_703:
                                        ; implicit-def: $vgpr122_vgpr123
.LBB58_704:
	ds_load_b64 v[122:123], v1
.LBB58_705:
	s_mov_b32 s2, exec_lo
	v_cmpx_ne_u32_e32 12, v0
	s_cbranch_execz .LBB58_709
; %bb.706:
	v_add_nc_u32_e32 v125, 0x1e8, v58
	v_add3_u32 v126, 0, v58, 8
	v_mov_b32_e32 v127, v0
	s_mov_b32 s3, 0
.LBB58_707:                             ; =>This Inner Loop Header: Depth=1
	scratch_load_b64 v[128:129], v126, off
	ds_load_b64 v[130:131], v125
	s_wait_xcnt 0x0
	v_dual_add_nc_u32 v125, 8, v125 :: v_dual_add_nc_u32 v126, 8, v126
	s_wait_loadcnt_dscnt 0x0
	v_pk_mul_f32 v[132:133], v[130:131], v[128:129] op_sel:[1,1] op_sel_hi:[0,1]
	s_delay_alu instid0(VALU_DEP_1) | instskip(SKIP_2) | instid1(VALU_DEP_3)
	v_pk_fma_f32 v[134:135], v[130:131], v[128:129], v[132:133] op_sel_hi:[1,0,1]
	v_add_nc_u32_e32 v127, 1, v127
	v_pk_fma_f32 v[128:129], v[130:131], v[128:129], v[132:133] neg_lo:[0,0,1] neg_hi:[0,0,1]
	v_mov_b32_e32 v129, v135
	s_delay_alu instid0(VALU_DEP_3) | instskip(NEXT) | instid1(VALU_DEP_2)
	v_cmp_lt_u32_e32 vcc_lo, 11, v127
	v_pk_add_f32 v[122:123], v[122:123], v[128:129]
	s_or_b32 s3, vcc_lo, s3
	s_delay_alu instid0(SALU_CYCLE_1)
	s_and_not1_b32 exec_lo, exec_lo, s3
	s_cbranch_execnz .LBB58_707
; %bb.708:
	s_or_b32 exec_lo, exec_lo, s3
.LBB58_709:
	s_delay_alu instid0(SALU_CYCLE_1) | instskip(SKIP_4) | instid1(VALU_DEP_1)
	s_or_b32 exec_lo, exec_lo, s2
	v_mov_b32_e32 v125, 0
	ds_load_b64 v[126:127], v125 offset:104
	s_wait_dscnt 0x0
	v_pk_mul_f32 v[128:129], v[122:123], v[126:127] op_sel:[1,1] op_sel_hi:[0,1]
	v_pk_fma_f32 v[130:131], v[122:123], v[126:127], v[128:129] op_sel_hi:[1,0,1]
	v_pk_fma_f32 v[122:123], v[122:123], v[126:127], v[128:129] neg_lo:[0,0,1] neg_hi:[0,0,1]
	s_delay_alu instid0(VALU_DEP_2)
	v_mov_b32_e32 v123, v131
	scratch_store_b64 off, v[122:123], off offset:104
.LBB58_710:
	s_wait_xcnt 0x0
	s_or_b32 exec_lo, exec_lo, s0
	scratch_load_b64 v[122:123], off, off offset:112
	s_mov_b32 s0, exec_lo
	s_wait_loadcnt 0x0
	ds_store_b64 v1, v[122:123]
	s_wait_storecnt_dscnt 0x0
	s_barrier_signal -1
	s_barrier_wait -1
	s_wait_xcnt 0x0
	v_cmpx_gt_u32_e32 14, v0
	s_cbranch_execz .LBB58_720
; %bb.711:
	v_cmp_ne_u32_e32 vcc_lo, 1, v124
	s_cbranch_vccnz .LBB58_713
; %bb.712:
	scratch_load_b64 v[122:123], v59, off
	ds_load_b64 v[126:127], v1
	s_wait_loadcnt_dscnt 0x0
	v_pk_mul_f32 v[128:129], v[126:127], v[122:123] op_sel:[1,1] op_sel_hi:[0,1]
	s_delay_alu instid0(VALU_DEP_1) | instskip(SKIP_1) | instid1(VALU_DEP_2)
	v_pk_fma_f32 v[130:131], v[126:127], v[122:123], v[128:129] op_sel_hi:[1,0,1]
	v_pk_fma_f32 v[122:123], v[126:127], v[122:123], v[128:129] neg_lo:[0,0,1] neg_hi:[0,0,1]
	v_mov_b32_e32 v123, v131
	s_cbranch_execz .LBB58_714
	s_branch .LBB58_715
.LBB58_713:
                                        ; implicit-def: $vgpr122_vgpr123
.LBB58_714:
	ds_load_b64 v[122:123], v1
.LBB58_715:
	s_mov_b32 s2, exec_lo
	v_cmpx_ne_u32_e32 13, v0
	s_cbranch_execz .LBB58_719
; %bb.716:
	v_add_nc_u32_e32 v125, 0x1e8, v58
	v_add3_u32 v126, 0, v58, 8
	v_mov_b32_e32 v127, v0
	s_mov_b32 s3, 0
.LBB58_717:                             ; =>This Inner Loop Header: Depth=1
	scratch_load_b64 v[128:129], v126, off
	ds_load_b64 v[130:131], v125
	s_wait_xcnt 0x0
	v_dual_add_nc_u32 v125, 8, v125 :: v_dual_add_nc_u32 v126, 8, v126
	s_wait_loadcnt_dscnt 0x0
	v_pk_mul_f32 v[132:133], v[130:131], v[128:129] op_sel:[1,1] op_sel_hi:[0,1]
	s_delay_alu instid0(VALU_DEP_1) | instskip(SKIP_2) | instid1(VALU_DEP_3)
	v_pk_fma_f32 v[134:135], v[130:131], v[128:129], v[132:133] op_sel_hi:[1,0,1]
	v_add_nc_u32_e32 v127, 1, v127
	v_pk_fma_f32 v[128:129], v[130:131], v[128:129], v[132:133] neg_lo:[0,0,1] neg_hi:[0,0,1]
	v_mov_b32_e32 v129, v135
	s_delay_alu instid0(VALU_DEP_3) | instskip(NEXT) | instid1(VALU_DEP_2)
	v_cmp_lt_u32_e32 vcc_lo, 12, v127
	v_pk_add_f32 v[122:123], v[122:123], v[128:129]
	s_or_b32 s3, vcc_lo, s3
	s_delay_alu instid0(SALU_CYCLE_1)
	s_and_not1_b32 exec_lo, exec_lo, s3
	s_cbranch_execnz .LBB58_717
; %bb.718:
	s_or_b32 exec_lo, exec_lo, s3
.LBB58_719:
	s_delay_alu instid0(SALU_CYCLE_1) | instskip(SKIP_4) | instid1(VALU_DEP_1)
	s_or_b32 exec_lo, exec_lo, s2
	v_mov_b32_e32 v125, 0
	ds_load_b64 v[126:127], v125 offset:112
	s_wait_dscnt 0x0
	v_pk_mul_f32 v[128:129], v[122:123], v[126:127] op_sel:[1,1] op_sel_hi:[0,1]
	v_pk_fma_f32 v[130:131], v[122:123], v[126:127], v[128:129] op_sel_hi:[1,0,1]
	v_pk_fma_f32 v[122:123], v[122:123], v[126:127], v[128:129] neg_lo:[0,0,1] neg_hi:[0,0,1]
	s_delay_alu instid0(VALU_DEP_2)
	v_mov_b32_e32 v123, v131
	scratch_store_b64 off, v[122:123], off offset:112
.LBB58_720:
	s_wait_xcnt 0x0
	s_or_b32 exec_lo, exec_lo, s0
	scratch_load_b64 v[122:123], off, off offset:120
	s_mov_b32 s0, exec_lo
	s_wait_loadcnt 0x0
	ds_store_b64 v1, v[122:123]
	s_wait_storecnt_dscnt 0x0
	s_barrier_signal -1
	s_barrier_wait -1
	s_wait_xcnt 0x0
	v_cmpx_gt_u32_e32 15, v0
	s_cbranch_execz .LBB58_730
; %bb.721:
	v_cmp_ne_u32_e32 vcc_lo, 1, v124
	s_cbranch_vccnz .LBB58_723
; %bb.722:
	scratch_load_b64 v[122:123], v59, off
	ds_load_b64 v[126:127], v1
	s_wait_loadcnt_dscnt 0x0
	v_pk_mul_f32 v[128:129], v[126:127], v[122:123] op_sel:[1,1] op_sel_hi:[0,1]
	s_delay_alu instid0(VALU_DEP_1) | instskip(SKIP_1) | instid1(VALU_DEP_2)
	v_pk_fma_f32 v[130:131], v[126:127], v[122:123], v[128:129] op_sel_hi:[1,0,1]
	v_pk_fma_f32 v[122:123], v[126:127], v[122:123], v[128:129] neg_lo:[0,0,1] neg_hi:[0,0,1]
	v_mov_b32_e32 v123, v131
	s_cbranch_execz .LBB58_724
	s_branch .LBB58_725
.LBB58_723:
                                        ; implicit-def: $vgpr122_vgpr123
.LBB58_724:
	ds_load_b64 v[122:123], v1
.LBB58_725:
	s_mov_b32 s2, exec_lo
	v_cmpx_ne_u32_e32 14, v0
	s_cbranch_execz .LBB58_729
; %bb.726:
	v_add_nc_u32_e32 v125, 0x1e8, v58
	v_add3_u32 v126, 0, v58, 8
	v_mov_b32_e32 v127, v0
	s_mov_b32 s3, 0
.LBB58_727:                             ; =>This Inner Loop Header: Depth=1
	scratch_load_b64 v[128:129], v126, off
	ds_load_b64 v[130:131], v125
	s_wait_xcnt 0x0
	v_dual_add_nc_u32 v125, 8, v125 :: v_dual_add_nc_u32 v126, 8, v126
	s_wait_loadcnt_dscnt 0x0
	v_pk_mul_f32 v[132:133], v[130:131], v[128:129] op_sel:[1,1] op_sel_hi:[0,1]
	s_delay_alu instid0(VALU_DEP_1) | instskip(SKIP_2) | instid1(VALU_DEP_3)
	v_pk_fma_f32 v[134:135], v[130:131], v[128:129], v[132:133] op_sel_hi:[1,0,1]
	v_add_nc_u32_e32 v127, 1, v127
	v_pk_fma_f32 v[128:129], v[130:131], v[128:129], v[132:133] neg_lo:[0,0,1] neg_hi:[0,0,1]
	v_mov_b32_e32 v129, v135
	s_delay_alu instid0(VALU_DEP_3) | instskip(NEXT) | instid1(VALU_DEP_2)
	v_cmp_lt_u32_e32 vcc_lo, 13, v127
	v_pk_add_f32 v[122:123], v[122:123], v[128:129]
	s_or_b32 s3, vcc_lo, s3
	s_delay_alu instid0(SALU_CYCLE_1)
	s_and_not1_b32 exec_lo, exec_lo, s3
	s_cbranch_execnz .LBB58_727
; %bb.728:
	s_or_b32 exec_lo, exec_lo, s3
.LBB58_729:
	s_delay_alu instid0(SALU_CYCLE_1) | instskip(SKIP_4) | instid1(VALU_DEP_1)
	s_or_b32 exec_lo, exec_lo, s2
	v_mov_b32_e32 v125, 0
	ds_load_b64 v[126:127], v125 offset:120
	s_wait_dscnt 0x0
	v_pk_mul_f32 v[128:129], v[122:123], v[126:127] op_sel:[1,1] op_sel_hi:[0,1]
	v_pk_fma_f32 v[130:131], v[122:123], v[126:127], v[128:129] op_sel_hi:[1,0,1]
	v_pk_fma_f32 v[122:123], v[122:123], v[126:127], v[128:129] neg_lo:[0,0,1] neg_hi:[0,0,1]
	s_delay_alu instid0(VALU_DEP_2)
	v_mov_b32_e32 v123, v131
	scratch_store_b64 off, v[122:123], off offset:120
.LBB58_730:
	s_wait_xcnt 0x0
	s_or_b32 exec_lo, exec_lo, s0
	scratch_load_b64 v[122:123], off, off offset:128
	s_mov_b32 s0, exec_lo
	s_wait_loadcnt 0x0
	ds_store_b64 v1, v[122:123]
	s_wait_storecnt_dscnt 0x0
	s_barrier_signal -1
	s_barrier_wait -1
	s_wait_xcnt 0x0
	v_cmpx_gt_u32_e32 16, v0
	s_cbranch_execz .LBB58_740
; %bb.731:
	v_cmp_ne_u32_e32 vcc_lo, 1, v124
	s_cbranch_vccnz .LBB58_733
; %bb.732:
	scratch_load_b64 v[122:123], v59, off
	ds_load_b64 v[126:127], v1
	s_wait_loadcnt_dscnt 0x0
	v_pk_mul_f32 v[128:129], v[126:127], v[122:123] op_sel:[1,1] op_sel_hi:[0,1]
	s_delay_alu instid0(VALU_DEP_1) | instskip(SKIP_1) | instid1(VALU_DEP_2)
	v_pk_fma_f32 v[130:131], v[126:127], v[122:123], v[128:129] op_sel_hi:[1,0,1]
	v_pk_fma_f32 v[122:123], v[126:127], v[122:123], v[128:129] neg_lo:[0,0,1] neg_hi:[0,0,1]
	v_mov_b32_e32 v123, v131
	s_cbranch_execz .LBB58_734
	s_branch .LBB58_735
.LBB58_733:
                                        ; implicit-def: $vgpr122_vgpr123
.LBB58_734:
	ds_load_b64 v[122:123], v1
.LBB58_735:
	s_mov_b32 s2, exec_lo
	v_cmpx_ne_u32_e32 15, v0
	s_cbranch_execz .LBB58_739
; %bb.736:
	v_add_nc_u32_e32 v125, 0x1e8, v58
	v_add3_u32 v126, 0, v58, 8
	v_mov_b32_e32 v127, v0
	s_mov_b32 s3, 0
.LBB58_737:                             ; =>This Inner Loop Header: Depth=1
	scratch_load_b64 v[128:129], v126, off
	ds_load_b64 v[130:131], v125
	s_wait_xcnt 0x0
	v_dual_add_nc_u32 v125, 8, v125 :: v_dual_add_nc_u32 v126, 8, v126
	s_wait_loadcnt_dscnt 0x0
	v_pk_mul_f32 v[132:133], v[130:131], v[128:129] op_sel:[1,1] op_sel_hi:[0,1]
	s_delay_alu instid0(VALU_DEP_1) | instskip(SKIP_2) | instid1(VALU_DEP_3)
	v_pk_fma_f32 v[134:135], v[130:131], v[128:129], v[132:133] op_sel_hi:[1,0,1]
	v_add_nc_u32_e32 v127, 1, v127
	v_pk_fma_f32 v[128:129], v[130:131], v[128:129], v[132:133] neg_lo:[0,0,1] neg_hi:[0,0,1]
	v_mov_b32_e32 v129, v135
	s_delay_alu instid0(VALU_DEP_3) | instskip(NEXT) | instid1(VALU_DEP_2)
	v_cmp_lt_u32_e32 vcc_lo, 14, v127
	v_pk_add_f32 v[122:123], v[122:123], v[128:129]
	s_or_b32 s3, vcc_lo, s3
	s_delay_alu instid0(SALU_CYCLE_1)
	s_and_not1_b32 exec_lo, exec_lo, s3
	s_cbranch_execnz .LBB58_737
; %bb.738:
	s_or_b32 exec_lo, exec_lo, s3
.LBB58_739:
	s_delay_alu instid0(SALU_CYCLE_1) | instskip(SKIP_4) | instid1(VALU_DEP_1)
	s_or_b32 exec_lo, exec_lo, s2
	v_mov_b32_e32 v125, 0
	ds_load_b64 v[126:127], v125 offset:128
	s_wait_dscnt 0x0
	v_pk_mul_f32 v[128:129], v[122:123], v[126:127] op_sel:[1,1] op_sel_hi:[0,1]
	v_pk_fma_f32 v[130:131], v[122:123], v[126:127], v[128:129] op_sel_hi:[1,0,1]
	v_pk_fma_f32 v[122:123], v[122:123], v[126:127], v[128:129] neg_lo:[0,0,1] neg_hi:[0,0,1]
	s_delay_alu instid0(VALU_DEP_2)
	v_mov_b32_e32 v123, v131
	scratch_store_b64 off, v[122:123], off offset:128
.LBB58_740:
	s_wait_xcnt 0x0
	s_or_b32 exec_lo, exec_lo, s0
	scratch_load_b64 v[122:123], off, off offset:136
	s_mov_b32 s0, exec_lo
	s_wait_loadcnt 0x0
	ds_store_b64 v1, v[122:123]
	s_wait_storecnt_dscnt 0x0
	s_barrier_signal -1
	s_barrier_wait -1
	s_wait_xcnt 0x0
	v_cmpx_gt_u32_e32 17, v0
	s_cbranch_execz .LBB58_750
; %bb.741:
	v_cmp_ne_u32_e32 vcc_lo, 1, v124
	s_cbranch_vccnz .LBB58_743
; %bb.742:
	scratch_load_b64 v[122:123], v59, off
	ds_load_b64 v[126:127], v1
	s_wait_loadcnt_dscnt 0x0
	v_pk_mul_f32 v[128:129], v[126:127], v[122:123] op_sel:[1,1] op_sel_hi:[0,1]
	s_delay_alu instid0(VALU_DEP_1) | instskip(SKIP_1) | instid1(VALU_DEP_2)
	v_pk_fma_f32 v[130:131], v[126:127], v[122:123], v[128:129] op_sel_hi:[1,0,1]
	v_pk_fma_f32 v[122:123], v[126:127], v[122:123], v[128:129] neg_lo:[0,0,1] neg_hi:[0,0,1]
	v_mov_b32_e32 v123, v131
	s_cbranch_execz .LBB58_744
	s_branch .LBB58_745
.LBB58_743:
                                        ; implicit-def: $vgpr122_vgpr123
.LBB58_744:
	ds_load_b64 v[122:123], v1
.LBB58_745:
	s_mov_b32 s2, exec_lo
	v_cmpx_ne_u32_e32 16, v0
	s_cbranch_execz .LBB58_749
; %bb.746:
	v_add_nc_u32_e32 v125, 0x1e8, v58
	v_add3_u32 v126, 0, v58, 8
	v_mov_b32_e32 v127, v0
	s_mov_b32 s3, 0
.LBB58_747:                             ; =>This Inner Loop Header: Depth=1
	scratch_load_b64 v[128:129], v126, off
	ds_load_b64 v[130:131], v125
	s_wait_xcnt 0x0
	v_dual_add_nc_u32 v125, 8, v125 :: v_dual_add_nc_u32 v126, 8, v126
	s_wait_loadcnt_dscnt 0x0
	v_pk_mul_f32 v[132:133], v[130:131], v[128:129] op_sel:[1,1] op_sel_hi:[0,1]
	s_delay_alu instid0(VALU_DEP_1) | instskip(SKIP_2) | instid1(VALU_DEP_3)
	v_pk_fma_f32 v[134:135], v[130:131], v[128:129], v[132:133] op_sel_hi:[1,0,1]
	v_add_nc_u32_e32 v127, 1, v127
	v_pk_fma_f32 v[128:129], v[130:131], v[128:129], v[132:133] neg_lo:[0,0,1] neg_hi:[0,0,1]
	v_mov_b32_e32 v129, v135
	s_delay_alu instid0(VALU_DEP_3) | instskip(NEXT) | instid1(VALU_DEP_2)
	v_cmp_lt_u32_e32 vcc_lo, 15, v127
	v_pk_add_f32 v[122:123], v[122:123], v[128:129]
	s_or_b32 s3, vcc_lo, s3
	s_delay_alu instid0(SALU_CYCLE_1)
	s_and_not1_b32 exec_lo, exec_lo, s3
	s_cbranch_execnz .LBB58_747
; %bb.748:
	s_or_b32 exec_lo, exec_lo, s3
.LBB58_749:
	s_delay_alu instid0(SALU_CYCLE_1) | instskip(SKIP_4) | instid1(VALU_DEP_1)
	s_or_b32 exec_lo, exec_lo, s2
	v_mov_b32_e32 v125, 0
	ds_load_b64 v[126:127], v125 offset:136
	s_wait_dscnt 0x0
	v_pk_mul_f32 v[128:129], v[122:123], v[126:127] op_sel:[1,1] op_sel_hi:[0,1]
	v_pk_fma_f32 v[130:131], v[122:123], v[126:127], v[128:129] op_sel_hi:[1,0,1]
	v_pk_fma_f32 v[122:123], v[122:123], v[126:127], v[128:129] neg_lo:[0,0,1] neg_hi:[0,0,1]
	s_delay_alu instid0(VALU_DEP_2)
	v_mov_b32_e32 v123, v131
	scratch_store_b64 off, v[122:123], off offset:136
.LBB58_750:
	s_wait_xcnt 0x0
	s_or_b32 exec_lo, exec_lo, s0
	scratch_load_b64 v[122:123], off, off offset:144
	s_mov_b32 s0, exec_lo
	s_wait_loadcnt 0x0
	ds_store_b64 v1, v[122:123]
	s_wait_storecnt_dscnt 0x0
	s_barrier_signal -1
	s_barrier_wait -1
	s_wait_xcnt 0x0
	v_cmpx_gt_u32_e32 18, v0
	s_cbranch_execz .LBB58_760
; %bb.751:
	v_cmp_ne_u32_e32 vcc_lo, 1, v124
	s_cbranch_vccnz .LBB58_753
; %bb.752:
	scratch_load_b64 v[122:123], v59, off
	ds_load_b64 v[126:127], v1
	s_wait_loadcnt_dscnt 0x0
	v_pk_mul_f32 v[128:129], v[126:127], v[122:123] op_sel:[1,1] op_sel_hi:[0,1]
	s_delay_alu instid0(VALU_DEP_1) | instskip(SKIP_1) | instid1(VALU_DEP_2)
	v_pk_fma_f32 v[130:131], v[126:127], v[122:123], v[128:129] op_sel_hi:[1,0,1]
	v_pk_fma_f32 v[122:123], v[126:127], v[122:123], v[128:129] neg_lo:[0,0,1] neg_hi:[0,0,1]
	v_mov_b32_e32 v123, v131
	s_cbranch_execz .LBB58_754
	s_branch .LBB58_755
.LBB58_753:
                                        ; implicit-def: $vgpr122_vgpr123
.LBB58_754:
	ds_load_b64 v[122:123], v1
.LBB58_755:
	s_mov_b32 s2, exec_lo
	v_cmpx_ne_u32_e32 17, v0
	s_cbranch_execz .LBB58_759
; %bb.756:
	v_add_nc_u32_e32 v125, 0x1e8, v58
	v_add3_u32 v126, 0, v58, 8
	v_mov_b32_e32 v127, v0
	s_mov_b32 s3, 0
.LBB58_757:                             ; =>This Inner Loop Header: Depth=1
	scratch_load_b64 v[128:129], v126, off
	ds_load_b64 v[130:131], v125
	s_wait_xcnt 0x0
	v_dual_add_nc_u32 v125, 8, v125 :: v_dual_add_nc_u32 v126, 8, v126
	s_wait_loadcnt_dscnt 0x0
	v_pk_mul_f32 v[132:133], v[130:131], v[128:129] op_sel:[1,1] op_sel_hi:[0,1]
	s_delay_alu instid0(VALU_DEP_1) | instskip(SKIP_2) | instid1(VALU_DEP_3)
	v_pk_fma_f32 v[134:135], v[130:131], v[128:129], v[132:133] op_sel_hi:[1,0,1]
	v_add_nc_u32_e32 v127, 1, v127
	v_pk_fma_f32 v[128:129], v[130:131], v[128:129], v[132:133] neg_lo:[0,0,1] neg_hi:[0,0,1]
	v_mov_b32_e32 v129, v135
	s_delay_alu instid0(VALU_DEP_3) | instskip(NEXT) | instid1(VALU_DEP_2)
	v_cmp_lt_u32_e32 vcc_lo, 16, v127
	v_pk_add_f32 v[122:123], v[122:123], v[128:129]
	s_or_b32 s3, vcc_lo, s3
	s_delay_alu instid0(SALU_CYCLE_1)
	s_and_not1_b32 exec_lo, exec_lo, s3
	s_cbranch_execnz .LBB58_757
; %bb.758:
	s_or_b32 exec_lo, exec_lo, s3
.LBB58_759:
	s_delay_alu instid0(SALU_CYCLE_1) | instskip(SKIP_4) | instid1(VALU_DEP_1)
	s_or_b32 exec_lo, exec_lo, s2
	v_mov_b32_e32 v125, 0
	ds_load_b64 v[126:127], v125 offset:144
	s_wait_dscnt 0x0
	v_pk_mul_f32 v[128:129], v[122:123], v[126:127] op_sel:[1,1] op_sel_hi:[0,1]
	v_pk_fma_f32 v[130:131], v[122:123], v[126:127], v[128:129] op_sel_hi:[1,0,1]
	v_pk_fma_f32 v[122:123], v[122:123], v[126:127], v[128:129] neg_lo:[0,0,1] neg_hi:[0,0,1]
	s_delay_alu instid0(VALU_DEP_2)
	v_mov_b32_e32 v123, v131
	scratch_store_b64 off, v[122:123], off offset:144
.LBB58_760:
	s_wait_xcnt 0x0
	s_or_b32 exec_lo, exec_lo, s0
	scratch_load_b64 v[122:123], off, off offset:152
	s_mov_b32 s0, exec_lo
	s_wait_loadcnt 0x0
	ds_store_b64 v1, v[122:123]
	s_wait_storecnt_dscnt 0x0
	s_barrier_signal -1
	s_barrier_wait -1
	s_wait_xcnt 0x0
	v_cmpx_gt_u32_e32 19, v0
	s_cbranch_execz .LBB58_770
; %bb.761:
	v_cmp_ne_u32_e32 vcc_lo, 1, v124
	s_cbranch_vccnz .LBB58_763
; %bb.762:
	scratch_load_b64 v[122:123], v59, off
	ds_load_b64 v[126:127], v1
	s_wait_loadcnt_dscnt 0x0
	v_pk_mul_f32 v[128:129], v[126:127], v[122:123] op_sel:[1,1] op_sel_hi:[0,1]
	s_delay_alu instid0(VALU_DEP_1) | instskip(SKIP_1) | instid1(VALU_DEP_2)
	v_pk_fma_f32 v[130:131], v[126:127], v[122:123], v[128:129] op_sel_hi:[1,0,1]
	v_pk_fma_f32 v[122:123], v[126:127], v[122:123], v[128:129] neg_lo:[0,0,1] neg_hi:[0,0,1]
	v_mov_b32_e32 v123, v131
	s_cbranch_execz .LBB58_764
	s_branch .LBB58_765
.LBB58_763:
                                        ; implicit-def: $vgpr122_vgpr123
.LBB58_764:
	ds_load_b64 v[122:123], v1
.LBB58_765:
	s_mov_b32 s2, exec_lo
	v_cmpx_ne_u32_e32 18, v0
	s_cbranch_execz .LBB58_769
; %bb.766:
	v_add_nc_u32_e32 v125, 0x1e8, v58
	v_add3_u32 v126, 0, v58, 8
	v_mov_b32_e32 v127, v0
	s_mov_b32 s3, 0
.LBB58_767:                             ; =>This Inner Loop Header: Depth=1
	scratch_load_b64 v[128:129], v126, off
	ds_load_b64 v[130:131], v125
	s_wait_xcnt 0x0
	v_dual_add_nc_u32 v125, 8, v125 :: v_dual_add_nc_u32 v126, 8, v126
	s_wait_loadcnt_dscnt 0x0
	v_pk_mul_f32 v[132:133], v[130:131], v[128:129] op_sel:[1,1] op_sel_hi:[0,1]
	s_delay_alu instid0(VALU_DEP_1) | instskip(SKIP_2) | instid1(VALU_DEP_3)
	v_pk_fma_f32 v[134:135], v[130:131], v[128:129], v[132:133] op_sel_hi:[1,0,1]
	v_add_nc_u32_e32 v127, 1, v127
	v_pk_fma_f32 v[128:129], v[130:131], v[128:129], v[132:133] neg_lo:[0,0,1] neg_hi:[0,0,1]
	v_mov_b32_e32 v129, v135
	s_delay_alu instid0(VALU_DEP_3) | instskip(NEXT) | instid1(VALU_DEP_2)
	v_cmp_lt_u32_e32 vcc_lo, 17, v127
	v_pk_add_f32 v[122:123], v[122:123], v[128:129]
	s_or_b32 s3, vcc_lo, s3
	s_delay_alu instid0(SALU_CYCLE_1)
	s_and_not1_b32 exec_lo, exec_lo, s3
	s_cbranch_execnz .LBB58_767
; %bb.768:
	s_or_b32 exec_lo, exec_lo, s3
.LBB58_769:
	s_delay_alu instid0(SALU_CYCLE_1) | instskip(SKIP_4) | instid1(VALU_DEP_1)
	s_or_b32 exec_lo, exec_lo, s2
	v_mov_b32_e32 v125, 0
	ds_load_b64 v[126:127], v125 offset:152
	s_wait_dscnt 0x0
	v_pk_mul_f32 v[128:129], v[122:123], v[126:127] op_sel:[1,1] op_sel_hi:[0,1]
	v_pk_fma_f32 v[130:131], v[122:123], v[126:127], v[128:129] op_sel_hi:[1,0,1]
	v_pk_fma_f32 v[122:123], v[122:123], v[126:127], v[128:129] neg_lo:[0,0,1] neg_hi:[0,0,1]
	s_delay_alu instid0(VALU_DEP_2)
	v_mov_b32_e32 v123, v131
	scratch_store_b64 off, v[122:123], off offset:152
.LBB58_770:
	s_wait_xcnt 0x0
	s_or_b32 exec_lo, exec_lo, s0
	scratch_load_b64 v[122:123], off, off offset:160
	s_mov_b32 s0, exec_lo
	s_wait_loadcnt 0x0
	ds_store_b64 v1, v[122:123]
	s_wait_storecnt_dscnt 0x0
	s_barrier_signal -1
	s_barrier_wait -1
	s_wait_xcnt 0x0
	v_cmpx_gt_u32_e32 20, v0
	s_cbranch_execz .LBB58_780
; %bb.771:
	v_cmp_ne_u32_e32 vcc_lo, 1, v124
	s_cbranch_vccnz .LBB58_773
; %bb.772:
	scratch_load_b64 v[122:123], v59, off
	ds_load_b64 v[126:127], v1
	s_wait_loadcnt_dscnt 0x0
	v_pk_mul_f32 v[128:129], v[126:127], v[122:123] op_sel:[1,1] op_sel_hi:[0,1]
	s_delay_alu instid0(VALU_DEP_1) | instskip(SKIP_1) | instid1(VALU_DEP_2)
	v_pk_fma_f32 v[130:131], v[126:127], v[122:123], v[128:129] op_sel_hi:[1,0,1]
	v_pk_fma_f32 v[122:123], v[126:127], v[122:123], v[128:129] neg_lo:[0,0,1] neg_hi:[0,0,1]
	v_mov_b32_e32 v123, v131
	s_cbranch_execz .LBB58_774
	s_branch .LBB58_775
.LBB58_773:
                                        ; implicit-def: $vgpr122_vgpr123
.LBB58_774:
	ds_load_b64 v[122:123], v1
.LBB58_775:
	s_mov_b32 s2, exec_lo
	v_cmpx_ne_u32_e32 19, v0
	s_cbranch_execz .LBB58_779
; %bb.776:
	v_add_nc_u32_e32 v125, 0x1e8, v58
	v_add3_u32 v126, 0, v58, 8
	v_mov_b32_e32 v127, v0
	s_mov_b32 s3, 0
.LBB58_777:                             ; =>This Inner Loop Header: Depth=1
	scratch_load_b64 v[128:129], v126, off
	ds_load_b64 v[130:131], v125
	s_wait_xcnt 0x0
	v_dual_add_nc_u32 v125, 8, v125 :: v_dual_add_nc_u32 v126, 8, v126
	s_wait_loadcnt_dscnt 0x0
	v_pk_mul_f32 v[132:133], v[130:131], v[128:129] op_sel:[1,1] op_sel_hi:[0,1]
	s_delay_alu instid0(VALU_DEP_1) | instskip(SKIP_2) | instid1(VALU_DEP_3)
	v_pk_fma_f32 v[134:135], v[130:131], v[128:129], v[132:133] op_sel_hi:[1,0,1]
	v_add_nc_u32_e32 v127, 1, v127
	v_pk_fma_f32 v[128:129], v[130:131], v[128:129], v[132:133] neg_lo:[0,0,1] neg_hi:[0,0,1]
	v_mov_b32_e32 v129, v135
	s_delay_alu instid0(VALU_DEP_3) | instskip(NEXT) | instid1(VALU_DEP_2)
	v_cmp_lt_u32_e32 vcc_lo, 18, v127
	v_pk_add_f32 v[122:123], v[122:123], v[128:129]
	s_or_b32 s3, vcc_lo, s3
	s_delay_alu instid0(SALU_CYCLE_1)
	s_and_not1_b32 exec_lo, exec_lo, s3
	s_cbranch_execnz .LBB58_777
; %bb.778:
	s_or_b32 exec_lo, exec_lo, s3
.LBB58_779:
	s_delay_alu instid0(SALU_CYCLE_1) | instskip(SKIP_4) | instid1(VALU_DEP_1)
	s_or_b32 exec_lo, exec_lo, s2
	v_mov_b32_e32 v125, 0
	ds_load_b64 v[126:127], v125 offset:160
	s_wait_dscnt 0x0
	v_pk_mul_f32 v[128:129], v[122:123], v[126:127] op_sel:[1,1] op_sel_hi:[0,1]
	v_pk_fma_f32 v[130:131], v[122:123], v[126:127], v[128:129] op_sel_hi:[1,0,1]
	v_pk_fma_f32 v[122:123], v[122:123], v[126:127], v[128:129] neg_lo:[0,0,1] neg_hi:[0,0,1]
	s_delay_alu instid0(VALU_DEP_2)
	v_mov_b32_e32 v123, v131
	scratch_store_b64 off, v[122:123], off offset:160
.LBB58_780:
	s_wait_xcnt 0x0
	s_or_b32 exec_lo, exec_lo, s0
	scratch_load_b64 v[122:123], off, off offset:168
	s_mov_b32 s0, exec_lo
	s_wait_loadcnt 0x0
	ds_store_b64 v1, v[122:123]
	s_wait_storecnt_dscnt 0x0
	s_barrier_signal -1
	s_barrier_wait -1
	s_wait_xcnt 0x0
	v_cmpx_gt_u32_e32 21, v0
	s_cbranch_execz .LBB58_790
; %bb.781:
	v_cmp_ne_u32_e32 vcc_lo, 1, v124
	s_cbranch_vccnz .LBB58_783
; %bb.782:
	scratch_load_b64 v[122:123], v59, off
	ds_load_b64 v[126:127], v1
	s_wait_loadcnt_dscnt 0x0
	v_pk_mul_f32 v[128:129], v[126:127], v[122:123] op_sel:[1,1] op_sel_hi:[0,1]
	s_delay_alu instid0(VALU_DEP_1) | instskip(SKIP_1) | instid1(VALU_DEP_2)
	v_pk_fma_f32 v[130:131], v[126:127], v[122:123], v[128:129] op_sel_hi:[1,0,1]
	v_pk_fma_f32 v[122:123], v[126:127], v[122:123], v[128:129] neg_lo:[0,0,1] neg_hi:[0,0,1]
	v_mov_b32_e32 v123, v131
	s_cbranch_execz .LBB58_784
	s_branch .LBB58_785
.LBB58_783:
                                        ; implicit-def: $vgpr122_vgpr123
.LBB58_784:
	ds_load_b64 v[122:123], v1
.LBB58_785:
	s_mov_b32 s2, exec_lo
	v_cmpx_ne_u32_e32 20, v0
	s_cbranch_execz .LBB58_789
; %bb.786:
	v_add_nc_u32_e32 v125, 0x1e8, v58
	v_add3_u32 v126, 0, v58, 8
	v_mov_b32_e32 v127, v0
	s_mov_b32 s3, 0
.LBB58_787:                             ; =>This Inner Loop Header: Depth=1
	scratch_load_b64 v[128:129], v126, off
	ds_load_b64 v[130:131], v125
	s_wait_xcnt 0x0
	v_dual_add_nc_u32 v125, 8, v125 :: v_dual_add_nc_u32 v126, 8, v126
	s_wait_loadcnt_dscnt 0x0
	v_pk_mul_f32 v[132:133], v[130:131], v[128:129] op_sel:[1,1] op_sel_hi:[0,1]
	s_delay_alu instid0(VALU_DEP_1) | instskip(SKIP_2) | instid1(VALU_DEP_3)
	v_pk_fma_f32 v[134:135], v[130:131], v[128:129], v[132:133] op_sel_hi:[1,0,1]
	v_add_nc_u32_e32 v127, 1, v127
	v_pk_fma_f32 v[128:129], v[130:131], v[128:129], v[132:133] neg_lo:[0,0,1] neg_hi:[0,0,1]
	v_mov_b32_e32 v129, v135
	s_delay_alu instid0(VALU_DEP_3) | instskip(NEXT) | instid1(VALU_DEP_2)
	v_cmp_lt_u32_e32 vcc_lo, 19, v127
	v_pk_add_f32 v[122:123], v[122:123], v[128:129]
	s_or_b32 s3, vcc_lo, s3
	s_delay_alu instid0(SALU_CYCLE_1)
	s_and_not1_b32 exec_lo, exec_lo, s3
	s_cbranch_execnz .LBB58_787
; %bb.788:
	s_or_b32 exec_lo, exec_lo, s3
.LBB58_789:
	s_delay_alu instid0(SALU_CYCLE_1) | instskip(SKIP_4) | instid1(VALU_DEP_1)
	s_or_b32 exec_lo, exec_lo, s2
	v_mov_b32_e32 v125, 0
	ds_load_b64 v[126:127], v125 offset:168
	s_wait_dscnt 0x0
	v_pk_mul_f32 v[128:129], v[122:123], v[126:127] op_sel:[1,1] op_sel_hi:[0,1]
	v_pk_fma_f32 v[130:131], v[122:123], v[126:127], v[128:129] op_sel_hi:[1,0,1]
	v_pk_fma_f32 v[122:123], v[122:123], v[126:127], v[128:129] neg_lo:[0,0,1] neg_hi:[0,0,1]
	s_delay_alu instid0(VALU_DEP_2)
	v_mov_b32_e32 v123, v131
	scratch_store_b64 off, v[122:123], off offset:168
.LBB58_790:
	s_wait_xcnt 0x0
	s_or_b32 exec_lo, exec_lo, s0
	scratch_load_b64 v[122:123], off, off offset:176
	s_mov_b32 s0, exec_lo
	s_wait_loadcnt 0x0
	ds_store_b64 v1, v[122:123]
	s_wait_storecnt_dscnt 0x0
	s_barrier_signal -1
	s_barrier_wait -1
	s_wait_xcnt 0x0
	v_cmpx_gt_u32_e32 22, v0
	s_cbranch_execz .LBB58_800
; %bb.791:
	v_cmp_ne_u32_e32 vcc_lo, 1, v124
	s_cbranch_vccnz .LBB58_793
; %bb.792:
	scratch_load_b64 v[122:123], v59, off
	ds_load_b64 v[126:127], v1
	s_wait_loadcnt_dscnt 0x0
	v_pk_mul_f32 v[128:129], v[126:127], v[122:123] op_sel:[1,1] op_sel_hi:[0,1]
	s_delay_alu instid0(VALU_DEP_1) | instskip(SKIP_1) | instid1(VALU_DEP_2)
	v_pk_fma_f32 v[130:131], v[126:127], v[122:123], v[128:129] op_sel_hi:[1,0,1]
	v_pk_fma_f32 v[122:123], v[126:127], v[122:123], v[128:129] neg_lo:[0,0,1] neg_hi:[0,0,1]
	v_mov_b32_e32 v123, v131
	s_cbranch_execz .LBB58_794
	s_branch .LBB58_795
.LBB58_793:
                                        ; implicit-def: $vgpr122_vgpr123
.LBB58_794:
	ds_load_b64 v[122:123], v1
.LBB58_795:
	s_mov_b32 s2, exec_lo
	v_cmpx_ne_u32_e32 21, v0
	s_cbranch_execz .LBB58_799
; %bb.796:
	v_add_nc_u32_e32 v125, 0x1e8, v58
	v_add3_u32 v126, 0, v58, 8
	v_mov_b32_e32 v127, v0
	s_mov_b32 s3, 0
.LBB58_797:                             ; =>This Inner Loop Header: Depth=1
	scratch_load_b64 v[128:129], v126, off
	ds_load_b64 v[130:131], v125
	s_wait_xcnt 0x0
	v_dual_add_nc_u32 v125, 8, v125 :: v_dual_add_nc_u32 v126, 8, v126
	s_wait_loadcnt_dscnt 0x0
	v_pk_mul_f32 v[132:133], v[130:131], v[128:129] op_sel:[1,1] op_sel_hi:[0,1]
	s_delay_alu instid0(VALU_DEP_1) | instskip(SKIP_2) | instid1(VALU_DEP_3)
	v_pk_fma_f32 v[134:135], v[130:131], v[128:129], v[132:133] op_sel_hi:[1,0,1]
	v_add_nc_u32_e32 v127, 1, v127
	v_pk_fma_f32 v[128:129], v[130:131], v[128:129], v[132:133] neg_lo:[0,0,1] neg_hi:[0,0,1]
	v_mov_b32_e32 v129, v135
	s_delay_alu instid0(VALU_DEP_3) | instskip(NEXT) | instid1(VALU_DEP_2)
	v_cmp_lt_u32_e32 vcc_lo, 20, v127
	v_pk_add_f32 v[122:123], v[122:123], v[128:129]
	s_or_b32 s3, vcc_lo, s3
	s_delay_alu instid0(SALU_CYCLE_1)
	s_and_not1_b32 exec_lo, exec_lo, s3
	s_cbranch_execnz .LBB58_797
; %bb.798:
	s_or_b32 exec_lo, exec_lo, s3
.LBB58_799:
	s_delay_alu instid0(SALU_CYCLE_1) | instskip(SKIP_4) | instid1(VALU_DEP_1)
	s_or_b32 exec_lo, exec_lo, s2
	v_mov_b32_e32 v125, 0
	ds_load_b64 v[126:127], v125 offset:176
	s_wait_dscnt 0x0
	v_pk_mul_f32 v[128:129], v[122:123], v[126:127] op_sel:[1,1] op_sel_hi:[0,1]
	v_pk_fma_f32 v[130:131], v[122:123], v[126:127], v[128:129] op_sel_hi:[1,0,1]
	v_pk_fma_f32 v[122:123], v[122:123], v[126:127], v[128:129] neg_lo:[0,0,1] neg_hi:[0,0,1]
	s_delay_alu instid0(VALU_DEP_2)
	v_mov_b32_e32 v123, v131
	scratch_store_b64 off, v[122:123], off offset:176
.LBB58_800:
	s_wait_xcnt 0x0
	s_or_b32 exec_lo, exec_lo, s0
	scratch_load_b64 v[122:123], off, off offset:184
	s_mov_b32 s0, exec_lo
	s_wait_loadcnt 0x0
	ds_store_b64 v1, v[122:123]
	s_wait_storecnt_dscnt 0x0
	s_barrier_signal -1
	s_barrier_wait -1
	s_wait_xcnt 0x0
	v_cmpx_gt_u32_e32 23, v0
	s_cbranch_execz .LBB58_810
; %bb.801:
	v_cmp_ne_u32_e32 vcc_lo, 1, v124
	s_cbranch_vccnz .LBB58_803
; %bb.802:
	scratch_load_b64 v[122:123], v59, off
	ds_load_b64 v[126:127], v1
	s_wait_loadcnt_dscnt 0x0
	v_pk_mul_f32 v[128:129], v[126:127], v[122:123] op_sel:[1,1] op_sel_hi:[0,1]
	s_delay_alu instid0(VALU_DEP_1) | instskip(SKIP_1) | instid1(VALU_DEP_2)
	v_pk_fma_f32 v[130:131], v[126:127], v[122:123], v[128:129] op_sel_hi:[1,0,1]
	v_pk_fma_f32 v[122:123], v[126:127], v[122:123], v[128:129] neg_lo:[0,0,1] neg_hi:[0,0,1]
	v_mov_b32_e32 v123, v131
	s_cbranch_execz .LBB58_804
	s_branch .LBB58_805
.LBB58_803:
                                        ; implicit-def: $vgpr122_vgpr123
.LBB58_804:
	ds_load_b64 v[122:123], v1
.LBB58_805:
	s_mov_b32 s2, exec_lo
	v_cmpx_ne_u32_e32 22, v0
	s_cbranch_execz .LBB58_809
; %bb.806:
	v_add_nc_u32_e32 v125, 0x1e8, v58
	v_add3_u32 v126, 0, v58, 8
	v_mov_b32_e32 v127, v0
	s_mov_b32 s3, 0
.LBB58_807:                             ; =>This Inner Loop Header: Depth=1
	scratch_load_b64 v[128:129], v126, off
	ds_load_b64 v[130:131], v125
	s_wait_xcnt 0x0
	v_dual_add_nc_u32 v125, 8, v125 :: v_dual_add_nc_u32 v126, 8, v126
	s_wait_loadcnt_dscnt 0x0
	v_pk_mul_f32 v[132:133], v[130:131], v[128:129] op_sel:[1,1] op_sel_hi:[0,1]
	s_delay_alu instid0(VALU_DEP_1) | instskip(SKIP_2) | instid1(VALU_DEP_3)
	v_pk_fma_f32 v[134:135], v[130:131], v[128:129], v[132:133] op_sel_hi:[1,0,1]
	v_add_nc_u32_e32 v127, 1, v127
	v_pk_fma_f32 v[128:129], v[130:131], v[128:129], v[132:133] neg_lo:[0,0,1] neg_hi:[0,0,1]
	v_mov_b32_e32 v129, v135
	s_delay_alu instid0(VALU_DEP_3) | instskip(NEXT) | instid1(VALU_DEP_2)
	v_cmp_lt_u32_e32 vcc_lo, 21, v127
	v_pk_add_f32 v[122:123], v[122:123], v[128:129]
	s_or_b32 s3, vcc_lo, s3
	s_delay_alu instid0(SALU_CYCLE_1)
	s_and_not1_b32 exec_lo, exec_lo, s3
	s_cbranch_execnz .LBB58_807
; %bb.808:
	s_or_b32 exec_lo, exec_lo, s3
.LBB58_809:
	s_delay_alu instid0(SALU_CYCLE_1) | instskip(SKIP_4) | instid1(VALU_DEP_1)
	s_or_b32 exec_lo, exec_lo, s2
	v_mov_b32_e32 v125, 0
	ds_load_b64 v[126:127], v125 offset:184
	s_wait_dscnt 0x0
	v_pk_mul_f32 v[128:129], v[122:123], v[126:127] op_sel:[1,1] op_sel_hi:[0,1]
	v_pk_fma_f32 v[130:131], v[122:123], v[126:127], v[128:129] op_sel_hi:[1,0,1]
	v_pk_fma_f32 v[122:123], v[122:123], v[126:127], v[128:129] neg_lo:[0,0,1] neg_hi:[0,0,1]
	s_delay_alu instid0(VALU_DEP_2)
	v_mov_b32_e32 v123, v131
	scratch_store_b64 off, v[122:123], off offset:184
.LBB58_810:
	s_wait_xcnt 0x0
	s_or_b32 exec_lo, exec_lo, s0
	scratch_load_b64 v[122:123], off, off offset:192
	s_mov_b32 s0, exec_lo
	s_wait_loadcnt 0x0
	ds_store_b64 v1, v[122:123]
	s_wait_storecnt_dscnt 0x0
	s_barrier_signal -1
	s_barrier_wait -1
	s_wait_xcnt 0x0
	v_cmpx_gt_u32_e32 24, v0
	s_cbranch_execz .LBB58_820
; %bb.811:
	v_cmp_ne_u32_e32 vcc_lo, 1, v124
	s_cbranch_vccnz .LBB58_813
; %bb.812:
	scratch_load_b64 v[122:123], v59, off
	ds_load_b64 v[126:127], v1
	s_wait_loadcnt_dscnt 0x0
	v_pk_mul_f32 v[128:129], v[126:127], v[122:123] op_sel:[1,1] op_sel_hi:[0,1]
	s_delay_alu instid0(VALU_DEP_1) | instskip(SKIP_1) | instid1(VALU_DEP_2)
	v_pk_fma_f32 v[130:131], v[126:127], v[122:123], v[128:129] op_sel_hi:[1,0,1]
	v_pk_fma_f32 v[122:123], v[126:127], v[122:123], v[128:129] neg_lo:[0,0,1] neg_hi:[0,0,1]
	v_mov_b32_e32 v123, v131
	s_cbranch_execz .LBB58_814
	s_branch .LBB58_815
.LBB58_813:
                                        ; implicit-def: $vgpr122_vgpr123
.LBB58_814:
	ds_load_b64 v[122:123], v1
.LBB58_815:
	s_mov_b32 s2, exec_lo
	v_cmpx_ne_u32_e32 23, v0
	s_cbranch_execz .LBB58_819
; %bb.816:
	v_add_nc_u32_e32 v125, 0x1e8, v58
	v_add3_u32 v126, 0, v58, 8
	v_mov_b32_e32 v127, v0
	s_mov_b32 s3, 0
.LBB58_817:                             ; =>This Inner Loop Header: Depth=1
	scratch_load_b64 v[128:129], v126, off
	ds_load_b64 v[130:131], v125
	s_wait_xcnt 0x0
	v_dual_add_nc_u32 v125, 8, v125 :: v_dual_add_nc_u32 v126, 8, v126
	s_wait_loadcnt_dscnt 0x0
	v_pk_mul_f32 v[132:133], v[130:131], v[128:129] op_sel:[1,1] op_sel_hi:[0,1]
	s_delay_alu instid0(VALU_DEP_1) | instskip(SKIP_2) | instid1(VALU_DEP_3)
	v_pk_fma_f32 v[134:135], v[130:131], v[128:129], v[132:133] op_sel_hi:[1,0,1]
	v_add_nc_u32_e32 v127, 1, v127
	v_pk_fma_f32 v[128:129], v[130:131], v[128:129], v[132:133] neg_lo:[0,0,1] neg_hi:[0,0,1]
	v_mov_b32_e32 v129, v135
	s_delay_alu instid0(VALU_DEP_3) | instskip(NEXT) | instid1(VALU_DEP_2)
	v_cmp_lt_u32_e32 vcc_lo, 22, v127
	v_pk_add_f32 v[122:123], v[122:123], v[128:129]
	s_or_b32 s3, vcc_lo, s3
	s_delay_alu instid0(SALU_CYCLE_1)
	s_and_not1_b32 exec_lo, exec_lo, s3
	s_cbranch_execnz .LBB58_817
; %bb.818:
	s_or_b32 exec_lo, exec_lo, s3
.LBB58_819:
	s_delay_alu instid0(SALU_CYCLE_1) | instskip(SKIP_4) | instid1(VALU_DEP_1)
	s_or_b32 exec_lo, exec_lo, s2
	v_mov_b32_e32 v125, 0
	ds_load_b64 v[126:127], v125 offset:192
	s_wait_dscnt 0x0
	v_pk_mul_f32 v[128:129], v[122:123], v[126:127] op_sel:[1,1] op_sel_hi:[0,1]
	v_pk_fma_f32 v[130:131], v[122:123], v[126:127], v[128:129] op_sel_hi:[1,0,1]
	v_pk_fma_f32 v[122:123], v[122:123], v[126:127], v[128:129] neg_lo:[0,0,1] neg_hi:[0,0,1]
	s_delay_alu instid0(VALU_DEP_2)
	v_mov_b32_e32 v123, v131
	scratch_store_b64 off, v[122:123], off offset:192
.LBB58_820:
	s_wait_xcnt 0x0
	s_or_b32 exec_lo, exec_lo, s0
	scratch_load_b64 v[122:123], off, off offset:200
	s_mov_b32 s0, exec_lo
	s_wait_loadcnt 0x0
	ds_store_b64 v1, v[122:123]
	s_wait_storecnt_dscnt 0x0
	s_barrier_signal -1
	s_barrier_wait -1
	s_wait_xcnt 0x0
	v_cmpx_gt_u32_e32 25, v0
	s_cbranch_execz .LBB58_830
; %bb.821:
	v_cmp_ne_u32_e32 vcc_lo, 1, v124
	s_cbranch_vccnz .LBB58_823
; %bb.822:
	scratch_load_b64 v[122:123], v59, off
	ds_load_b64 v[126:127], v1
	s_wait_loadcnt_dscnt 0x0
	v_pk_mul_f32 v[128:129], v[126:127], v[122:123] op_sel:[1,1] op_sel_hi:[0,1]
	s_delay_alu instid0(VALU_DEP_1) | instskip(SKIP_1) | instid1(VALU_DEP_2)
	v_pk_fma_f32 v[130:131], v[126:127], v[122:123], v[128:129] op_sel_hi:[1,0,1]
	v_pk_fma_f32 v[122:123], v[126:127], v[122:123], v[128:129] neg_lo:[0,0,1] neg_hi:[0,0,1]
	v_mov_b32_e32 v123, v131
	s_cbranch_execz .LBB58_824
	s_branch .LBB58_825
.LBB58_823:
                                        ; implicit-def: $vgpr122_vgpr123
.LBB58_824:
	ds_load_b64 v[122:123], v1
.LBB58_825:
	s_mov_b32 s2, exec_lo
	v_cmpx_ne_u32_e32 24, v0
	s_cbranch_execz .LBB58_829
; %bb.826:
	v_add_nc_u32_e32 v125, 0x1e8, v58
	v_add3_u32 v126, 0, v58, 8
	v_mov_b32_e32 v127, v0
	s_mov_b32 s3, 0
.LBB58_827:                             ; =>This Inner Loop Header: Depth=1
	scratch_load_b64 v[128:129], v126, off
	ds_load_b64 v[130:131], v125
	s_wait_xcnt 0x0
	v_dual_add_nc_u32 v125, 8, v125 :: v_dual_add_nc_u32 v126, 8, v126
	s_wait_loadcnt_dscnt 0x0
	v_pk_mul_f32 v[132:133], v[130:131], v[128:129] op_sel:[1,1] op_sel_hi:[0,1]
	s_delay_alu instid0(VALU_DEP_1) | instskip(SKIP_2) | instid1(VALU_DEP_3)
	v_pk_fma_f32 v[134:135], v[130:131], v[128:129], v[132:133] op_sel_hi:[1,0,1]
	v_add_nc_u32_e32 v127, 1, v127
	v_pk_fma_f32 v[128:129], v[130:131], v[128:129], v[132:133] neg_lo:[0,0,1] neg_hi:[0,0,1]
	v_mov_b32_e32 v129, v135
	s_delay_alu instid0(VALU_DEP_3) | instskip(NEXT) | instid1(VALU_DEP_2)
	v_cmp_lt_u32_e32 vcc_lo, 23, v127
	v_pk_add_f32 v[122:123], v[122:123], v[128:129]
	s_or_b32 s3, vcc_lo, s3
	s_delay_alu instid0(SALU_CYCLE_1)
	s_and_not1_b32 exec_lo, exec_lo, s3
	s_cbranch_execnz .LBB58_827
; %bb.828:
	s_or_b32 exec_lo, exec_lo, s3
.LBB58_829:
	s_delay_alu instid0(SALU_CYCLE_1) | instskip(SKIP_4) | instid1(VALU_DEP_1)
	s_or_b32 exec_lo, exec_lo, s2
	v_mov_b32_e32 v125, 0
	ds_load_b64 v[126:127], v125 offset:200
	s_wait_dscnt 0x0
	v_pk_mul_f32 v[128:129], v[122:123], v[126:127] op_sel:[1,1] op_sel_hi:[0,1]
	v_pk_fma_f32 v[130:131], v[122:123], v[126:127], v[128:129] op_sel_hi:[1,0,1]
	v_pk_fma_f32 v[122:123], v[122:123], v[126:127], v[128:129] neg_lo:[0,0,1] neg_hi:[0,0,1]
	s_delay_alu instid0(VALU_DEP_2)
	v_mov_b32_e32 v123, v131
	scratch_store_b64 off, v[122:123], off offset:200
.LBB58_830:
	s_wait_xcnt 0x0
	s_or_b32 exec_lo, exec_lo, s0
	scratch_load_b64 v[122:123], off, off offset:208
	s_mov_b32 s0, exec_lo
	s_wait_loadcnt 0x0
	ds_store_b64 v1, v[122:123]
	s_wait_storecnt_dscnt 0x0
	s_barrier_signal -1
	s_barrier_wait -1
	s_wait_xcnt 0x0
	v_cmpx_gt_u32_e32 26, v0
	s_cbranch_execz .LBB58_840
; %bb.831:
	v_cmp_ne_u32_e32 vcc_lo, 1, v124
	s_cbranch_vccnz .LBB58_833
; %bb.832:
	scratch_load_b64 v[122:123], v59, off
	ds_load_b64 v[126:127], v1
	s_wait_loadcnt_dscnt 0x0
	v_pk_mul_f32 v[128:129], v[126:127], v[122:123] op_sel:[1,1] op_sel_hi:[0,1]
	s_delay_alu instid0(VALU_DEP_1) | instskip(SKIP_1) | instid1(VALU_DEP_2)
	v_pk_fma_f32 v[130:131], v[126:127], v[122:123], v[128:129] op_sel_hi:[1,0,1]
	v_pk_fma_f32 v[122:123], v[126:127], v[122:123], v[128:129] neg_lo:[0,0,1] neg_hi:[0,0,1]
	v_mov_b32_e32 v123, v131
	s_cbranch_execz .LBB58_834
	s_branch .LBB58_835
.LBB58_833:
                                        ; implicit-def: $vgpr122_vgpr123
.LBB58_834:
	ds_load_b64 v[122:123], v1
.LBB58_835:
	s_mov_b32 s2, exec_lo
	v_cmpx_ne_u32_e32 25, v0
	s_cbranch_execz .LBB58_839
; %bb.836:
	v_add_nc_u32_e32 v125, 0x1e8, v58
	v_add3_u32 v126, 0, v58, 8
	v_mov_b32_e32 v127, v0
	s_mov_b32 s3, 0
.LBB58_837:                             ; =>This Inner Loop Header: Depth=1
	scratch_load_b64 v[128:129], v126, off
	ds_load_b64 v[130:131], v125
	s_wait_xcnt 0x0
	v_dual_add_nc_u32 v125, 8, v125 :: v_dual_add_nc_u32 v126, 8, v126
	s_wait_loadcnt_dscnt 0x0
	v_pk_mul_f32 v[132:133], v[130:131], v[128:129] op_sel:[1,1] op_sel_hi:[0,1]
	s_delay_alu instid0(VALU_DEP_1) | instskip(SKIP_2) | instid1(VALU_DEP_3)
	v_pk_fma_f32 v[134:135], v[130:131], v[128:129], v[132:133] op_sel_hi:[1,0,1]
	v_add_nc_u32_e32 v127, 1, v127
	v_pk_fma_f32 v[128:129], v[130:131], v[128:129], v[132:133] neg_lo:[0,0,1] neg_hi:[0,0,1]
	v_mov_b32_e32 v129, v135
	s_delay_alu instid0(VALU_DEP_3) | instskip(NEXT) | instid1(VALU_DEP_2)
	v_cmp_lt_u32_e32 vcc_lo, 24, v127
	v_pk_add_f32 v[122:123], v[122:123], v[128:129]
	s_or_b32 s3, vcc_lo, s3
	s_delay_alu instid0(SALU_CYCLE_1)
	s_and_not1_b32 exec_lo, exec_lo, s3
	s_cbranch_execnz .LBB58_837
; %bb.838:
	s_or_b32 exec_lo, exec_lo, s3
.LBB58_839:
	s_delay_alu instid0(SALU_CYCLE_1) | instskip(SKIP_4) | instid1(VALU_DEP_1)
	s_or_b32 exec_lo, exec_lo, s2
	v_mov_b32_e32 v125, 0
	ds_load_b64 v[126:127], v125 offset:208
	s_wait_dscnt 0x0
	v_pk_mul_f32 v[128:129], v[122:123], v[126:127] op_sel:[1,1] op_sel_hi:[0,1]
	v_pk_fma_f32 v[130:131], v[122:123], v[126:127], v[128:129] op_sel_hi:[1,0,1]
	v_pk_fma_f32 v[122:123], v[122:123], v[126:127], v[128:129] neg_lo:[0,0,1] neg_hi:[0,0,1]
	s_delay_alu instid0(VALU_DEP_2)
	v_mov_b32_e32 v123, v131
	scratch_store_b64 off, v[122:123], off offset:208
.LBB58_840:
	s_wait_xcnt 0x0
	s_or_b32 exec_lo, exec_lo, s0
	scratch_load_b64 v[122:123], off, off offset:216
	s_mov_b32 s0, exec_lo
	s_wait_loadcnt 0x0
	ds_store_b64 v1, v[122:123]
	s_wait_storecnt_dscnt 0x0
	s_barrier_signal -1
	s_barrier_wait -1
	s_wait_xcnt 0x0
	v_cmpx_gt_u32_e32 27, v0
	s_cbranch_execz .LBB58_850
; %bb.841:
	v_cmp_ne_u32_e32 vcc_lo, 1, v124
	s_cbranch_vccnz .LBB58_843
; %bb.842:
	scratch_load_b64 v[122:123], v59, off
	ds_load_b64 v[126:127], v1
	s_wait_loadcnt_dscnt 0x0
	v_pk_mul_f32 v[128:129], v[126:127], v[122:123] op_sel:[1,1] op_sel_hi:[0,1]
	s_delay_alu instid0(VALU_DEP_1) | instskip(SKIP_1) | instid1(VALU_DEP_2)
	v_pk_fma_f32 v[130:131], v[126:127], v[122:123], v[128:129] op_sel_hi:[1,0,1]
	v_pk_fma_f32 v[122:123], v[126:127], v[122:123], v[128:129] neg_lo:[0,0,1] neg_hi:[0,0,1]
	v_mov_b32_e32 v123, v131
	s_cbranch_execz .LBB58_844
	s_branch .LBB58_845
.LBB58_843:
                                        ; implicit-def: $vgpr122_vgpr123
.LBB58_844:
	ds_load_b64 v[122:123], v1
.LBB58_845:
	s_mov_b32 s2, exec_lo
	v_cmpx_ne_u32_e32 26, v0
	s_cbranch_execz .LBB58_849
; %bb.846:
	v_add_nc_u32_e32 v125, 0x1e8, v58
	v_add3_u32 v126, 0, v58, 8
	v_mov_b32_e32 v127, v0
	s_mov_b32 s3, 0
.LBB58_847:                             ; =>This Inner Loop Header: Depth=1
	scratch_load_b64 v[128:129], v126, off
	ds_load_b64 v[130:131], v125
	s_wait_xcnt 0x0
	v_dual_add_nc_u32 v125, 8, v125 :: v_dual_add_nc_u32 v126, 8, v126
	s_wait_loadcnt_dscnt 0x0
	v_pk_mul_f32 v[132:133], v[130:131], v[128:129] op_sel:[1,1] op_sel_hi:[0,1]
	s_delay_alu instid0(VALU_DEP_1) | instskip(SKIP_2) | instid1(VALU_DEP_3)
	v_pk_fma_f32 v[134:135], v[130:131], v[128:129], v[132:133] op_sel_hi:[1,0,1]
	v_add_nc_u32_e32 v127, 1, v127
	v_pk_fma_f32 v[128:129], v[130:131], v[128:129], v[132:133] neg_lo:[0,0,1] neg_hi:[0,0,1]
	v_mov_b32_e32 v129, v135
	s_delay_alu instid0(VALU_DEP_3) | instskip(NEXT) | instid1(VALU_DEP_2)
	v_cmp_lt_u32_e32 vcc_lo, 25, v127
	v_pk_add_f32 v[122:123], v[122:123], v[128:129]
	s_or_b32 s3, vcc_lo, s3
	s_delay_alu instid0(SALU_CYCLE_1)
	s_and_not1_b32 exec_lo, exec_lo, s3
	s_cbranch_execnz .LBB58_847
; %bb.848:
	s_or_b32 exec_lo, exec_lo, s3
.LBB58_849:
	s_delay_alu instid0(SALU_CYCLE_1) | instskip(SKIP_4) | instid1(VALU_DEP_1)
	s_or_b32 exec_lo, exec_lo, s2
	v_mov_b32_e32 v125, 0
	ds_load_b64 v[126:127], v125 offset:216
	s_wait_dscnt 0x0
	v_pk_mul_f32 v[128:129], v[122:123], v[126:127] op_sel:[1,1] op_sel_hi:[0,1]
	v_pk_fma_f32 v[130:131], v[122:123], v[126:127], v[128:129] op_sel_hi:[1,0,1]
	v_pk_fma_f32 v[122:123], v[122:123], v[126:127], v[128:129] neg_lo:[0,0,1] neg_hi:[0,0,1]
	s_delay_alu instid0(VALU_DEP_2)
	v_mov_b32_e32 v123, v131
	scratch_store_b64 off, v[122:123], off offset:216
.LBB58_850:
	s_wait_xcnt 0x0
	s_or_b32 exec_lo, exec_lo, s0
	scratch_load_b64 v[122:123], off, off offset:224
	s_mov_b32 s0, exec_lo
	s_wait_loadcnt 0x0
	ds_store_b64 v1, v[122:123]
	s_wait_storecnt_dscnt 0x0
	s_barrier_signal -1
	s_barrier_wait -1
	s_wait_xcnt 0x0
	v_cmpx_gt_u32_e32 28, v0
	s_cbranch_execz .LBB58_860
; %bb.851:
	v_cmp_ne_u32_e32 vcc_lo, 1, v124
	s_cbranch_vccnz .LBB58_853
; %bb.852:
	scratch_load_b64 v[122:123], v59, off
	ds_load_b64 v[126:127], v1
	s_wait_loadcnt_dscnt 0x0
	v_pk_mul_f32 v[128:129], v[126:127], v[122:123] op_sel:[1,1] op_sel_hi:[0,1]
	s_delay_alu instid0(VALU_DEP_1) | instskip(SKIP_1) | instid1(VALU_DEP_2)
	v_pk_fma_f32 v[130:131], v[126:127], v[122:123], v[128:129] op_sel_hi:[1,0,1]
	v_pk_fma_f32 v[122:123], v[126:127], v[122:123], v[128:129] neg_lo:[0,0,1] neg_hi:[0,0,1]
	v_mov_b32_e32 v123, v131
	s_cbranch_execz .LBB58_854
	s_branch .LBB58_855
.LBB58_853:
                                        ; implicit-def: $vgpr122_vgpr123
.LBB58_854:
	ds_load_b64 v[122:123], v1
.LBB58_855:
	s_mov_b32 s2, exec_lo
	v_cmpx_ne_u32_e32 27, v0
	s_cbranch_execz .LBB58_859
; %bb.856:
	v_add_nc_u32_e32 v125, 0x1e8, v58
	v_add3_u32 v126, 0, v58, 8
	v_mov_b32_e32 v127, v0
	s_mov_b32 s3, 0
.LBB58_857:                             ; =>This Inner Loop Header: Depth=1
	scratch_load_b64 v[128:129], v126, off
	ds_load_b64 v[130:131], v125
	s_wait_xcnt 0x0
	v_dual_add_nc_u32 v125, 8, v125 :: v_dual_add_nc_u32 v126, 8, v126
	s_wait_loadcnt_dscnt 0x0
	v_pk_mul_f32 v[132:133], v[130:131], v[128:129] op_sel:[1,1] op_sel_hi:[0,1]
	s_delay_alu instid0(VALU_DEP_1) | instskip(SKIP_2) | instid1(VALU_DEP_3)
	v_pk_fma_f32 v[134:135], v[130:131], v[128:129], v[132:133] op_sel_hi:[1,0,1]
	v_add_nc_u32_e32 v127, 1, v127
	v_pk_fma_f32 v[128:129], v[130:131], v[128:129], v[132:133] neg_lo:[0,0,1] neg_hi:[0,0,1]
	v_mov_b32_e32 v129, v135
	s_delay_alu instid0(VALU_DEP_3) | instskip(NEXT) | instid1(VALU_DEP_2)
	v_cmp_lt_u32_e32 vcc_lo, 26, v127
	v_pk_add_f32 v[122:123], v[122:123], v[128:129]
	s_or_b32 s3, vcc_lo, s3
	s_delay_alu instid0(SALU_CYCLE_1)
	s_and_not1_b32 exec_lo, exec_lo, s3
	s_cbranch_execnz .LBB58_857
; %bb.858:
	s_or_b32 exec_lo, exec_lo, s3
.LBB58_859:
	s_delay_alu instid0(SALU_CYCLE_1) | instskip(SKIP_4) | instid1(VALU_DEP_1)
	s_or_b32 exec_lo, exec_lo, s2
	v_mov_b32_e32 v125, 0
	ds_load_b64 v[126:127], v125 offset:224
	s_wait_dscnt 0x0
	v_pk_mul_f32 v[128:129], v[122:123], v[126:127] op_sel:[1,1] op_sel_hi:[0,1]
	v_pk_fma_f32 v[130:131], v[122:123], v[126:127], v[128:129] op_sel_hi:[1,0,1]
	v_pk_fma_f32 v[122:123], v[122:123], v[126:127], v[128:129] neg_lo:[0,0,1] neg_hi:[0,0,1]
	s_delay_alu instid0(VALU_DEP_2)
	v_mov_b32_e32 v123, v131
	scratch_store_b64 off, v[122:123], off offset:224
.LBB58_860:
	s_wait_xcnt 0x0
	s_or_b32 exec_lo, exec_lo, s0
	scratch_load_b64 v[122:123], off, off offset:232
	s_mov_b32 s0, exec_lo
	s_wait_loadcnt 0x0
	ds_store_b64 v1, v[122:123]
	s_wait_storecnt_dscnt 0x0
	s_barrier_signal -1
	s_barrier_wait -1
	s_wait_xcnt 0x0
	v_cmpx_gt_u32_e32 29, v0
	s_cbranch_execz .LBB58_870
; %bb.861:
	v_cmp_ne_u32_e32 vcc_lo, 1, v124
	s_cbranch_vccnz .LBB58_863
; %bb.862:
	scratch_load_b64 v[122:123], v59, off
	ds_load_b64 v[126:127], v1
	s_wait_loadcnt_dscnt 0x0
	v_pk_mul_f32 v[128:129], v[126:127], v[122:123] op_sel:[1,1] op_sel_hi:[0,1]
	s_delay_alu instid0(VALU_DEP_1) | instskip(SKIP_1) | instid1(VALU_DEP_2)
	v_pk_fma_f32 v[130:131], v[126:127], v[122:123], v[128:129] op_sel_hi:[1,0,1]
	v_pk_fma_f32 v[122:123], v[126:127], v[122:123], v[128:129] neg_lo:[0,0,1] neg_hi:[0,0,1]
	v_mov_b32_e32 v123, v131
	s_cbranch_execz .LBB58_864
	s_branch .LBB58_865
.LBB58_863:
                                        ; implicit-def: $vgpr122_vgpr123
.LBB58_864:
	ds_load_b64 v[122:123], v1
.LBB58_865:
	s_mov_b32 s2, exec_lo
	v_cmpx_ne_u32_e32 28, v0
	s_cbranch_execz .LBB58_869
; %bb.866:
	v_add_nc_u32_e32 v125, 0x1e8, v58
	v_add3_u32 v126, 0, v58, 8
	v_mov_b32_e32 v127, v0
	s_mov_b32 s3, 0
.LBB58_867:                             ; =>This Inner Loop Header: Depth=1
	scratch_load_b64 v[128:129], v126, off
	ds_load_b64 v[130:131], v125
	s_wait_xcnt 0x0
	v_dual_add_nc_u32 v125, 8, v125 :: v_dual_add_nc_u32 v126, 8, v126
	s_wait_loadcnt_dscnt 0x0
	v_pk_mul_f32 v[132:133], v[130:131], v[128:129] op_sel:[1,1] op_sel_hi:[0,1]
	s_delay_alu instid0(VALU_DEP_1) | instskip(SKIP_2) | instid1(VALU_DEP_3)
	v_pk_fma_f32 v[134:135], v[130:131], v[128:129], v[132:133] op_sel_hi:[1,0,1]
	v_add_nc_u32_e32 v127, 1, v127
	v_pk_fma_f32 v[128:129], v[130:131], v[128:129], v[132:133] neg_lo:[0,0,1] neg_hi:[0,0,1]
	v_mov_b32_e32 v129, v135
	s_delay_alu instid0(VALU_DEP_3) | instskip(NEXT) | instid1(VALU_DEP_2)
	v_cmp_lt_u32_e32 vcc_lo, 27, v127
	v_pk_add_f32 v[122:123], v[122:123], v[128:129]
	s_or_b32 s3, vcc_lo, s3
	s_delay_alu instid0(SALU_CYCLE_1)
	s_and_not1_b32 exec_lo, exec_lo, s3
	s_cbranch_execnz .LBB58_867
; %bb.868:
	s_or_b32 exec_lo, exec_lo, s3
.LBB58_869:
	s_delay_alu instid0(SALU_CYCLE_1) | instskip(SKIP_4) | instid1(VALU_DEP_1)
	s_or_b32 exec_lo, exec_lo, s2
	v_mov_b32_e32 v125, 0
	ds_load_b64 v[126:127], v125 offset:232
	s_wait_dscnt 0x0
	v_pk_mul_f32 v[128:129], v[122:123], v[126:127] op_sel:[1,1] op_sel_hi:[0,1]
	v_pk_fma_f32 v[130:131], v[122:123], v[126:127], v[128:129] op_sel_hi:[1,0,1]
	v_pk_fma_f32 v[122:123], v[122:123], v[126:127], v[128:129] neg_lo:[0,0,1] neg_hi:[0,0,1]
	s_delay_alu instid0(VALU_DEP_2)
	v_mov_b32_e32 v123, v131
	scratch_store_b64 off, v[122:123], off offset:232
.LBB58_870:
	s_wait_xcnt 0x0
	s_or_b32 exec_lo, exec_lo, s0
	scratch_load_b64 v[122:123], off, off offset:240
	s_mov_b32 s0, exec_lo
	s_wait_loadcnt 0x0
	ds_store_b64 v1, v[122:123]
	s_wait_storecnt_dscnt 0x0
	s_barrier_signal -1
	s_barrier_wait -1
	s_wait_xcnt 0x0
	v_cmpx_gt_u32_e32 30, v0
	s_cbranch_execz .LBB58_880
; %bb.871:
	v_cmp_ne_u32_e32 vcc_lo, 1, v124
	s_cbranch_vccnz .LBB58_873
; %bb.872:
	scratch_load_b64 v[122:123], v59, off
	ds_load_b64 v[126:127], v1
	s_wait_loadcnt_dscnt 0x0
	v_pk_mul_f32 v[128:129], v[126:127], v[122:123] op_sel:[1,1] op_sel_hi:[0,1]
	s_delay_alu instid0(VALU_DEP_1) | instskip(SKIP_1) | instid1(VALU_DEP_2)
	v_pk_fma_f32 v[130:131], v[126:127], v[122:123], v[128:129] op_sel_hi:[1,0,1]
	v_pk_fma_f32 v[122:123], v[126:127], v[122:123], v[128:129] neg_lo:[0,0,1] neg_hi:[0,0,1]
	v_mov_b32_e32 v123, v131
	s_cbranch_execz .LBB58_874
	s_branch .LBB58_875
.LBB58_873:
                                        ; implicit-def: $vgpr122_vgpr123
.LBB58_874:
	ds_load_b64 v[122:123], v1
.LBB58_875:
	s_mov_b32 s2, exec_lo
	v_cmpx_ne_u32_e32 29, v0
	s_cbranch_execz .LBB58_879
; %bb.876:
	v_add_nc_u32_e32 v125, 0x1e8, v58
	v_add3_u32 v126, 0, v58, 8
	v_mov_b32_e32 v127, v0
	s_mov_b32 s3, 0
.LBB58_877:                             ; =>This Inner Loop Header: Depth=1
	scratch_load_b64 v[128:129], v126, off
	ds_load_b64 v[130:131], v125
	s_wait_xcnt 0x0
	v_dual_add_nc_u32 v125, 8, v125 :: v_dual_add_nc_u32 v126, 8, v126
	s_wait_loadcnt_dscnt 0x0
	v_pk_mul_f32 v[132:133], v[130:131], v[128:129] op_sel:[1,1] op_sel_hi:[0,1]
	s_delay_alu instid0(VALU_DEP_1) | instskip(SKIP_2) | instid1(VALU_DEP_3)
	v_pk_fma_f32 v[134:135], v[130:131], v[128:129], v[132:133] op_sel_hi:[1,0,1]
	v_add_nc_u32_e32 v127, 1, v127
	v_pk_fma_f32 v[128:129], v[130:131], v[128:129], v[132:133] neg_lo:[0,0,1] neg_hi:[0,0,1]
	v_mov_b32_e32 v129, v135
	s_delay_alu instid0(VALU_DEP_3) | instskip(NEXT) | instid1(VALU_DEP_2)
	v_cmp_lt_u32_e32 vcc_lo, 28, v127
	v_pk_add_f32 v[122:123], v[122:123], v[128:129]
	s_or_b32 s3, vcc_lo, s3
	s_delay_alu instid0(SALU_CYCLE_1)
	s_and_not1_b32 exec_lo, exec_lo, s3
	s_cbranch_execnz .LBB58_877
; %bb.878:
	s_or_b32 exec_lo, exec_lo, s3
.LBB58_879:
	s_delay_alu instid0(SALU_CYCLE_1) | instskip(SKIP_4) | instid1(VALU_DEP_1)
	s_or_b32 exec_lo, exec_lo, s2
	v_mov_b32_e32 v125, 0
	ds_load_b64 v[126:127], v125 offset:240
	s_wait_dscnt 0x0
	v_pk_mul_f32 v[128:129], v[122:123], v[126:127] op_sel:[1,1] op_sel_hi:[0,1]
	v_pk_fma_f32 v[130:131], v[122:123], v[126:127], v[128:129] op_sel_hi:[1,0,1]
	v_pk_fma_f32 v[122:123], v[122:123], v[126:127], v[128:129] neg_lo:[0,0,1] neg_hi:[0,0,1]
	s_delay_alu instid0(VALU_DEP_2)
	v_mov_b32_e32 v123, v131
	scratch_store_b64 off, v[122:123], off offset:240
.LBB58_880:
	s_wait_xcnt 0x0
	s_or_b32 exec_lo, exec_lo, s0
	scratch_load_b64 v[122:123], off, off offset:248
	s_mov_b32 s0, exec_lo
	s_wait_loadcnt 0x0
	ds_store_b64 v1, v[122:123]
	s_wait_storecnt_dscnt 0x0
	s_barrier_signal -1
	s_barrier_wait -1
	s_wait_xcnt 0x0
	v_cmpx_gt_u32_e32 31, v0
	s_cbranch_execz .LBB58_890
; %bb.881:
	v_cmp_ne_u32_e32 vcc_lo, 1, v124
	s_cbranch_vccnz .LBB58_883
; %bb.882:
	scratch_load_b64 v[122:123], v59, off
	ds_load_b64 v[126:127], v1
	s_wait_loadcnt_dscnt 0x0
	v_pk_mul_f32 v[128:129], v[126:127], v[122:123] op_sel:[1,1] op_sel_hi:[0,1]
	s_delay_alu instid0(VALU_DEP_1) | instskip(SKIP_1) | instid1(VALU_DEP_2)
	v_pk_fma_f32 v[130:131], v[126:127], v[122:123], v[128:129] op_sel_hi:[1,0,1]
	v_pk_fma_f32 v[122:123], v[126:127], v[122:123], v[128:129] neg_lo:[0,0,1] neg_hi:[0,0,1]
	v_mov_b32_e32 v123, v131
	s_cbranch_execz .LBB58_884
	s_branch .LBB58_885
.LBB58_883:
                                        ; implicit-def: $vgpr122_vgpr123
.LBB58_884:
	ds_load_b64 v[122:123], v1
.LBB58_885:
	s_mov_b32 s2, exec_lo
	v_cmpx_ne_u32_e32 30, v0
	s_cbranch_execz .LBB58_889
; %bb.886:
	v_add_nc_u32_e32 v125, 0x1e8, v58
	v_add3_u32 v126, 0, v58, 8
	v_mov_b32_e32 v127, v0
	s_mov_b32 s3, 0
.LBB58_887:                             ; =>This Inner Loop Header: Depth=1
	scratch_load_b64 v[128:129], v126, off
	ds_load_b64 v[130:131], v125
	s_wait_xcnt 0x0
	v_dual_add_nc_u32 v125, 8, v125 :: v_dual_add_nc_u32 v126, 8, v126
	s_wait_loadcnt_dscnt 0x0
	v_pk_mul_f32 v[132:133], v[130:131], v[128:129] op_sel:[1,1] op_sel_hi:[0,1]
	s_delay_alu instid0(VALU_DEP_1) | instskip(SKIP_2) | instid1(VALU_DEP_3)
	v_pk_fma_f32 v[134:135], v[130:131], v[128:129], v[132:133] op_sel_hi:[1,0,1]
	v_add_nc_u32_e32 v127, 1, v127
	v_pk_fma_f32 v[128:129], v[130:131], v[128:129], v[132:133] neg_lo:[0,0,1] neg_hi:[0,0,1]
	v_mov_b32_e32 v129, v135
	s_delay_alu instid0(VALU_DEP_3) | instskip(NEXT) | instid1(VALU_DEP_2)
	v_cmp_lt_u32_e32 vcc_lo, 29, v127
	v_pk_add_f32 v[122:123], v[122:123], v[128:129]
	s_or_b32 s3, vcc_lo, s3
	s_delay_alu instid0(SALU_CYCLE_1)
	s_and_not1_b32 exec_lo, exec_lo, s3
	s_cbranch_execnz .LBB58_887
; %bb.888:
	s_or_b32 exec_lo, exec_lo, s3
.LBB58_889:
	s_delay_alu instid0(SALU_CYCLE_1) | instskip(SKIP_4) | instid1(VALU_DEP_1)
	s_or_b32 exec_lo, exec_lo, s2
	v_mov_b32_e32 v125, 0
	ds_load_b64 v[126:127], v125 offset:248
	s_wait_dscnt 0x0
	v_pk_mul_f32 v[128:129], v[122:123], v[126:127] op_sel:[1,1] op_sel_hi:[0,1]
	v_pk_fma_f32 v[130:131], v[122:123], v[126:127], v[128:129] op_sel_hi:[1,0,1]
	v_pk_fma_f32 v[122:123], v[122:123], v[126:127], v[128:129] neg_lo:[0,0,1] neg_hi:[0,0,1]
	s_delay_alu instid0(VALU_DEP_2)
	v_mov_b32_e32 v123, v131
	scratch_store_b64 off, v[122:123], off offset:248
.LBB58_890:
	s_wait_xcnt 0x0
	s_or_b32 exec_lo, exec_lo, s0
	scratch_load_b64 v[122:123], off, off offset:256
	s_mov_b32 s0, exec_lo
	s_wait_loadcnt 0x0
	ds_store_b64 v1, v[122:123]
	s_wait_storecnt_dscnt 0x0
	s_barrier_signal -1
	s_barrier_wait -1
	s_wait_xcnt 0x0
	v_cmpx_gt_u32_e32 32, v0
	s_cbranch_execz .LBB58_900
; %bb.891:
	v_cmp_ne_u32_e32 vcc_lo, 1, v124
	s_cbranch_vccnz .LBB58_893
; %bb.892:
	scratch_load_b64 v[122:123], v59, off
	ds_load_b64 v[126:127], v1
	s_wait_loadcnt_dscnt 0x0
	v_pk_mul_f32 v[128:129], v[126:127], v[122:123] op_sel:[1,1] op_sel_hi:[0,1]
	s_delay_alu instid0(VALU_DEP_1) | instskip(SKIP_1) | instid1(VALU_DEP_2)
	v_pk_fma_f32 v[130:131], v[126:127], v[122:123], v[128:129] op_sel_hi:[1,0,1]
	v_pk_fma_f32 v[122:123], v[126:127], v[122:123], v[128:129] neg_lo:[0,0,1] neg_hi:[0,0,1]
	v_mov_b32_e32 v123, v131
	s_cbranch_execz .LBB58_894
	s_branch .LBB58_895
.LBB58_893:
                                        ; implicit-def: $vgpr122_vgpr123
.LBB58_894:
	ds_load_b64 v[122:123], v1
.LBB58_895:
	s_mov_b32 s2, exec_lo
	v_cmpx_ne_u32_e32 31, v0
	s_cbranch_execz .LBB58_899
; %bb.896:
	v_add_nc_u32_e32 v125, 0x1e8, v58
	v_add3_u32 v126, 0, v58, 8
	v_mov_b32_e32 v127, v0
	s_mov_b32 s3, 0
.LBB58_897:                             ; =>This Inner Loop Header: Depth=1
	scratch_load_b64 v[128:129], v126, off
	ds_load_b64 v[130:131], v125
	s_wait_xcnt 0x0
	v_dual_add_nc_u32 v125, 8, v125 :: v_dual_add_nc_u32 v126, 8, v126
	s_wait_loadcnt_dscnt 0x0
	v_pk_mul_f32 v[132:133], v[130:131], v[128:129] op_sel:[1,1] op_sel_hi:[0,1]
	s_delay_alu instid0(VALU_DEP_1) | instskip(SKIP_2) | instid1(VALU_DEP_3)
	v_pk_fma_f32 v[134:135], v[130:131], v[128:129], v[132:133] op_sel_hi:[1,0,1]
	v_add_nc_u32_e32 v127, 1, v127
	v_pk_fma_f32 v[128:129], v[130:131], v[128:129], v[132:133] neg_lo:[0,0,1] neg_hi:[0,0,1]
	v_mov_b32_e32 v129, v135
	s_delay_alu instid0(VALU_DEP_3) | instskip(NEXT) | instid1(VALU_DEP_2)
	v_cmp_lt_u32_e32 vcc_lo, 30, v127
	v_pk_add_f32 v[122:123], v[122:123], v[128:129]
	s_or_b32 s3, vcc_lo, s3
	s_delay_alu instid0(SALU_CYCLE_1)
	s_and_not1_b32 exec_lo, exec_lo, s3
	s_cbranch_execnz .LBB58_897
; %bb.898:
	s_or_b32 exec_lo, exec_lo, s3
.LBB58_899:
	s_delay_alu instid0(SALU_CYCLE_1) | instskip(SKIP_4) | instid1(VALU_DEP_1)
	s_or_b32 exec_lo, exec_lo, s2
	v_mov_b32_e32 v125, 0
	ds_load_b64 v[126:127], v125 offset:256
	s_wait_dscnt 0x0
	v_pk_mul_f32 v[128:129], v[122:123], v[126:127] op_sel:[1,1] op_sel_hi:[0,1]
	v_pk_fma_f32 v[130:131], v[122:123], v[126:127], v[128:129] op_sel_hi:[1,0,1]
	v_pk_fma_f32 v[122:123], v[122:123], v[126:127], v[128:129] neg_lo:[0,0,1] neg_hi:[0,0,1]
	s_delay_alu instid0(VALU_DEP_2)
	v_mov_b32_e32 v123, v131
	scratch_store_b64 off, v[122:123], off offset:256
.LBB58_900:
	s_wait_xcnt 0x0
	s_or_b32 exec_lo, exec_lo, s0
	scratch_load_b64 v[122:123], off, off offset:264
	s_mov_b32 s0, exec_lo
	s_wait_loadcnt 0x0
	ds_store_b64 v1, v[122:123]
	s_wait_storecnt_dscnt 0x0
	s_barrier_signal -1
	s_barrier_wait -1
	s_wait_xcnt 0x0
	v_cmpx_gt_u32_e32 33, v0
	s_cbranch_execz .LBB58_910
; %bb.901:
	v_cmp_ne_u32_e32 vcc_lo, 1, v124
	s_cbranch_vccnz .LBB58_903
; %bb.902:
	scratch_load_b64 v[122:123], v59, off
	ds_load_b64 v[126:127], v1
	s_wait_loadcnt_dscnt 0x0
	v_pk_mul_f32 v[128:129], v[126:127], v[122:123] op_sel:[1,1] op_sel_hi:[0,1]
	s_delay_alu instid0(VALU_DEP_1) | instskip(SKIP_1) | instid1(VALU_DEP_2)
	v_pk_fma_f32 v[130:131], v[126:127], v[122:123], v[128:129] op_sel_hi:[1,0,1]
	v_pk_fma_f32 v[122:123], v[126:127], v[122:123], v[128:129] neg_lo:[0,0,1] neg_hi:[0,0,1]
	v_mov_b32_e32 v123, v131
	s_cbranch_execz .LBB58_904
	s_branch .LBB58_905
.LBB58_903:
                                        ; implicit-def: $vgpr122_vgpr123
.LBB58_904:
	ds_load_b64 v[122:123], v1
.LBB58_905:
	s_mov_b32 s2, exec_lo
	v_cmpx_ne_u32_e32 32, v0
	s_cbranch_execz .LBB58_909
; %bb.906:
	v_add_nc_u32_e32 v125, 0x1e8, v58
	v_add3_u32 v126, 0, v58, 8
	v_mov_b32_e32 v127, v0
	s_mov_b32 s3, 0
.LBB58_907:                             ; =>This Inner Loop Header: Depth=1
	scratch_load_b64 v[128:129], v126, off
	ds_load_b64 v[130:131], v125
	s_wait_xcnt 0x0
	v_dual_add_nc_u32 v125, 8, v125 :: v_dual_add_nc_u32 v126, 8, v126
	s_wait_loadcnt_dscnt 0x0
	v_pk_mul_f32 v[132:133], v[130:131], v[128:129] op_sel:[1,1] op_sel_hi:[0,1]
	s_delay_alu instid0(VALU_DEP_1) | instskip(SKIP_2) | instid1(VALU_DEP_3)
	v_pk_fma_f32 v[134:135], v[130:131], v[128:129], v[132:133] op_sel_hi:[1,0,1]
	v_add_nc_u32_e32 v127, 1, v127
	v_pk_fma_f32 v[128:129], v[130:131], v[128:129], v[132:133] neg_lo:[0,0,1] neg_hi:[0,0,1]
	v_mov_b32_e32 v129, v135
	s_delay_alu instid0(VALU_DEP_3) | instskip(NEXT) | instid1(VALU_DEP_2)
	v_cmp_lt_u32_e32 vcc_lo, 31, v127
	v_pk_add_f32 v[122:123], v[122:123], v[128:129]
	s_or_b32 s3, vcc_lo, s3
	s_delay_alu instid0(SALU_CYCLE_1)
	s_and_not1_b32 exec_lo, exec_lo, s3
	s_cbranch_execnz .LBB58_907
; %bb.908:
	s_or_b32 exec_lo, exec_lo, s3
.LBB58_909:
	s_delay_alu instid0(SALU_CYCLE_1) | instskip(SKIP_4) | instid1(VALU_DEP_1)
	s_or_b32 exec_lo, exec_lo, s2
	v_mov_b32_e32 v125, 0
	ds_load_b64 v[126:127], v125 offset:264
	s_wait_dscnt 0x0
	v_pk_mul_f32 v[128:129], v[122:123], v[126:127] op_sel:[1,1] op_sel_hi:[0,1]
	v_pk_fma_f32 v[130:131], v[122:123], v[126:127], v[128:129] op_sel_hi:[1,0,1]
	v_pk_fma_f32 v[122:123], v[122:123], v[126:127], v[128:129] neg_lo:[0,0,1] neg_hi:[0,0,1]
	s_delay_alu instid0(VALU_DEP_2)
	v_mov_b32_e32 v123, v131
	scratch_store_b64 off, v[122:123], off offset:264
.LBB58_910:
	s_wait_xcnt 0x0
	s_or_b32 exec_lo, exec_lo, s0
	scratch_load_b64 v[122:123], off, off offset:272
	s_mov_b32 s0, exec_lo
	s_wait_loadcnt 0x0
	ds_store_b64 v1, v[122:123]
	s_wait_storecnt_dscnt 0x0
	s_barrier_signal -1
	s_barrier_wait -1
	s_wait_xcnt 0x0
	v_cmpx_gt_u32_e32 34, v0
	s_cbranch_execz .LBB58_920
; %bb.911:
	v_cmp_ne_u32_e32 vcc_lo, 1, v124
	s_cbranch_vccnz .LBB58_913
; %bb.912:
	scratch_load_b64 v[122:123], v59, off
	ds_load_b64 v[126:127], v1
	s_wait_loadcnt_dscnt 0x0
	v_pk_mul_f32 v[128:129], v[126:127], v[122:123] op_sel:[1,1] op_sel_hi:[0,1]
	s_delay_alu instid0(VALU_DEP_1) | instskip(SKIP_1) | instid1(VALU_DEP_2)
	v_pk_fma_f32 v[130:131], v[126:127], v[122:123], v[128:129] op_sel_hi:[1,0,1]
	v_pk_fma_f32 v[122:123], v[126:127], v[122:123], v[128:129] neg_lo:[0,0,1] neg_hi:[0,0,1]
	v_mov_b32_e32 v123, v131
	s_cbranch_execz .LBB58_914
	s_branch .LBB58_915
.LBB58_913:
                                        ; implicit-def: $vgpr122_vgpr123
.LBB58_914:
	ds_load_b64 v[122:123], v1
.LBB58_915:
	s_mov_b32 s2, exec_lo
	v_cmpx_ne_u32_e32 33, v0
	s_cbranch_execz .LBB58_919
; %bb.916:
	v_add_nc_u32_e32 v125, 0x1e8, v58
	v_add3_u32 v126, 0, v58, 8
	v_mov_b32_e32 v127, v0
	s_mov_b32 s3, 0
.LBB58_917:                             ; =>This Inner Loop Header: Depth=1
	scratch_load_b64 v[128:129], v126, off
	ds_load_b64 v[130:131], v125
	s_wait_xcnt 0x0
	v_dual_add_nc_u32 v125, 8, v125 :: v_dual_add_nc_u32 v126, 8, v126
	s_wait_loadcnt_dscnt 0x0
	v_pk_mul_f32 v[132:133], v[130:131], v[128:129] op_sel:[1,1] op_sel_hi:[0,1]
	s_delay_alu instid0(VALU_DEP_1) | instskip(SKIP_2) | instid1(VALU_DEP_3)
	v_pk_fma_f32 v[134:135], v[130:131], v[128:129], v[132:133] op_sel_hi:[1,0,1]
	v_add_nc_u32_e32 v127, 1, v127
	v_pk_fma_f32 v[128:129], v[130:131], v[128:129], v[132:133] neg_lo:[0,0,1] neg_hi:[0,0,1]
	v_mov_b32_e32 v129, v135
	s_delay_alu instid0(VALU_DEP_3) | instskip(NEXT) | instid1(VALU_DEP_2)
	v_cmp_lt_u32_e32 vcc_lo, 32, v127
	v_pk_add_f32 v[122:123], v[122:123], v[128:129]
	s_or_b32 s3, vcc_lo, s3
	s_delay_alu instid0(SALU_CYCLE_1)
	s_and_not1_b32 exec_lo, exec_lo, s3
	s_cbranch_execnz .LBB58_917
; %bb.918:
	s_or_b32 exec_lo, exec_lo, s3
.LBB58_919:
	s_delay_alu instid0(SALU_CYCLE_1) | instskip(SKIP_4) | instid1(VALU_DEP_1)
	s_or_b32 exec_lo, exec_lo, s2
	v_mov_b32_e32 v125, 0
	ds_load_b64 v[126:127], v125 offset:272
	s_wait_dscnt 0x0
	v_pk_mul_f32 v[128:129], v[122:123], v[126:127] op_sel:[1,1] op_sel_hi:[0,1]
	v_pk_fma_f32 v[130:131], v[122:123], v[126:127], v[128:129] op_sel_hi:[1,0,1]
	v_pk_fma_f32 v[122:123], v[122:123], v[126:127], v[128:129] neg_lo:[0,0,1] neg_hi:[0,0,1]
	s_delay_alu instid0(VALU_DEP_2)
	v_mov_b32_e32 v123, v131
	scratch_store_b64 off, v[122:123], off offset:272
.LBB58_920:
	s_wait_xcnt 0x0
	s_or_b32 exec_lo, exec_lo, s0
	scratch_load_b64 v[122:123], off, off offset:280
	s_mov_b32 s0, exec_lo
	s_wait_loadcnt 0x0
	ds_store_b64 v1, v[122:123]
	s_wait_storecnt_dscnt 0x0
	s_barrier_signal -1
	s_barrier_wait -1
	s_wait_xcnt 0x0
	v_cmpx_gt_u32_e32 35, v0
	s_cbranch_execz .LBB58_930
; %bb.921:
	v_cmp_ne_u32_e32 vcc_lo, 1, v124
	s_cbranch_vccnz .LBB58_923
; %bb.922:
	scratch_load_b64 v[122:123], v59, off
	ds_load_b64 v[126:127], v1
	s_wait_loadcnt_dscnt 0x0
	v_pk_mul_f32 v[128:129], v[126:127], v[122:123] op_sel:[1,1] op_sel_hi:[0,1]
	s_delay_alu instid0(VALU_DEP_1) | instskip(SKIP_1) | instid1(VALU_DEP_2)
	v_pk_fma_f32 v[130:131], v[126:127], v[122:123], v[128:129] op_sel_hi:[1,0,1]
	v_pk_fma_f32 v[122:123], v[126:127], v[122:123], v[128:129] neg_lo:[0,0,1] neg_hi:[0,0,1]
	v_mov_b32_e32 v123, v131
	s_cbranch_execz .LBB58_924
	s_branch .LBB58_925
.LBB58_923:
                                        ; implicit-def: $vgpr122_vgpr123
.LBB58_924:
	ds_load_b64 v[122:123], v1
.LBB58_925:
	s_mov_b32 s2, exec_lo
	v_cmpx_ne_u32_e32 34, v0
	s_cbranch_execz .LBB58_929
; %bb.926:
	v_add_nc_u32_e32 v125, 0x1e8, v58
	v_add3_u32 v126, 0, v58, 8
	v_mov_b32_e32 v127, v0
	s_mov_b32 s3, 0
.LBB58_927:                             ; =>This Inner Loop Header: Depth=1
	scratch_load_b64 v[128:129], v126, off
	ds_load_b64 v[130:131], v125
	s_wait_xcnt 0x0
	v_dual_add_nc_u32 v125, 8, v125 :: v_dual_add_nc_u32 v126, 8, v126
	s_wait_loadcnt_dscnt 0x0
	v_pk_mul_f32 v[132:133], v[130:131], v[128:129] op_sel:[1,1] op_sel_hi:[0,1]
	s_delay_alu instid0(VALU_DEP_1) | instskip(SKIP_2) | instid1(VALU_DEP_3)
	v_pk_fma_f32 v[134:135], v[130:131], v[128:129], v[132:133] op_sel_hi:[1,0,1]
	v_add_nc_u32_e32 v127, 1, v127
	v_pk_fma_f32 v[128:129], v[130:131], v[128:129], v[132:133] neg_lo:[0,0,1] neg_hi:[0,0,1]
	v_mov_b32_e32 v129, v135
	s_delay_alu instid0(VALU_DEP_3) | instskip(NEXT) | instid1(VALU_DEP_2)
	v_cmp_lt_u32_e32 vcc_lo, 33, v127
	v_pk_add_f32 v[122:123], v[122:123], v[128:129]
	s_or_b32 s3, vcc_lo, s3
	s_delay_alu instid0(SALU_CYCLE_1)
	s_and_not1_b32 exec_lo, exec_lo, s3
	s_cbranch_execnz .LBB58_927
; %bb.928:
	s_or_b32 exec_lo, exec_lo, s3
.LBB58_929:
	s_delay_alu instid0(SALU_CYCLE_1) | instskip(SKIP_4) | instid1(VALU_DEP_1)
	s_or_b32 exec_lo, exec_lo, s2
	v_mov_b32_e32 v125, 0
	ds_load_b64 v[126:127], v125 offset:280
	s_wait_dscnt 0x0
	v_pk_mul_f32 v[128:129], v[122:123], v[126:127] op_sel:[1,1] op_sel_hi:[0,1]
	v_pk_fma_f32 v[130:131], v[122:123], v[126:127], v[128:129] op_sel_hi:[1,0,1]
	v_pk_fma_f32 v[122:123], v[122:123], v[126:127], v[128:129] neg_lo:[0,0,1] neg_hi:[0,0,1]
	s_delay_alu instid0(VALU_DEP_2)
	v_mov_b32_e32 v123, v131
	scratch_store_b64 off, v[122:123], off offset:280
.LBB58_930:
	s_wait_xcnt 0x0
	s_or_b32 exec_lo, exec_lo, s0
	scratch_load_b64 v[122:123], off, off offset:288
	s_mov_b32 s0, exec_lo
	s_wait_loadcnt 0x0
	ds_store_b64 v1, v[122:123]
	s_wait_storecnt_dscnt 0x0
	s_barrier_signal -1
	s_barrier_wait -1
	s_wait_xcnt 0x0
	v_cmpx_gt_u32_e32 36, v0
	s_cbranch_execz .LBB58_940
; %bb.931:
	v_cmp_ne_u32_e32 vcc_lo, 1, v124
	s_cbranch_vccnz .LBB58_933
; %bb.932:
	scratch_load_b64 v[122:123], v59, off
	ds_load_b64 v[126:127], v1
	s_wait_loadcnt_dscnt 0x0
	v_pk_mul_f32 v[128:129], v[126:127], v[122:123] op_sel:[1,1] op_sel_hi:[0,1]
	s_delay_alu instid0(VALU_DEP_1) | instskip(SKIP_1) | instid1(VALU_DEP_2)
	v_pk_fma_f32 v[130:131], v[126:127], v[122:123], v[128:129] op_sel_hi:[1,0,1]
	v_pk_fma_f32 v[122:123], v[126:127], v[122:123], v[128:129] neg_lo:[0,0,1] neg_hi:[0,0,1]
	v_mov_b32_e32 v123, v131
	s_cbranch_execz .LBB58_934
	s_branch .LBB58_935
.LBB58_933:
                                        ; implicit-def: $vgpr122_vgpr123
.LBB58_934:
	ds_load_b64 v[122:123], v1
.LBB58_935:
	s_mov_b32 s2, exec_lo
	v_cmpx_ne_u32_e32 35, v0
	s_cbranch_execz .LBB58_939
; %bb.936:
	v_add_nc_u32_e32 v125, 0x1e8, v58
	v_add3_u32 v126, 0, v58, 8
	v_mov_b32_e32 v127, v0
	s_mov_b32 s3, 0
.LBB58_937:                             ; =>This Inner Loop Header: Depth=1
	scratch_load_b64 v[128:129], v126, off
	ds_load_b64 v[130:131], v125
	s_wait_xcnt 0x0
	v_dual_add_nc_u32 v125, 8, v125 :: v_dual_add_nc_u32 v126, 8, v126
	s_wait_loadcnt_dscnt 0x0
	v_pk_mul_f32 v[132:133], v[130:131], v[128:129] op_sel:[1,1] op_sel_hi:[0,1]
	s_delay_alu instid0(VALU_DEP_1) | instskip(SKIP_2) | instid1(VALU_DEP_3)
	v_pk_fma_f32 v[134:135], v[130:131], v[128:129], v[132:133] op_sel_hi:[1,0,1]
	v_add_nc_u32_e32 v127, 1, v127
	v_pk_fma_f32 v[128:129], v[130:131], v[128:129], v[132:133] neg_lo:[0,0,1] neg_hi:[0,0,1]
	v_mov_b32_e32 v129, v135
	s_delay_alu instid0(VALU_DEP_3) | instskip(NEXT) | instid1(VALU_DEP_2)
	v_cmp_lt_u32_e32 vcc_lo, 34, v127
	v_pk_add_f32 v[122:123], v[122:123], v[128:129]
	s_or_b32 s3, vcc_lo, s3
	s_delay_alu instid0(SALU_CYCLE_1)
	s_and_not1_b32 exec_lo, exec_lo, s3
	s_cbranch_execnz .LBB58_937
; %bb.938:
	s_or_b32 exec_lo, exec_lo, s3
.LBB58_939:
	s_delay_alu instid0(SALU_CYCLE_1) | instskip(SKIP_4) | instid1(VALU_DEP_1)
	s_or_b32 exec_lo, exec_lo, s2
	v_mov_b32_e32 v125, 0
	ds_load_b64 v[126:127], v125 offset:288
	s_wait_dscnt 0x0
	v_pk_mul_f32 v[128:129], v[122:123], v[126:127] op_sel:[1,1] op_sel_hi:[0,1]
	v_pk_fma_f32 v[130:131], v[122:123], v[126:127], v[128:129] op_sel_hi:[1,0,1]
	v_pk_fma_f32 v[122:123], v[122:123], v[126:127], v[128:129] neg_lo:[0,0,1] neg_hi:[0,0,1]
	s_delay_alu instid0(VALU_DEP_2)
	v_mov_b32_e32 v123, v131
	scratch_store_b64 off, v[122:123], off offset:288
.LBB58_940:
	s_wait_xcnt 0x0
	s_or_b32 exec_lo, exec_lo, s0
	scratch_load_b64 v[122:123], off, off offset:296
	s_mov_b32 s0, exec_lo
	s_wait_loadcnt 0x0
	ds_store_b64 v1, v[122:123]
	s_wait_storecnt_dscnt 0x0
	s_barrier_signal -1
	s_barrier_wait -1
	s_wait_xcnt 0x0
	v_cmpx_gt_u32_e32 37, v0
	s_cbranch_execz .LBB58_950
; %bb.941:
	v_cmp_ne_u32_e32 vcc_lo, 1, v124
	s_cbranch_vccnz .LBB58_943
; %bb.942:
	scratch_load_b64 v[122:123], v59, off
	ds_load_b64 v[126:127], v1
	s_wait_loadcnt_dscnt 0x0
	v_pk_mul_f32 v[128:129], v[126:127], v[122:123] op_sel:[1,1] op_sel_hi:[0,1]
	s_delay_alu instid0(VALU_DEP_1) | instskip(SKIP_1) | instid1(VALU_DEP_2)
	v_pk_fma_f32 v[130:131], v[126:127], v[122:123], v[128:129] op_sel_hi:[1,0,1]
	v_pk_fma_f32 v[122:123], v[126:127], v[122:123], v[128:129] neg_lo:[0,0,1] neg_hi:[0,0,1]
	v_mov_b32_e32 v123, v131
	s_cbranch_execz .LBB58_944
	s_branch .LBB58_945
.LBB58_943:
                                        ; implicit-def: $vgpr122_vgpr123
.LBB58_944:
	ds_load_b64 v[122:123], v1
.LBB58_945:
	s_mov_b32 s2, exec_lo
	v_cmpx_ne_u32_e32 36, v0
	s_cbranch_execz .LBB58_949
; %bb.946:
	v_add_nc_u32_e32 v125, 0x1e8, v58
	v_add3_u32 v126, 0, v58, 8
	v_mov_b32_e32 v127, v0
	s_mov_b32 s3, 0
.LBB58_947:                             ; =>This Inner Loop Header: Depth=1
	scratch_load_b64 v[128:129], v126, off
	ds_load_b64 v[130:131], v125
	s_wait_xcnt 0x0
	v_dual_add_nc_u32 v125, 8, v125 :: v_dual_add_nc_u32 v126, 8, v126
	s_wait_loadcnt_dscnt 0x0
	v_pk_mul_f32 v[132:133], v[130:131], v[128:129] op_sel:[1,1] op_sel_hi:[0,1]
	s_delay_alu instid0(VALU_DEP_1) | instskip(SKIP_2) | instid1(VALU_DEP_3)
	v_pk_fma_f32 v[134:135], v[130:131], v[128:129], v[132:133] op_sel_hi:[1,0,1]
	v_add_nc_u32_e32 v127, 1, v127
	v_pk_fma_f32 v[128:129], v[130:131], v[128:129], v[132:133] neg_lo:[0,0,1] neg_hi:[0,0,1]
	v_mov_b32_e32 v129, v135
	s_delay_alu instid0(VALU_DEP_3) | instskip(NEXT) | instid1(VALU_DEP_2)
	v_cmp_lt_u32_e32 vcc_lo, 35, v127
	v_pk_add_f32 v[122:123], v[122:123], v[128:129]
	s_or_b32 s3, vcc_lo, s3
	s_delay_alu instid0(SALU_CYCLE_1)
	s_and_not1_b32 exec_lo, exec_lo, s3
	s_cbranch_execnz .LBB58_947
; %bb.948:
	s_or_b32 exec_lo, exec_lo, s3
.LBB58_949:
	s_delay_alu instid0(SALU_CYCLE_1) | instskip(SKIP_4) | instid1(VALU_DEP_1)
	s_or_b32 exec_lo, exec_lo, s2
	v_mov_b32_e32 v125, 0
	ds_load_b64 v[126:127], v125 offset:296
	s_wait_dscnt 0x0
	v_pk_mul_f32 v[128:129], v[122:123], v[126:127] op_sel:[1,1] op_sel_hi:[0,1]
	v_pk_fma_f32 v[130:131], v[122:123], v[126:127], v[128:129] op_sel_hi:[1,0,1]
	v_pk_fma_f32 v[122:123], v[122:123], v[126:127], v[128:129] neg_lo:[0,0,1] neg_hi:[0,0,1]
	s_delay_alu instid0(VALU_DEP_2)
	v_mov_b32_e32 v123, v131
	scratch_store_b64 off, v[122:123], off offset:296
.LBB58_950:
	s_wait_xcnt 0x0
	s_or_b32 exec_lo, exec_lo, s0
	scratch_load_b64 v[122:123], off, off offset:304
	s_mov_b32 s0, exec_lo
	s_wait_loadcnt 0x0
	ds_store_b64 v1, v[122:123]
	s_wait_storecnt_dscnt 0x0
	s_barrier_signal -1
	s_barrier_wait -1
	s_wait_xcnt 0x0
	v_cmpx_gt_u32_e32 38, v0
	s_cbranch_execz .LBB58_960
; %bb.951:
	v_cmp_ne_u32_e32 vcc_lo, 1, v124
	s_cbranch_vccnz .LBB58_953
; %bb.952:
	scratch_load_b64 v[122:123], v59, off
	ds_load_b64 v[126:127], v1
	s_wait_loadcnt_dscnt 0x0
	v_pk_mul_f32 v[128:129], v[126:127], v[122:123] op_sel:[1,1] op_sel_hi:[0,1]
	s_delay_alu instid0(VALU_DEP_1) | instskip(SKIP_1) | instid1(VALU_DEP_2)
	v_pk_fma_f32 v[130:131], v[126:127], v[122:123], v[128:129] op_sel_hi:[1,0,1]
	v_pk_fma_f32 v[122:123], v[126:127], v[122:123], v[128:129] neg_lo:[0,0,1] neg_hi:[0,0,1]
	v_mov_b32_e32 v123, v131
	s_cbranch_execz .LBB58_954
	s_branch .LBB58_955
.LBB58_953:
                                        ; implicit-def: $vgpr122_vgpr123
.LBB58_954:
	ds_load_b64 v[122:123], v1
.LBB58_955:
	s_mov_b32 s2, exec_lo
	v_cmpx_ne_u32_e32 37, v0
	s_cbranch_execz .LBB58_959
; %bb.956:
	v_add_nc_u32_e32 v125, 0x1e8, v58
	v_add3_u32 v126, 0, v58, 8
	v_mov_b32_e32 v127, v0
	s_mov_b32 s3, 0
.LBB58_957:                             ; =>This Inner Loop Header: Depth=1
	scratch_load_b64 v[128:129], v126, off
	ds_load_b64 v[130:131], v125
	s_wait_xcnt 0x0
	v_dual_add_nc_u32 v125, 8, v125 :: v_dual_add_nc_u32 v126, 8, v126
	s_wait_loadcnt_dscnt 0x0
	v_pk_mul_f32 v[132:133], v[130:131], v[128:129] op_sel:[1,1] op_sel_hi:[0,1]
	s_delay_alu instid0(VALU_DEP_1) | instskip(SKIP_2) | instid1(VALU_DEP_3)
	v_pk_fma_f32 v[134:135], v[130:131], v[128:129], v[132:133] op_sel_hi:[1,0,1]
	v_add_nc_u32_e32 v127, 1, v127
	v_pk_fma_f32 v[128:129], v[130:131], v[128:129], v[132:133] neg_lo:[0,0,1] neg_hi:[0,0,1]
	v_mov_b32_e32 v129, v135
	s_delay_alu instid0(VALU_DEP_3) | instskip(NEXT) | instid1(VALU_DEP_2)
	v_cmp_lt_u32_e32 vcc_lo, 36, v127
	v_pk_add_f32 v[122:123], v[122:123], v[128:129]
	s_or_b32 s3, vcc_lo, s3
	s_delay_alu instid0(SALU_CYCLE_1)
	s_and_not1_b32 exec_lo, exec_lo, s3
	s_cbranch_execnz .LBB58_957
; %bb.958:
	s_or_b32 exec_lo, exec_lo, s3
.LBB58_959:
	s_delay_alu instid0(SALU_CYCLE_1) | instskip(SKIP_4) | instid1(VALU_DEP_1)
	s_or_b32 exec_lo, exec_lo, s2
	v_mov_b32_e32 v125, 0
	ds_load_b64 v[126:127], v125 offset:304
	s_wait_dscnt 0x0
	v_pk_mul_f32 v[128:129], v[122:123], v[126:127] op_sel:[1,1] op_sel_hi:[0,1]
	v_pk_fma_f32 v[130:131], v[122:123], v[126:127], v[128:129] op_sel_hi:[1,0,1]
	v_pk_fma_f32 v[122:123], v[122:123], v[126:127], v[128:129] neg_lo:[0,0,1] neg_hi:[0,0,1]
	s_delay_alu instid0(VALU_DEP_2)
	v_mov_b32_e32 v123, v131
	scratch_store_b64 off, v[122:123], off offset:304
.LBB58_960:
	s_wait_xcnt 0x0
	s_or_b32 exec_lo, exec_lo, s0
	scratch_load_b64 v[122:123], off, off offset:312
	s_mov_b32 s0, exec_lo
	s_wait_loadcnt 0x0
	ds_store_b64 v1, v[122:123]
	s_wait_storecnt_dscnt 0x0
	s_barrier_signal -1
	s_barrier_wait -1
	s_wait_xcnt 0x0
	v_cmpx_gt_u32_e32 39, v0
	s_cbranch_execz .LBB58_970
; %bb.961:
	v_cmp_ne_u32_e32 vcc_lo, 1, v124
	s_cbranch_vccnz .LBB58_963
; %bb.962:
	scratch_load_b64 v[122:123], v59, off
	ds_load_b64 v[126:127], v1
	s_wait_loadcnt_dscnt 0x0
	v_pk_mul_f32 v[128:129], v[126:127], v[122:123] op_sel:[1,1] op_sel_hi:[0,1]
	s_delay_alu instid0(VALU_DEP_1) | instskip(SKIP_1) | instid1(VALU_DEP_2)
	v_pk_fma_f32 v[130:131], v[126:127], v[122:123], v[128:129] op_sel_hi:[1,0,1]
	v_pk_fma_f32 v[122:123], v[126:127], v[122:123], v[128:129] neg_lo:[0,0,1] neg_hi:[0,0,1]
	v_mov_b32_e32 v123, v131
	s_cbranch_execz .LBB58_964
	s_branch .LBB58_965
.LBB58_963:
                                        ; implicit-def: $vgpr122_vgpr123
.LBB58_964:
	ds_load_b64 v[122:123], v1
.LBB58_965:
	s_mov_b32 s2, exec_lo
	v_cmpx_ne_u32_e32 38, v0
	s_cbranch_execz .LBB58_969
; %bb.966:
	v_add_nc_u32_e32 v125, 0x1e8, v58
	v_add3_u32 v126, 0, v58, 8
	v_mov_b32_e32 v127, v0
	s_mov_b32 s3, 0
.LBB58_967:                             ; =>This Inner Loop Header: Depth=1
	scratch_load_b64 v[128:129], v126, off
	ds_load_b64 v[130:131], v125
	s_wait_xcnt 0x0
	v_dual_add_nc_u32 v125, 8, v125 :: v_dual_add_nc_u32 v126, 8, v126
	s_wait_loadcnt_dscnt 0x0
	v_pk_mul_f32 v[132:133], v[130:131], v[128:129] op_sel:[1,1] op_sel_hi:[0,1]
	s_delay_alu instid0(VALU_DEP_1) | instskip(SKIP_2) | instid1(VALU_DEP_3)
	v_pk_fma_f32 v[134:135], v[130:131], v[128:129], v[132:133] op_sel_hi:[1,0,1]
	v_add_nc_u32_e32 v127, 1, v127
	v_pk_fma_f32 v[128:129], v[130:131], v[128:129], v[132:133] neg_lo:[0,0,1] neg_hi:[0,0,1]
	v_mov_b32_e32 v129, v135
	s_delay_alu instid0(VALU_DEP_3) | instskip(NEXT) | instid1(VALU_DEP_2)
	v_cmp_lt_u32_e32 vcc_lo, 37, v127
	v_pk_add_f32 v[122:123], v[122:123], v[128:129]
	s_or_b32 s3, vcc_lo, s3
	s_delay_alu instid0(SALU_CYCLE_1)
	s_and_not1_b32 exec_lo, exec_lo, s3
	s_cbranch_execnz .LBB58_967
; %bb.968:
	s_or_b32 exec_lo, exec_lo, s3
.LBB58_969:
	s_delay_alu instid0(SALU_CYCLE_1) | instskip(SKIP_4) | instid1(VALU_DEP_1)
	s_or_b32 exec_lo, exec_lo, s2
	v_mov_b32_e32 v125, 0
	ds_load_b64 v[126:127], v125 offset:312
	s_wait_dscnt 0x0
	v_pk_mul_f32 v[128:129], v[122:123], v[126:127] op_sel:[1,1] op_sel_hi:[0,1]
	v_pk_fma_f32 v[130:131], v[122:123], v[126:127], v[128:129] op_sel_hi:[1,0,1]
	v_pk_fma_f32 v[122:123], v[122:123], v[126:127], v[128:129] neg_lo:[0,0,1] neg_hi:[0,0,1]
	s_delay_alu instid0(VALU_DEP_2)
	v_mov_b32_e32 v123, v131
	scratch_store_b64 off, v[122:123], off offset:312
.LBB58_970:
	s_wait_xcnt 0x0
	s_or_b32 exec_lo, exec_lo, s0
	scratch_load_b64 v[122:123], off, off offset:320
	s_mov_b32 s0, exec_lo
	s_wait_loadcnt 0x0
	ds_store_b64 v1, v[122:123]
	s_wait_storecnt_dscnt 0x0
	s_barrier_signal -1
	s_barrier_wait -1
	s_wait_xcnt 0x0
	v_cmpx_gt_u32_e32 40, v0
	s_cbranch_execz .LBB58_980
; %bb.971:
	v_cmp_ne_u32_e32 vcc_lo, 1, v124
	s_cbranch_vccnz .LBB58_973
; %bb.972:
	scratch_load_b64 v[122:123], v59, off
	ds_load_b64 v[126:127], v1
	s_wait_loadcnt_dscnt 0x0
	v_pk_mul_f32 v[128:129], v[126:127], v[122:123] op_sel:[1,1] op_sel_hi:[0,1]
	s_delay_alu instid0(VALU_DEP_1) | instskip(SKIP_1) | instid1(VALU_DEP_2)
	v_pk_fma_f32 v[130:131], v[126:127], v[122:123], v[128:129] op_sel_hi:[1,0,1]
	v_pk_fma_f32 v[122:123], v[126:127], v[122:123], v[128:129] neg_lo:[0,0,1] neg_hi:[0,0,1]
	v_mov_b32_e32 v123, v131
	s_cbranch_execz .LBB58_974
	s_branch .LBB58_975
.LBB58_973:
                                        ; implicit-def: $vgpr122_vgpr123
.LBB58_974:
	ds_load_b64 v[122:123], v1
.LBB58_975:
	s_mov_b32 s2, exec_lo
	v_cmpx_ne_u32_e32 39, v0
	s_cbranch_execz .LBB58_979
; %bb.976:
	v_add_nc_u32_e32 v125, 0x1e8, v58
	v_add3_u32 v126, 0, v58, 8
	v_mov_b32_e32 v127, v0
	s_mov_b32 s3, 0
.LBB58_977:                             ; =>This Inner Loop Header: Depth=1
	scratch_load_b64 v[128:129], v126, off
	ds_load_b64 v[130:131], v125
	s_wait_xcnt 0x0
	v_dual_add_nc_u32 v125, 8, v125 :: v_dual_add_nc_u32 v126, 8, v126
	s_wait_loadcnt_dscnt 0x0
	v_pk_mul_f32 v[132:133], v[130:131], v[128:129] op_sel:[1,1] op_sel_hi:[0,1]
	s_delay_alu instid0(VALU_DEP_1) | instskip(SKIP_2) | instid1(VALU_DEP_3)
	v_pk_fma_f32 v[134:135], v[130:131], v[128:129], v[132:133] op_sel_hi:[1,0,1]
	v_add_nc_u32_e32 v127, 1, v127
	v_pk_fma_f32 v[128:129], v[130:131], v[128:129], v[132:133] neg_lo:[0,0,1] neg_hi:[0,0,1]
	v_mov_b32_e32 v129, v135
	s_delay_alu instid0(VALU_DEP_3) | instskip(NEXT) | instid1(VALU_DEP_2)
	v_cmp_lt_u32_e32 vcc_lo, 38, v127
	v_pk_add_f32 v[122:123], v[122:123], v[128:129]
	s_or_b32 s3, vcc_lo, s3
	s_delay_alu instid0(SALU_CYCLE_1)
	s_and_not1_b32 exec_lo, exec_lo, s3
	s_cbranch_execnz .LBB58_977
; %bb.978:
	s_or_b32 exec_lo, exec_lo, s3
.LBB58_979:
	s_delay_alu instid0(SALU_CYCLE_1) | instskip(SKIP_4) | instid1(VALU_DEP_1)
	s_or_b32 exec_lo, exec_lo, s2
	v_mov_b32_e32 v125, 0
	ds_load_b64 v[126:127], v125 offset:320
	s_wait_dscnt 0x0
	v_pk_mul_f32 v[128:129], v[122:123], v[126:127] op_sel:[1,1] op_sel_hi:[0,1]
	v_pk_fma_f32 v[130:131], v[122:123], v[126:127], v[128:129] op_sel_hi:[1,0,1]
	v_pk_fma_f32 v[122:123], v[122:123], v[126:127], v[128:129] neg_lo:[0,0,1] neg_hi:[0,0,1]
	s_delay_alu instid0(VALU_DEP_2)
	v_mov_b32_e32 v123, v131
	scratch_store_b64 off, v[122:123], off offset:320
.LBB58_980:
	s_wait_xcnt 0x0
	s_or_b32 exec_lo, exec_lo, s0
	scratch_load_b64 v[122:123], off, off offset:328
	s_mov_b32 s0, exec_lo
	s_wait_loadcnt 0x0
	ds_store_b64 v1, v[122:123]
	s_wait_storecnt_dscnt 0x0
	s_barrier_signal -1
	s_barrier_wait -1
	s_wait_xcnt 0x0
	v_cmpx_gt_u32_e32 41, v0
	s_cbranch_execz .LBB58_990
; %bb.981:
	v_cmp_ne_u32_e32 vcc_lo, 1, v124
	s_cbranch_vccnz .LBB58_983
; %bb.982:
	scratch_load_b64 v[122:123], v59, off
	ds_load_b64 v[126:127], v1
	s_wait_loadcnt_dscnt 0x0
	v_pk_mul_f32 v[128:129], v[126:127], v[122:123] op_sel:[1,1] op_sel_hi:[0,1]
	s_delay_alu instid0(VALU_DEP_1) | instskip(SKIP_1) | instid1(VALU_DEP_2)
	v_pk_fma_f32 v[130:131], v[126:127], v[122:123], v[128:129] op_sel_hi:[1,0,1]
	v_pk_fma_f32 v[122:123], v[126:127], v[122:123], v[128:129] neg_lo:[0,0,1] neg_hi:[0,0,1]
	v_mov_b32_e32 v123, v131
	s_cbranch_execz .LBB58_984
	s_branch .LBB58_985
.LBB58_983:
                                        ; implicit-def: $vgpr122_vgpr123
.LBB58_984:
	ds_load_b64 v[122:123], v1
.LBB58_985:
	s_mov_b32 s2, exec_lo
	v_cmpx_ne_u32_e32 40, v0
	s_cbranch_execz .LBB58_989
; %bb.986:
	v_add_nc_u32_e32 v125, 0x1e8, v58
	v_add3_u32 v126, 0, v58, 8
	v_mov_b32_e32 v127, v0
	s_mov_b32 s3, 0
.LBB58_987:                             ; =>This Inner Loop Header: Depth=1
	scratch_load_b64 v[128:129], v126, off
	ds_load_b64 v[130:131], v125
	s_wait_xcnt 0x0
	v_dual_add_nc_u32 v125, 8, v125 :: v_dual_add_nc_u32 v126, 8, v126
	s_wait_loadcnt_dscnt 0x0
	v_pk_mul_f32 v[132:133], v[130:131], v[128:129] op_sel:[1,1] op_sel_hi:[0,1]
	s_delay_alu instid0(VALU_DEP_1) | instskip(SKIP_2) | instid1(VALU_DEP_3)
	v_pk_fma_f32 v[134:135], v[130:131], v[128:129], v[132:133] op_sel_hi:[1,0,1]
	v_add_nc_u32_e32 v127, 1, v127
	v_pk_fma_f32 v[128:129], v[130:131], v[128:129], v[132:133] neg_lo:[0,0,1] neg_hi:[0,0,1]
	v_mov_b32_e32 v129, v135
	s_delay_alu instid0(VALU_DEP_3) | instskip(NEXT) | instid1(VALU_DEP_2)
	v_cmp_lt_u32_e32 vcc_lo, 39, v127
	v_pk_add_f32 v[122:123], v[122:123], v[128:129]
	s_or_b32 s3, vcc_lo, s3
	s_delay_alu instid0(SALU_CYCLE_1)
	s_and_not1_b32 exec_lo, exec_lo, s3
	s_cbranch_execnz .LBB58_987
; %bb.988:
	s_or_b32 exec_lo, exec_lo, s3
.LBB58_989:
	s_delay_alu instid0(SALU_CYCLE_1) | instskip(SKIP_4) | instid1(VALU_DEP_1)
	s_or_b32 exec_lo, exec_lo, s2
	v_mov_b32_e32 v125, 0
	ds_load_b64 v[126:127], v125 offset:328
	s_wait_dscnt 0x0
	v_pk_mul_f32 v[128:129], v[122:123], v[126:127] op_sel:[1,1] op_sel_hi:[0,1]
	v_pk_fma_f32 v[130:131], v[122:123], v[126:127], v[128:129] op_sel_hi:[1,0,1]
	v_pk_fma_f32 v[122:123], v[122:123], v[126:127], v[128:129] neg_lo:[0,0,1] neg_hi:[0,0,1]
	s_delay_alu instid0(VALU_DEP_2)
	v_mov_b32_e32 v123, v131
	scratch_store_b64 off, v[122:123], off offset:328
.LBB58_990:
	s_wait_xcnt 0x0
	s_or_b32 exec_lo, exec_lo, s0
	scratch_load_b64 v[122:123], off, off offset:336
	s_mov_b32 s0, exec_lo
	s_wait_loadcnt 0x0
	ds_store_b64 v1, v[122:123]
	s_wait_storecnt_dscnt 0x0
	s_barrier_signal -1
	s_barrier_wait -1
	s_wait_xcnt 0x0
	v_cmpx_gt_u32_e32 42, v0
	s_cbranch_execz .LBB58_1000
; %bb.991:
	v_cmp_ne_u32_e32 vcc_lo, 1, v124
	s_cbranch_vccnz .LBB58_993
; %bb.992:
	scratch_load_b64 v[122:123], v59, off
	ds_load_b64 v[126:127], v1
	s_wait_loadcnt_dscnt 0x0
	v_pk_mul_f32 v[128:129], v[126:127], v[122:123] op_sel:[1,1] op_sel_hi:[0,1]
	s_delay_alu instid0(VALU_DEP_1) | instskip(SKIP_1) | instid1(VALU_DEP_2)
	v_pk_fma_f32 v[130:131], v[126:127], v[122:123], v[128:129] op_sel_hi:[1,0,1]
	v_pk_fma_f32 v[122:123], v[126:127], v[122:123], v[128:129] neg_lo:[0,0,1] neg_hi:[0,0,1]
	v_mov_b32_e32 v123, v131
	s_cbranch_execz .LBB58_994
	s_branch .LBB58_995
.LBB58_993:
                                        ; implicit-def: $vgpr122_vgpr123
.LBB58_994:
	ds_load_b64 v[122:123], v1
.LBB58_995:
	s_mov_b32 s2, exec_lo
	v_cmpx_ne_u32_e32 41, v0
	s_cbranch_execz .LBB58_999
; %bb.996:
	v_add_nc_u32_e32 v125, 0x1e8, v58
	v_add3_u32 v126, 0, v58, 8
	v_mov_b32_e32 v127, v0
	s_mov_b32 s3, 0
.LBB58_997:                             ; =>This Inner Loop Header: Depth=1
	scratch_load_b64 v[128:129], v126, off
	ds_load_b64 v[130:131], v125
	s_wait_xcnt 0x0
	v_dual_add_nc_u32 v125, 8, v125 :: v_dual_add_nc_u32 v126, 8, v126
	s_wait_loadcnt_dscnt 0x0
	v_pk_mul_f32 v[132:133], v[130:131], v[128:129] op_sel:[1,1] op_sel_hi:[0,1]
	s_delay_alu instid0(VALU_DEP_1) | instskip(SKIP_2) | instid1(VALU_DEP_3)
	v_pk_fma_f32 v[134:135], v[130:131], v[128:129], v[132:133] op_sel_hi:[1,0,1]
	v_add_nc_u32_e32 v127, 1, v127
	v_pk_fma_f32 v[128:129], v[130:131], v[128:129], v[132:133] neg_lo:[0,0,1] neg_hi:[0,0,1]
	v_mov_b32_e32 v129, v135
	s_delay_alu instid0(VALU_DEP_3) | instskip(NEXT) | instid1(VALU_DEP_2)
	v_cmp_lt_u32_e32 vcc_lo, 40, v127
	v_pk_add_f32 v[122:123], v[122:123], v[128:129]
	s_or_b32 s3, vcc_lo, s3
	s_delay_alu instid0(SALU_CYCLE_1)
	s_and_not1_b32 exec_lo, exec_lo, s3
	s_cbranch_execnz .LBB58_997
; %bb.998:
	s_or_b32 exec_lo, exec_lo, s3
.LBB58_999:
	s_delay_alu instid0(SALU_CYCLE_1) | instskip(SKIP_4) | instid1(VALU_DEP_1)
	s_or_b32 exec_lo, exec_lo, s2
	v_mov_b32_e32 v125, 0
	ds_load_b64 v[126:127], v125 offset:336
	s_wait_dscnt 0x0
	v_pk_mul_f32 v[128:129], v[122:123], v[126:127] op_sel:[1,1] op_sel_hi:[0,1]
	v_pk_fma_f32 v[130:131], v[122:123], v[126:127], v[128:129] op_sel_hi:[1,0,1]
	v_pk_fma_f32 v[122:123], v[122:123], v[126:127], v[128:129] neg_lo:[0,0,1] neg_hi:[0,0,1]
	s_delay_alu instid0(VALU_DEP_2)
	v_mov_b32_e32 v123, v131
	scratch_store_b64 off, v[122:123], off offset:336
.LBB58_1000:
	s_wait_xcnt 0x0
	s_or_b32 exec_lo, exec_lo, s0
	scratch_load_b64 v[122:123], off, off offset:344
	s_mov_b32 s0, exec_lo
	s_wait_loadcnt 0x0
	ds_store_b64 v1, v[122:123]
	s_wait_storecnt_dscnt 0x0
	s_barrier_signal -1
	s_barrier_wait -1
	s_wait_xcnt 0x0
	v_cmpx_gt_u32_e32 43, v0
	s_cbranch_execz .LBB58_1010
; %bb.1001:
	v_cmp_ne_u32_e32 vcc_lo, 1, v124
	s_cbranch_vccnz .LBB58_1003
; %bb.1002:
	scratch_load_b64 v[122:123], v59, off
	ds_load_b64 v[126:127], v1
	s_wait_loadcnt_dscnt 0x0
	v_pk_mul_f32 v[128:129], v[126:127], v[122:123] op_sel:[1,1] op_sel_hi:[0,1]
	s_delay_alu instid0(VALU_DEP_1) | instskip(SKIP_1) | instid1(VALU_DEP_2)
	v_pk_fma_f32 v[130:131], v[126:127], v[122:123], v[128:129] op_sel_hi:[1,0,1]
	v_pk_fma_f32 v[122:123], v[126:127], v[122:123], v[128:129] neg_lo:[0,0,1] neg_hi:[0,0,1]
	v_mov_b32_e32 v123, v131
	s_cbranch_execz .LBB58_1004
	s_branch .LBB58_1005
.LBB58_1003:
                                        ; implicit-def: $vgpr122_vgpr123
.LBB58_1004:
	ds_load_b64 v[122:123], v1
.LBB58_1005:
	s_mov_b32 s2, exec_lo
	v_cmpx_ne_u32_e32 42, v0
	s_cbranch_execz .LBB58_1009
; %bb.1006:
	v_add_nc_u32_e32 v125, 0x1e8, v58
	v_add3_u32 v126, 0, v58, 8
	v_mov_b32_e32 v127, v0
	s_mov_b32 s3, 0
.LBB58_1007:                            ; =>This Inner Loop Header: Depth=1
	scratch_load_b64 v[128:129], v126, off
	ds_load_b64 v[130:131], v125
	s_wait_xcnt 0x0
	v_dual_add_nc_u32 v125, 8, v125 :: v_dual_add_nc_u32 v126, 8, v126
	s_wait_loadcnt_dscnt 0x0
	v_pk_mul_f32 v[132:133], v[130:131], v[128:129] op_sel:[1,1] op_sel_hi:[0,1]
	s_delay_alu instid0(VALU_DEP_1) | instskip(SKIP_2) | instid1(VALU_DEP_3)
	v_pk_fma_f32 v[134:135], v[130:131], v[128:129], v[132:133] op_sel_hi:[1,0,1]
	v_add_nc_u32_e32 v127, 1, v127
	v_pk_fma_f32 v[128:129], v[130:131], v[128:129], v[132:133] neg_lo:[0,0,1] neg_hi:[0,0,1]
	v_mov_b32_e32 v129, v135
	s_delay_alu instid0(VALU_DEP_3) | instskip(NEXT) | instid1(VALU_DEP_2)
	v_cmp_lt_u32_e32 vcc_lo, 41, v127
	v_pk_add_f32 v[122:123], v[122:123], v[128:129]
	s_or_b32 s3, vcc_lo, s3
	s_delay_alu instid0(SALU_CYCLE_1)
	s_and_not1_b32 exec_lo, exec_lo, s3
	s_cbranch_execnz .LBB58_1007
; %bb.1008:
	s_or_b32 exec_lo, exec_lo, s3
.LBB58_1009:
	s_delay_alu instid0(SALU_CYCLE_1) | instskip(SKIP_4) | instid1(VALU_DEP_1)
	s_or_b32 exec_lo, exec_lo, s2
	v_mov_b32_e32 v125, 0
	ds_load_b64 v[126:127], v125 offset:344
	s_wait_dscnt 0x0
	v_pk_mul_f32 v[128:129], v[122:123], v[126:127] op_sel:[1,1] op_sel_hi:[0,1]
	v_pk_fma_f32 v[130:131], v[122:123], v[126:127], v[128:129] op_sel_hi:[1,0,1]
	v_pk_fma_f32 v[122:123], v[122:123], v[126:127], v[128:129] neg_lo:[0,0,1] neg_hi:[0,0,1]
	s_delay_alu instid0(VALU_DEP_2)
	v_mov_b32_e32 v123, v131
	scratch_store_b64 off, v[122:123], off offset:344
.LBB58_1010:
	s_wait_xcnt 0x0
	s_or_b32 exec_lo, exec_lo, s0
	scratch_load_b64 v[122:123], off, off offset:352
	s_mov_b32 s0, exec_lo
	s_wait_loadcnt 0x0
	ds_store_b64 v1, v[122:123]
	s_wait_storecnt_dscnt 0x0
	s_barrier_signal -1
	s_barrier_wait -1
	s_wait_xcnt 0x0
	v_cmpx_gt_u32_e32 44, v0
	s_cbranch_execz .LBB58_1020
; %bb.1011:
	v_cmp_ne_u32_e32 vcc_lo, 1, v124
	s_cbranch_vccnz .LBB58_1013
; %bb.1012:
	scratch_load_b64 v[122:123], v59, off
	ds_load_b64 v[126:127], v1
	s_wait_loadcnt_dscnt 0x0
	v_pk_mul_f32 v[128:129], v[126:127], v[122:123] op_sel:[1,1] op_sel_hi:[0,1]
	s_delay_alu instid0(VALU_DEP_1) | instskip(SKIP_1) | instid1(VALU_DEP_2)
	v_pk_fma_f32 v[130:131], v[126:127], v[122:123], v[128:129] op_sel_hi:[1,0,1]
	v_pk_fma_f32 v[122:123], v[126:127], v[122:123], v[128:129] neg_lo:[0,0,1] neg_hi:[0,0,1]
	v_mov_b32_e32 v123, v131
	s_cbranch_execz .LBB58_1014
	s_branch .LBB58_1015
.LBB58_1013:
                                        ; implicit-def: $vgpr122_vgpr123
.LBB58_1014:
	ds_load_b64 v[122:123], v1
.LBB58_1015:
	s_mov_b32 s2, exec_lo
	v_cmpx_ne_u32_e32 43, v0
	s_cbranch_execz .LBB58_1019
; %bb.1016:
	v_add_nc_u32_e32 v125, 0x1e8, v58
	v_add3_u32 v126, 0, v58, 8
	v_mov_b32_e32 v127, v0
	s_mov_b32 s3, 0
.LBB58_1017:                            ; =>This Inner Loop Header: Depth=1
	scratch_load_b64 v[128:129], v126, off
	ds_load_b64 v[130:131], v125
	s_wait_xcnt 0x0
	v_dual_add_nc_u32 v125, 8, v125 :: v_dual_add_nc_u32 v126, 8, v126
	s_wait_loadcnt_dscnt 0x0
	v_pk_mul_f32 v[132:133], v[130:131], v[128:129] op_sel:[1,1] op_sel_hi:[0,1]
	s_delay_alu instid0(VALU_DEP_1) | instskip(SKIP_2) | instid1(VALU_DEP_3)
	v_pk_fma_f32 v[134:135], v[130:131], v[128:129], v[132:133] op_sel_hi:[1,0,1]
	v_add_nc_u32_e32 v127, 1, v127
	v_pk_fma_f32 v[128:129], v[130:131], v[128:129], v[132:133] neg_lo:[0,0,1] neg_hi:[0,0,1]
	v_mov_b32_e32 v129, v135
	s_delay_alu instid0(VALU_DEP_3) | instskip(NEXT) | instid1(VALU_DEP_2)
	v_cmp_lt_u32_e32 vcc_lo, 42, v127
	v_pk_add_f32 v[122:123], v[122:123], v[128:129]
	s_or_b32 s3, vcc_lo, s3
	s_delay_alu instid0(SALU_CYCLE_1)
	s_and_not1_b32 exec_lo, exec_lo, s3
	s_cbranch_execnz .LBB58_1017
; %bb.1018:
	s_or_b32 exec_lo, exec_lo, s3
.LBB58_1019:
	s_delay_alu instid0(SALU_CYCLE_1) | instskip(SKIP_4) | instid1(VALU_DEP_1)
	s_or_b32 exec_lo, exec_lo, s2
	v_mov_b32_e32 v125, 0
	ds_load_b64 v[126:127], v125 offset:352
	s_wait_dscnt 0x0
	v_pk_mul_f32 v[128:129], v[122:123], v[126:127] op_sel:[1,1] op_sel_hi:[0,1]
	v_pk_fma_f32 v[130:131], v[122:123], v[126:127], v[128:129] op_sel_hi:[1,0,1]
	v_pk_fma_f32 v[122:123], v[122:123], v[126:127], v[128:129] neg_lo:[0,0,1] neg_hi:[0,0,1]
	s_delay_alu instid0(VALU_DEP_2)
	v_mov_b32_e32 v123, v131
	scratch_store_b64 off, v[122:123], off offset:352
.LBB58_1020:
	s_wait_xcnt 0x0
	s_or_b32 exec_lo, exec_lo, s0
	scratch_load_b64 v[122:123], off, off offset:360
	s_mov_b32 s0, exec_lo
	s_wait_loadcnt 0x0
	ds_store_b64 v1, v[122:123]
	s_wait_storecnt_dscnt 0x0
	s_barrier_signal -1
	s_barrier_wait -1
	s_wait_xcnt 0x0
	v_cmpx_gt_u32_e32 45, v0
	s_cbranch_execz .LBB58_1030
; %bb.1021:
	v_cmp_ne_u32_e32 vcc_lo, 1, v124
	s_cbranch_vccnz .LBB58_1023
; %bb.1022:
	scratch_load_b64 v[122:123], v59, off
	ds_load_b64 v[126:127], v1
	s_wait_loadcnt_dscnt 0x0
	v_pk_mul_f32 v[128:129], v[126:127], v[122:123] op_sel:[1,1] op_sel_hi:[0,1]
	s_delay_alu instid0(VALU_DEP_1) | instskip(SKIP_1) | instid1(VALU_DEP_2)
	v_pk_fma_f32 v[130:131], v[126:127], v[122:123], v[128:129] op_sel_hi:[1,0,1]
	v_pk_fma_f32 v[122:123], v[126:127], v[122:123], v[128:129] neg_lo:[0,0,1] neg_hi:[0,0,1]
	v_mov_b32_e32 v123, v131
	s_cbranch_execz .LBB58_1024
	s_branch .LBB58_1025
.LBB58_1023:
                                        ; implicit-def: $vgpr122_vgpr123
.LBB58_1024:
	ds_load_b64 v[122:123], v1
.LBB58_1025:
	s_mov_b32 s2, exec_lo
	v_cmpx_ne_u32_e32 44, v0
	s_cbranch_execz .LBB58_1029
; %bb.1026:
	v_add_nc_u32_e32 v125, 0x1e8, v58
	v_add3_u32 v126, 0, v58, 8
	v_mov_b32_e32 v127, v0
	s_mov_b32 s3, 0
.LBB58_1027:                            ; =>This Inner Loop Header: Depth=1
	scratch_load_b64 v[128:129], v126, off
	ds_load_b64 v[130:131], v125
	s_wait_xcnt 0x0
	v_dual_add_nc_u32 v125, 8, v125 :: v_dual_add_nc_u32 v126, 8, v126
	s_wait_loadcnt_dscnt 0x0
	v_pk_mul_f32 v[132:133], v[130:131], v[128:129] op_sel:[1,1] op_sel_hi:[0,1]
	s_delay_alu instid0(VALU_DEP_1) | instskip(SKIP_2) | instid1(VALU_DEP_3)
	v_pk_fma_f32 v[134:135], v[130:131], v[128:129], v[132:133] op_sel_hi:[1,0,1]
	v_add_nc_u32_e32 v127, 1, v127
	v_pk_fma_f32 v[128:129], v[130:131], v[128:129], v[132:133] neg_lo:[0,0,1] neg_hi:[0,0,1]
	v_mov_b32_e32 v129, v135
	s_delay_alu instid0(VALU_DEP_3) | instskip(NEXT) | instid1(VALU_DEP_2)
	v_cmp_lt_u32_e32 vcc_lo, 43, v127
	v_pk_add_f32 v[122:123], v[122:123], v[128:129]
	s_or_b32 s3, vcc_lo, s3
	s_delay_alu instid0(SALU_CYCLE_1)
	s_and_not1_b32 exec_lo, exec_lo, s3
	s_cbranch_execnz .LBB58_1027
; %bb.1028:
	s_or_b32 exec_lo, exec_lo, s3
.LBB58_1029:
	s_delay_alu instid0(SALU_CYCLE_1) | instskip(SKIP_4) | instid1(VALU_DEP_1)
	s_or_b32 exec_lo, exec_lo, s2
	v_mov_b32_e32 v125, 0
	ds_load_b64 v[126:127], v125 offset:360
	s_wait_dscnt 0x0
	v_pk_mul_f32 v[128:129], v[122:123], v[126:127] op_sel:[1,1] op_sel_hi:[0,1]
	v_pk_fma_f32 v[130:131], v[122:123], v[126:127], v[128:129] op_sel_hi:[1,0,1]
	v_pk_fma_f32 v[122:123], v[122:123], v[126:127], v[128:129] neg_lo:[0,0,1] neg_hi:[0,0,1]
	s_delay_alu instid0(VALU_DEP_2)
	v_mov_b32_e32 v123, v131
	scratch_store_b64 off, v[122:123], off offset:360
.LBB58_1030:
	s_wait_xcnt 0x0
	s_or_b32 exec_lo, exec_lo, s0
	scratch_load_b64 v[122:123], off, off offset:368
	s_mov_b32 s0, exec_lo
	s_wait_loadcnt 0x0
	ds_store_b64 v1, v[122:123]
	s_wait_storecnt_dscnt 0x0
	s_barrier_signal -1
	s_barrier_wait -1
	s_wait_xcnt 0x0
	v_cmpx_gt_u32_e32 46, v0
	s_cbranch_execz .LBB58_1040
; %bb.1031:
	v_cmp_ne_u32_e32 vcc_lo, 1, v124
	s_cbranch_vccnz .LBB58_1033
; %bb.1032:
	scratch_load_b64 v[122:123], v59, off
	ds_load_b64 v[126:127], v1
	s_wait_loadcnt_dscnt 0x0
	v_pk_mul_f32 v[128:129], v[126:127], v[122:123] op_sel:[1,1] op_sel_hi:[0,1]
	s_delay_alu instid0(VALU_DEP_1) | instskip(SKIP_1) | instid1(VALU_DEP_2)
	v_pk_fma_f32 v[130:131], v[126:127], v[122:123], v[128:129] op_sel_hi:[1,0,1]
	v_pk_fma_f32 v[122:123], v[126:127], v[122:123], v[128:129] neg_lo:[0,0,1] neg_hi:[0,0,1]
	v_mov_b32_e32 v123, v131
	s_cbranch_execz .LBB58_1034
	s_branch .LBB58_1035
.LBB58_1033:
                                        ; implicit-def: $vgpr122_vgpr123
.LBB58_1034:
	ds_load_b64 v[122:123], v1
.LBB58_1035:
	s_mov_b32 s2, exec_lo
	v_cmpx_ne_u32_e32 45, v0
	s_cbranch_execz .LBB58_1039
; %bb.1036:
	v_add_nc_u32_e32 v125, 0x1e8, v58
	v_add3_u32 v126, 0, v58, 8
	v_mov_b32_e32 v127, v0
	s_mov_b32 s3, 0
.LBB58_1037:                            ; =>This Inner Loop Header: Depth=1
	scratch_load_b64 v[128:129], v126, off
	ds_load_b64 v[130:131], v125
	s_wait_xcnt 0x0
	v_dual_add_nc_u32 v125, 8, v125 :: v_dual_add_nc_u32 v126, 8, v126
	s_wait_loadcnt_dscnt 0x0
	v_pk_mul_f32 v[132:133], v[130:131], v[128:129] op_sel:[1,1] op_sel_hi:[0,1]
	s_delay_alu instid0(VALU_DEP_1) | instskip(SKIP_2) | instid1(VALU_DEP_3)
	v_pk_fma_f32 v[134:135], v[130:131], v[128:129], v[132:133] op_sel_hi:[1,0,1]
	v_add_nc_u32_e32 v127, 1, v127
	v_pk_fma_f32 v[128:129], v[130:131], v[128:129], v[132:133] neg_lo:[0,0,1] neg_hi:[0,0,1]
	v_mov_b32_e32 v129, v135
	s_delay_alu instid0(VALU_DEP_3) | instskip(NEXT) | instid1(VALU_DEP_2)
	v_cmp_lt_u32_e32 vcc_lo, 44, v127
	v_pk_add_f32 v[122:123], v[122:123], v[128:129]
	s_or_b32 s3, vcc_lo, s3
	s_delay_alu instid0(SALU_CYCLE_1)
	s_and_not1_b32 exec_lo, exec_lo, s3
	s_cbranch_execnz .LBB58_1037
; %bb.1038:
	s_or_b32 exec_lo, exec_lo, s3
.LBB58_1039:
	s_delay_alu instid0(SALU_CYCLE_1) | instskip(SKIP_4) | instid1(VALU_DEP_1)
	s_or_b32 exec_lo, exec_lo, s2
	v_mov_b32_e32 v125, 0
	ds_load_b64 v[126:127], v125 offset:368
	s_wait_dscnt 0x0
	v_pk_mul_f32 v[128:129], v[122:123], v[126:127] op_sel:[1,1] op_sel_hi:[0,1]
	v_pk_fma_f32 v[130:131], v[122:123], v[126:127], v[128:129] op_sel_hi:[1,0,1]
	v_pk_fma_f32 v[122:123], v[122:123], v[126:127], v[128:129] neg_lo:[0,0,1] neg_hi:[0,0,1]
	s_delay_alu instid0(VALU_DEP_2)
	v_mov_b32_e32 v123, v131
	scratch_store_b64 off, v[122:123], off offset:368
.LBB58_1040:
	s_wait_xcnt 0x0
	s_or_b32 exec_lo, exec_lo, s0
	scratch_load_b64 v[122:123], off, off offset:376
	s_mov_b32 s0, exec_lo
	s_wait_loadcnt 0x0
	ds_store_b64 v1, v[122:123]
	s_wait_storecnt_dscnt 0x0
	s_barrier_signal -1
	s_barrier_wait -1
	s_wait_xcnt 0x0
	v_cmpx_gt_u32_e32 47, v0
	s_cbranch_execz .LBB58_1050
; %bb.1041:
	v_cmp_ne_u32_e32 vcc_lo, 1, v124
	s_cbranch_vccnz .LBB58_1043
; %bb.1042:
	scratch_load_b64 v[122:123], v59, off
	ds_load_b64 v[126:127], v1
	s_wait_loadcnt_dscnt 0x0
	v_pk_mul_f32 v[128:129], v[126:127], v[122:123] op_sel:[1,1] op_sel_hi:[0,1]
	s_delay_alu instid0(VALU_DEP_1) | instskip(SKIP_1) | instid1(VALU_DEP_2)
	v_pk_fma_f32 v[130:131], v[126:127], v[122:123], v[128:129] op_sel_hi:[1,0,1]
	v_pk_fma_f32 v[122:123], v[126:127], v[122:123], v[128:129] neg_lo:[0,0,1] neg_hi:[0,0,1]
	v_mov_b32_e32 v123, v131
	s_cbranch_execz .LBB58_1044
	s_branch .LBB58_1045
.LBB58_1043:
                                        ; implicit-def: $vgpr122_vgpr123
.LBB58_1044:
	ds_load_b64 v[122:123], v1
.LBB58_1045:
	s_mov_b32 s2, exec_lo
	v_cmpx_ne_u32_e32 46, v0
	s_cbranch_execz .LBB58_1049
; %bb.1046:
	v_add_nc_u32_e32 v125, 0x1e8, v58
	v_add3_u32 v126, 0, v58, 8
	v_mov_b32_e32 v127, v0
	s_mov_b32 s3, 0
.LBB58_1047:                            ; =>This Inner Loop Header: Depth=1
	scratch_load_b64 v[128:129], v126, off
	ds_load_b64 v[130:131], v125
	s_wait_xcnt 0x0
	v_dual_add_nc_u32 v125, 8, v125 :: v_dual_add_nc_u32 v126, 8, v126
	s_wait_loadcnt_dscnt 0x0
	v_pk_mul_f32 v[132:133], v[130:131], v[128:129] op_sel:[1,1] op_sel_hi:[0,1]
	s_delay_alu instid0(VALU_DEP_1) | instskip(SKIP_2) | instid1(VALU_DEP_3)
	v_pk_fma_f32 v[134:135], v[130:131], v[128:129], v[132:133] op_sel_hi:[1,0,1]
	v_add_nc_u32_e32 v127, 1, v127
	v_pk_fma_f32 v[128:129], v[130:131], v[128:129], v[132:133] neg_lo:[0,0,1] neg_hi:[0,0,1]
	v_mov_b32_e32 v129, v135
	s_delay_alu instid0(VALU_DEP_3) | instskip(NEXT) | instid1(VALU_DEP_2)
	v_cmp_lt_u32_e32 vcc_lo, 45, v127
	v_pk_add_f32 v[122:123], v[122:123], v[128:129]
	s_or_b32 s3, vcc_lo, s3
	s_delay_alu instid0(SALU_CYCLE_1)
	s_and_not1_b32 exec_lo, exec_lo, s3
	s_cbranch_execnz .LBB58_1047
; %bb.1048:
	s_or_b32 exec_lo, exec_lo, s3
.LBB58_1049:
	s_delay_alu instid0(SALU_CYCLE_1) | instskip(SKIP_4) | instid1(VALU_DEP_1)
	s_or_b32 exec_lo, exec_lo, s2
	v_mov_b32_e32 v125, 0
	ds_load_b64 v[126:127], v125 offset:376
	s_wait_dscnt 0x0
	v_pk_mul_f32 v[128:129], v[122:123], v[126:127] op_sel:[1,1] op_sel_hi:[0,1]
	v_pk_fma_f32 v[130:131], v[122:123], v[126:127], v[128:129] op_sel_hi:[1,0,1]
	v_pk_fma_f32 v[122:123], v[122:123], v[126:127], v[128:129] neg_lo:[0,0,1] neg_hi:[0,0,1]
	s_delay_alu instid0(VALU_DEP_2)
	v_mov_b32_e32 v123, v131
	scratch_store_b64 off, v[122:123], off offset:376
.LBB58_1050:
	s_wait_xcnt 0x0
	s_or_b32 exec_lo, exec_lo, s0
	scratch_load_b64 v[122:123], off, off offset:384
	s_mov_b32 s0, exec_lo
	s_wait_loadcnt 0x0
	ds_store_b64 v1, v[122:123]
	s_wait_storecnt_dscnt 0x0
	s_barrier_signal -1
	s_barrier_wait -1
	s_wait_xcnt 0x0
	v_cmpx_gt_u32_e32 48, v0
	s_cbranch_execz .LBB58_1060
; %bb.1051:
	v_cmp_ne_u32_e32 vcc_lo, 1, v124
	s_cbranch_vccnz .LBB58_1053
; %bb.1052:
	scratch_load_b64 v[122:123], v59, off
	ds_load_b64 v[126:127], v1
	s_wait_loadcnt_dscnt 0x0
	v_pk_mul_f32 v[128:129], v[126:127], v[122:123] op_sel:[1,1] op_sel_hi:[0,1]
	s_delay_alu instid0(VALU_DEP_1) | instskip(SKIP_1) | instid1(VALU_DEP_2)
	v_pk_fma_f32 v[130:131], v[126:127], v[122:123], v[128:129] op_sel_hi:[1,0,1]
	v_pk_fma_f32 v[122:123], v[126:127], v[122:123], v[128:129] neg_lo:[0,0,1] neg_hi:[0,0,1]
	v_mov_b32_e32 v123, v131
	s_cbranch_execz .LBB58_1054
	s_branch .LBB58_1055
.LBB58_1053:
                                        ; implicit-def: $vgpr122_vgpr123
.LBB58_1054:
	ds_load_b64 v[122:123], v1
.LBB58_1055:
	s_mov_b32 s2, exec_lo
	v_cmpx_ne_u32_e32 47, v0
	s_cbranch_execz .LBB58_1059
; %bb.1056:
	v_add_nc_u32_e32 v125, 0x1e8, v58
	v_add3_u32 v126, 0, v58, 8
	v_mov_b32_e32 v127, v0
	s_mov_b32 s3, 0
.LBB58_1057:                            ; =>This Inner Loop Header: Depth=1
	scratch_load_b64 v[128:129], v126, off
	ds_load_b64 v[130:131], v125
	s_wait_xcnt 0x0
	v_dual_add_nc_u32 v125, 8, v125 :: v_dual_add_nc_u32 v126, 8, v126
	s_wait_loadcnt_dscnt 0x0
	v_pk_mul_f32 v[132:133], v[130:131], v[128:129] op_sel:[1,1] op_sel_hi:[0,1]
	s_delay_alu instid0(VALU_DEP_1) | instskip(SKIP_2) | instid1(VALU_DEP_3)
	v_pk_fma_f32 v[134:135], v[130:131], v[128:129], v[132:133] op_sel_hi:[1,0,1]
	v_add_nc_u32_e32 v127, 1, v127
	v_pk_fma_f32 v[128:129], v[130:131], v[128:129], v[132:133] neg_lo:[0,0,1] neg_hi:[0,0,1]
	v_mov_b32_e32 v129, v135
	s_delay_alu instid0(VALU_DEP_3) | instskip(NEXT) | instid1(VALU_DEP_2)
	v_cmp_lt_u32_e32 vcc_lo, 46, v127
	v_pk_add_f32 v[122:123], v[122:123], v[128:129]
	s_or_b32 s3, vcc_lo, s3
	s_delay_alu instid0(SALU_CYCLE_1)
	s_and_not1_b32 exec_lo, exec_lo, s3
	s_cbranch_execnz .LBB58_1057
; %bb.1058:
	s_or_b32 exec_lo, exec_lo, s3
.LBB58_1059:
	s_delay_alu instid0(SALU_CYCLE_1) | instskip(SKIP_4) | instid1(VALU_DEP_1)
	s_or_b32 exec_lo, exec_lo, s2
	v_mov_b32_e32 v125, 0
	ds_load_b64 v[126:127], v125 offset:384
	s_wait_dscnt 0x0
	v_pk_mul_f32 v[128:129], v[122:123], v[126:127] op_sel:[1,1] op_sel_hi:[0,1]
	v_pk_fma_f32 v[130:131], v[122:123], v[126:127], v[128:129] op_sel_hi:[1,0,1]
	v_pk_fma_f32 v[122:123], v[122:123], v[126:127], v[128:129] neg_lo:[0,0,1] neg_hi:[0,0,1]
	s_delay_alu instid0(VALU_DEP_2)
	v_mov_b32_e32 v123, v131
	scratch_store_b64 off, v[122:123], off offset:384
.LBB58_1060:
	s_wait_xcnt 0x0
	s_or_b32 exec_lo, exec_lo, s0
	scratch_load_b64 v[122:123], off, off offset:392
	s_mov_b32 s0, exec_lo
	s_wait_loadcnt 0x0
	ds_store_b64 v1, v[122:123]
	s_wait_storecnt_dscnt 0x0
	s_barrier_signal -1
	s_barrier_wait -1
	s_wait_xcnt 0x0
	v_cmpx_gt_u32_e32 49, v0
	s_cbranch_execz .LBB58_1070
; %bb.1061:
	v_cmp_ne_u32_e32 vcc_lo, 1, v124
	s_cbranch_vccnz .LBB58_1063
; %bb.1062:
	scratch_load_b64 v[122:123], v59, off
	ds_load_b64 v[126:127], v1
	s_wait_loadcnt_dscnt 0x0
	v_pk_mul_f32 v[128:129], v[126:127], v[122:123] op_sel:[1,1] op_sel_hi:[0,1]
	s_delay_alu instid0(VALU_DEP_1) | instskip(SKIP_1) | instid1(VALU_DEP_2)
	v_pk_fma_f32 v[130:131], v[126:127], v[122:123], v[128:129] op_sel_hi:[1,0,1]
	v_pk_fma_f32 v[122:123], v[126:127], v[122:123], v[128:129] neg_lo:[0,0,1] neg_hi:[0,0,1]
	v_mov_b32_e32 v123, v131
	s_cbranch_execz .LBB58_1064
	s_branch .LBB58_1065
.LBB58_1063:
                                        ; implicit-def: $vgpr122_vgpr123
.LBB58_1064:
	ds_load_b64 v[122:123], v1
.LBB58_1065:
	s_mov_b32 s2, exec_lo
	v_cmpx_ne_u32_e32 48, v0
	s_cbranch_execz .LBB58_1069
; %bb.1066:
	v_add_nc_u32_e32 v125, 0x1e8, v58
	v_add3_u32 v126, 0, v58, 8
	v_mov_b32_e32 v127, v0
	s_mov_b32 s3, 0
.LBB58_1067:                            ; =>This Inner Loop Header: Depth=1
	scratch_load_b64 v[128:129], v126, off
	ds_load_b64 v[130:131], v125
	s_wait_xcnt 0x0
	v_dual_add_nc_u32 v125, 8, v125 :: v_dual_add_nc_u32 v126, 8, v126
	s_wait_loadcnt_dscnt 0x0
	v_pk_mul_f32 v[132:133], v[130:131], v[128:129] op_sel:[1,1] op_sel_hi:[0,1]
	s_delay_alu instid0(VALU_DEP_1) | instskip(SKIP_2) | instid1(VALU_DEP_3)
	v_pk_fma_f32 v[134:135], v[130:131], v[128:129], v[132:133] op_sel_hi:[1,0,1]
	v_add_nc_u32_e32 v127, 1, v127
	v_pk_fma_f32 v[128:129], v[130:131], v[128:129], v[132:133] neg_lo:[0,0,1] neg_hi:[0,0,1]
	v_mov_b32_e32 v129, v135
	s_delay_alu instid0(VALU_DEP_3) | instskip(NEXT) | instid1(VALU_DEP_2)
	v_cmp_lt_u32_e32 vcc_lo, 47, v127
	v_pk_add_f32 v[122:123], v[122:123], v[128:129]
	s_or_b32 s3, vcc_lo, s3
	s_delay_alu instid0(SALU_CYCLE_1)
	s_and_not1_b32 exec_lo, exec_lo, s3
	s_cbranch_execnz .LBB58_1067
; %bb.1068:
	s_or_b32 exec_lo, exec_lo, s3
.LBB58_1069:
	s_delay_alu instid0(SALU_CYCLE_1) | instskip(SKIP_4) | instid1(VALU_DEP_1)
	s_or_b32 exec_lo, exec_lo, s2
	v_mov_b32_e32 v125, 0
	ds_load_b64 v[126:127], v125 offset:392
	s_wait_dscnt 0x0
	v_pk_mul_f32 v[128:129], v[122:123], v[126:127] op_sel:[1,1] op_sel_hi:[0,1]
	v_pk_fma_f32 v[130:131], v[122:123], v[126:127], v[128:129] op_sel_hi:[1,0,1]
	v_pk_fma_f32 v[122:123], v[122:123], v[126:127], v[128:129] neg_lo:[0,0,1] neg_hi:[0,0,1]
	s_delay_alu instid0(VALU_DEP_2)
	v_mov_b32_e32 v123, v131
	scratch_store_b64 off, v[122:123], off offset:392
.LBB58_1070:
	s_wait_xcnt 0x0
	s_or_b32 exec_lo, exec_lo, s0
	scratch_load_b64 v[122:123], off, off offset:400
	s_mov_b32 s0, exec_lo
	s_wait_loadcnt 0x0
	ds_store_b64 v1, v[122:123]
	s_wait_storecnt_dscnt 0x0
	s_barrier_signal -1
	s_barrier_wait -1
	s_wait_xcnt 0x0
	v_cmpx_gt_u32_e32 50, v0
	s_cbranch_execz .LBB58_1080
; %bb.1071:
	v_cmp_ne_u32_e32 vcc_lo, 1, v124
	s_cbranch_vccnz .LBB58_1073
; %bb.1072:
	scratch_load_b64 v[122:123], v59, off
	ds_load_b64 v[126:127], v1
	s_wait_loadcnt_dscnt 0x0
	v_pk_mul_f32 v[128:129], v[126:127], v[122:123] op_sel:[1,1] op_sel_hi:[0,1]
	s_delay_alu instid0(VALU_DEP_1) | instskip(SKIP_1) | instid1(VALU_DEP_2)
	v_pk_fma_f32 v[130:131], v[126:127], v[122:123], v[128:129] op_sel_hi:[1,0,1]
	v_pk_fma_f32 v[122:123], v[126:127], v[122:123], v[128:129] neg_lo:[0,0,1] neg_hi:[0,0,1]
	v_mov_b32_e32 v123, v131
	s_cbranch_execz .LBB58_1074
	s_branch .LBB58_1075
.LBB58_1073:
                                        ; implicit-def: $vgpr122_vgpr123
.LBB58_1074:
	ds_load_b64 v[122:123], v1
.LBB58_1075:
	s_mov_b32 s2, exec_lo
	v_cmpx_ne_u32_e32 49, v0
	s_cbranch_execz .LBB58_1079
; %bb.1076:
	v_add_nc_u32_e32 v125, 0x1e8, v58
	v_add3_u32 v126, 0, v58, 8
	v_mov_b32_e32 v127, v0
	s_mov_b32 s3, 0
.LBB58_1077:                            ; =>This Inner Loop Header: Depth=1
	scratch_load_b64 v[128:129], v126, off
	ds_load_b64 v[130:131], v125
	s_wait_xcnt 0x0
	v_dual_add_nc_u32 v125, 8, v125 :: v_dual_add_nc_u32 v126, 8, v126
	s_wait_loadcnt_dscnt 0x0
	v_pk_mul_f32 v[132:133], v[130:131], v[128:129] op_sel:[1,1] op_sel_hi:[0,1]
	s_delay_alu instid0(VALU_DEP_1) | instskip(SKIP_2) | instid1(VALU_DEP_3)
	v_pk_fma_f32 v[134:135], v[130:131], v[128:129], v[132:133] op_sel_hi:[1,0,1]
	v_add_nc_u32_e32 v127, 1, v127
	v_pk_fma_f32 v[128:129], v[130:131], v[128:129], v[132:133] neg_lo:[0,0,1] neg_hi:[0,0,1]
	v_mov_b32_e32 v129, v135
	s_delay_alu instid0(VALU_DEP_3) | instskip(NEXT) | instid1(VALU_DEP_2)
	v_cmp_lt_u32_e32 vcc_lo, 48, v127
	v_pk_add_f32 v[122:123], v[122:123], v[128:129]
	s_or_b32 s3, vcc_lo, s3
	s_delay_alu instid0(SALU_CYCLE_1)
	s_and_not1_b32 exec_lo, exec_lo, s3
	s_cbranch_execnz .LBB58_1077
; %bb.1078:
	s_or_b32 exec_lo, exec_lo, s3
.LBB58_1079:
	s_delay_alu instid0(SALU_CYCLE_1) | instskip(SKIP_4) | instid1(VALU_DEP_1)
	s_or_b32 exec_lo, exec_lo, s2
	v_mov_b32_e32 v125, 0
	ds_load_b64 v[126:127], v125 offset:400
	s_wait_dscnt 0x0
	v_pk_mul_f32 v[128:129], v[122:123], v[126:127] op_sel:[1,1] op_sel_hi:[0,1]
	v_pk_fma_f32 v[130:131], v[122:123], v[126:127], v[128:129] op_sel_hi:[1,0,1]
	v_pk_fma_f32 v[122:123], v[122:123], v[126:127], v[128:129] neg_lo:[0,0,1] neg_hi:[0,0,1]
	s_delay_alu instid0(VALU_DEP_2)
	v_mov_b32_e32 v123, v131
	scratch_store_b64 off, v[122:123], off offset:400
.LBB58_1080:
	s_wait_xcnt 0x0
	s_or_b32 exec_lo, exec_lo, s0
	scratch_load_b64 v[122:123], off, off offset:408
	s_mov_b32 s0, exec_lo
	s_wait_loadcnt 0x0
	ds_store_b64 v1, v[122:123]
	s_wait_storecnt_dscnt 0x0
	s_barrier_signal -1
	s_barrier_wait -1
	s_wait_xcnt 0x0
	v_cmpx_gt_u32_e32 51, v0
	s_cbranch_execz .LBB58_1090
; %bb.1081:
	v_cmp_ne_u32_e32 vcc_lo, 1, v124
	s_cbranch_vccnz .LBB58_1083
; %bb.1082:
	scratch_load_b64 v[122:123], v59, off
	ds_load_b64 v[126:127], v1
	s_wait_loadcnt_dscnt 0x0
	v_pk_mul_f32 v[128:129], v[126:127], v[122:123] op_sel:[1,1] op_sel_hi:[0,1]
	s_delay_alu instid0(VALU_DEP_1) | instskip(SKIP_1) | instid1(VALU_DEP_2)
	v_pk_fma_f32 v[130:131], v[126:127], v[122:123], v[128:129] op_sel_hi:[1,0,1]
	v_pk_fma_f32 v[122:123], v[126:127], v[122:123], v[128:129] neg_lo:[0,0,1] neg_hi:[0,0,1]
	v_mov_b32_e32 v123, v131
	s_cbranch_execz .LBB58_1084
	s_branch .LBB58_1085
.LBB58_1083:
                                        ; implicit-def: $vgpr122_vgpr123
.LBB58_1084:
	ds_load_b64 v[122:123], v1
.LBB58_1085:
	s_mov_b32 s2, exec_lo
	v_cmpx_ne_u32_e32 50, v0
	s_cbranch_execz .LBB58_1089
; %bb.1086:
	v_add_nc_u32_e32 v125, 0x1e8, v58
	v_add3_u32 v126, 0, v58, 8
	v_mov_b32_e32 v127, v0
	s_mov_b32 s3, 0
.LBB58_1087:                            ; =>This Inner Loop Header: Depth=1
	scratch_load_b64 v[128:129], v126, off
	ds_load_b64 v[130:131], v125
	s_wait_xcnt 0x0
	v_dual_add_nc_u32 v125, 8, v125 :: v_dual_add_nc_u32 v126, 8, v126
	s_wait_loadcnt_dscnt 0x0
	v_pk_mul_f32 v[132:133], v[130:131], v[128:129] op_sel:[1,1] op_sel_hi:[0,1]
	s_delay_alu instid0(VALU_DEP_1) | instskip(SKIP_2) | instid1(VALU_DEP_3)
	v_pk_fma_f32 v[134:135], v[130:131], v[128:129], v[132:133] op_sel_hi:[1,0,1]
	v_add_nc_u32_e32 v127, 1, v127
	v_pk_fma_f32 v[128:129], v[130:131], v[128:129], v[132:133] neg_lo:[0,0,1] neg_hi:[0,0,1]
	v_mov_b32_e32 v129, v135
	s_delay_alu instid0(VALU_DEP_3) | instskip(NEXT) | instid1(VALU_DEP_2)
	v_cmp_lt_u32_e32 vcc_lo, 49, v127
	v_pk_add_f32 v[122:123], v[122:123], v[128:129]
	s_or_b32 s3, vcc_lo, s3
	s_delay_alu instid0(SALU_CYCLE_1)
	s_and_not1_b32 exec_lo, exec_lo, s3
	s_cbranch_execnz .LBB58_1087
; %bb.1088:
	s_or_b32 exec_lo, exec_lo, s3
.LBB58_1089:
	s_delay_alu instid0(SALU_CYCLE_1) | instskip(SKIP_4) | instid1(VALU_DEP_1)
	s_or_b32 exec_lo, exec_lo, s2
	v_mov_b32_e32 v125, 0
	ds_load_b64 v[126:127], v125 offset:408
	s_wait_dscnt 0x0
	v_pk_mul_f32 v[128:129], v[122:123], v[126:127] op_sel:[1,1] op_sel_hi:[0,1]
	v_pk_fma_f32 v[130:131], v[122:123], v[126:127], v[128:129] op_sel_hi:[1,0,1]
	v_pk_fma_f32 v[122:123], v[122:123], v[126:127], v[128:129] neg_lo:[0,0,1] neg_hi:[0,0,1]
	s_delay_alu instid0(VALU_DEP_2)
	v_mov_b32_e32 v123, v131
	scratch_store_b64 off, v[122:123], off offset:408
.LBB58_1090:
	s_wait_xcnt 0x0
	s_or_b32 exec_lo, exec_lo, s0
	scratch_load_b64 v[122:123], off, off offset:416
	s_mov_b32 s0, exec_lo
	s_wait_loadcnt 0x0
	ds_store_b64 v1, v[122:123]
	s_wait_storecnt_dscnt 0x0
	s_barrier_signal -1
	s_barrier_wait -1
	s_wait_xcnt 0x0
	v_cmpx_gt_u32_e32 52, v0
	s_cbranch_execz .LBB58_1100
; %bb.1091:
	v_cmp_ne_u32_e32 vcc_lo, 1, v124
	s_cbranch_vccnz .LBB58_1093
; %bb.1092:
	scratch_load_b64 v[122:123], v59, off
	ds_load_b64 v[126:127], v1
	s_wait_loadcnt_dscnt 0x0
	v_pk_mul_f32 v[128:129], v[126:127], v[122:123] op_sel:[1,1] op_sel_hi:[0,1]
	s_delay_alu instid0(VALU_DEP_1) | instskip(SKIP_1) | instid1(VALU_DEP_2)
	v_pk_fma_f32 v[130:131], v[126:127], v[122:123], v[128:129] op_sel_hi:[1,0,1]
	v_pk_fma_f32 v[122:123], v[126:127], v[122:123], v[128:129] neg_lo:[0,0,1] neg_hi:[0,0,1]
	v_mov_b32_e32 v123, v131
	s_cbranch_execz .LBB58_1094
	s_branch .LBB58_1095
.LBB58_1093:
                                        ; implicit-def: $vgpr122_vgpr123
.LBB58_1094:
	ds_load_b64 v[122:123], v1
.LBB58_1095:
	s_mov_b32 s2, exec_lo
	v_cmpx_ne_u32_e32 51, v0
	s_cbranch_execz .LBB58_1099
; %bb.1096:
	v_add_nc_u32_e32 v125, 0x1e8, v58
	v_add3_u32 v126, 0, v58, 8
	v_mov_b32_e32 v127, v0
	s_mov_b32 s3, 0
.LBB58_1097:                            ; =>This Inner Loop Header: Depth=1
	scratch_load_b64 v[128:129], v126, off
	ds_load_b64 v[130:131], v125
	s_wait_xcnt 0x0
	v_dual_add_nc_u32 v125, 8, v125 :: v_dual_add_nc_u32 v126, 8, v126
	s_wait_loadcnt_dscnt 0x0
	v_pk_mul_f32 v[132:133], v[130:131], v[128:129] op_sel:[1,1] op_sel_hi:[0,1]
	s_delay_alu instid0(VALU_DEP_1) | instskip(SKIP_2) | instid1(VALU_DEP_3)
	v_pk_fma_f32 v[134:135], v[130:131], v[128:129], v[132:133] op_sel_hi:[1,0,1]
	v_add_nc_u32_e32 v127, 1, v127
	v_pk_fma_f32 v[128:129], v[130:131], v[128:129], v[132:133] neg_lo:[0,0,1] neg_hi:[0,0,1]
	v_mov_b32_e32 v129, v135
	s_delay_alu instid0(VALU_DEP_3) | instskip(NEXT) | instid1(VALU_DEP_2)
	v_cmp_lt_u32_e32 vcc_lo, 50, v127
	v_pk_add_f32 v[122:123], v[122:123], v[128:129]
	s_or_b32 s3, vcc_lo, s3
	s_delay_alu instid0(SALU_CYCLE_1)
	s_and_not1_b32 exec_lo, exec_lo, s3
	s_cbranch_execnz .LBB58_1097
; %bb.1098:
	s_or_b32 exec_lo, exec_lo, s3
.LBB58_1099:
	s_delay_alu instid0(SALU_CYCLE_1) | instskip(SKIP_4) | instid1(VALU_DEP_1)
	s_or_b32 exec_lo, exec_lo, s2
	v_mov_b32_e32 v125, 0
	ds_load_b64 v[126:127], v125 offset:416
	s_wait_dscnt 0x0
	v_pk_mul_f32 v[128:129], v[122:123], v[126:127] op_sel:[1,1] op_sel_hi:[0,1]
	v_pk_fma_f32 v[130:131], v[122:123], v[126:127], v[128:129] op_sel_hi:[1,0,1]
	v_pk_fma_f32 v[122:123], v[122:123], v[126:127], v[128:129] neg_lo:[0,0,1] neg_hi:[0,0,1]
	s_delay_alu instid0(VALU_DEP_2)
	v_mov_b32_e32 v123, v131
	scratch_store_b64 off, v[122:123], off offset:416
.LBB58_1100:
	s_wait_xcnt 0x0
	s_or_b32 exec_lo, exec_lo, s0
	scratch_load_b64 v[122:123], off, off offset:424
	s_mov_b32 s0, exec_lo
	s_wait_loadcnt 0x0
	ds_store_b64 v1, v[122:123]
	s_wait_storecnt_dscnt 0x0
	s_barrier_signal -1
	s_barrier_wait -1
	s_wait_xcnt 0x0
	v_cmpx_gt_u32_e32 53, v0
	s_cbranch_execz .LBB58_1110
; %bb.1101:
	v_cmp_ne_u32_e32 vcc_lo, 1, v124
	s_cbranch_vccnz .LBB58_1103
; %bb.1102:
	scratch_load_b64 v[122:123], v59, off
	ds_load_b64 v[126:127], v1
	s_wait_loadcnt_dscnt 0x0
	v_pk_mul_f32 v[128:129], v[126:127], v[122:123] op_sel:[1,1] op_sel_hi:[0,1]
	s_delay_alu instid0(VALU_DEP_1) | instskip(SKIP_1) | instid1(VALU_DEP_2)
	v_pk_fma_f32 v[130:131], v[126:127], v[122:123], v[128:129] op_sel_hi:[1,0,1]
	v_pk_fma_f32 v[122:123], v[126:127], v[122:123], v[128:129] neg_lo:[0,0,1] neg_hi:[0,0,1]
	v_mov_b32_e32 v123, v131
	s_cbranch_execz .LBB58_1104
	s_branch .LBB58_1105
.LBB58_1103:
                                        ; implicit-def: $vgpr122_vgpr123
.LBB58_1104:
	ds_load_b64 v[122:123], v1
.LBB58_1105:
	s_mov_b32 s2, exec_lo
	v_cmpx_ne_u32_e32 52, v0
	s_cbranch_execz .LBB58_1109
; %bb.1106:
	v_add_nc_u32_e32 v125, 0x1e8, v58
	v_add3_u32 v126, 0, v58, 8
	v_mov_b32_e32 v127, v0
	s_mov_b32 s3, 0
.LBB58_1107:                            ; =>This Inner Loop Header: Depth=1
	scratch_load_b64 v[128:129], v126, off
	ds_load_b64 v[130:131], v125
	s_wait_xcnt 0x0
	v_dual_add_nc_u32 v125, 8, v125 :: v_dual_add_nc_u32 v126, 8, v126
	s_wait_loadcnt_dscnt 0x0
	v_pk_mul_f32 v[132:133], v[130:131], v[128:129] op_sel:[1,1] op_sel_hi:[0,1]
	s_delay_alu instid0(VALU_DEP_1) | instskip(SKIP_2) | instid1(VALU_DEP_3)
	v_pk_fma_f32 v[134:135], v[130:131], v[128:129], v[132:133] op_sel_hi:[1,0,1]
	v_add_nc_u32_e32 v127, 1, v127
	v_pk_fma_f32 v[128:129], v[130:131], v[128:129], v[132:133] neg_lo:[0,0,1] neg_hi:[0,0,1]
	v_mov_b32_e32 v129, v135
	s_delay_alu instid0(VALU_DEP_3) | instskip(NEXT) | instid1(VALU_DEP_2)
	v_cmp_lt_u32_e32 vcc_lo, 51, v127
	v_pk_add_f32 v[122:123], v[122:123], v[128:129]
	s_or_b32 s3, vcc_lo, s3
	s_delay_alu instid0(SALU_CYCLE_1)
	s_and_not1_b32 exec_lo, exec_lo, s3
	s_cbranch_execnz .LBB58_1107
; %bb.1108:
	s_or_b32 exec_lo, exec_lo, s3
.LBB58_1109:
	s_delay_alu instid0(SALU_CYCLE_1) | instskip(SKIP_4) | instid1(VALU_DEP_1)
	s_or_b32 exec_lo, exec_lo, s2
	v_mov_b32_e32 v125, 0
	ds_load_b64 v[126:127], v125 offset:424
	s_wait_dscnt 0x0
	v_pk_mul_f32 v[128:129], v[122:123], v[126:127] op_sel:[1,1] op_sel_hi:[0,1]
	v_pk_fma_f32 v[130:131], v[122:123], v[126:127], v[128:129] op_sel_hi:[1,0,1]
	v_pk_fma_f32 v[122:123], v[122:123], v[126:127], v[128:129] neg_lo:[0,0,1] neg_hi:[0,0,1]
	s_delay_alu instid0(VALU_DEP_2)
	v_mov_b32_e32 v123, v131
	scratch_store_b64 off, v[122:123], off offset:424
.LBB58_1110:
	s_wait_xcnt 0x0
	s_or_b32 exec_lo, exec_lo, s0
	scratch_load_b64 v[122:123], off, off offset:432
	s_mov_b32 s0, exec_lo
	s_wait_loadcnt 0x0
	ds_store_b64 v1, v[122:123]
	s_wait_storecnt_dscnt 0x0
	s_barrier_signal -1
	s_barrier_wait -1
	s_wait_xcnt 0x0
	v_cmpx_gt_u32_e32 54, v0
	s_cbranch_execz .LBB58_1120
; %bb.1111:
	v_cmp_ne_u32_e32 vcc_lo, 1, v124
	s_cbranch_vccnz .LBB58_1113
; %bb.1112:
	scratch_load_b64 v[122:123], v59, off
	ds_load_b64 v[126:127], v1
	s_wait_loadcnt_dscnt 0x0
	v_pk_mul_f32 v[128:129], v[126:127], v[122:123] op_sel:[1,1] op_sel_hi:[0,1]
	s_delay_alu instid0(VALU_DEP_1) | instskip(SKIP_1) | instid1(VALU_DEP_2)
	v_pk_fma_f32 v[130:131], v[126:127], v[122:123], v[128:129] op_sel_hi:[1,0,1]
	v_pk_fma_f32 v[122:123], v[126:127], v[122:123], v[128:129] neg_lo:[0,0,1] neg_hi:[0,0,1]
	v_mov_b32_e32 v123, v131
	s_cbranch_execz .LBB58_1114
	s_branch .LBB58_1115
.LBB58_1113:
                                        ; implicit-def: $vgpr122_vgpr123
.LBB58_1114:
	ds_load_b64 v[122:123], v1
.LBB58_1115:
	s_mov_b32 s2, exec_lo
	v_cmpx_ne_u32_e32 53, v0
	s_cbranch_execz .LBB58_1119
; %bb.1116:
	v_add_nc_u32_e32 v125, 0x1e8, v58
	v_add3_u32 v126, 0, v58, 8
	v_mov_b32_e32 v127, v0
	s_mov_b32 s3, 0
.LBB58_1117:                            ; =>This Inner Loop Header: Depth=1
	scratch_load_b64 v[128:129], v126, off
	ds_load_b64 v[130:131], v125
	s_wait_xcnt 0x0
	v_dual_add_nc_u32 v125, 8, v125 :: v_dual_add_nc_u32 v126, 8, v126
	s_wait_loadcnt_dscnt 0x0
	v_pk_mul_f32 v[132:133], v[130:131], v[128:129] op_sel:[1,1] op_sel_hi:[0,1]
	s_delay_alu instid0(VALU_DEP_1) | instskip(SKIP_2) | instid1(VALU_DEP_3)
	v_pk_fma_f32 v[134:135], v[130:131], v[128:129], v[132:133] op_sel_hi:[1,0,1]
	v_add_nc_u32_e32 v127, 1, v127
	v_pk_fma_f32 v[128:129], v[130:131], v[128:129], v[132:133] neg_lo:[0,0,1] neg_hi:[0,0,1]
	v_mov_b32_e32 v129, v135
	s_delay_alu instid0(VALU_DEP_3) | instskip(NEXT) | instid1(VALU_DEP_2)
	v_cmp_lt_u32_e32 vcc_lo, 52, v127
	v_pk_add_f32 v[122:123], v[122:123], v[128:129]
	s_or_b32 s3, vcc_lo, s3
	s_delay_alu instid0(SALU_CYCLE_1)
	s_and_not1_b32 exec_lo, exec_lo, s3
	s_cbranch_execnz .LBB58_1117
; %bb.1118:
	s_or_b32 exec_lo, exec_lo, s3
.LBB58_1119:
	s_delay_alu instid0(SALU_CYCLE_1) | instskip(SKIP_4) | instid1(VALU_DEP_1)
	s_or_b32 exec_lo, exec_lo, s2
	v_mov_b32_e32 v125, 0
	ds_load_b64 v[126:127], v125 offset:432
	s_wait_dscnt 0x0
	v_pk_mul_f32 v[128:129], v[122:123], v[126:127] op_sel:[1,1] op_sel_hi:[0,1]
	v_pk_fma_f32 v[130:131], v[122:123], v[126:127], v[128:129] op_sel_hi:[1,0,1]
	v_pk_fma_f32 v[122:123], v[122:123], v[126:127], v[128:129] neg_lo:[0,0,1] neg_hi:[0,0,1]
	s_delay_alu instid0(VALU_DEP_2)
	v_mov_b32_e32 v123, v131
	scratch_store_b64 off, v[122:123], off offset:432
.LBB58_1120:
	s_wait_xcnt 0x0
	s_or_b32 exec_lo, exec_lo, s0
	scratch_load_b64 v[122:123], off, off offset:440
	s_mov_b32 s0, exec_lo
	s_wait_loadcnt 0x0
	ds_store_b64 v1, v[122:123]
	s_wait_storecnt_dscnt 0x0
	s_barrier_signal -1
	s_barrier_wait -1
	s_wait_xcnt 0x0
	v_cmpx_gt_u32_e32 55, v0
	s_cbranch_execz .LBB58_1130
; %bb.1121:
	v_cmp_ne_u32_e32 vcc_lo, 1, v124
	s_cbranch_vccnz .LBB58_1123
; %bb.1122:
	scratch_load_b64 v[122:123], v59, off
	ds_load_b64 v[126:127], v1
	s_wait_loadcnt_dscnt 0x0
	v_pk_mul_f32 v[128:129], v[126:127], v[122:123] op_sel:[1,1] op_sel_hi:[0,1]
	s_delay_alu instid0(VALU_DEP_1) | instskip(SKIP_1) | instid1(VALU_DEP_2)
	v_pk_fma_f32 v[130:131], v[126:127], v[122:123], v[128:129] op_sel_hi:[1,0,1]
	v_pk_fma_f32 v[122:123], v[126:127], v[122:123], v[128:129] neg_lo:[0,0,1] neg_hi:[0,0,1]
	v_mov_b32_e32 v123, v131
	s_cbranch_execz .LBB58_1124
	s_branch .LBB58_1125
.LBB58_1123:
                                        ; implicit-def: $vgpr122_vgpr123
.LBB58_1124:
	ds_load_b64 v[122:123], v1
.LBB58_1125:
	s_mov_b32 s2, exec_lo
	v_cmpx_ne_u32_e32 54, v0
	s_cbranch_execz .LBB58_1129
; %bb.1126:
	v_add_nc_u32_e32 v125, 0x1e8, v58
	v_add3_u32 v126, 0, v58, 8
	v_mov_b32_e32 v127, v0
	s_mov_b32 s3, 0
.LBB58_1127:                            ; =>This Inner Loop Header: Depth=1
	scratch_load_b64 v[128:129], v126, off
	ds_load_b64 v[130:131], v125
	s_wait_xcnt 0x0
	v_dual_add_nc_u32 v125, 8, v125 :: v_dual_add_nc_u32 v126, 8, v126
	s_wait_loadcnt_dscnt 0x0
	v_pk_mul_f32 v[132:133], v[130:131], v[128:129] op_sel:[1,1] op_sel_hi:[0,1]
	s_delay_alu instid0(VALU_DEP_1) | instskip(SKIP_2) | instid1(VALU_DEP_3)
	v_pk_fma_f32 v[134:135], v[130:131], v[128:129], v[132:133] op_sel_hi:[1,0,1]
	v_add_nc_u32_e32 v127, 1, v127
	v_pk_fma_f32 v[128:129], v[130:131], v[128:129], v[132:133] neg_lo:[0,0,1] neg_hi:[0,0,1]
	v_mov_b32_e32 v129, v135
	s_delay_alu instid0(VALU_DEP_3) | instskip(NEXT) | instid1(VALU_DEP_2)
	v_cmp_lt_u32_e32 vcc_lo, 53, v127
	v_pk_add_f32 v[122:123], v[122:123], v[128:129]
	s_or_b32 s3, vcc_lo, s3
	s_delay_alu instid0(SALU_CYCLE_1)
	s_and_not1_b32 exec_lo, exec_lo, s3
	s_cbranch_execnz .LBB58_1127
; %bb.1128:
	s_or_b32 exec_lo, exec_lo, s3
.LBB58_1129:
	s_delay_alu instid0(SALU_CYCLE_1) | instskip(SKIP_4) | instid1(VALU_DEP_1)
	s_or_b32 exec_lo, exec_lo, s2
	v_mov_b32_e32 v125, 0
	ds_load_b64 v[126:127], v125 offset:440
	s_wait_dscnt 0x0
	v_pk_mul_f32 v[128:129], v[122:123], v[126:127] op_sel:[1,1] op_sel_hi:[0,1]
	v_pk_fma_f32 v[130:131], v[122:123], v[126:127], v[128:129] op_sel_hi:[1,0,1]
	v_pk_fma_f32 v[122:123], v[122:123], v[126:127], v[128:129] neg_lo:[0,0,1] neg_hi:[0,0,1]
	s_delay_alu instid0(VALU_DEP_2)
	v_mov_b32_e32 v123, v131
	scratch_store_b64 off, v[122:123], off offset:440
.LBB58_1130:
	s_wait_xcnt 0x0
	s_or_b32 exec_lo, exec_lo, s0
	scratch_load_b64 v[122:123], off, off offset:448
	s_mov_b32 s0, exec_lo
	s_wait_loadcnt 0x0
	ds_store_b64 v1, v[122:123]
	s_wait_storecnt_dscnt 0x0
	s_barrier_signal -1
	s_barrier_wait -1
	s_wait_xcnt 0x0
	v_cmpx_gt_u32_e32 56, v0
	s_cbranch_execz .LBB58_1140
; %bb.1131:
	v_cmp_ne_u32_e32 vcc_lo, 1, v124
	s_cbranch_vccnz .LBB58_1133
; %bb.1132:
	scratch_load_b64 v[122:123], v59, off
	ds_load_b64 v[126:127], v1
	s_wait_loadcnt_dscnt 0x0
	v_pk_mul_f32 v[128:129], v[126:127], v[122:123] op_sel:[1,1] op_sel_hi:[0,1]
	s_delay_alu instid0(VALU_DEP_1) | instskip(SKIP_1) | instid1(VALU_DEP_2)
	v_pk_fma_f32 v[130:131], v[126:127], v[122:123], v[128:129] op_sel_hi:[1,0,1]
	v_pk_fma_f32 v[122:123], v[126:127], v[122:123], v[128:129] neg_lo:[0,0,1] neg_hi:[0,0,1]
	v_mov_b32_e32 v123, v131
	s_cbranch_execz .LBB58_1134
	s_branch .LBB58_1135
.LBB58_1133:
                                        ; implicit-def: $vgpr122_vgpr123
.LBB58_1134:
	ds_load_b64 v[122:123], v1
.LBB58_1135:
	s_mov_b32 s2, exec_lo
	v_cmpx_ne_u32_e32 55, v0
	s_cbranch_execz .LBB58_1139
; %bb.1136:
	v_add_nc_u32_e32 v125, 0x1e8, v58
	v_add3_u32 v126, 0, v58, 8
	v_mov_b32_e32 v127, v0
	s_mov_b32 s3, 0
.LBB58_1137:                            ; =>This Inner Loop Header: Depth=1
	scratch_load_b64 v[128:129], v126, off
	ds_load_b64 v[130:131], v125
	s_wait_xcnt 0x0
	v_dual_add_nc_u32 v125, 8, v125 :: v_dual_add_nc_u32 v126, 8, v126
	s_wait_loadcnt_dscnt 0x0
	v_pk_mul_f32 v[132:133], v[130:131], v[128:129] op_sel:[1,1] op_sel_hi:[0,1]
	s_delay_alu instid0(VALU_DEP_1) | instskip(SKIP_2) | instid1(VALU_DEP_3)
	v_pk_fma_f32 v[134:135], v[130:131], v[128:129], v[132:133] op_sel_hi:[1,0,1]
	v_add_nc_u32_e32 v127, 1, v127
	v_pk_fma_f32 v[128:129], v[130:131], v[128:129], v[132:133] neg_lo:[0,0,1] neg_hi:[0,0,1]
	v_mov_b32_e32 v129, v135
	s_delay_alu instid0(VALU_DEP_3) | instskip(NEXT) | instid1(VALU_DEP_2)
	v_cmp_lt_u32_e32 vcc_lo, 54, v127
	v_pk_add_f32 v[122:123], v[122:123], v[128:129]
	s_or_b32 s3, vcc_lo, s3
	s_delay_alu instid0(SALU_CYCLE_1)
	s_and_not1_b32 exec_lo, exec_lo, s3
	s_cbranch_execnz .LBB58_1137
; %bb.1138:
	s_or_b32 exec_lo, exec_lo, s3
.LBB58_1139:
	s_delay_alu instid0(SALU_CYCLE_1) | instskip(SKIP_4) | instid1(VALU_DEP_1)
	s_or_b32 exec_lo, exec_lo, s2
	v_mov_b32_e32 v125, 0
	ds_load_b64 v[126:127], v125 offset:448
	s_wait_dscnt 0x0
	v_pk_mul_f32 v[128:129], v[122:123], v[126:127] op_sel:[1,1] op_sel_hi:[0,1]
	v_pk_fma_f32 v[130:131], v[122:123], v[126:127], v[128:129] op_sel_hi:[1,0,1]
	v_pk_fma_f32 v[122:123], v[122:123], v[126:127], v[128:129] neg_lo:[0,0,1] neg_hi:[0,0,1]
	s_delay_alu instid0(VALU_DEP_2)
	v_mov_b32_e32 v123, v131
	scratch_store_b64 off, v[122:123], off offset:448
.LBB58_1140:
	s_wait_xcnt 0x0
	s_or_b32 exec_lo, exec_lo, s0
	scratch_load_b64 v[122:123], off, off offset:456
	v_cmp_gt_u32_e64 s0, 57, v0
	s_wait_loadcnt 0x0
	ds_store_b64 v1, v[122:123]
	s_wait_storecnt_dscnt 0x0
	s_barrier_signal -1
	s_barrier_wait -1
	s_wait_xcnt 0x0
	s_and_saveexec_b32 s2, s0
	s_cbranch_execz .LBB58_1150
; %bb.1141:
	v_cmp_ne_u32_e32 vcc_lo, 1, v124
	s_cbranch_vccnz .LBB58_1143
; %bb.1142:
	scratch_load_b64 v[122:123], v59, off
	ds_load_b64 v[126:127], v1
	s_wait_loadcnt_dscnt 0x0
	v_pk_mul_f32 v[128:129], v[126:127], v[122:123] op_sel:[1,1] op_sel_hi:[0,1]
	s_delay_alu instid0(VALU_DEP_1) | instskip(SKIP_1) | instid1(VALU_DEP_2)
	v_pk_fma_f32 v[130:131], v[126:127], v[122:123], v[128:129] op_sel_hi:[1,0,1]
	v_pk_fma_f32 v[122:123], v[126:127], v[122:123], v[128:129] neg_lo:[0,0,1] neg_hi:[0,0,1]
	v_mov_b32_e32 v123, v131
	s_cbranch_execz .LBB58_1144
	s_branch .LBB58_1145
.LBB58_1143:
                                        ; implicit-def: $vgpr122_vgpr123
.LBB58_1144:
	ds_load_b64 v[122:123], v1
.LBB58_1145:
	s_mov_b32 s3, exec_lo
	v_cmpx_ne_u32_e32 56, v0
	s_cbranch_execz .LBB58_1149
; %bb.1146:
	v_add_nc_u32_e32 v125, 0x1e8, v58
	v_add3_u32 v126, 0, v58, 8
	v_mov_b32_e32 v127, v0
	s_mov_b32 s4, 0
.LBB58_1147:                            ; =>This Inner Loop Header: Depth=1
	scratch_load_b64 v[128:129], v126, off
	ds_load_b64 v[130:131], v125
	s_wait_xcnt 0x0
	v_dual_add_nc_u32 v125, 8, v125 :: v_dual_add_nc_u32 v126, 8, v126
	s_wait_loadcnt_dscnt 0x0
	v_pk_mul_f32 v[132:133], v[130:131], v[128:129] op_sel:[1,1] op_sel_hi:[0,1]
	s_delay_alu instid0(VALU_DEP_1) | instskip(SKIP_2) | instid1(VALU_DEP_3)
	v_pk_fma_f32 v[134:135], v[130:131], v[128:129], v[132:133] op_sel_hi:[1,0,1]
	v_add_nc_u32_e32 v127, 1, v127
	v_pk_fma_f32 v[128:129], v[130:131], v[128:129], v[132:133] neg_lo:[0,0,1] neg_hi:[0,0,1]
	v_mov_b32_e32 v129, v135
	s_delay_alu instid0(VALU_DEP_3) | instskip(NEXT) | instid1(VALU_DEP_2)
	v_cmp_lt_u32_e32 vcc_lo, 55, v127
	v_pk_add_f32 v[122:123], v[122:123], v[128:129]
	s_or_b32 s4, vcc_lo, s4
	s_delay_alu instid0(SALU_CYCLE_1)
	s_and_not1_b32 exec_lo, exec_lo, s4
	s_cbranch_execnz .LBB58_1147
; %bb.1148:
	s_or_b32 exec_lo, exec_lo, s4
.LBB58_1149:
	s_delay_alu instid0(SALU_CYCLE_1) | instskip(SKIP_4) | instid1(VALU_DEP_1)
	s_or_b32 exec_lo, exec_lo, s3
	v_mov_b32_e32 v125, 0
	ds_load_b64 v[126:127], v125 offset:456
	s_wait_dscnt 0x0
	v_pk_mul_f32 v[128:129], v[122:123], v[126:127] op_sel:[1,1] op_sel_hi:[0,1]
	v_pk_fma_f32 v[130:131], v[122:123], v[126:127], v[128:129] op_sel_hi:[1,0,1]
	v_pk_fma_f32 v[122:123], v[122:123], v[126:127], v[128:129] neg_lo:[0,0,1] neg_hi:[0,0,1]
	s_delay_alu instid0(VALU_DEP_2)
	v_mov_b32_e32 v123, v131
	scratch_store_b64 off, v[122:123], off offset:456
.LBB58_1150:
	s_wait_xcnt 0x0
	s_or_b32 exec_lo, exec_lo, s2
	scratch_load_b64 v[122:123], off, off offset:464
	s_mov_b32 s2, exec_lo
                                        ; implicit-def: $vgpr166
                                        ; implicit-def: $sgpr4
	s_wait_loadcnt 0x0
	ds_store_b64 v1, v[122:123]
	s_wait_storecnt_dscnt 0x0
	s_barrier_signal -1
	s_barrier_wait -1
	s_wait_xcnt 0x0
	v_cmpx_ne_u32_e32 58, v0
	s_cbranch_execz .LBB58_1160
; %bb.1151:
	v_cmp_ne_u32_e32 vcc_lo, 1, v124
	s_cbranch_vccnz .LBB58_1153
; %bb.1152:
	scratch_load_b64 v[124:125], v59, off
	ds_load_b64 v[126:127], v1
	s_wait_loadcnt_dscnt 0x0
	v_dual_mul_f32 v59, v127, v125 :: v_dual_mul_f32 v123, v126, v125
	s_delay_alu instid0(VALU_DEP_1) | instskip(NEXT) | instid1(VALU_DEP_2)
	v_fma_f32 v122, v126, v124, -v59
	v_fmac_f32_e32 v123, v127, v124
	s_cbranch_execz .LBB58_1154
	s_branch .LBB58_1155
.LBB58_1153:
                                        ; implicit-def: $vgpr123
.LBB58_1154:
	ds_load_b64 v[122:123], v1
.LBB58_1155:
	s_and_saveexec_b32 s3, s0
	s_cbranch_execz .LBB58_1159
; %bb.1156:
	v_add_nc_u32_e32 v1, 0x1e8, v58
	v_add3_u32 v58, 0, v58, 8
	s_mov_b32 s0, 0
.LBB58_1157:                            ; =>This Inner Loop Header: Depth=1
	scratch_load_b64 v[124:125], v58, off
	ds_load_b64 v[126:127], v1
	v_dual_add_nc_u32 v0, 1, v0 :: v_dual_add_nc_u32 v1, 8, v1
	s_delay_alu instid0(VALU_DEP_1) | instskip(SKIP_3) | instid1(VALU_DEP_1)
	v_cmp_lt_u32_e32 vcc_lo, 56, v0
	s_or_b32 s0, vcc_lo, s0
	s_wait_loadcnt_dscnt 0x0
	v_dual_mul_f32 v59, v127, v125 :: v_dual_mul_f32 v125, v126, v125
	v_dual_fma_f32 v59, v126, v124, -v59 :: v_dual_fmac_f32 v125, v127, v124
	s_delay_alu instid0(VALU_DEP_1) | instskip(NEXT) | instid1(VALU_DEP_2)
	v_dual_add_nc_u32 v58, 8, v58 :: v_dual_add_f32 v122, v122, v59
	v_add_f32_e32 v123, v123, v125
	s_and_not1_b32 exec_lo, exec_lo, s0
	s_cbranch_execnz .LBB58_1157
; %bb.1158:
	s_or_b32 exec_lo, exec_lo, s0
.LBB58_1159:
	s_delay_alu instid0(SALU_CYCLE_1)
	s_or_b32 exec_lo, exec_lo, s3
	v_mov_b32_e32 v0, 0
	s_movk_i32 s4, 0x1d4
	s_or_b32 s1, s1, exec_lo
	ds_load_b64 v[0:1], v0 offset:464
	s_wait_dscnt 0x0
	v_dual_mul_f32 v58, v123, v1 :: v_dual_mul_f32 v166, v122, v1
	s_delay_alu instid0(VALU_DEP_1) | instskip(NEXT) | instid1(VALU_DEP_2)
	v_fma_f32 v1, v122, v0, -v58
	v_fmac_f32_e32 v166, v123, v0
	scratch_store_b32 off, v1, off offset:464
.LBB58_1160:
	s_wait_xcnt 0x0
	s_or_b32 exec_lo, exec_lo, s2
.LBB58_1161:
	v_lshl_add_u64 v[164:165], v[2:3], 3, s[6:7]
	v_lshl_add_u64 v[162:163], v[4:5], 3, s[6:7]
	v_lshl_add_u64 v[160:161], v[8:9], 3, s[6:7]
	v_lshl_add_u64 v[158:159], v[10:11], 3, s[6:7]
	v_lshl_add_u64 v[156:157], v[14:15], 3, s[6:7]
	v_lshl_add_u64 v[154:155], v[16:17], 3, s[6:7]
	v_lshl_add_u64 v[152:153], v[18:19], 3, s[6:7]
	v_lshl_add_u64 v[150:151], v[20:21], 3, s[6:7]
	v_lshl_add_u64 v[148:149], v[22:23], 3, s[6:7]
	v_lshl_add_u64 v[146:147], v[24:25], 3, s[6:7]
	v_lshl_add_u64 v[144:145], v[26:27], 3, s[6:7]
	v_lshl_add_u64 v[142:143], v[28:29], 3, s[6:7]
	v_lshl_add_u64 v[140:141], v[30:31], 3, s[6:7]
	v_lshl_add_u64 v[138:139], v[32:33], 3, s[6:7]
	v_lshl_add_u64 v[136:137], v[34:35], 3, s[6:7]
	v_lshl_add_u64 v[134:135], v[36:37], 3, s[6:7]
	v_lshl_add_u64 v[132:133], v[38:39], 3, s[6:7]
	v_lshl_add_u64 v[130:131], v[40:41], 3, s[6:7]
	v_lshl_add_u64 v[128:129], v[42:43], 3, s[6:7]
	v_lshl_add_u64 v[126:127], v[44:45], 3, s[6:7]
	v_lshl_add_u64 v[124:125], v[46:47], 3, s[6:7]
	v_lshl_add_u64 v[122:123], v[48:49], 3, s[6:7]
	v_lshl_add_u64 v[0:1], v[50:51], 3, s[6:7]
	v_lshl_add_u64 v[2:3], v[52:53], 3, s[6:7]
	v_lshl_add_u64 v[4:5], v[54:55], 3, s[6:7]
	v_lshl_add_u64 v[8:9], v[56:57], 3, s[6:7]
	v_lshl_add_u64 v[10:11], v[60:61], 3, s[6:7]
	v_lshl_add_u64 v[14:15], v[62:63], 3, s[6:7]
	v_lshl_add_u64 v[16:17], v[64:65], 3, s[6:7]
	v_lshl_add_u64 v[18:19], v[66:67], 3, s[6:7]
	v_lshl_add_u64 v[20:21], v[68:69], 3, s[6:7]
	v_lshl_add_u64 v[22:23], v[70:71], 3, s[6:7]
	v_lshl_add_u64 v[24:25], v[72:73], 3, s[6:7]
	v_lshl_add_u64 v[26:27], v[74:75], 3, s[6:7]
	v_lshl_add_u64 v[28:29], v[76:77], 3, s[6:7]
	v_lshl_add_u64 v[30:31], v[78:79], 3, s[6:7]
	v_lshl_add_u64 v[32:33], v[80:81], 3, s[6:7]
	v_lshl_add_u64 v[34:35], v[82:83], 3, s[6:7]
	v_lshl_add_u64 v[36:37], v[84:85], 3, s[6:7]
	v_lshl_add_u64 v[38:39], v[86:87], 3, s[6:7]
	v_lshl_add_u64 v[40:41], v[88:89], 3, s[6:7]
	v_lshl_add_u64 v[42:43], v[90:91], 3, s[6:7]
	v_lshl_add_u64 v[44:45], v[92:93], 3, s[6:7]
	v_lshl_add_u64 v[46:47], v[94:95], 3, s[6:7]
	v_lshl_add_u64 v[48:49], v[96:97], 3, s[6:7]
	v_lshl_add_u64 v[50:51], v[98:99], 3, s[6:7]
	v_lshl_add_u64 v[52:53], v[100:101], 3, s[6:7]
	v_lshl_add_u64 v[54:55], v[102:103], 3, s[6:7]
	v_lshl_add_u64 v[56:57], v[104:105], 3, s[6:7]
	v_lshl_add_u64 v[58:59], v[106:107], 3, s[6:7]
	v_lshl_add_u64 v[60:61], v[108:109], 3, s[6:7]
	v_lshl_add_u64 v[62:63], v[110:111], 3, s[6:7]
	v_lshl_add_u64 v[64:65], v[112:113], 3, s[6:7]
	v_lshl_add_u64 v[66:67], v[114:115], 3, s[6:7]
	v_lshl_add_u64 v[68:69], v[116:117], 3, s[6:7]
	v_lshl_add_u64 v[70:71], v[118:119], 3, s[6:7]
	v_lshl_add_u64 v[72:73], v[120:121], 3, s[6:7]
	s_and_saveexec_b32 s0, s1
	s_cbranch_execz .LBB58_1163
; %bb.1162:
	scratch_store_b32 off, v166, s4
.LBB58_1163:
	s_wait_xcnt 0x0
	s_or_b32 exec_lo, exec_lo, s0
	s_clause 0xb
	scratch_load_b128 v[74:77], off, off
	scratch_load_b128 v[78:81], off, off offset:16
	scratch_load_b128 v[82:85], off, off offset:32
	;; [unrolled: 1-line block ×11, first 2 shown]
	s_wait_loadcnt 0xb
	s_clause 0x1
	global_store_b64 v[6:7], v[74:75], off
	global_store_b64 v[12:13], v[76:77], off
	scratch_load_b128 v[74:77], off, off offset:96
	s_wait_loadcnt 0xb
	s_clause 0x1
	global_store_b64 v[164:165], v[78:79], off
	global_store_b64 v[162:163], v[80:81], off
	scratch_load_b128 v[78:81], off, off offset:128
	;; [unrolled: 5-line block ×4, first 2 shown]
	s_wait_loadcnt 0xb
	s_clause 0x1
	global_store_b64 v[152:153], v[90:91], off
	global_store_b64 v[150:151], v[92:93], off
	s_wait_loadcnt 0xa
	s_clause 0x1
	global_store_b64 v[148:149], v[94:95], off
	global_store_b64 v[146:147], v[96:97], off
	s_clause 0x1
	scratch_load_b128 v[90:93], off, off offset:224
	scratch_load_b128 v[94:97], off, off offset:256
	s_wait_loadcnt 0x5
	s_clause 0x3
	global_store_b64 v[144:145], v[74:75], off
	global_store_b64 v[142:143], v[76:77], off
	global_store_b64 v[140:141], v[98:99], off
	global_store_b64 v[138:139], v[100:101], off
	s_wait_loadcnt 0x4
	s_clause 0x3
	global_store_b64 v[136:137], v[78:79], off
	global_store_b64 v[134:135], v[80:81], off
	global_store_b64 v[132:133], v[102:103], off
	global_store_b64 v[130:131], v[104:105], off
	s_wait_loadcnt 0x3
	s_clause 0x3
	global_store_b64 v[128:129], v[82:83], off
	global_store_b64 v[126:127], v[84:85], off
	global_store_b64 v[124:125], v[106:107], off
	global_store_b64 v[122:123], v[108:109], off
	s_clause 0xb
	scratch_load_b128 v[74:77], off, off offset:288
	scratch_load_b128 v[140:143], off, off offset:304
	;; [unrolled: 1-line block ×11, first 2 shown]
	scratch_load_b64 v[6:7], off, off offset:464
	s_wait_loadcnt 0xe
	s_clause 0x3
	global_store_b64 v[0:1], v[86:87], off
	global_store_b64 v[2:3], v[88:89], off
	global_store_b64 v[4:5], v[110:111], off
	global_store_b64 v[8:9], v[112:113], off
	s_wait_loadcnt 0xd
	s_clause 0x3
	global_store_b64 v[10:11], v[90:91], off
	global_store_b64 v[14:15], v[92:93], off
	global_store_b64 v[16:17], v[114:115], off
	global_store_b64 v[18:19], v[116:117], off
	;; [unrolled: 6-line block ×3, first 2 shown]
	s_wait_loadcnt 0xb
	s_clause 0x1
	global_store_b64 v[28:29], v[74:75], off
	global_store_b64 v[30:31], v[76:77], off
	s_wait_loadcnt 0xa
	s_clause 0x1
	global_store_b64 v[32:33], v[140:141], off
	global_store_b64 v[34:35], v[142:143], off
	;; [unrolled: 4-line block ×11, first 2 shown]
	s_wait_loadcnt 0x0
	global_store_b64 v[72:73], v[6:7], off
.LBB58_1164:
	s_sendmsg sendmsg(MSG_DEALLOC_VGPRS)
	s_endpgm
	.section	.rodata,"a",@progbits
	.p2align	6, 0x0
	.amdhsa_kernel _ZN9rocsolver6v33100L18trti2_kernel_smallILi59E19rocblas_complex_numIfEPS3_EEv13rocblas_fill_17rocblas_diagonal_T1_iil
		.amdhsa_group_segment_fixed_size 952
		.amdhsa_private_segment_fixed_size 480
		.amdhsa_kernarg_size 32
		.amdhsa_user_sgpr_count 2
		.amdhsa_user_sgpr_dispatch_ptr 0
		.amdhsa_user_sgpr_queue_ptr 0
		.amdhsa_user_sgpr_kernarg_segment_ptr 1
		.amdhsa_user_sgpr_dispatch_id 0
		.amdhsa_user_sgpr_kernarg_preload_length 0
		.amdhsa_user_sgpr_kernarg_preload_offset 0
		.amdhsa_user_sgpr_private_segment_size 0
		.amdhsa_wavefront_size32 1
		.amdhsa_uses_dynamic_stack 0
		.amdhsa_enable_private_segment 1
		.amdhsa_system_sgpr_workgroup_id_x 1
		.amdhsa_system_sgpr_workgroup_id_y 0
		.amdhsa_system_sgpr_workgroup_id_z 0
		.amdhsa_system_sgpr_workgroup_info 0
		.amdhsa_system_vgpr_workitem_id 0
		.amdhsa_next_free_vgpr 167
		.amdhsa_next_free_sgpr 37
		.amdhsa_named_barrier_count 0
		.amdhsa_reserve_vcc 1
		.amdhsa_float_round_mode_32 0
		.amdhsa_float_round_mode_16_64 0
		.amdhsa_float_denorm_mode_32 3
		.amdhsa_float_denorm_mode_16_64 3
		.amdhsa_fp16_overflow 0
		.amdhsa_memory_ordered 1
		.amdhsa_forward_progress 1
		.amdhsa_inst_pref_size 255
		.amdhsa_round_robin_scheduling 0
		.amdhsa_exception_fp_ieee_invalid_op 0
		.amdhsa_exception_fp_denorm_src 0
		.amdhsa_exception_fp_ieee_div_zero 0
		.amdhsa_exception_fp_ieee_overflow 0
		.amdhsa_exception_fp_ieee_underflow 0
		.amdhsa_exception_fp_ieee_inexact 0
		.amdhsa_exception_int_div_zero 0
	.end_amdhsa_kernel
	.section	.text._ZN9rocsolver6v33100L18trti2_kernel_smallILi59E19rocblas_complex_numIfEPS3_EEv13rocblas_fill_17rocblas_diagonal_T1_iil,"axG",@progbits,_ZN9rocsolver6v33100L18trti2_kernel_smallILi59E19rocblas_complex_numIfEPS3_EEv13rocblas_fill_17rocblas_diagonal_T1_iil,comdat
.Lfunc_end58:
	.size	_ZN9rocsolver6v33100L18trti2_kernel_smallILi59E19rocblas_complex_numIfEPS3_EEv13rocblas_fill_17rocblas_diagonal_T1_iil, .Lfunc_end58-_ZN9rocsolver6v33100L18trti2_kernel_smallILi59E19rocblas_complex_numIfEPS3_EEv13rocblas_fill_17rocblas_diagonal_T1_iil
                                        ; -- End function
	.set _ZN9rocsolver6v33100L18trti2_kernel_smallILi59E19rocblas_complex_numIfEPS3_EEv13rocblas_fill_17rocblas_diagonal_T1_iil.num_vgpr, 167
	.set _ZN9rocsolver6v33100L18trti2_kernel_smallILi59E19rocblas_complex_numIfEPS3_EEv13rocblas_fill_17rocblas_diagonal_T1_iil.num_agpr, 0
	.set _ZN9rocsolver6v33100L18trti2_kernel_smallILi59E19rocblas_complex_numIfEPS3_EEv13rocblas_fill_17rocblas_diagonal_T1_iil.numbered_sgpr, 37
	.set _ZN9rocsolver6v33100L18trti2_kernel_smallILi59E19rocblas_complex_numIfEPS3_EEv13rocblas_fill_17rocblas_diagonal_T1_iil.num_named_barrier, 0
	.set _ZN9rocsolver6v33100L18trti2_kernel_smallILi59E19rocblas_complex_numIfEPS3_EEv13rocblas_fill_17rocblas_diagonal_T1_iil.private_seg_size, 480
	.set _ZN9rocsolver6v33100L18trti2_kernel_smallILi59E19rocblas_complex_numIfEPS3_EEv13rocblas_fill_17rocblas_diagonal_T1_iil.uses_vcc, 1
	.set _ZN9rocsolver6v33100L18trti2_kernel_smallILi59E19rocblas_complex_numIfEPS3_EEv13rocblas_fill_17rocblas_diagonal_T1_iil.uses_flat_scratch, 1
	.set _ZN9rocsolver6v33100L18trti2_kernel_smallILi59E19rocblas_complex_numIfEPS3_EEv13rocblas_fill_17rocblas_diagonal_T1_iil.has_dyn_sized_stack, 0
	.set _ZN9rocsolver6v33100L18trti2_kernel_smallILi59E19rocblas_complex_numIfEPS3_EEv13rocblas_fill_17rocblas_diagonal_T1_iil.has_recursion, 0
	.set _ZN9rocsolver6v33100L18trti2_kernel_smallILi59E19rocblas_complex_numIfEPS3_EEv13rocblas_fill_17rocblas_diagonal_T1_iil.has_indirect_call, 0
	.section	.AMDGPU.csdata,"",@progbits
; Kernel info:
; codeLenInByte = 44716
; TotalNumSgprs: 39
; NumVgprs: 167
; ScratchSize: 480
; MemoryBound: 0
; FloatMode: 240
; IeeeMode: 1
; LDSByteSize: 952 bytes/workgroup (compile time only)
; SGPRBlocks: 0
; VGPRBlocks: 10
; NumSGPRsForWavesPerEU: 39
; NumVGPRsForWavesPerEU: 167
; NamedBarCnt: 0
; Occupancy: 5
; WaveLimiterHint : 0
; COMPUTE_PGM_RSRC2:SCRATCH_EN: 1
; COMPUTE_PGM_RSRC2:USER_SGPR: 2
; COMPUTE_PGM_RSRC2:TRAP_HANDLER: 0
; COMPUTE_PGM_RSRC2:TGID_X_EN: 1
; COMPUTE_PGM_RSRC2:TGID_Y_EN: 0
; COMPUTE_PGM_RSRC2:TGID_Z_EN: 0
; COMPUTE_PGM_RSRC2:TIDIG_COMP_CNT: 0
	.section	.text._ZN9rocsolver6v33100L18trti2_kernel_smallILi60E19rocblas_complex_numIfEPS3_EEv13rocblas_fill_17rocblas_diagonal_T1_iil,"axG",@progbits,_ZN9rocsolver6v33100L18trti2_kernel_smallILi60E19rocblas_complex_numIfEPS3_EEv13rocblas_fill_17rocblas_diagonal_T1_iil,comdat
	.globl	_ZN9rocsolver6v33100L18trti2_kernel_smallILi60E19rocblas_complex_numIfEPS3_EEv13rocblas_fill_17rocblas_diagonal_T1_iil ; -- Begin function _ZN9rocsolver6v33100L18trti2_kernel_smallILi60E19rocblas_complex_numIfEPS3_EEv13rocblas_fill_17rocblas_diagonal_T1_iil
	.p2align	8
	.type	_ZN9rocsolver6v33100L18trti2_kernel_smallILi60E19rocblas_complex_numIfEPS3_EEv13rocblas_fill_17rocblas_diagonal_T1_iil,@function
_ZN9rocsolver6v33100L18trti2_kernel_smallILi60E19rocblas_complex_numIfEPS3_EEv13rocblas_fill_17rocblas_diagonal_T1_iil: ; @_ZN9rocsolver6v33100L18trti2_kernel_smallILi60E19rocblas_complex_numIfEPS3_EEv13rocblas_fill_17rocblas_diagonal_T1_iil
; %bb.0:
	s_mov_b32 s2, exec_lo
	v_cmpx_gt_u32_e32 60, v0
	s_cbranch_execz .LBB59_1184
; %bb.1:
	s_load_b256 s[4:11], s[0:1], 0x0
	s_wait_xcnt 0x0
	s_bfe_u32 s0, ttmp6, 0x4000c
	s_and_b32 s1, ttmp6, 15
	s_add_co_i32 s0, s0, 1
	s_getreg_b32 s2, hwreg(HW_REG_IB_STS2, 6, 4)
	s_mul_i32 s0, ttmp9, s0
	v_dual_mov_b32 v39, 0 :: v_dual_lshlrev_b32 v38, 3, v0
	s_add_co_i32 s0, s1, s0
	s_wait_kmcnt 0x0
	v_add3_u32 v6, s9, s9, v0
	s_ashr_i32 s1, s8, 31
	s_cmp_eq_u32 s2, 0
	s_cselect_b32 s2, ttmp9, s0
	s_delay_alu instid0(VALU_DEP_1)
	v_add_nc_u32_e32 v8, s9, v6
	s_ashr_i32 s3, s2, 31
	s_mov_b32 s0, s8
	s_mul_u64 s[2:3], s[10:11], s[2:3]
	s_lshl_b64 s[0:1], s[0:1], 3
	v_add_nc_u32_e32 v10, s9, v8
	s_lshl_b64 s[2:3], s[2:3], 3
	s_delay_alu instid0(SALU_CYCLE_1) | instskip(NEXT) | instid1(SALU_CYCLE_1)
	s_add_nc_u64 s[2:3], s[6:7], s[2:3]
	s_add_nc_u64 s[6:7], s[2:3], s[0:1]
	s_delay_alu instid0(VALU_DEP_1)
	v_add_nc_u32_e32 v12, s9, v10
	v_add_nc_u64_e32 v[2:3], s[6:7], v[38:39]
	s_mov_b32 s0, s9
	s_ashr_i32 s1, s9, 31
	s_cmp_lg_u32 s5, 0x84
	v_add_nc_u32_e32 v14, s9, v12
	s_cselect_b32 s3, -1, 0
	s_delay_alu instid0(VALU_DEP_2) | instskip(SKIP_1) | instid1(VALU_DEP_2)
	v_lshl_add_u64 v[4:5], s[0:1], 3, v[2:3]
	s_mov_b32 s0, -1
	v_add_nc_u32_e32 v16, s9, v14
	s_and_b32 vcc_lo, exec_lo, s3
	s_delay_alu instid0(VALU_DEP_1)
	v_add_nc_u32_e32 v18, s9, v16
	s_clause 0x7
	global_load_b64 v[76:77], v10, s[6:7] scale_offset
	global_load_b64 v[78:79], v12, s[6:7] scale_offset
	;; [unrolled: 1-line block ×3, first 2 shown]
	global_load_b64 v[82:83], v[4:5], off
	global_load_b64 v[84:85], v6, s[6:7] scale_offset
	global_load_b64 v[86:87], v8, s[6:7] scale_offset
	global_load_b64 v[88:89], v14, s[6:7] scale_offset
	global_load_b64 v[90:91], v16, s[6:7] scale_offset
	v_add_nc_u32_e32 v20, s9, v18
	s_delay_alu instid0(VALU_DEP_1) | instskip(NEXT) | instid1(VALU_DEP_1)
	v_add_nc_u32_e32 v22, s9, v20
	v_add_nc_u32_e32 v24, s9, v22
	s_delay_alu instid0(VALU_DEP_1) | instskip(SKIP_4) | instid1(VALU_DEP_1)
	v_add_nc_u32_e32 v26, s9, v24
	s_clause 0x1
	global_load_b64 v[92:93], v18, s[6:7] scale_offset
	global_load_b64 v[94:95], v20, s[6:7] scale_offset
	v_add_nc_u32_e32 v28, s9, v26
	v_add_nc_u32_e32 v30, s9, v28
	s_clause 0x1
	global_load_b64 v[96:97], v22, s[6:7] scale_offset
	global_load_b64 v[98:99], v24, s[6:7] scale_offset
	v_add_nc_u32_e32 v32, s9, v30
	s_delay_alu instid0(VALU_DEP_1) | instskip(NEXT) | instid1(VALU_DEP_1)
	v_add_nc_u32_e32 v34, s9, v32
	v_add_nc_u32_e32 v36, s9, v34
	s_delay_alu instid0(VALU_DEP_1)
	v_add_nc_u32_e32 v40, s9, v36
	s_clause 0x3
	global_load_b64 v[100:101], v26, s[6:7] scale_offset
	global_load_b64 v[102:103], v28, s[6:7] scale_offset
	global_load_b64 v[104:105], v30, s[6:7] scale_offset
	global_load_b64 v[106:107], v32, s[6:7] scale_offset
	v_add_nc_u32_e32 v42, s9, v40
	s_delay_alu instid0(VALU_DEP_1)
	v_add_nc_u32_e32 v44, s9, v42
	s_clause 0x3
	global_load_b64 v[108:109], v34, s[6:7] scale_offset
	global_load_b64 v[110:111], v36, s[6:7] scale_offset
	;; [unrolled: 1-line block ×4, first 2 shown]
	v_add_nc_u32_e32 v46, s9, v44
	s_delay_alu instid0(VALU_DEP_1) | instskip(NEXT) | instid1(VALU_DEP_1)
	v_add_nc_u32_e32 v48, s9, v46
	v_add_nc_u32_e32 v50, s9, v48
	s_delay_alu instid0(VALU_DEP_1) | instskip(NEXT) | instid1(VALU_DEP_1)
	v_add_nc_u32_e32 v52, s9, v50
	v_add_nc_u32_e32 v54, s9, v52
	s_delay_alu instid0(VALU_DEP_1)
	v_add_nc_u32_e32 v56, s9, v54
	s_clause 0x3
	global_load_b64 v[116:117], v44, s[6:7] scale_offset
	global_load_b64 v[118:119], v46, s[6:7] scale_offset
	;; [unrolled: 1-line block ×4, first 2 shown]
	v_add_nc_u32_e32 v58, s9, v56
	s_delay_alu instid0(VALU_DEP_1) | instskip(NEXT) | instid1(VALU_DEP_1)
	v_add_nc_u32_e32 v60, s9, v58
	v_add_nc_u32_e32 v62, s9, v60
	s_delay_alu instid0(VALU_DEP_1)
	v_add_nc_u32_e32 v64, s9, v62
	s_clause 0x3
	global_load_b64 v[124:125], v52, s[6:7] scale_offset
	global_load_b64 v[126:127], v54, s[6:7] scale_offset
	;; [unrolled: 1-line block ×4, first 2 shown]
	v_add_nc_u32_e32 v66, s9, v64
	s_delay_alu instid0(VALU_DEP_1)
	v_add_nc_u32_e32 v68, s9, v66
	s_clause 0x3
	global_load_b64 v[132:133], v60, s[6:7] scale_offset
	global_load_b64 v[134:135], v62, s[6:7] scale_offset
	;; [unrolled: 1-line block ×4, first 2 shown]
	s_wait_loadcnt 0x1e
	scratch_store_b128 off, v[76:79], off offset:32
	s_wait_loadcnt 0x1c
	scratch_store_b128 off, v[80:83], off
	v_add_nc_u32_e32 v70, s9, v68
	s_delay_alu instid0(VALU_DEP_1) | instskip(NEXT) | instid1(VALU_DEP_1)
	v_add_nc_u32_e32 v72, s9, v70
	v_add_nc_u32_e32 v74, s9, v72
	s_wait_xcnt 0x1
	s_delay_alu instid0(VALU_DEP_1) | instskip(NEXT) | instid1(VALU_DEP_1)
	v_add_nc_u32_e32 v76, s9, v74
	v_add_nc_u32_e32 v78, s9, v76
	s_wait_xcnt 0x0
	s_delay_alu instid0(VALU_DEP_1)
	v_add_nc_u32_e32 v80, s9, v78
	s_clause 0x3
	global_load_b64 v[140:141], v68, s[6:7] scale_offset
	global_load_b64 v[142:143], v70, s[6:7] scale_offset
	;; [unrolled: 1-line block ×4, first 2 shown]
	s_wait_loadcnt 0x1e
	scratch_store_b128 off, v[84:87], off offset:16
	s_wait_loadcnt 0x1c
	scratch_store_b128 off, v[88:91], off offset:48
	;; [unrolled: 2-line block ×4, first 2 shown]
	v_add_nc_u32_e32 v82, s9, v80
	s_wait_xcnt 0x3
	s_delay_alu instid0(VALU_DEP_1) | instskip(NEXT) | instid1(VALU_DEP_1)
	v_add_nc_u32_e32 v84, s9, v82
	v_add_nc_u32_e32 v86, s9, v84
	s_wait_xcnt 0x2
	s_delay_alu instid0(VALU_DEP_1)
	v_add_nc_u32_e32 v88, s9, v86
	s_wait_loadcnt 0x16
	scratch_store_b128 off, v[100:103], off offset:96
	s_wait_loadcnt 0x14
	scratch_store_b128 off, v[104:107], off offset:112
	s_clause 0x1
	global_load_b64 v[148:149], v76, s[6:7] scale_offset
	global_load_b64 v[150:151], v78, s[6:7] scale_offset
	v_add_nc_u32_e32 v90, s9, v88
	s_wait_xcnt 0x5
	s_delay_alu instid0(VALU_DEP_1)
	v_add_nc_u32_e32 v92, s9, v90
	s_wait_loadcnt 0x14
	scratch_store_b128 off, v[108:111], off offset:128
	s_wait_loadcnt 0x12
	scratch_store_b128 off, v[112:115], off offset:144
	s_clause 0x1
	global_load_b64 v[112:113], v80, s[6:7] scale_offset
	global_load_b64 v[114:115], v82, s[6:7] scale_offset
	v_add_nc_u32_e32 v94, s9, v92
	s_delay_alu instid0(VALU_DEP_1) | instskip(NEXT) | instid1(VALU_DEP_1)
	v_add_nc_u32_e32 v96, s9, v94
	v_add_nc_u32_e32 v98, s9, v96
	s_delay_alu instid0(VALU_DEP_1) | instskip(NEXT) | instid1(VALU_DEP_1)
	v_add_nc_u32_e32 v100, s9, v98
	v_add_nc_u32_e32 v102, s9, v100
	s_delay_alu instid0(VALU_DEP_1)
	v_add_nc_u32_e32 v104, s9, v102
	s_wait_loadcnt 0x12
	scratch_store_b128 off, v[116:119], off offset:160
	s_wait_loadcnt 0x10
	scratch_store_b128 off, v[120:123], off offset:176
	s_clause 0x1
	global_load_b64 v[116:117], v84, s[6:7] scale_offset
	global_load_b64 v[118:119], v86, s[6:7] scale_offset
	v_add_nc_u32_e32 v106, s9, v104
	s_delay_alu instid0(VALU_DEP_1) | instskip(NEXT) | instid1(VALU_DEP_1)
	v_add_nc_u32_e32 v108, s9, v106
	v_add_nc_u32_e32 v110, s9, v108
	s_wait_loadcnt 0x10
	scratch_store_b128 off, v[124:127], off offset:192
	s_clause 0x1
	global_load_b64 v[120:121], v88, s[6:7] scale_offset
	global_load_b64 v[122:123], v90, s[6:7] scale_offset
	s_wait_loadcnt 0x10
	scratch_store_b128 off, v[128:131], off offset:208
	s_wait_loadcnt 0xe
	scratch_store_b128 off, v[132:135], off offset:224
	;; [unrolled: 2-line block ×3, first 2 shown]
	s_clause 0x3
	global_load_b64 v[124:125], v92, s[6:7] scale_offset
	global_load_b64 v[126:127], v94, s[6:7] scale_offset
	;; [unrolled: 1-line block ×4, first 2 shown]
	s_wait_loadcnt 0xe
	scratch_store_b128 off, v[140:143], off offset:256
	s_wait_loadcnt 0xc
	scratch_store_b128 off, v[144:147], off offset:272
	s_clause 0x3
	global_load_b64 v[132:133], v100, s[6:7] scale_offset
	global_load_b64 v[134:135], v102, s[6:7] scale_offset
	;; [unrolled: 1-line block ×4, first 2 shown]
	s_wait_loadcnt 0xe
	scratch_store_b128 off, v[148:151], off offset:288
	s_wait_loadcnt 0xc
	scratch_store_b128 off, v[112:115], off offset:304
	s_wait_xcnt 0x0
	v_add_nc_u32_e32 v112, s9, v110
	s_delay_alu instid0(VALU_DEP_1) | instskip(SKIP_4) | instid1(VALU_DEP_1)
	v_add_nc_u32_e32 v114, s9, v112
	s_wait_loadcnt 0xa
	scratch_store_b128 off, v[116:119], off offset:320
	s_wait_xcnt 0x0
	v_add_nc_u32_e32 v116, s9, v114
	v_add_nc_u32_e32 v118, s9, v116
	s_wait_loadcnt 0x8
	scratch_store_b128 off, v[120:123], off offset:336
	s_wait_xcnt 0x0
	v_add_nc_u32_e32 v120, s9, v118
	s_wait_loadcnt 0x6
	scratch_store_b128 off, v[124:127], off offset:352
	s_wait_loadcnt 0x4
	scratch_store_b128 off, v[128:131], off offset:368
	v_add_nc_u32_e32 v122, s9, v120
	s_clause 0x3
	global_load_b64 v[124:125], v108, s[6:7] scale_offset
	global_load_b64 v[126:127], v110, s[6:7] scale_offset
	;; [unrolled: 1-line block ×4, first 2 shown]
	s_wait_loadcnt 0x6
	scratch_store_b128 off, v[132:135], off offset:384
	s_wait_loadcnt 0x4
	scratch_store_b128 off, v[136:139], off offset:400
	s_clause 0x3
	global_load_b64 v[132:133], v116, s[6:7] scale_offset
	global_load_b64 v[134:135], v118, s[6:7] scale_offset
	;; [unrolled: 1-line block ×4, first 2 shown]
	s_wait_loadcnt 0x6
	scratch_store_b128 off, v[124:127], off offset:416
	s_wait_loadcnt 0x4
	scratch_store_b128 off, v[128:131], off offset:432
	;; [unrolled: 2-line block ×4, first 2 shown]
	s_cbranch_vccz .LBB59_7
; %bb.2:
	scratch_load_b64 v[124:125], v0, off scale_offset
                                        ; implicit-def: $vgpr129
                                        ; implicit-def: $vgpr126
	s_wait_loadcnt 0x0
	v_cmp_ngt_f32_e64 s0, |v124|, |v125|
	s_wait_xcnt 0x0
	s_and_saveexec_b32 s1, s0
	s_delay_alu instid0(SALU_CYCLE_1)
	s_xor_b32 s0, exec_lo, s1
	s_cbranch_execz .LBB59_4
; %bb.3:
	v_div_scale_f32 v1, null, v125, v125, v124
	v_div_scale_f32 v11, vcc_lo, v124, v125, v124
	s_delay_alu instid0(VALU_DEP_2) | instskip(SKIP_1) | instid1(TRANS32_DEP_1)
	v_rcp_f32_e32 v7, v1
	v_nop
	v_fma_f32 v9, -v1, v7, 1.0
	s_delay_alu instid0(VALU_DEP_1) | instskip(NEXT) | instid1(VALU_DEP_1)
	v_fmac_f32_e32 v7, v9, v7
	v_mul_f32_e32 v9, v11, v7
	s_delay_alu instid0(VALU_DEP_1) | instskip(NEXT) | instid1(VALU_DEP_1)
	v_fma_f32 v13, -v1, v9, v11
	v_fmac_f32_e32 v9, v13, v7
	s_delay_alu instid0(VALU_DEP_1) | instskip(NEXT) | instid1(VALU_DEP_1)
	v_fma_f32 v1, -v1, v9, v11
	v_div_fmas_f32 v1, v1, v7, v9
	s_delay_alu instid0(VALU_DEP_1) | instskip(NEXT) | instid1(VALU_DEP_1)
	v_div_fixup_f32 v1, v1, v125, v124
	v_fmac_f32_e32 v125, v124, v1
	s_delay_alu instid0(VALU_DEP_1) | instskip(NEXT) | instid1(VALU_DEP_1)
	v_div_scale_f32 v7, null, v125, v125, -1.0
	v_rcp_f32_e32 v9, v7
	v_nop
	s_delay_alu instid0(TRANS32_DEP_1) | instskip(NEXT) | instid1(VALU_DEP_1)
	v_fma_f32 v11, -v7, v9, 1.0
	v_fmac_f32_e32 v9, v11, v9
	v_div_scale_f32 v11, vcc_lo, -1.0, v125, -1.0
	s_delay_alu instid0(VALU_DEP_1) | instskip(NEXT) | instid1(VALU_DEP_1)
	v_mul_f32_e32 v13, v11, v9
	v_fma_f32 v15, -v7, v13, v11
	s_delay_alu instid0(VALU_DEP_1) | instskip(NEXT) | instid1(VALU_DEP_1)
	v_fmac_f32_e32 v13, v15, v9
	v_fma_f32 v7, -v7, v13, v11
	s_delay_alu instid0(VALU_DEP_1) | instskip(NEXT) | instid1(VALU_DEP_1)
	v_div_fmas_f32 v7, v7, v9, v13
	v_div_fixup_f32 v129, v7, v125, -1.0
                                        ; implicit-def: $vgpr124_vgpr125
	s_delay_alu instid0(VALU_DEP_1) | instskip(NEXT) | instid1(VALU_DEP_1)
	v_mul_f32_e32 v126, v1, v129
	v_xor_b32_e32 v128, 0x80000000, v126
.LBB59_4:
	s_or_saveexec_b32 s0, s0
	v_lshl_add_u32 v1, v0, 3, 0
	s_xor_b32 exec_lo, exec_lo, s0
	s_cbranch_execz .LBB59_6
; %bb.5:
	v_div_scale_f32 v7, null, v124, v124, v125
	v_div_scale_f32 v13, vcc_lo, v125, v124, v125
	s_delay_alu instid0(VALU_DEP_2) | instskip(SKIP_1) | instid1(TRANS32_DEP_1)
	v_rcp_f32_e32 v9, v7
	v_nop
	v_fma_f32 v11, -v7, v9, 1.0
	s_delay_alu instid0(VALU_DEP_1) | instskip(NEXT) | instid1(VALU_DEP_1)
	v_fmac_f32_e32 v9, v11, v9
	v_mul_f32_e32 v11, v13, v9
	s_delay_alu instid0(VALU_DEP_1) | instskip(NEXT) | instid1(VALU_DEP_1)
	v_fma_f32 v15, -v7, v11, v13
	v_fmac_f32_e32 v11, v15, v9
	s_delay_alu instid0(VALU_DEP_1) | instskip(NEXT) | instid1(VALU_DEP_1)
	v_fma_f32 v7, -v7, v11, v13
	v_div_fmas_f32 v7, v7, v9, v11
	s_delay_alu instid0(VALU_DEP_1) | instskip(NEXT) | instid1(VALU_DEP_1)
	v_div_fixup_f32 v7, v7, v124, v125
	v_fmac_f32_e32 v124, v125, v7
	s_delay_alu instid0(VALU_DEP_1) | instskip(SKIP_1) | instid1(VALU_DEP_2)
	v_div_scale_f32 v9, null, v124, v124, 1.0
	v_div_scale_f32 v15, vcc_lo, 1.0, v124, 1.0
	v_rcp_f32_e32 v11, v9
	v_nop
	s_delay_alu instid0(TRANS32_DEP_1) | instskip(NEXT) | instid1(VALU_DEP_1)
	v_fma_f32 v13, -v9, v11, 1.0
	v_fmac_f32_e32 v11, v13, v11
	s_delay_alu instid0(VALU_DEP_1) | instskip(NEXT) | instid1(VALU_DEP_1)
	v_mul_f32_e32 v13, v15, v11
	v_fma_f32 v17, -v9, v13, v15
	s_delay_alu instid0(VALU_DEP_1) | instskip(NEXT) | instid1(VALU_DEP_1)
	v_fmac_f32_e32 v13, v17, v11
	v_fma_f32 v9, -v9, v13, v15
	s_delay_alu instid0(VALU_DEP_1) | instskip(NEXT) | instid1(VALU_DEP_1)
	v_div_fmas_f32 v9, v9, v11, v13
	v_div_fixup_f32 v128, v9, v124, 1.0
	s_delay_alu instid0(VALU_DEP_1)
	v_xor_b32_e32 v126, 0x80000000, v128
	v_mul_f32_e64 v129, v7, -v128
.LBB59_6:
	s_or_b32 exec_lo, exec_lo, s0
	s_delay_alu instid0(VALU_DEP_1)
	v_xor_b32_e32 v127, 0x80000000, v129
	s_mov_b32 s0, 0
	scratch_store_b64 v1, v[128:129], off
	ds_store_b64 v38, v[126:127]
.LBB59_7:
	s_and_b32 vcc_lo, exec_lo, s0
	s_cbranch_vccz .LBB59_9
; %bb.8:
	s_mov_b64 s[0:1], 0xbf800000
	s_wait_xcnt 0x3
	v_mov_b64_e32 v[124:125], s[0:1]
	ds_store_b64 v38, v[124:125]
.LBB59_9:
	v_dual_ashrrev_i32 v7, 31, v6 :: v_dual_ashrrev_i32 v9, 31, v8
	v_dual_ashrrev_i32 v11, 31, v10 :: v_dual_ashrrev_i32 v13, 31, v12
	;; [unrolled: 1-line block ×29, first 2 shown]
	s_wait_xcnt 0x0
	v_add_nc_u32_e32 v1, 0x1e0, v38
	v_mov_b32_e32 v39, v38
	s_cmp_eq_u32 s4, 0x79
	s_cbranch_scc1 .LBB59_13
; %bb.10:
	scratch_load_b64 v[124:125], off, off offset:464
	v_cmp_eq_u32_e64 s0, 59, v0
	s_movk_i32 s1, 0x50
	s_movk_i32 s10, 0x60
	;; [unrolled: 1-line block ×24, first 2 shown]
	s_wait_loadcnt 0x0
	ds_store_b64 v1, v[124:125]
	s_wait_storecnt_dscnt 0x0
	s_barrier_signal -1
	s_barrier_wait -1
	s_wait_xcnt 0x0
	s_and_saveexec_b32 s2, s0
	s_cbranch_execz .LBB59_17
; %bb.11:
	s_and_b32 vcc_lo, exec_lo, s3
	s_cbranch_vccz .LBB59_14
; %bb.12:
	scratch_load_b64 v[124:125], v39, off
	ds_load_b64 v[126:127], v1
	s_wait_loadcnt_dscnt 0x0
	v_pk_mul_f32 v[128:129], v[126:127], v[124:125] op_sel:[1,1] op_sel_hi:[0,1]
	v_pk_mul_f32 v[130:131], v[126:127], v[124:125] op_sel_hi:[1,0]
	s_delay_alu instid0(VALU_DEP_2) | instskip(NEXT) | instid1(VALU_DEP_2)
	v_pk_fma_f32 v[124:125], v[126:127], v[124:125], v[128:129] op_sel_hi:[1,0,1]
	v_sub_f32_e32 v124, v130, v128
	s_cbranch_execz .LBB59_15
	s_branch .LBB59_16
.LBB59_13:
	s_mov_b32 s1, 0
                                        ; implicit-def: $vgpr172
                                        ; implicit-def: $sgpr4
	s_cbranch_execnz .LBB59_596
	s_branch .LBB59_1181
.LBB59_14:
                                        ; implicit-def: $vgpr125
.LBB59_15:
	ds_load_b64 v[124:125], v1
.LBB59_16:
	s_wait_dscnt 0x0
	v_dual_mov_b32 v126, 0 :: v_dual_mov_b32 v128, v125
	v_mov_b32_e32 v129, v124
	ds_load_b64 v[126:127], v126 offset:464
	s_wait_dscnt 0x0
	v_pk_mul_f32 v[128:129], v[128:129], v[126:127] op_sel:[0,1]
	s_delay_alu instid0(VALU_DEP_1) | instskip(SKIP_1) | instid1(VALU_DEP_2)
	v_pk_fma_f32 v[130:131], v[124:125], v[126:127], v[128:129] op_sel_hi:[1,0,1]
	v_pk_fma_f32 v[124:125], v[124:125], v[126:127], v[128:129] neg_lo:[0,0,1] neg_hi:[0,0,1]
	v_mov_b32_e32 v125, v131
	scratch_store_b64 off, v[124:125], off offset:464
.LBB59_17:
	s_wait_xcnt 0x0
	s_or_b32 exec_lo, exec_lo, s2
	scratch_load_b64 v[124:125], off, off offset:456
	s_mov_b32 s9, s1
	v_cmp_lt_u32_e64 s1, 57, v0
	s_mov_b32 s4, 16
	s_mov_b32 s5, 32
	;; [unrolled: 1-line block ×4, first 2 shown]
	s_wait_loadcnt 0x0
	ds_store_b64 v1, v[124:125]
	s_wait_storecnt_dscnt 0x0
	s_barrier_signal -1
	s_barrier_wait -1
	s_wait_xcnt 0x0
	s_and_saveexec_b32 s34, s1
	s_cbranch_execz .LBB59_25
; %bb.18:
	s_and_not1_b32 vcc_lo, exec_lo, s3
	s_cbranch_vccnz .LBB59_20
; %bb.19:
	scratch_load_b64 v[124:125], v39, off
	ds_load_b64 v[126:127], v1
	s_wait_loadcnt_dscnt 0x0
	v_pk_mul_f32 v[128:129], v[126:127], v[124:125] op_sel:[1,1] op_sel_hi:[0,1]
	s_delay_alu instid0(VALU_DEP_1) | instskip(SKIP_1) | instid1(VALU_DEP_2)
	v_pk_fma_f32 v[130:131], v[126:127], v[124:125], v[128:129] op_sel_hi:[1,0,1]
	v_pk_fma_f32 v[124:125], v[126:127], v[124:125], v[128:129] neg_lo:[0,0,1] neg_hi:[0,0,1]
	v_mov_b32_e32 v125, v131
	s_cbranch_execz .LBB59_21
	s_branch .LBB59_22
.LBB59_20:
                                        ; implicit-def: $vgpr124_vgpr125
.LBB59_21:
	ds_load_b64 v[124:125], v1
.LBB59_22:
	s_and_saveexec_b32 s35, s0
	s_cbranch_execz .LBB59_24
; %bb.23:
	scratch_load_b64 v[126:127], off, off offset:464
	v_mov_b32_e32 v128, 0
	ds_load_b64 v[128:129], v128 offset:944
	s_wait_loadcnt_dscnt 0x0
	v_pk_mul_f32 v[130:131], v[128:129], v[126:127] op_sel:[1,1] op_sel_hi:[0,1]
	s_delay_alu instid0(VALU_DEP_1) | instskip(SKIP_1) | instid1(VALU_DEP_2)
	v_pk_fma_f32 v[132:133], v[128:129], v[126:127], v[130:131] op_sel_hi:[1,0,1]
	v_pk_fma_f32 v[126:127], v[128:129], v[126:127], v[130:131] neg_lo:[0,0,1] neg_hi:[0,0,1]
	v_mov_b32_e32 v127, v133
	s_delay_alu instid0(VALU_DEP_1)
	v_pk_add_f32 v[124:125], v[124:125], v[126:127]
.LBB59_24:
	s_or_b32 exec_lo, exec_lo, s35
	v_mov_b32_e32 v126, 0
	ds_load_b64 v[126:127], v126 offset:456
	s_wait_dscnt 0x0
	v_pk_mul_f32 v[128:129], v[124:125], v[126:127] op_sel:[1,1] op_sel_hi:[0,1]
	s_delay_alu instid0(VALU_DEP_1) | instskip(SKIP_1) | instid1(VALU_DEP_2)
	v_pk_fma_f32 v[130:131], v[124:125], v[126:127], v[128:129] op_sel_hi:[1,0,1]
	v_pk_fma_f32 v[124:125], v[124:125], v[126:127], v[128:129] neg_lo:[0,0,1] neg_hi:[0,0,1]
	v_mov_b32_e32 v125, v131
	scratch_store_b64 off, v[124:125], off offset:456
.LBB59_25:
	s_wait_xcnt 0x0
	s_or_b32 exec_lo, exec_lo, s34
	scratch_load_b64 v[124:125], off, off offset:448
	v_cmp_lt_u32_e64 s0, 56, v0
	s_wait_loadcnt 0x0
	ds_store_b64 v1, v[124:125]
	s_wait_storecnt_dscnt 0x0
	s_barrier_signal -1
	s_barrier_wait -1
	s_wait_xcnt 0x0
	s_and_saveexec_b32 s34, s0
	s_cbranch_execz .LBB59_35
; %bb.26:
	s_and_not1_b32 vcc_lo, exec_lo, s3
	s_cbranch_vccnz .LBB59_28
; %bb.27:
	scratch_load_b64 v[124:125], v39, off
	ds_load_b64 v[126:127], v1
	s_wait_loadcnt_dscnt 0x0
	v_pk_mul_f32 v[128:129], v[126:127], v[124:125] op_sel:[1,1] op_sel_hi:[0,1]
	s_delay_alu instid0(VALU_DEP_1) | instskip(SKIP_1) | instid1(VALU_DEP_2)
	v_pk_fma_f32 v[130:131], v[126:127], v[124:125], v[128:129] op_sel_hi:[1,0,1]
	v_pk_fma_f32 v[124:125], v[126:127], v[124:125], v[128:129] neg_lo:[0,0,1] neg_hi:[0,0,1]
	v_mov_b32_e32 v125, v131
	s_cbranch_execz .LBB59_29
	s_branch .LBB59_30
.LBB59_28:
                                        ; implicit-def: $vgpr124_vgpr125
.LBB59_29:
	ds_load_b64 v[124:125], v1
.LBB59_30:
	s_and_saveexec_b32 s35, s1
	s_cbranch_execz .LBB59_34
; %bb.31:
	v_subrev_nc_u32_e32 v126, 57, v0
	s_movk_i32 s1, 0x1c8
	s_movk_i32 s37, 0x3a8
	s_mov_b32 s36, 0
.LBB59_32:                              ; =>This Inner Loop Header: Depth=1
	scratch_load_b64 v[128:129], off, s1
	v_dual_mov_b32 v127, s37 :: v_dual_add_nc_u32 v126, -1, v126
	s_add_co_i32 s37, s37, 8
	s_wait_xcnt 0x0
	s_add_co_i32 s1, s1, 8
	ds_load_b64 v[130:131], v127
	v_cmp_eq_u32_e32 vcc_lo, 0, v126
	s_or_b32 s36, vcc_lo, s36
	s_wait_loadcnt_dscnt 0x0
	v_pk_mul_f32 v[132:133], v[130:131], v[128:129] op_sel:[1,1] op_sel_hi:[0,1]
	s_delay_alu instid0(VALU_DEP_1) | instskip(SKIP_1) | instid1(VALU_DEP_2)
	v_pk_fma_f32 v[134:135], v[130:131], v[128:129], v[132:133] op_sel_hi:[1,0,1]
	v_pk_fma_f32 v[128:129], v[130:131], v[128:129], v[132:133] neg_lo:[0,0,1] neg_hi:[0,0,1]
	v_mov_b32_e32 v129, v135
	s_delay_alu instid0(VALU_DEP_1)
	v_pk_add_f32 v[124:125], v[124:125], v[128:129]
	s_and_not1_b32 exec_lo, exec_lo, s36
	s_cbranch_execnz .LBB59_32
; %bb.33:
	s_or_b32 exec_lo, exec_lo, s36
.LBB59_34:
	s_delay_alu instid0(SALU_CYCLE_1) | instskip(SKIP_4) | instid1(VALU_DEP_1)
	s_or_b32 exec_lo, exec_lo, s35
	v_mov_b32_e32 v126, 0
	ds_load_b64 v[126:127], v126 offset:448
	s_wait_dscnt 0x0
	v_pk_mul_f32 v[128:129], v[124:125], v[126:127] op_sel:[1,1] op_sel_hi:[0,1]
	v_pk_fma_f32 v[130:131], v[124:125], v[126:127], v[128:129] op_sel_hi:[1,0,1]
	v_pk_fma_f32 v[124:125], v[124:125], v[126:127], v[128:129] neg_lo:[0,0,1] neg_hi:[0,0,1]
	s_delay_alu instid0(VALU_DEP_2)
	v_mov_b32_e32 v125, v131
	scratch_store_b64 off, v[124:125], off offset:448
.LBB59_35:
	s_wait_xcnt 0x0
	s_or_b32 exec_lo, exec_lo, s34
	scratch_load_b64 v[124:125], off, off offset:440
	v_cmp_lt_u32_e64 s1, 55, v0
	s_wait_loadcnt 0x0
	ds_store_b64 v1, v[124:125]
	s_wait_storecnt_dscnt 0x0
	s_barrier_signal -1
	s_barrier_wait -1
	s_wait_xcnt 0x0
	s_and_saveexec_b32 s34, s1
	s_cbranch_execz .LBB59_45
; %bb.36:
	s_and_not1_b32 vcc_lo, exec_lo, s3
	s_cbranch_vccnz .LBB59_38
; %bb.37:
	scratch_load_b64 v[124:125], v39, off
	ds_load_b64 v[126:127], v1
	s_wait_loadcnt_dscnt 0x0
	v_pk_mul_f32 v[128:129], v[126:127], v[124:125] op_sel:[1,1] op_sel_hi:[0,1]
	s_delay_alu instid0(VALU_DEP_1) | instskip(SKIP_1) | instid1(VALU_DEP_2)
	v_pk_fma_f32 v[130:131], v[126:127], v[124:125], v[128:129] op_sel_hi:[1,0,1]
	v_pk_fma_f32 v[124:125], v[126:127], v[124:125], v[128:129] neg_lo:[0,0,1] neg_hi:[0,0,1]
	v_mov_b32_e32 v125, v131
	s_cbranch_execz .LBB59_39
	s_branch .LBB59_40
.LBB59_38:
                                        ; implicit-def: $vgpr124_vgpr125
.LBB59_39:
	ds_load_b64 v[124:125], v1
.LBB59_40:
	s_and_saveexec_b32 s35, s0
	s_cbranch_execz .LBB59_44
; %bb.41:
	v_subrev_nc_u32_e32 v126, 56, v0
	s_movk_i32 s36, 0x3a0
	s_mov_b32 s0, 0
.LBB59_42:                              ; =>This Inner Loop Header: Depth=1
	scratch_load_b64 v[128:129], off, s33
	v_dual_mov_b32 v127, s36 :: v_dual_add_nc_u32 v126, -1, v126
	s_add_co_i32 s36, s36, 8
	s_wait_xcnt 0x0
	s_add_co_i32 s33, s33, 8
	ds_load_b64 v[130:131], v127
	v_cmp_eq_u32_e32 vcc_lo, 0, v126
	s_or_b32 s0, vcc_lo, s0
	s_wait_loadcnt_dscnt 0x0
	v_pk_mul_f32 v[132:133], v[130:131], v[128:129] op_sel:[1,1] op_sel_hi:[0,1]
	s_delay_alu instid0(VALU_DEP_1) | instskip(SKIP_1) | instid1(VALU_DEP_2)
	v_pk_fma_f32 v[134:135], v[130:131], v[128:129], v[132:133] op_sel_hi:[1,0,1]
	v_pk_fma_f32 v[128:129], v[130:131], v[128:129], v[132:133] neg_lo:[0,0,1] neg_hi:[0,0,1]
	v_mov_b32_e32 v129, v135
	s_delay_alu instid0(VALU_DEP_1)
	v_pk_add_f32 v[124:125], v[124:125], v[128:129]
	s_and_not1_b32 exec_lo, exec_lo, s0
	s_cbranch_execnz .LBB59_42
; %bb.43:
	s_or_b32 exec_lo, exec_lo, s0
.LBB59_44:
	s_delay_alu instid0(SALU_CYCLE_1) | instskip(SKIP_4) | instid1(VALU_DEP_1)
	s_or_b32 exec_lo, exec_lo, s35
	v_mov_b32_e32 v126, 0
	ds_load_b64 v[126:127], v126 offset:440
	s_wait_dscnt 0x0
	v_pk_mul_f32 v[128:129], v[124:125], v[126:127] op_sel:[1,1] op_sel_hi:[0,1]
	v_pk_fma_f32 v[130:131], v[124:125], v[126:127], v[128:129] op_sel_hi:[1,0,1]
	v_pk_fma_f32 v[124:125], v[124:125], v[126:127], v[128:129] neg_lo:[0,0,1] neg_hi:[0,0,1]
	s_delay_alu instid0(VALU_DEP_2)
	v_mov_b32_e32 v125, v131
	scratch_store_b64 off, v[124:125], off offset:440
.LBB59_45:
	s_wait_xcnt 0x0
	s_or_b32 exec_lo, exec_lo, s34
	scratch_load_b64 v[124:125], off, off offset:432
	v_cmp_lt_u32_e64 s0, 54, v0
	s_wait_loadcnt 0x0
	ds_store_b64 v1, v[124:125]
	s_wait_storecnt_dscnt 0x0
	s_barrier_signal -1
	s_barrier_wait -1
	s_wait_xcnt 0x0
	s_and_saveexec_b32 s33, s0
	s_cbranch_execz .LBB59_55
; %bb.46:
	s_and_not1_b32 vcc_lo, exec_lo, s3
	s_cbranch_vccnz .LBB59_48
; %bb.47:
	scratch_load_b64 v[124:125], v39, off
	ds_load_b64 v[126:127], v1
	s_wait_loadcnt_dscnt 0x0
	v_pk_mul_f32 v[128:129], v[126:127], v[124:125] op_sel:[1,1] op_sel_hi:[0,1]
	s_delay_alu instid0(VALU_DEP_1) | instskip(SKIP_1) | instid1(VALU_DEP_2)
	v_pk_fma_f32 v[130:131], v[126:127], v[124:125], v[128:129] op_sel_hi:[1,0,1]
	v_pk_fma_f32 v[124:125], v[126:127], v[124:125], v[128:129] neg_lo:[0,0,1] neg_hi:[0,0,1]
	v_mov_b32_e32 v125, v131
	s_cbranch_execz .LBB59_49
	s_branch .LBB59_50
.LBB59_48:
                                        ; implicit-def: $vgpr124_vgpr125
.LBB59_49:
	ds_load_b64 v[124:125], v1
.LBB59_50:
	s_and_saveexec_b32 s34, s1
	s_cbranch_execz .LBB59_54
; %bb.51:
	v_subrev_nc_u32_e32 v126, 55, v0
	s_movk_i32 s1, 0x1b8
	s_movk_i32 s36, 0x398
	s_mov_b32 s35, 0
.LBB59_52:                              ; =>This Inner Loop Header: Depth=1
	scratch_load_b64 v[128:129], off, s1
	v_dual_mov_b32 v127, s36 :: v_dual_add_nc_u32 v126, -1, v126
	s_add_co_i32 s36, s36, 8
	s_wait_xcnt 0x0
	s_add_co_i32 s1, s1, 8
	ds_load_b64 v[130:131], v127
	v_cmp_eq_u32_e32 vcc_lo, 0, v126
	s_or_b32 s35, vcc_lo, s35
	s_wait_loadcnt_dscnt 0x0
	v_pk_mul_f32 v[132:133], v[130:131], v[128:129] op_sel:[1,1] op_sel_hi:[0,1]
	s_delay_alu instid0(VALU_DEP_1) | instskip(SKIP_1) | instid1(VALU_DEP_2)
	v_pk_fma_f32 v[134:135], v[130:131], v[128:129], v[132:133] op_sel_hi:[1,0,1]
	v_pk_fma_f32 v[128:129], v[130:131], v[128:129], v[132:133] neg_lo:[0,0,1] neg_hi:[0,0,1]
	v_mov_b32_e32 v129, v135
	s_delay_alu instid0(VALU_DEP_1)
	v_pk_add_f32 v[124:125], v[124:125], v[128:129]
	s_and_not1_b32 exec_lo, exec_lo, s35
	s_cbranch_execnz .LBB59_52
; %bb.53:
	s_or_b32 exec_lo, exec_lo, s35
.LBB59_54:
	s_delay_alu instid0(SALU_CYCLE_1) | instskip(SKIP_4) | instid1(VALU_DEP_1)
	s_or_b32 exec_lo, exec_lo, s34
	v_mov_b32_e32 v126, 0
	ds_load_b64 v[126:127], v126 offset:432
	s_wait_dscnt 0x0
	v_pk_mul_f32 v[128:129], v[124:125], v[126:127] op_sel:[1,1] op_sel_hi:[0,1]
	v_pk_fma_f32 v[130:131], v[124:125], v[126:127], v[128:129] op_sel_hi:[1,0,1]
	v_pk_fma_f32 v[124:125], v[124:125], v[126:127], v[128:129] neg_lo:[0,0,1] neg_hi:[0,0,1]
	s_delay_alu instid0(VALU_DEP_2)
	v_mov_b32_e32 v125, v131
	scratch_store_b64 off, v[124:125], off offset:432
.LBB59_55:
	s_wait_xcnt 0x0
	s_or_b32 exec_lo, exec_lo, s33
	scratch_load_b64 v[124:125], off, off offset:424
	v_cmp_lt_u32_e64 s1, 53, v0
	s_wait_loadcnt 0x0
	ds_store_b64 v1, v[124:125]
	s_wait_storecnt_dscnt 0x0
	s_barrier_signal -1
	s_barrier_wait -1
	s_wait_xcnt 0x0
	s_and_saveexec_b32 s33, s1
	s_cbranch_execz .LBB59_65
; %bb.56:
	s_and_not1_b32 vcc_lo, exec_lo, s3
	s_cbranch_vccnz .LBB59_58
; %bb.57:
	scratch_load_b64 v[124:125], v39, off
	ds_load_b64 v[126:127], v1
	s_wait_loadcnt_dscnt 0x0
	v_pk_mul_f32 v[128:129], v[126:127], v[124:125] op_sel:[1,1] op_sel_hi:[0,1]
	s_delay_alu instid0(VALU_DEP_1) | instskip(SKIP_1) | instid1(VALU_DEP_2)
	v_pk_fma_f32 v[130:131], v[126:127], v[124:125], v[128:129] op_sel_hi:[1,0,1]
	v_pk_fma_f32 v[124:125], v[126:127], v[124:125], v[128:129] neg_lo:[0,0,1] neg_hi:[0,0,1]
	v_mov_b32_e32 v125, v131
	s_cbranch_execz .LBB59_59
	s_branch .LBB59_60
.LBB59_58:
                                        ; implicit-def: $vgpr124_vgpr125
.LBB59_59:
	ds_load_b64 v[124:125], v1
.LBB59_60:
	s_and_saveexec_b32 s34, s0
	s_cbranch_execz .LBB59_64
; %bb.61:
	v_subrev_nc_u32_e32 v126, 54, v0
	s_movk_i32 s35, 0x390
	s_mov_b32 s0, 0
.LBB59_62:                              ; =>This Inner Loop Header: Depth=1
	scratch_load_b64 v[128:129], off, s31
	v_dual_mov_b32 v127, s35 :: v_dual_add_nc_u32 v126, -1, v126
	s_add_co_i32 s35, s35, 8
	s_wait_xcnt 0x0
	s_add_co_i32 s31, s31, 8
	ds_load_b64 v[130:131], v127
	v_cmp_eq_u32_e32 vcc_lo, 0, v126
	s_or_b32 s0, vcc_lo, s0
	s_wait_loadcnt_dscnt 0x0
	v_pk_mul_f32 v[132:133], v[130:131], v[128:129] op_sel:[1,1] op_sel_hi:[0,1]
	s_delay_alu instid0(VALU_DEP_1) | instskip(SKIP_1) | instid1(VALU_DEP_2)
	v_pk_fma_f32 v[134:135], v[130:131], v[128:129], v[132:133] op_sel_hi:[1,0,1]
	v_pk_fma_f32 v[128:129], v[130:131], v[128:129], v[132:133] neg_lo:[0,0,1] neg_hi:[0,0,1]
	v_mov_b32_e32 v129, v135
	s_delay_alu instid0(VALU_DEP_1)
	v_pk_add_f32 v[124:125], v[124:125], v[128:129]
	s_and_not1_b32 exec_lo, exec_lo, s0
	s_cbranch_execnz .LBB59_62
; %bb.63:
	s_or_b32 exec_lo, exec_lo, s0
.LBB59_64:
	s_delay_alu instid0(SALU_CYCLE_1) | instskip(SKIP_4) | instid1(VALU_DEP_1)
	s_or_b32 exec_lo, exec_lo, s34
	v_mov_b32_e32 v126, 0
	ds_load_b64 v[126:127], v126 offset:424
	s_wait_dscnt 0x0
	v_pk_mul_f32 v[128:129], v[124:125], v[126:127] op_sel:[1,1] op_sel_hi:[0,1]
	v_pk_fma_f32 v[130:131], v[124:125], v[126:127], v[128:129] op_sel_hi:[1,0,1]
	v_pk_fma_f32 v[124:125], v[124:125], v[126:127], v[128:129] neg_lo:[0,0,1] neg_hi:[0,0,1]
	s_delay_alu instid0(VALU_DEP_2)
	v_mov_b32_e32 v125, v131
	scratch_store_b64 off, v[124:125], off offset:424
.LBB59_65:
	s_wait_xcnt 0x0
	s_or_b32 exec_lo, exec_lo, s33
	scratch_load_b64 v[124:125], off, off offset:416
	v_cmp_lt_u32_e64 s0, 52, v0
	s_wait_loadcnt 0x0
	ds_store_b64 v1, v[124:125]
	s_wait_storecnt_dscnt 0x0
	s_barrier_signal -1
	s_barrier_wait -1
	s_wait_xcnt 0x0
	s_and_saveexec_b32 s31, s0
	s_cbranch_execz .LBB59_75
; %bb.66:
	s_and_not1_b32 vcc_lo, exec_lo, s3
	s_cbranch_vccnz .LBB59_68
; %bb.67:
	scratch_load_b64 v[124:125], v39, off
	ds_load_b64 v[126:127], v1
	s_wait_loadcnt_dscnt 0x0
	v_pk_mul_f32 v[128:129], v[126:127], v[124:125] op_sel:[1,1] op_sel_hi:[0,1]
	s_delay_alu instid0(VALU_DEP_1) | instskip(SKIP_1) | instid1(VALU_DEP_2)
	v_pk_fma_f32 v[130:131], v[126:127], v[124:125], v[128:129] op_sel_hi:[1,0,1]
	v_pk_fma_f32 v[124:125], v[126:127], v[124:125], v[128:129] neg_lo:[0,0,1] neg_hi:[0,0,1]
	v_mov_b32_e32 v125, v131
	s_cbranch_execz .LBB59_69
	s_branch .LBB59_70
.LBB59_68:
                                        ; implicit-def: $vgpr124_vgpr125
.LBB59_69:
	ds_load_b64 v[124:125], v1
.LBB59_70:
	s_and_saveexec_b32 s33, s1
	s_cbranch_execz .LBB59_74
; %bb.71:
	v_subrev_nc_u32_e32 v126, 53, v0
	s_movk_i32 s1, 0x1a8
	s_movk_i32 s35, 0x388
	s_mov_b32 s34, 0
.LBB59_72:                              ; =>This Inner Loop Header: Depth=1
	scratch_load_b64 v[128:129], off, s1
	v_dual_mov_b32 v127, s35 :: v_dual_add_nc_u32 v126, -1, v126
	s_add_co_i32 s35, s35, 8
	s_wait_xcnt 0x0
	s_add_co_i32 s1, s1, 8
	ds_load_b64 v[130:131], v127
	v_cmp_eq_u32_e32 vcc_lo, 0, v126
	s_or_b32 s34, vcc_lo, s34
	s_wait_loadcnt_dscnt 0x0
	v_pk_mul_f32 v[132:133], v[130:131], v[128:129] op_sel:[1,1] op_sel_hi:[0,1]
	s_delay_alu instid0(VALU_DEP_1) | instskip(SKIP_1) | instid1(VALU_DEP_2)
	v_pk_fma_f32 v[134:135], v[130:131], v[128:129], v[132:133] op_sel_hi:[1,0,1]
	v_pk_fma_f32 v[128:129], v[130:131], v[128:129], v[132:133] neg_lo:[0,0,1] neg_hi:[0,0,1]
	v_mov_b32_e32 v129, v135
	s_delay_alu instid0(VALU_DEP_1)
	v_pk_add_f32 v[124:125], v[124:125], v[128:129]
	s_and_not1_b32 exec_lo, exec_lo, s34
	s_cbranch_execnz .LBB59_72
; %bb.73:
	s_or_b32 exec_lo, exec_lo, s34
.LBB59_74:
	s_delay_alu instid0(SALU_CYCLE_1) | instskip(SKIP_4) | instid1(VALU_DEP_1)
	s_or_b32 exec_lo, exec_lo, s33
	v_mov_b32_e32 v126, 0
	ds_load_b64 v[126:127], v126 offset:416
	s_wait_dscnt 0x0
	v_pk_mul_f32 v[128:129], v[124:125], v[126:127] op_sel:[1,1] op_sel_hi:[0,1]
	v_pk_fma_f32 v[130:131], v[124:125], v[126:127], v[128:129] op_sel_hi:[1,0,1]
	v_pk_fma_f32 v[124:125], v[124:125], v[126:127], v[128:129] neg_lo:[0,0,1] neg_hi:[0,0,1]
	s_delay_alu instid0(VALU_DEP_2)
	v_mov_b32_e32 v125, v131
	scratch_store_b64 off, v[124:125], off offset:416
.LBB59_75:
	s_wait_xcnt 0x0
	s_or_b32 exec_lo, exec_lo, s31
	scratch_load_b64 v[124:125], off, off offset:408
	v_cmp_lt_u32_e64 s1, 51, v0
	s_wait_loadcnt 0x0
	ds_store_b64 v1, v[124:125]
	s_wait_storecnt_dscnt 0x0
	s_barrier_signal -1
	s_barrier_wait -1
	s_wait_xcnt 0x0
	s_and_saveexec_b32 s31, s1
	s_cbranch_execz .LBB59_85
; %bb.76:
	s_and_not1_b32 vcc_lo, exec_lo, s3
	s_cbranch_vccnz .LBB59_78
; %bb.77:
	scratch_load_b64 v[124:125], v39, off
	ds_load_b64 v[126:127], v1
	s_wait_loadcnt_dscnt 0x0
	v_pk_mul_f32 v[128:129], v[126:127], v[124:125] op_sel:[1,1] op_sel_hi:[0,1]
	s_delay_alu instid0(VALU_DEP_1) | instskip(SKIP_1) | instid1(VALU_DEP_2)
	v_pk_fma_f32 v[130:131], v[126:127], v[124:125], v[128:129] op_sel_hi:[1,0,1]
	v_pk_fma_f32 v[124:125], v[126:127], v[124:125], v[128:129] neg_lo:[0,0,1] neg_hi:[0,0,1]
	v_mov_b32_e32 v125, v131
	s_cbranch_execz .LBB59_79
	s_branch .LBB59_80
.LBB59_78:
                                        ; implicit-def: $vgpr124_vgpr125
.LBB59_79:
	ds_load_b64 v[124:125], v1
.LBB59_80:
	s_and_saveexec_b32 s33, s0
	s_cbranch_execz .LBB59_84
; %bb.81:
	v_subrev_nc_u32_e32 v126, 52, v0
	s_movk_i32 s34, 0x380
	s_mov_b32 s0, 0
.LBB59_82:                              ; =>This Inner Loop Header: Depth=1
	scratch_load_b64 v[128:129], off, s30
	v_dual_mov_b32 v127, s34 :: v_dual_add_nc_u32 v126, -1, v126
	s_add_co_i32 s34, s34, 8
	s_wait_xcnt 0x0
	s_add_co_i32 s30, s30, 8
	ds_load_b64 v[130:131], v127
	v_cmp_eq_u32_e32 vcc_lo, 0, v126
	s_or_b32 s0, vcc_lo, s0
	s_wait_loadcnt_dscnt 0x0
	v_pk_mul_f32 v[132:133], v[130:131], v[128:129] op_sel:[1,1] op_sel_hi:[0,1]
	s_delay_alu instid0(VALU_DEP_1) | instskip(SKIP_1) | instid1(VALU_DEP_2)
	v_pk_fma_f32 v[134:135], v[130:131], v[128:129], v[132:133] op_sel_hi:[1,0,1]
	v_pk_fma_f32 v[128:129], v[130:131], v[128:129], v[132:133] neg_lo:[0,0,1] neg_hi:[0,0,1]
	v_mov_b32_e32 v129, v135
	s_delay_alu instid0(VALU_DEP_1)
	v_pk_add_f32 v[124:125], v[124:125], v[128:129]
	s_and_not1_b32 exec_lo, exec_lo, s0
	s_cbranch_execnz .LBB59_82
; %bb.83:
	s_or_b32 exec_lo, exec_lo, s0
.LBB59_84:
	s_delay_alu instid0(SALU_CYCLE_1) | instskip(SKIP_4) | instid1(VALU_DEP_1)
	s_or_b32 exec_lo, exec_lo, s33
	v_mov_b32_e32 v126, 0
	ds_load_b64 v[126:127], v126 offset:408
	s_wait_dscnt 0x0
	v_pk_mul_f32 v[128:129], v[124:125], v[126:127] op_sel:[1,1] op_sel_hi:[0,1]
	v_pk_fma_f32 v[130:131], v[124:125], v[126:127], v[128:129] op_sel_hi:[1,0,1]
	v_pk_fma_f32 v[124:125], v[124:125], v[126:127], v[128:129] neg_lo:[0,0,1] neg_hi:[0,0,1]
	s_delay_alu instid0(VALU_DEP_2)
	v_mov_b32_e32 v125, v131
	scratch_store_b64 off, v[124:125], off offset:408
.LBB59_85:
	s_wait_xcnt 0x0
	s_or_b32 exec_lo, exec_lo, s31
	scratch_load_b64 v[124:125], off, off offset:400
	v_cmp_lt_u32_e64 s0, 50, v0
	s_wait_loadcnt 0x0
	ds_store_b64 v1, v[124:125]
	s_wait_storecnt_dscnt 0x0
	s_barrier_signal -1
	s_barrier_wait -1
	s_wait_xcnt 0x0
	s_and_saveexec_b32 s30, s0
	s_cbranch_execz .LBB59_95
; %bb.86:
	s_and_not1_b32 vcc_lo, exec_lo, s3
	s_cbranch_vccnz .LBB59_88
; %bb.87:
	scratch_load_b64 v[124:125], v39, off
	ds_load_b64 v[126:127], v1
	s_wait_loadcnt_dscnt 0x0
	v_pk_mul_f32 v[128:129], v[126:127], v[124:125] op_sel:[1,1] op_sel_hi:[0,1]
	s_delay_alu instid0(VALU_DEP_1) | instskip(SKIP_1) | instid1(VALU_DEP_2)
	v_pk_fma_f32 v[130:131], v[126:127], v[124:125], v[128:129] op_sel_hi:[1,0,1]
	v_pk_fma_f32 v[124:125], v[126:127], v[124:125], v[128:129] neg_lo:[0,0,1] neg_hi:[0,0,1]
	v_mov_b32_e32 v125, v131
	s_cbranch_execz .LBB59_89
	s_branch .LBB59_90
.LBB59_88:
                                        ; implicit-def: $vgpr124_vgpr125
.LBB59_89:
	ds_load_b64 v[124:125], v1
.LBB59_90:
	s_and_saveexec_b32 s31, s1
	s_cbranch_execz .LBB59_94
; %bb.91:
	v_subrev_nc_u32_e32 v126, 51, v0
	s_movk_i32 s1, 0x198
	s_movk_i32 s34, 0x378
	s_mov_b32 s33, 0
.LBB59_92:                              ; =>This Inner Loop Header: Depth=1
	scratch_load_b64 v[128:129], off, s1
	v_dual_mov_b32 v127, s34 :: v_dual_add_nc_u32 v126, -1, v126
	s_add_co_i32 s34, s34, 8
	s_wait_xcnt 0x0
	s_add_co_i32 s1, s1, 8
	ds_load_b64 v[130:131], v127
	v_cmp_eq_u32_e32 vcc_lo, 0, v126
	s_or_b32 s33, vcc_lo, s33
	s_wait_loadcnt_dscnt 0x0
	v_pk_mul_f32 v[132:133], v[130:131], v[128:129] op_sel:[1,1] op_sel_hi:[0,1]
	s_delay_alu instid0(VALU_DEP_1) | instskip(SKIP_1) | instid1(VALU_DEP_2)
	v_pk_fma_f32 v[134:135], v[130:131], v[128:129], v[132:133] op_sel_hi:[1,0,1]
	v_pk_fma_f32 v[128:129], v[130:131], v[128:129], v[132:133] neg_lo:[0,0,1] neg_hi:[0,0,1]
	v_mov_b32_e32 v129, v135
	s_delay_alu instid0(VALU_DEP_1)
	v_pk_add_f32 v[124:125], v[124:125], v[128:129]
	s_and_not1_b32 exec_lo, exec_lo, s33
	s_cbranch_execnz .LBB59_92
; %bb.93:
	s_or_b32 exec_lo, exec_lo, s33
.LBB59_94:
	s_delay_alu instid0(SALU_CYCLE_1) | instskip(SKIP_4) | instid1(VALU_DEP_1)
	s_or_b32 exec_lo, exec_lo, s31
	v_mov_b32_e32 v126, 0
	ds_load_b64 v[126:127], v126 offset:400
	s_wait_dscnt 0x0
	v_pk_mul_f32 v[128:129], v[124:125], v[126:127] op_sel:[1,1] op_sel_hi:[0,1]
	v_pk_fma_f32 v[130:131], v[124:125], v[126:127], v[128:129] op_sel_hi:[1,0,1]
	v_pk_fma_f32 v[124:125], v[124:125], v[126:127], v[128:129] neg_lo:[0,0,1] neg_hi:[0,0,1]
	s_delay_alu instid0(VALU_DEP_2)
	v_mov_b32_e32 v125, v131
	scratch_store_b64 off, v[124:125], off offset:400
.LBB59_95:
	s_wait_xcnt 0x0
	s_or_b32 exec_lo, exec_lo, s30
	scratch_load_b64 v[124:125], off, off offset:392
	v_cmp_lt_u32_e64 s1, 49, v0
	s_wait_loadcnt 0x0
	ds_store_b64 v1, v[124:125]
	s_wait_storecnt_dscnt 0x0
	s_barrier_signal -1
	s_barrier_wait -1
	s_wait_xcnt 0x0
	s_and_saveexec_b32 s30, s1
	s_cbranch_execz .LBB59_105
; %bb.96:
	s_and_not1_b32 vcc_lo, exec_lo, s3
	s_cbranch_vccnz .LBB59_98
; %bb.97:
	scratch_load_b64 v[124:125], v39, off
	ds_load_b64 v[126:127], v1
	s_wait_loadcnt_dscnt 0x0
	v_pk_mul_f32 v[128:129], v[126:127], v[124:125] op_sel:[1,1] op_sel_hi:[0,1]
	s_delay_alu instid0(VALU_DEP_1) | instskip(SKIP_1) | instid1(VALU_DEP_2)
	v_pk_fma_f32 v[130:131], v[126:127], v[124:125], v[128:129] op_sel_hi:[1,0,1]
	v_pk_fma_f32 v[124:125], v[126:127], v[124:125], v[128:129] neg_lo:[0,0,1] neg_hi:[0,0,1]
	v_mov_b32_e32 v125, v131
	s_cbranch_execz .LBB59_99
	s_branch .LBB59_100
.LBB59_98:
                                        ; implicit-def: $vgpr124_vgpr125
.LBB59_99:
	ds_load_b64 v[124:125], v1
.LBB59_100:
	s_and_saveexec_b32 s31, s0
	s_cbranch_execz .LBB59_104
; %bb.101:
	v_subrev_nc_u32_e32 v126, 50, v0
	s_movk_i32 s33, 0x370
	s_mov_b32 s0, 0
.LBB59_102:                             ; =>This Inner Loop Header: Depth=1
	scratch_load_b64 v[128:129], off, s29
	v_dual_mov_b32 v127, s33 :: v_dual_add_nc_u32 v126, -1, v126
	s_add_co_i32 s33, s33, 8
	s_wait_xcnt 0x0
	s_add_co_i32 s29, s29, 8
	ds_load_b64 v[130:131], v127
	v_cmp_eq_u32_e32 vcc_lo, 0, v126
	s_or_b32 s0, vcc_lo, s0
	s_wait_loadcnt_dscnt 0x0
	v_pk_mul_f32 v[132:133], v[130:131], v[128:129] op_sel:[1,1] op_sel_hi:[0,1]
	s_delay_alu instid0(VALU_DEP_1) | instskip(SKIP_1) | instid1(VALU_DEP_2)
	v_pk_fma_f32 v[134:135], v[130:131], v[128:129], v[132:133] op_sel_hi:[1,0,1]
	v_pk_fma_f32 v[128:129], v[130:131], v[128:129], v[132:133] neg_lo:[0,0,1] neg_hi:[0,0,1]
	v_mov_b32_e32 v129, v135
	s_delay_alu instid0(VALU_DEP_1)
	v_pk_add_f32 v[124:125], v[124:125], v[128:129]
	s_and_not1_b32 exec_lo, exec_lo, s0
	s_cbranch_execnz .LBB59_102
; %bb.103:
	s_or_b32 exec_lo, exec_lo, s0
.LBB59_104:
	s_delay_alu instid0(SALU_CYCLE_1) | instskip(SKIP_4) | instid1(VALU_DEP_1)
	s_or_b32 exec_lo, exec_lo, s31
	v_mov_b32_e32 v126, 0
	ds_load_b64 v[126:127], v126 offset:392
	s_wait_dscnt 0x0
	v_pk_mul_f32 v[128:129], v[124:125], v[126:127] op_sel:[1,1] op_sel_hi:[0,1]
	v_pk_fma_f32 v[130:131], v[124:125], v[126:127], v[128:129] op_sel_hi:[1,0,1]
	v_pk_fma_f32 v[124:125], v[124:125], v[126:127], v[128:129] neg_lo:[0,0,1] neg_hi:[0,0,1]
	s_delay_alu instid0(VALU_DEP_2)
	v_mov_b32_e32 v125, v131
	scratch_store_b64 off, v[124:125], off offset:392
.LBB59_105:
	s_wait_xcnt 0x0
	s_or_b32 exec_lo, exec_lo, s30
	scratch_load_b64 v[124:125], off, off offset:384
	v_cmp_lt_u32_e64 s0, 48, v0
	s_wait_loadcnt 0x0
	ds_store_b64 v1, v[124:125]
	s_wait_storecnt_dscnt 0x0
	s_barrier_signal -1
	s_barrier_wait -1
	s_wait_xcnt 0x0
	s_and_saveexec_b32 s29, s0
	s_cbranch_execz .LBB59_115
; %bb.106:
	s_and_not1_b32 vcc_lo, exec_lo, s3
	s_cbranch_vccnz .LBB59_108
; %bb.107:
	scratch_load_b64 v[124:125], v39, off
	ds_load_b64 v[126:127], v1
	s_wait_loadcnt_dscnt 0x0
	v_pk_mul_f32 v[128:129], v[126:127], v[124:125] op_sel:[1,1] op_sel_hi:[0,1]
	s_delay_alu instid0(VALU_DEP_1) | instskip(SKIP_1) | instid1(VALU_DEP_2)
	v_pk_fma_f32 v[130:131], v[126:127], v[124:125], v[128:129] op_sel_hi:[1,0,1]
	v_pk_fma_f32 v[124:125], v[126:127], v[124:125], v[128:129] neg_lo:[0,0,1] neg_hi:[0,0,1]
	v_mov_b32_e32 v125, v131
	s_cbranch_execz .LBB59_109
	s_branch .LBB59_110
.LBB59_108:
                                        ; implicit-def: $vgpr124_vgpr125
.LBB59_109:
	ds_load_b64 v[124:125], v1
.LBB59_110:
	s_and_saveexec_b32 s30, s1
	s_cbranch_execz .LBB59_114
; %bb.111:
	v_subrev_nc_u32_e32 v126, 49, v0
	s_movk_i32 s1, 0x188
	s_movk_i32 s33, 0x368
	s_mov_b32 s31, 0
.LBB59_112:                             ; =>This Inner Loop Header: Depth=1
	scratch_load_b64 v[128:129], off, s1
	v_dual_mov_b32 v127, s33 :: v_dual_add_nc_u32 v126, -1, v126
	s_add_co_i32 s33, s33, 8
	s_wait_xcnt 0x0
	s_add_co_i32 s1, s1, 8
	ds_load_b64 v[130:131], v127
	v_cmp_eq_u32_e32 vcc_lo, 0, v126
	s_or_b32 s31, vcc_lo, s31
	s_wait_loadcnt_dscnt 0x0
	v_pk_mul_f32 v[132:133], v[130:131], v[128:129] op_sel:[1,1] op_sel_hi:[0,1]
	s_delay_alu instid0(VALU_DEP_1) | instskip(SKIP_1) | instid1(VALU_DEP_2)
	v_pk_fma_f32 v[134:135], v[130:131], v[128:129], v[132:133] op_sel_hi:[1,0,1]
	v_pk_fma_f32 v[128:129], v[130:131], v[128:129], v[132:133] neg_lo:[0,0,1] neg_hi:[0,0,1]
	v_mov_b32_e32 v129, v135
	s_delay_alu instid0(VALU_DEP_1)
	v_pk_add_f32 v[124:125], v[124:125], v[128:129]
	s_and_not1_b32 exec_lo, exec_lo, s31
	s_cbranch_execnz .LBB59_112
; %bb.113:
	s_or_b32 exec_lo, exec_lo, s31
.LBB59_114:
	s_delay_alu instid0(SALU_CYCLE_1) | instskip(SKIP_4) | instid1(VALU_DEP_1)
	s_or_b32 exec_lo, exec_lo, s30
	v_mov_b32_e32 v126, 0
	ds_load_b64 v[126:127], v126 offset:384
	s_wait_dscnt 0x0
	v_pk_mul_f32 v[128:129], v[124:125], v[126:127] op_sel:[1,1] op_sel_hi:[0,1]
	v_pk_fma_f32 v[130:131], v[124:125], v[126:127], v[128:129] op_sel_hi:[1,0,1]
	v_pk_fma_f32 v[124:125], v[124:125], v[126:127], v[128:129] neg_lo:[0,0,1] neg_hi:[0,0,1]
	s_delay_alu instid0(VALU_DEP_2)
	v_mov_b32_e32 v125, v131
	scratch_store_b64 off, v[124:125], off offset:384
.LBB59_115:
	s_wait_xcnt 0x0
	s_or_b32 exec_lo, exec_lo, s29
	scratch_load_b64 v[124:125], off, off offset:376
	v_cmp_lt_u32_e64 s1, 47, v0
	s_wait_loadcnt 0x0
	ds_store_b64 v1, v[124:125]
	s_wait_storecnt_dscnt 0x0
	s_barrier_signal -1
	s_barrier_wait -1
	s_wait_xcnt 0x0
	s_and_saveexec_b32 s29, s1
	s_cbranch_execz .LBB59_125
; %bb.116:
	s_and_not1_b32 vcc_lo, exec_lo, s3
	s_cbranch_vccnz .LBB59_118
; %bb.117:
	scratch_load_b64 v[124:125], v39, off
	ds_load_b64 v[126:127], v1
	s_wait_loadcnt_dscnt 0x0
	v_pk_mul_f32 v[128:129], v[126:127], v[124:125] op_sel:[1,1] op_sel_hi:[0,1]
	s_delay_alu instid0(VALU_DEP_1) | instskip(SKIP_1) | instid1(VALU_DEP_2)
	v_pk_fma_f32 v[130:131], v[126:127], v[124:125], v[128:129] op_sel_hi:[1,0,1]
	v_pk_fma_f32 v[124:125], v[126:127], v[124:125], v[128:129] neg_lo:[0,0,1] neg_hi:[0,0,1]
	v_mov_b32_e32 v125, v131
	s_cbranch_execz .LBB59_119
	s_branch .LBB59_120
.LBB59_118:
                                        ; implicit-def: $vgpr124_vgpr125
.LBB59_119:
	ds_load_b64 v[124:125], v1
.LBB59_120:
	s_and_saveexec_b32 s30, s0
	s_cbranch_execz .LBB59_124
; %bb.121:
	v_subrev_nc_u32_e32 v126, 48, v0
	s_movk_i32 s31, 0x360
	s_mov_b32 s0, 0
.LBB59_122:                             ; =>This Inner Loop Header: Depth=1
	scratch_load_b64 v[128:129], off, s28
	v_dual_mov_b32 v127, s31 :: v_dual_add_nc_u32 v126, -1, v126
	s_add_co_i32 s31, s31, 8
	s_wait_xcnt 0x0
	s_add_co_i32 s28, s28, 8
	ds_load_b64 v[130:131], v127
	v_cmp_eq_u32_e32 vcc_lo, 0, v126
	s_or_b32 s0, vcc_lo, s0
	s_wait_loadcnt_dscnt 0x0
	v_pk_mul_f32 v[132:133], v[130:131], v[128:129] op_sel:[1,1] op_sel_hi:[0,1]
	s_delay_alu instid0(VALU_DEP_1) | instskip(SKIP_1) | instid1(VALU_DEP_2)
	v_pk_fma_f32 v[134:135], v[130:131], v[128:129], v[132:133] op_sel_hi:[1,0,1]
	v_pk_fma_f32 v[128:129], v[130:131], v[128:129], v[132:133] neg_lo:[0,0,1] neg_hi:[0,0,1]
	v_mov_b32_e32 v129, v135
	s_delay_alu instid0(VALU_DEP_1)
	v_pk_add_f32 v[124:125], v[124:125], v[128:129]
	s_and_not1_b32 exec_lo, exec_lo, s0
	s_cbranch_execnz .LBB59_122
; %bb.123:
	s_or_b32 exec_lo, exec_lo, s0
.LBB59_124:
	s_delay_alu instid0(SALU_CYCLE_1) | instskip(SKIP_4) | instid1(VALU_DEP_1)
	s_or_b32 exec_lo, exec_lo, s30
	v_mov_b32_e32 v126, 0
	ds_load_b64 v[126:127], v126 offset:376
	s_wait_dscnt 0x0
	v_pk_mul_f32 v[128:129], v[124:125], v[126:127] op_sel:[1,1] op_sel_hi:[0,1]
	v_pk_fma_f32 v[130:131], v[124:125], v[126:127], v[128:129] op_sel_hi:[1,0,1]
	v_pk_fma_f32 v[124:125], v[124:125], v[126:127], v[128:129] neg_lo:[0,0,1] neg_hi:[0,0,1]
	s_delay_alu instid0(VALU_DEP_2)
	v_mov_b32_e32 v125, v131
	scratch_store_b64 off, v[124:125], off offset:376
.LBB59_125:
	s_wait_xcnt 0x0
	s_or_b32 exec_lo, exec_lo, s29
	scratch_load_b64 v[124:125], off, off offset:368
	v_cmp_lt_u32_e64 s0, 46, v0
	s_wait_loadcnt 0x0
	ds_store_b64 v1, v[124:125]
	s_wait_storecnt_dscnt 0x0
	s_barrier_signal -1
	s_barrier_wait -1
	s_wait_xcnt 0x0
	s_and_saveexec_b32 s28, s0
	s_cbranch_execz .LBB59_135
; %bb.126:
	s_and_not1_b32 vcc_lo, exec_lo, s3
	s_cbranch_vccnz .LBB59_128
; %bb.127:
	scratch_load_b64 v[124:125], v39, off
	ds_load_b64 v[126:127], v1
	s_wait_loadcnt_dscnt 0x0
	v_pk_mul_f32 v[128:129], v[126:127], v[124:125] op_sel:[1,1] op_sel_hi:[0,1]
	s_delay_alu instid0(VALU_DEP_1) | instskip(SKIP_1) | instid1(VALU_DEP_2)
	v_pk_fma_f32 v[130:131], v[126:127], v[124:125], v[128:129] op_sel_hi:[1,0,1]
	v_pk_fma_f32 v[124:125], v[126:127], v[124:125], v[128:129] neg_lo:[0,0,1] neg_hi:[0,0,1]
	v_mov_b32_e32 v125, v131
	s_cbranch_execz .LBB59_129
	s_branch .LBB59_130
.LBB59_128:
                                        ; implicit-def: $vgpr124_vgpr125
.LBB59_129:
	ds_load_b64 v[124:125], v1
.LBB59_130:
	s_and_saveexec_b32 s29, s1
	s_cbranch_execz .LBB59_134
; %bb.131:
	v_subrev_nc_u32_e32 v126, 47, v0
	s_movk_i32 s1, 0x178
	s_movk_i32 s31, 0x358
	s_mov_b32 s30, 0
.LBB59_132:                             ; =>This Inner Loop Header: Depth=1
	scratch_load_b64 v[128:129], off, s1
	v_dual_mov_b32 v127, s31 :: v_dual_add_nc_u32 v126, -1, v126
	s_add_co_i32 s31, s31, 8
	s_wait_xcnt 0x0
	s_add_co_i32 s1, s1, 8
	ds_load_b64 v[130:131], v127
	v_cmp_eq_u32_e32 vcc_lo, 0, v126
	s_or_b32 s30, vcc_lo, s30
	s_wait_loadcnt_dscnt 0x0
	v_pk_mul_f32 v[132:133], v[130:131], v[128:129] op_sel:[1,1] op_sel_hi:[0,1]
	s_delay_alu instid0(VALU_DEP_1) | instskip(SKIP_1) | instid1(VALU_DEP_2)
	v_pk_fma_f32 v[134:135], v[130:131], v[128:129], v[132:133] op_sel_hi:[1,0,1]
	v_pk_fma_f32 v[128:129], v[130:131], v[128:129], v[132:133] neg_lo:[0,0,1] neg_hi:[0,0,1]
	v_mov_b32_e32 v129, v135
	s_delay_alu instid0(VALU_DEP_1)
	v_pk_add_f32 v[124:125], v[124:125], v[128:129]
	s_and_not1_b32 exec_lo, exec_lo, s30
	s_cbranch_execnz .LBB59_132
; %bb.133:
	s_or_b32 exec_lo, exec_lo, s30
.LBB59_134:
	s_delay_alu instid0(SALU_CYCLE_1) | instskip(SKIP_4) | instid1(VALU_DEP_1)
	s_or_b32 exec_lo, exec_lo, s29
	v_mov_b32_e32 v126, 0
	ds_load_b64 v[126:127], v126 offset:368
	s_wait_dscnt 0x0
	v_pk_mul_f32 v[128:129], v[124:125], v[126:127] op_sel:[1,1] op_sel_hi:[0,1]
	v_pk_fma_f32 v[130:131], v[124:125], v[126:127], v[128:129] op_sel_hi:[1,0,1]
	v_pk_fma_f32 v[124:125], v[124:125], v[126:127], v[128:129] neg_lo:[0,0,1] neg_hi:[0,0,1]
	s_delay_alu instid0(VALU_DEP_2)
	v_mov_b32_e32 v125, v131
	scratch_store_b64 off, v[124:125], off offset:368
.LBB59_135:
	s_wait_xcnt 0x0
	s_or_b32 exec_lo, exec_lo, s28
	scratch_load_b64 v[124:125], off, off offset:360
	v_cmp_lt_u32_e64 s1, 45, v0
	s_wait_loadcnt 0x0
	ds_store_b64 v1, v[124:125]
	s_wait_storecnt_dscnt 0x0
	s_barrier_signal -1
	s_barrier_wait -1
	s_wait_xcnt 0x0
	s_and_saveexec_b32 s28, s1
	s_cbranch_execz .LBB59_145
; %bb.136:
	s_and_not1_b32 vcc_lo, exec_lo, s3
	s_cbranch_vccnz .LBB59_138
; %bb.137:
	scratch_load_b64 v[124:125], v39, off
	ds_load_b64 v[126:127], v1
	s_wait_loadcnt_dscnt 0x0
	v_pk_mul_f32 v[128:129], v[126:127], v[124:125] op_sel:[1,1] op_sel_hi:[0,1]
	s_delay_alu instid0(VALU_DEP_1) | instskip(SKIP_1) | instid1(VALU_DEP_2)
	v_pk_fma_f32 v[130:131], v[126:127], v[124:125], v[128:129] op_sel_hi:[1,0,1]
	v_pk_fma_f32 v[124:125], v[126:127], v[124:125], v[128:129] neg_lo:[0,0,1] neg_hi:[0,0,1]
	v_mov_b32_e32 v125, v131
	s_cbranch_execz .LBB59_139
	s_branch .LBB59_140
.LBB59_138:
                                        ; implicit-def: $vgpr124_vgpr125
.LBB59_139:
	ds_load_b64 v[124:125], v1
.LBB59_140:
	s_and_saveexec_b32 s29, s0
	s_cbranch_execz .LBB59_144
; %bb.141:
	v_subrev_nc_u32_e32 v126, 46, v0
	s_movk_i32 s30, 0x350
	s_mov_b32 s0, 0
.LBB59_142:                             ; =>This Inner Loop Header: Depth=1
	scratch_load_b64 v[128:129], off, s27
	v_dual_mov_b32 v127, s30 :: v_dual_add_nc_u32 v126, -1, v126
	s_add_co_i32 s30, s30, 8
	s_wait_xcnt 0x0
	s_add_co_i32 s27, s27, 8
	ds_load_b64 v[130:131], v127
	v_cmp_eq_u32_e32 vcc_lo, 0, v126
	s_or_b32 s0, vcc_lo, s0
	s_wait_loadcnt_dscnt 0x0
	v_pk_mul_f32 v[132:133], v[130:131], v[128:129] op_sel:[1,1] op_sel_hi:[0,1]
	s_delay_alu instid0(VALU_DEP_1) | instskip(SKIP_1) | instid1(VALU_DEP_2)
	v_pk_fma_f32 v[134:135], v[130:131], v[128:129], v[132:133] op_sel_hi:[1,0,1]
	v_pk_fma_f32 v[128:129], v[130:131], v[128:129], v[132:133] neg_lo:[0,0,1] neg_hi:[0,0,1]
	v_mov_b32_e32 v129, v135
	s_delay_alu instid0(VALU_DEP_1)
	v_pk_add_f32 v[124:125], v[124:125], v[128:129]
	s_and_not1_b32 exec_lo, exec_lo, s0
	s_cbranch_execnz .LBB59_142
; %bb.143:
	s_or_b32 exec_lo, exec_lo, s0
.LBB59_144:
	s_delay_alu instid0(SALU_CYCLE_1) | instskip(SKIP_4) | instid1(VALU_DEP_1)
	s_or_b32 exec_lo, exec_lo, s29
	v_mov_b32_e32 v126, 0
	ds_load_b64 v[126:127], v126 offset:360
	s_wait_dscnt 0x0
	v_pk_mul_f32 v[128:129], v[124:125], v[126:127] op_sel:[1,1] op_sel_hi:[0,1]
	v_pk_fma_f32 v[130:131], v[124:125], v[126:127], v[128:129] op_sel_hi:[1,0,1]
	v_pk_fma_f32 v[124:125], v[124:125], v[126:127], v[128:129] neg_lo:[0,0,1] neg_hi:[0,0,1]
	s_delay_alu instid0(VALU_DEP_2)
	v_mov_b32_e32 v125, v131
	scratch_store_b64 off, v[124:125], off offset:360
.LBB59_145:
	s_wait_xcnt 0x0
	s_or_b32 exec_lo, exec_lo, s28
	scratch_load_b64 v[124:125], off, off offset:352
	v_cmp_lt_u32_e64 s0, 44, v0
	s_wait_loadcnt 0x0
	ds_store_b64 v1, v[124:125]
	s_wait_storecnt_dscnt 0x0
	s_barrier_signal -1
	s_barrier_wait -1
	s_wait_xcnt 0x0
	s_and_saveexec_b32 s27, s0
	s_cbranch_execz .LBB59_155
; %bb.146:
	s_and_not1_b32 vcc_lo, exec_lo, s3
	s_cbranch_vccnz .LBB59_148
; %bb.147:
	scratch_load_b64 v[124:125], v39, off
	ds_load_b64 v[126:127], v1
	s_wait_loadcnt_dscnt 0x0
	v_pk_mul_f32 v[128:129], v[126:127], v[124:125] op_sel:[1,1] op_sel_hi:[0,1]
	s_delay_alu instid0(VALU_DEP_1) | instskip(SKIP_1) | instid1(VALU_DEP_2)
	v_pk_fma_f32 v[130:131], v[126:127], v[124:125], v[128:129] op_sel_hi:[1,0,1]
	v_pk_fma_f32 v[124:125], v[126:127], v[124:125], v[128:129] neg_lo:[0,0,1] neg_hi:[0,0,1]
	v_mov_b32_e32 v125, v131
	s_cbranch_execz .LBB59_149
	s_branch .LBB59_150
.LBB59_148:
                                        ; implicit-def: $vgpr124_vgpr125
.LBB59_149:
	ds_load_b64 v[124:125], v1
.LBB59_150:
	s_and_saveexec_b32 s28, s1
	s_cbranch_execz .LBB59_154
; %bb.151:
	v_subrev_nc_u32_e32 v126, 45, v0
	s_movk_i32 s1, 0x168
	s_movk_i32 s30, 0x348
	s_mov_b32 s29, 0
.LBB59_152:                             ; =>This Inner Loop Header: Depth=1
	scratch_load_b64 v[128:129], off, s1
	v_dual_mov_b32 v127, s30 :: v_dual_add_nc_u32 v126, -1, v126
	s_add_co_i32 s30, s30, 8
	s_wait_xcnt 0x0
	s_add_co_i32 s1, s1, 8
	ds_load_b64 v[130:131], v127
	v_cmp_eq_u32_e32 vcc_lo, 0, v126
	s_or_b32 s29, vcc_lo, s29
	s_wait_loadcnt_dscnt 0x0
	v_pk_mul_f32 v[132:133], v[130:131], v[128:129] op_sel:[1,1] op_sel_hi:[0,1]
	s_delay_alu instid0(VALU_DEP_1) | instskip(SKIP_1) | instid1(VALU_DEP_2)
	v_pk_fma_f32 v[134:135], v[130:131], v[128:129], v[132:133] op_sel_hi:[1,0,1]
	v_pk_fma_f32 v[128:129], v[130:131], v[128:129], v[132:133] neg_lo:[0,0,1] neg_hi:[0,0,1]
	v_mov_b32_e32 v129, v135
	s_delay_alu instid0(VALU_DEP_1)
	v_pk_add_f32 v[124:125], v[124:125], v[128:129]
	s_and_not1_b32 exec_lo, exec_lo, s29
	s_cbranch_execnz .LBB59_152
; %bb.153:
	s_or_b32 exec_lo, exec_lo, s29
.LBB59_154:
	s_delay_alu instid0(SALU_CYCLE_1) | instskip(SKIP_4) | instid1(VALU_DEP_1)
	s_or_b32 exec_lo, exec_lo, s28
	v_mov_b32_e32 v126, 0
	ds_load_b64 v[126:127], v126 offset:352
	s_wait_dscnt 0x0
	v_pk_mul_f32 v[128:129], v[124:125], v[126:127] op_sel:[1,1] op_sel_hi:[0,1]
	v_pk_fma_f32 v[130:131], v[124:125], v[126:127], v[128:129] op_sel_hi:[1,0,1]
	v_pk_fma_f32 v[124:125], v[124:125], v[126:127], v[128:129] neg_lo:[0,0,1] neg_hi:[0,0,1]
	s_delay_alu instid0(VALU_DEP_2)
	v_mov_b32_e32 v125, v131
	scratch_store_b64 off, v[124:125], off offset:352
.LBB59_155:
	s_wait_xcnt 0x0
	s_or_b32 exec_lo, exec_lo, s27
	scratch_load_b64 v[124:125], off, off offset:344
	v_cmp_lt_u32_e64 s1, 43, v0
	s_wait_loadcnt 0x0
	ds_store_b64 v1, v[124:125]
	s_wait_storecnt_dscnt 0x0
	s_barrier_signal -1
	s_barrier_wait -1
	s_wait_xcnt 0x0
	s_and_saveexec_b32 s27, s1
	s_cbranch_execz .LBB59_165
; %bb.156:
	s_and_not1_b32 vcc_lo, exec_lo, s3
	s_cbranch_vccnz .LBB59_158
; %bb.157:
	scratch_load_b64 v[124:125], v39, off
	ds_load_b64 v[126:127], v1
	s_wait_loadcnt_dscnt 0x0
	v_pk_mul_f32 v[128:129], v[126:127], v[124:125] op_sel:[1,1] op_sel_hi:[0,1]
	s_delay_alu instid0(VALU_DEP_1) | instskip(SKIP_1) | instid1(VALU_DEP_2)
	v_pk_fma_f32 v[130:131], v[126:127], v[124:125], v[128:129] op_sel_hi:[1,0,1]
	v_pk_fma_f32 v[124:125], v[126:127], v[124:125], v[128:129] neg_lo:[0,0,1] neg_hi:[0,0,1]
	v_mov_b32_e32 v125, v131
	s_cbranch_execz .LBB59_159
	s_branch .LBB59_160
.LBB59_158:
                                        ; implicit-def: $vgpr124_vgpr125
.LBB59_159:
	ds_load_b64 v[124:125], v1
.LBB59_160:
	s_and_saveexec_b32 s28, s0
	s_cbranch_execz .LBB59_164
; %bb.161:
	v_subrev_nc_u32_e32 v126, 44, v0
	s_movk_i32 s29, 0x340
	s_mov_b32 s0, 0
.LBB59_162:                             ; =>This Inner Loop Header: Depth=1
	scratch_load_b64 v[128:129], off, s26
	v_dual_mov_b32 v127, s29 :: v_dual_add_nc_u32 v126, -1, v126
	s_add_co_i32 s29, s29, 8
	s_wait_xcnt 0x0
	s_add_co_i32 s26, s26, 8
	ds_load_b64 v[130:131], v127
	v_cmp_eq_u32_e32 vcc_lo, 0, v126
	s_or_b32 s0, vcc_lo, s0
	s_wait_loadcnt_dscnt 0x0
	v_pk_mul_f32 v[132:133], v[130:131], v[128:129] op_sel:[1,1] op_sel_hi:[0,1]
	s_delay_alu instid0(VALU_DEP_1) | instskip(SKIP_1) | instid1(VALU_DEP_2)
	v_pk_fma_f32 v[134:135], v[130:131], v[128:129], v[132:133] op_sel_hi:[1,0,1]
	v_pk_fma_f32 v[128:129], v[130:131], v[128:129], v[132:133] neg_lo:[0,0,1] neg_hi:[0,0,1]
	v_mov_b32_e32 v129, v135
	s_delay_alu instid0(VALU_DEP_1)
	v_pk_add_f32 v[124:125], v[124:125], v[128:129]
	s_and_not1_b32 exec_lo, exec_lo, s0
	s_cbranch_execnz .LBB59_162
; %bb.163:
	s_or_b32 exec_lo, exec_lo, s0
.LBB59_164:
	s_delay_alu instid0(SALU_CYCLE_1) | instskip(SKIP_4) | instid1(VALU_DEP_1)
	s_or_b32 exec_lo, exec_lo, s28
	v_mov_b32_e32 v126, 0
	ds_load_b64 v[126:127], v126 offset:344
	s_wait_dscnt 0x0
	v_pk_mul_f32 v[128:129], v[124:125], v[126:127] op_sel:[1,1] op_sel_hi:[0,1]
	v_pk_fma_f32 v[130:131], v[124:125], v[126:127], v[128:129] op_sel_hi:[1,0,1]
	v_pk_fma_f32 v[124:125], v[124:125], v[126:127], v[128:129] neg_lo:[0,0,1] neg_hi:[0,0,1]
	s_delay_alu instid0(VALU_DEP_2)
	v_mov_b32_e32 v125, v131
	scratch_store_b64 off, v[124:125], off offset:344
.LBB59_165:
	s_wait_xcnt 0x0
	s_or_b32 exec_lo, exec_lo, s27
	scratch_load_b64 v[124:125], off, off offset:336
	v_cmp_lt_u32_e64 s0, 42, v0
	s_wait_loadcnt 0x0
	ds_store_b64 v1, v[124:125]
	s_wait_storecnt_dscnt 0x0
	s_barrier_signal -1
	s_barrier_wait -1
	s_wait_xcnt 0x0
	s_and_saveexec_b32 s26, s0
	s_cbranch_execz .LBB59_175
; %bb.166:
	s_and_not1_b32 vcc_lo, exec_lo, s3
	s_cbranch_vccnz .LBB59_168
; %bb.167:
	scratch_load_b64 v[124:125], v39, off
	ds_load_b64 v[126:127], v1
	s_wait_loadcnt_dscnt 0x0
	v_pk_mul_f32 v[128:129], v[126:127], v[124:125] op_sel:[1,1] op_sel_hi:[0,1]
	s_delay_alu instid0(VALU_DEP_1) | instskip(SKIP_1) | instid1(VALU_DEP_2)
	v_pk_fma_f32 v[130:131], v[126:127], v[124:125], v[128:129] op_sel_hi:[1,0,1]
	v_pk_fma_f32 v[124:125], v[126:127], v[124:125], v[128:129] neg_lo:[0,0,1] neg_hi:[0,0,1]
	v_mov_b32_e32 v125, v131
	s_cbranch_execz .LBB59_169
	s_branch .LBB59_170
.LBB59_168:
                                        ; implicit-def: $vgpr124_vgpr125
.LBB59_169:
	ds_load_b64 v[124:125], v1
.LBB59_170:
	s_and_saveexec_b32 s27, s1
	s_cbranch_execz .LBB59_174
; %bb.171:
	v_subrev_nc_u32_e32 v126, 43, v0
	s_movk_i32 s1, 0x158
	s_movk_i32 s29, 0x338
	s_mov_b32 s28, 0
.LBB59_172:                             ; =>This Inner Loop Header: Depth=1
	scratch_load_b64 v[128:129], off, s1
	v_dual_mov_b32 v127, s29 :: v_dual_add_nc_u32 v126, -1, v126
	s_add_co_i32 s29, s29, 8
	s_wait_xcnt 0x0
	s_add_co_i32 s1, s1, 8
	ds_load_b64 v[130:131], v127
	v_cmp_eq_u32_e32 vcc_lo, 0, v126
	s_or_b32 s28, vcc_lo, s28
	s_wait_loadcnt_dscnt 0x0
	v_pk_mul_f32 v[132:133], v[130:131], v[128:129] op_sel:[1,1] op_sel_hi:[0,1]
	s_delay_alu instid0(VALU_DEP_1) | instskip(SKIP_1) | instid1(VALU_DEP_2)
	v_pk_fma_f32 v[134:135], v[130:131], v[128:129], v[132:133] op_sel_hi:[1,0,1]
	v_pk_fma_f32 v[128:129], v[130:131], v[128:129], v[132:133] neg_lo:[0,0,1] neg_hi:[0,0,1]
	v_mov_b32_e32 v129, v135
	s_delay_alu instid0(VALU_DEP_1)
	v_pk_add_f32 v[124:125], v[124:125], v[128:129]
	s_and_not1_b32 exec_lo, exec_lo, s28
	s_cbranch_execnz .LBB59_172
; %bb.173:
	s_or_b32 exec_lo, exec_lo, s28
.LBB59_174:
	s_delay_alu instid0(SALU_CYCLE_1) | instskip(SKIP_4) | instid1(VALU_DEP_1)
	s_or_b32 exec_lo, exec_lo, s27
	v_mov_b32_e32 v126, 0
	ds_load_b64 v[126:127], v126 offset:336
	s_wait_dscnt 0x0
	v_pk_mul_f32 v[128:129], v[124:125], v[126:127] op_sel:[1,1] op_sel_hi:[0,1]
	v_pk_fma_f32 v[130:131], v[124:125], v[126:127], v[128:129] op_sel_hi:[1,0,1]
	v_pk_fma_f32 v[124:125], v[124:125], v[126:127], v[128:129] neg_lo:[0,0,1] neg_hi:[0,0,1]
	s_delay_alu instid0(VALU_DEP_2)
	v_mov_b32_e32 v125, v131
	scratch_store_b64 off, v[124:125], off offset:336
.LBB59_175:
	s_wait_xcnt 0x0
	s_or_b32 exec_lo, exec_lo, s26
	scratch_load_b64 v[124:125], off, off offset:328
	v_cmp_lt_u32_e64 s1, 41, v0
	s_wait_loadcnt 0x0
	ds_store_b64 v1, v[124:125]
	s_wait_storecnt_dscnt 0x0
	s_barrier_signal -1
	s_barrier_wait -1
	s_wait_xcnt 0x0
	s_and_saveexec_b32 s26, s1
	s_cbranch_execz .LBB59_185
; %bb.176:
	s_and_not1_b32 vcc_lo, exec_lo, s3
	s_cbranch_vccnz .LBB59_178
; %bb.177:
	scratch_load_b64 v[124:125], v39, off
	ds_load_b64 v[126:127], v1
	s_wait_loadcnt_dscnt 0x0
	v_pk_mul_f32 v[128:129], v[126:127], v[124:125] op_sel:[1,1] op_sel_hi:[0,1]
	s_delay_alu instid0(VALU_DEP_1) | instskip(SKIP_1) | instid1(VALU_DEP_2)
	v_pk_fma_f32 v[130:131], v[126:127], v[124:125], v[128:129] op_sel_hi:[1,0,1]
	v_pk_fma_f32 v[124:125], v[126:127], v[124:125], v[128:129] neg_lo:[0,0,1] neg_hi:[0,0,1]
	v_mov_b32_e32 v125, v131
	s_cbranch_execz .LBB59_179
	s_branch .LBB59_180
.LBB59_178:
                                        ; implicit-def: $vgpr124_vgpr125
.LBB59_179:
	ds_load_b64 v[124:125], v1
.LBB59_180:
	s_and_saveexec_b32 s27, s0
	s_cbranch_execz .LBB59_184
; %bb.181:
	v_subrev_nc_u32_e32 v126, 42, v0
	s_movk_i32 s28, 0x330
	s_mov_b32 s0, 0
.LBB59_182:                             ; =>This Inner Loop Header: Depth=1
	scratch_load_b64 v[128:129], off, s25
	v_dual_mov_b32 v127, s28 :: v_dual_add_nc_u32 v126, -1, v126
	s_add_co_i32 s28, s28, 8
	s_wait_xcnt 0x0
	s_add_co_i32 s25, s25, 8
	ds_load_b64 v[130:131], v127
	v_cmp_eq_u32_e32 vcc_lo, 0, v126
	s_or_b32 s0, vcc_lo, s0
	s_wait_loadcnt_dscnt 0x0
	v_pk_mul_f32 v[132:133], v[130:131], v[128:129] op_sel:[1,1] op_sel_hi:[0,1]
	s_delay_alu instid0(VALU_DEP_1) | instskip(SKIP_1) | instid1(VALU_DEP_2)
	v_pk_fma_f32 v[134:135], v[130:131], v[128:129], v[132:133] op_sel_hi:[1,0,1]
	v_pk_fma_f32 v[128:129], v[130:131], v[128:129], v[132:133] neg_lo:[0,0,1] neg_hi:[0,0,1]
	v_mov_b32_e32 v129, v135
	s_delay_alu instid0(VALU_DEP_1)
	v_pk_add_f32 v[124:125], v[124:125], v[128:129]
	s_and_not1_b32 exec_lo, exec_lo, s0
	s_cbranch_execnz .LBB59_182
; %bb.183:
	s_or_b32 exec_lo, exec_lo, s0
.LBB59_184:
	s_delay_alu instid0(SALU_CYCLE_1) | instskip(SKIP_4) | instid1(VALU_DEP_1)
	s_or_b32 exec_lo, exec_lo, s27
	v_mov_b32_e32 v126, 0
	ds_load_b64 v[126:127], v126 offset:328
	s_wait_dscnt 0x0
	v_pk_mul_f32 v[128:129], v[124:125], v[126:127] op_sel:[1,1] op_sel_hi:[0,1]
	v_pk_fma_f32 v[130:131], v[124:125], v[126:127], v[128:129] op_sel_hi:[1,0,1]
	v_pk_fma_f32 v[124:125], v[124:125], v[126:127], v[128:129] neg_lo:[0,0,1] neg_hi:[0,0,1]
	s_delay_alu instid0(VALU_DEP_2)
	v_mov_b32_e32 v125, v131
	scratch_store_b64 off, v[124:125], off offset:328
.LBB59_185:
	s_wait_xcnt 0x0
	s_or_b32 exec_lo, exec_lo, s26
	scratch_load_b64 v[124:125], off, off offset:320
	v_cmp_lt_u32_e64 s0, 40, v0
	s_wait_loadcnt 0x0
	ds_store_b64 v1, v[124:125]
	s_wait_storecnt_dscnt 0x0
	s_barrier_signal -1
	s_barrier_wait -1
	s_wait_xcnt 0x0
	s_and_saveexec_b32 s25, s0
	s_cbranch_execz .LBB59_195
; %bb.186:
	s_and_not1_b32 vcc_lo, exec_lo, s3
	s_cbranch_vccnz .LBB59_188
; %bb.187:
	scratch_load_b64 v[124:125], v39, off
	ds_load_b64 v[126:127], v1
	s_wait_loadcnt_dscnt 0x0
	v_pk_mul_f32 v[128:129], v[126:127], v[124:125] op_sel:[1,1] op_sel_hi:[0,1]
	s_delay_alu instid0(VALU_DEP_1) | instskip(SKIP_1) | instid1(VALU_DEP_2)
	v_pk_fma_f32 v[130:131], v[126:127], v[124:125], v[128:129] op_sel_hi:[1,0,1]
	v_pk_fma_f32 v[124:125], v[126:127], v[124:125], v[128:129] neg_lo:[0,0,1] neg_hi:[0,0,1]
	v_mov_b32_e32 v125, v131
	s_cbranch_execz .LBB59_189
	s_branch .LBB59_190
.LBB59_188:
                                        ; implicit-def: $vgpr124_vgpr125
.LBB59_189:
	ds_load_b64 v[124:125], v1
.LBB59_190:
	s_and_saveexec_b32 s26, s1
	s_cbranch_execz .LBB59_194
; %bb.191:
	v_subrev_nc_u32_e32 v126, 41, v0
	s_movk_i32 s1, 0x148
	s_movk_i32 s28, 0x328
	s_mov_b32 s27, 0
.LBB59_192:                             ; =>This Inner Loop Header: Depth=1
	scratch_load_b64 v[128:129], off, s1
	v_dual_mov_b32 v127, s28 :: v_dual_add_nc_u32 v126, -1, v126
	s_add_co_i32 s28, s28, 8
	s_wait_xcnt 0x0
	s_add_co_i32 s1, s1, 8
	ds_load_b64 v[130:131], v127
	v_cmp_eq_u32_e32 vcc_lo, 0, v126
	s_or_b32 s27, vcc_lo, s27
	s_wait_loadcnt_dscnt 0x0
	v_pk_mul_f32 v[132:133], v[130:131], v[128:129] op_sel:[1,1] op_sel_hi:[0,1]
	s_delay_alu instid0(VALU_DEP_1) | instskip(SKIP_1) | instid1(VALU_DEP_2)
	v_pk_fma_f32 v[134:135], v[130:131], v[128:129], v[132:133] op_sel_hi:[1,0,1]
	v_pk_fma_f32 v[128:129], v[130:131], v[128:129], v[132:133] neg_lo:[0,0,1] neg_hi:[0,0,1]
	v_mov_b32_e32 v129, v135
	s_delay_alu instid0(VALU_DEP_1)
	v_pk_add_f32 v[124:125], v[124:125], v[128:129]
	s_and_not1_b32 exec_lo, exec_lo, s27
	s_cbranch_execnz .LBB59_192
; %bb.193:
	s_or_b32 exec_lo, exec_lo, s27
.LBB59_194:
	s_delay_alu instid0(SALU_CYCLE_1) | instskip(SKIP_4) | instid1(VALU_DEP_1)
	s_or_b32 exec_lo, exec_lo, s26
	v_mov_b32_e32 v126, 0
	ds_load_b64 v[126:127], v126 offset:320
	s_wait_dscnt 0x0
	v_pk_mul_f32 v[128:129], v[124:125], v[126:127] op_sel:[1,1] op_sel_hi:[0,1]
	v_pk_fma_f32 v[130:131], v[124:125], v[126:127], v[128:129] op_sel_hi:[1,0,1]
	v_pk_fma_f32 v[124:125], v[124:125], v[126:127], v[128:129] neg_lo:[0,0,1] neg_hi:[0,0,1]
	s_delay_alu instid0(VALU_DEP_2)
	v_mov_b32_e32 v125, v131
	scratch_store_b64 off, v[124:125], off offset:320
.LBB59_195:
	s_wait_xcnt 0x0
	s_or_b32 exec_lo, exec_lo, s25
	scratch_load_b64 v[124:125], off, off offset:312
	v_cmp_lt_u32_e64 s1, 39, v0
	s_wait_loadcnt 0x0
	ds_store_b64 v1, v[124:125]
	s_wait_storecnt_dscnt 0x0
	s_barrier_signal -1
	s_barrier_wait -1
	s_wait_xcnt 0x0
	s_and_saveexec_b32 s25, s1
	s_cbranch_execz .LBB59_205
; %bb.196:
	s_and_not1_b32 vcc_lo, exec_lo, s3
	s_cbranch_vccnz .LBB59_198
; %bb.197:
	scratch_load_b64 v[124:125], v39, off
	ds_load_b64 v[126:127], v1
	s_wait_loadcnt_dscnt 0x0
	v_pk_mul_f32 v[128:129], v[126:127], v[124:125] op_sel:[1,1] op_sel_hi:[0,1]
	s_delay_alu instid0(VALU_DEP_1) | instskip(SKIP_1) | instid1(VALU_DEP_2)
	v_pk_fma_f32 v[130:131], v[126:127], v[124:125], v[128:129] op_sel_hi:[1,0,1]
	v_pk_fma_f32 v[124:125], v[126:127], v[124:125], v[128:129] neg_lo:[0,0,1] neg_hi:[0,0,1]
	v_mov_b32_e32 v125, v131
	s_cbranch_execz .LBB59_199
	s_branch .LBB59_200
.LBB59_198:
                                        ; implicit-def: $vgpr124_vgpr125
.LBB59_199:
	ds_load_b64 v[124:125], v1
.LBB59_200:
	s_and_saveexec_b32 s26, s0
	s_cbranch_execz .LBB59_204
; %bb.201:
	v_subrev_nc_u32_e32 v126, 40, v0
	s_movk_i32 s27, 0x320
	s_mov_b32 s0, 0
.LBB59_202:                             ; =>This Inner Loop Header: Depth=1
	scratch_load_b64 v[128:129], off, s24
	v_dual_mov_b32 v127, s27 :: v_dual_add_nc_u32 v126, -1, v126
	s_add_co_i32 s27, s27, 8
	s_wait_xcnt 0x0
	s_add_co_i32 s24, s24, 8
	ds_load_b64 v[130:131], v127
	v_cmp_eq_u32_e32 vcc_lo, 0, v126
	s_or_b32 s0, vcc_lo, s0
	s_wait_loadcnt_dscnt 0x0
	v_pk_mul_f32 v[132:133], v[130:131], v[128:129] op_sel:[1,1] op_sel_hi:[0,1]
	s_delay_alu instid0(VALU_DEP_1) | instskip(SKIP_1) | instid1(VALU_DEP_2)
	v_pk_fma_f32 v[134:135], v[130:131], v[128:129], v[132:133] op_sel_hi:[1,0,1]
	v_pk_fma_f32 v[128:129], v[130:131], v[128:129], v[132:133] neg_lo:[0,0,1] neg_hi:[0,0,1]
	v_mov_b32_e32 v129, v135
	s_delay_alu instid0(VALU_DEP_1)
	v_pk_add_f32 v[124:125], v[124:125], v[128:129]
	s_and_not1_b32 exec_lo, exec_lo, s0
	s_cbranch_execnz .LBB59_202
; %bb.203:
	s_or_b32 exec_lo, exec_lo, s0
.LBB59_204:
	s_delay_alu instid0(SALU_CYCLE_1) | instskip(SKIP_4) | instid1(VALU_DEP_1)
	s_or_b32 exec_lo, exec_lo, s26
	v_mov_b32_e32 v126, 0
	ds_load_b64 v[126:127], v126 offset:312
	s_wait_dscnt 0x0
	v_pk_mul_f32 v[128:129], v[124:125], v[126:127] op_sel:[1,1] op_sel_hi:[0,1]
	v_pk_fma_f32 v[130:131], v[124:125], v[126:127], v[128:129] op_sel_hi:[1,0,1]
	v_pk_fma_f32 v[124:125], v[124:125], v[126:127], v[128:129] neg_lo:[0,0,1] neg_hi:[0,0,1]
	s_delay_alu instid0(VALU_DEP_2)
	v_mov_b32_e32 v125, v131
	scratch_store_b64 off, v[124:125], off offset:312
.LBB59_205:
	s_wait_xcnt 0x0
	s_or_b32 exec_lo, exec_lo, s25
	scratch_load_b64 v[124:125], off, off offset:304
	v_cmp_lt_u32_e64 s0, 38, v0
	s_wait_loadcnt 0x0
	ds_store_b64 v1, v[124:125]
	s_wait_storecnt_dscnt 0x0
	s_barrier_signal -1
	s_barrier_wait -1
	s_wait_xcnt 0x0
	s_and_saveexec_b32 s24, s0
	s_cbranch_execz .LBB59_215
; %bb.206:
	s_and_not1_b32 vcc_lo, exec_lo, s3
	s_cbranch_vccnz .LBB59_208
; %bb.207:
	scratch_load_b64 v[124:125], v39, off
	ds_load_b64 v[126:127], v1
	s_wait_loadcnt_dscnt 0x0
	v_pk_mul_f32 v[128:129], v[126:127], v[124:125] op_sel:[1,1] op_sel_hi:[0,1]
	s_delay_alu instid0(VALU_DEP_1) | instskip(SKIP_1) | instid1(VALU_DEP_2)
	v_pk_fma_f32 v[130:131], v[126:127], v[124:125], v[128:129] op_sel_hi:[1,0,1]
	v_pk_fma_f32 v[124:125], v[126:127], v[124:125], v[128:129] neg_lo:[0,0,1] neg_hi:[0,0,1]
	v_mov_b32_e32 v125, v131
	s_cbranch_execz .LBB59_209
	s_branch .LBB59_210
.LBB59_208:
                                        ; implicit-def: $vgpr124_vgpr125
.LBB59_209:
	ds_load_b64 v[124:125], v1
.LBB59_210:
	s_and_saveexec_b32 s25, s1
	s_cbranch_execz .LBB59_214
; %bb.211:
	v_subrev_nc_u32_e32 v126, 39, v0
	s_movk_i32 s1, 0x138
	s_movk_i32 s27, 0x318
	s_mov_b32 s26, 0
.LBB59_212:                             ; =>This Inner Loop Header: Depth=1
	scratch_load_b64 v[128:129], off, s1
	v_dual_mov_b32 v127, s27 :: v_dual_add_nc_u32 v126, -1, v126
	s_add_co_i32 s27, s27, 8
	s_wait_xcnt 0x0
	s_add_co_i32 s1, s1, 8
	ds_load_b64 v[130:131], v127
	v_cmp_eq_u32_e32 vcc_lo, 0, v126
	s_or_b32 s26, vcc_lo, s26
	s_wait_loadcnt_dscnt 0x0
	v_pk_mul_f32 v[132:133], v[130:131], v[128:129] op_sel:[1,1] op_sel_hi:[0,1]
	s_delay_alu instid0(VALU_DEP_1) | instskip(SKIP_1) | instid1(VALU_DEP_2)
	v_pk_fma_f32 v[134:135], v[130:131], v[128:129], v[132:133] op_sel_hi:[1,0,1]
	v_pk_fma_f32 v[128:129], v[130:131], v[128:129], v[132:133] neg_lo:[0,0,1] neg_hi:[0,0,1]
	v_mov_b32_e32 v129, v135
	s_delay_alu instid0(VALU_DEP_1)
	v_pk_add_f32 v[124:125], v[124:125], v[128:129]
	s_and_not1_b32 exec_lo, exec_lo, s26
	s_cbranch_execnz .LBB59_212
; %bb.213:
	s_or_b32 exec_lo, exec_lo, s26
.LBB59_214:
	s_delay_alu instid0(SALU_CYCLE_1) | instskip(SKIP_4) | instid1(VALU_DEP_1)
	s_or_b32 exec_lo, exec_lo, s25
	v_mov_b32_e32 v126, 0
	ds_load_b64 v[126:127], v126 offset:304
	s_wait_dscnt 0x0
	v_pk_mul_f32 v[128:129], v[124:125], v[126:127] op_sel:[1,1] op_sel_hi:[0,1]
	v_pk_fma_f32 v[130:131], v[124:125], v[126:127], v[128:129] op_sel_hi:[1,0,1]
	v_pk_fma_f32 v[124:125], v[124:125], v[126:127], v[128:129] neg_lo:[0,0,1] neg_hi:[0,0,1]
	s_delay_alu instid0(VALU_DEP_2)
	v_mov_b32_e32 v125, v131
	scratch_store_b64 off, v[124:125], off offset:304
.LBB59_215:
	s_wait_xcnt 0x0
	s_or_b32 exec_lo, exec_lo, s24
	scratch_load_b64 v[124:125], off, off offset:296
	v_cmp_lt_u32_e64 s1, 37, v0
	s_wait_loadcnt 0x0
	ds_store_b64 v1, v[124:125]
	s_wait_storecnt_dscnt 0x0
	s_barrier_signal -1
	s_barrier_wait -1
	s_wait_xcnt 0x0
	s_and_saveexec_b32 s24, s1
	s_cbranch_execz .LBB59_225
; %bb.216:
	s_and_not1_b32 vcc_lo, exec_lo, s3
	s_cbranch_vccnz .LBB59_218
; %bb.217:
	scratch_load_b64 v[124:125], v39, off
	ds_load_b64 v[126:127], v1
	s_wait_loadcnt_dscnt 0x0
	v_pk_mul_f32 v[128:129], v[126:127], v[124:125] op_sel:[1,1] op_sel_hi:[0,1]
	s_delay_alu instid0(VALU_DEP_1) | instskip(SKIP_1) | instid1(VALU_DEP_2)
	v_pk_fma_f32 v[130:131], v[126:127], v[124:125], v[128:129] op_sel_hi:[1,0,1]
	v_pk_fma_f32 v[124:125], v[126:127], v[124:125], v[128:129] neg_lo:[0,0,1] neg_hi:[0,0,1]
	v_mov_b32_e32 v125, v131
	s_cbranch_execz .LBB59_219
	s_branch .LBB59_220
.LBB59_218:
                                        ; implicit-def: $vgpr124_vgpr125
.LBB59_219:
	ds_load_b64 v[124:125], v1
.LBB59_220:
	s_and_saveexec_b32 s25, s0
	s_cbranch_execz .LBB59_224
; %bb.221:
	v_subrev_nc_u32_e32 v126, 38, v0
	s_movk_i32 s26, 0x310
	s_mov_b32 s0, 0
.LBB59_222:                             ; =>This Inner Loop Header: Depth=1
	scratch_load_b64 v[128:129], off, s23
	v_dual_mov_b32 v127, s26 :: v_dual_add_nc_u32 v126, -1, v126
	s_add_co_i32 s26, s26, 8
	s_wait_xcnt 0x0
	s_add_co_i32 s23, s23, 8
	ds_load_b64 v[130:131], v127
	v_cmp_eq_u32_e32 vcc_lo, 0, v126
	s_or_b32 s0, vcc_lo, s0
	s_wait_loadcnt_dscnt 0x0
	v_pk_mul_f32 v[132:133], v[130:131], v[128:129] op_sel:[1,1] op_sel_hi:[0,1]
	s_delay_alu instid0(VALU_DEP_1) | instskip(SKIP_1) | instid1(VALU_DEP_2)
	v_pk_fma_f32 v[134:135], v[130:131], v[128:129], v[132:133] op_sel_hi:[1,0,1]
	v_pk_fma_f32 v[128:129], v[130:131], v[128:129], v[132:133] neg_lo:[0,0,1] neg_hi:[0,0,1]
	v_mov_b32_e32 v129, v135
	s_delay_alu instid0(VALU_DEP_1)
	v_pk_add_f32 v[124:125], v[124:125], v[128:129]
	s_and_not1_b32 exec_lo, exec_lo, s0
	s_cbranch_execnz .LBB59_222
; %bb.223:
	s_or_b32 exec_lo, exec_lo, s0
.LBB59_224:
	s_delay_alu instid0(SALU_CYCLE_1) | instskip(SKIP_4) | instid1(VALU_DEP_1)
	s_or_b32 exec_lo, exec_lo, s25
	v_mov_b32_e32 v126, 0
	ds_load_b64 v[126:127], v126 offset:296
	s_wait_dscnt 0x0
	v_pk_mul_f32 v[128:129], v[124:125], v[126:127] op_sel:[1,1] op_sel_hi:[0,1]
	v_pk_fma_f32 v[130:131], v[124:125], v[126:127], v[128:129] op_sel_hi:[1,0,1]
	v_pk_fma_f32 v[124:125], v[124:125], v[126:127], v[128:129] neg_lo:[0,0,1] neg_hi:[0,0,1]
	s_delay_alu instid0(VALU_DEP_2)
	v_mov_b32_e32 v125, v131
	scratch_store_b64 off, v[124:125], off offset:296
.LBB59_225:
	s_wait_xcnt 0x0
	s_or_b32 exec_lo, exec_lo, s24
	scratch_load_b64 v[124:125], off, off offset:288
	v_cmp_lt_u32_e64 s0, 36, v0
	s_wait_loadcnt 0x0
	ds_store_b64 v1, v[124:125]
	s_wait_storecnt_dscnt 0x0
	s_barrier_signal -1
	s_barrier_wait -1
	s_wait_xcnt 0x0
	s_and_saveexec_b32 s23, s0
	s_cbranch_execz .LBB59_235
; %bb.226:
	s_and_not1_b32 vcc_lo, exec_lo, s3
	s_cbranch_vccnz .LBB59_228
; %bb.227:
	scratch_load_b64 v[124:125], v39, off
	ds_load_b64 v[126:127], v1
	s_wait_loadcnt_dscnt 0x0
	v_pk_mul_f32 v[128:129], v[126:127], v[124:125] op_sel:[1,1] op_sel_hi:[0,1]
	s_delay_alu instid0(VALU_DEP_1) | instskip(SKIP_1) | instid1(VALU_DEP_2)
	v_pk_fma_f32 v[130:131], v[126:127], v[124:125], v[128:129] op_sel_hi:[1,0,1]
	v_pk_fma_f32 v[124:125], v[126:127], v[124:125], v[128:129] neg_lo:[0,0,1] neg_hi:[0,0,1]
	v_mov_b32_e32 v125, v131
	s_cbranch_execz .LBB59_229
	s_branch .LBB59_230
.LBB59_228:
                                        ; implicit-def: $vgpr124_vgpr125
.LBB59_229:
	ds_load_b64 v[124:125], v1
.LBB59_230:
	s_and_saveexec_b32 s24, s1
	s_cbranch_execz .LBB59_234
; %bb.231:
	v_subrev_nc_u32_e32 v126, 37, v0
	s_movk_i32 s1, 0x128
	s_movk_i32 s26, 0x308
	s_mov_b32 s25, 0
.LBB59_232:                             ; =>This Inner Loop Header: Depth=1
	scratch_load_b64 v[128:129], off, s1
	v_dual_mov_b32 v127, s26 :: v_dual_add_nc_u32 v126, -1, v126
	s_add_co_i32 s26, s26, 8
	s_wait_xcnt 0x0
	s_add_co_i32 s1, s1, 8
	ds_load_b64 v[130:131], v127
	v_cmp_eq_u32_e32 vcc_lo, 0, v126
	s_or_b32 s25, vcc_lo, s25
	s_wait_loadcnt_dscnt 0x0
	v_pk_mul_f32 v[132:133], v[130:131], v[128:129] op_sel:[1,1] op_sel_hi:[0,1]
	s_delay_alu instid0(VALU_DEP_1) | instskip(SKIP_1) | instid1(VALU_DEP_2)
	v_pk_fma_f32 v[134:135], v[130:131], v[128:129], v[132:133] op_sel_hi:[1,0,1]
	v_pk_fma_f32 v[128:129], v[130:131], v[128:129], v[132:133] neg_lo:[0,0,1] neg_hi:[0,0,1]
	v_mov_b32_e32 v129, v135
	s_delay_alu instid0(VALU_DEP_1)
	v_pk_add_f32 v[124:125], v[124:125], v[128:129]
	s_and_not1_b32 exec_lo, exec_lo, s25
	s_cbranch_execnz .LBB59_232
; %bb.233:
	s_or_b32 exec_lo, exec_lo, s25
.LBB59_234:
	s_delay_alu instid0(SALU_CYCLE_1) | instskip(SKIP_4) | instid1(VALU_DEP_1)
	s_or_b32 exec_lo, exec_lo, s24
	v_mov_b32_e32 v126, 0
	ds_load_b64 v[126:127], v126 offset:288
	s_wait_dscnt 0x0
	v_pk_mul_f32 v[128:129], v[124:125], v[126:127] op_sel:[1,1] op_sel_hi:[0,1]
	v_pk_fma_f32 v[130:131], v[124:125], v[126:127], v[128:129] op_sel_hi:[1,0,1]
	v_pk_fma_f32 v[124:125], v[124:125], v[126:127], v[128:129] neg_lo:[0,0,1] neg_hi:[0,0,1]
	s_delay_alu instid0(VALU_DEP_2)
	v_mov_b32_e32 v125, v131
	scratch_store_b64 off, v[124:125], off offset:288
.LBB59_235:
	s_wait_xcnt 0x0
	s_or_b32 exec_lo, exec_lo, s23
	scratch_load_b64 v[124:125], off, off offset:280
	v_cmp_lt_u32_e64 s1, 35, v0
	s_wait_loadcnt 0x0
	ds_store_b64 v1, v[124:125]
	s_wait_storecnt_dscnt 0x0
	s_barrier_signal -1
	s_barrier_wait -1
	s_wait_xcnt 0x0
	s_and_saveexec_b32 s23, s1
	s_cbranch_execz .LBB59_245
; %bb.236:
	s_and_not1_b32 vcc_lo, exec_lo, s3
	s_cbranch_vccnz .LBB59_238
; %bb.237:
	scratch_load_b64 v[124:125], v39, off
	ds_load_b64 v[126:127], v1
	s_wait_loadcnt_dscnt 0x0
	v_pk_mul_f32 v[128:129], v[126:127], v[124:125] op_sel:[1,1] op_sel_hi:[0,1]
	s_delay_alu instid0(VALU_DEP_1) | instskip(SKIP_1) | instid1(VALU_DEP_2)
	v_pk_fma_f32 v[130:131], v[126:127], v[124:125], v[128:129] op_sel_hi:[1,0,1]
	v_pk_fma_f32 v[124:125], v[126:127], v[124:125], v[128:129] neg_lo:[0,0,1] neg_hi:[0,0,1]
	v_mov_b32_e32 v125, v131
	s_cbranch_execz .LBB59_239
	s_branch .LBB59_240
.LBB59_238:
                                        ; implicit-def: $vgpr124_vgpr125
.LBB59_239:
	ds_load_b64 v[124:125], v1
.LBB59_240:
	s_and_saveexec_b32 s24, s0
	s_cbranch_execz .LBB59_244
; %bb.241:
	v_subrev_nc_u32_e32 v126, 36, v0
	s_movk_i32 s25, 0x300
	s_mov_b32 s0, 0
.LBB59_242:                             ; =>This Inner Loop Header: Depth=1
	scratch_load_b64 v[128:129], off, s22
	v_dual_mov_b32 v127, s25 :: v_dual_add_nc_u32 v126, -1, v126
	s_add_co_i32 s25, s25, 8
	s_wait_xcnt 0x0
	s_add_co_i32 s22, s22, 8
	ds_load_b64 v[130:131], v127
	v_cmp_eq_u32_e32 vcc_lo, 0, v126
	s_or_b32 s0, vcc_lo, s0
	s_wait_loadcnt_dscnt 0x0
	v_pk_mul_f32 v[132:133], v[130:131], v[128:129] op_sel:[1,1] op_sel_hi:[0,1]
	s_delay_alu instid0(VALU_DEP_1) | instskip(SKIP_1) | instid1(VALU_DEP_2)
	v_pk_fma_f32 v[134:135], v[130:131], v[128:129], v[132:133] op_sel_hi:[1,0,1]
	v_pk_fma_f32 v[128:129], v[130:131], v[128:129], v[132:133] neg_lo:[0,0,1] neg_hi:[0,0,1]
	v_mov_b32_e32 v129, v135
	s_delay_alu instid0(VALU_DEP_1)
	v_pk_add_f32 v[124:125], v[124:125], v[128:129]
	s_and_not1_b32 exec_lo, exec_lo, s0
	s_cbranch_execnz .LBB59_242
; %bb.243:
	s_or_b32 exec_lo, exec_lo, s0
.LBB59_244:
	s_delay_alu instid0(SALU_CYCLE_1) | instskip(SKIP_4) | instid1(VALU_DEP_1)
	s_or_b32 exec_lo, exec_lo, s24
	v_mov_b32_e32 v126, 0
	ds_load_b64 v[126:127], v126 offset:280
	s_wait_dscnt 0x0
	v_pk_mul_f32 v[128:129], v[124:125], v[126:127] op_sel:[1,1] op_sel_hi:[0,1]
	v_pk_fma_f32 v[130:131], v[124:125], v[126:127], v[128:129] op_sel_hi:[1,0,1]
	v_pk_fma_f32 v[124:125], v[124:125], v[126:127], v[128:129] neg_lo:[0,0,1] neg_hi:[0,0,1]
	s_delay_alu instid0(VALU_DEP_2)
	v_mov_b32_e32 v125, v131
	scratch_store_b64 off, v[124:125], off offset:280
.LBB59_245:
	s_wait_xcnt 0x0
	s_or_b32 exec_lo, exec_lo, s23
	scratch_load_b64 v[124:125], off, off offset:272
	v_cmp_lt_u32_e64 s0, 34, v0
	s_wait_loadcnt 0x0
	ds_store_b64 v1, v[124:125]
	s_wait_storecnt_dscnt 0x0
	s_barrier_signal -1
	s_barrier_wait -1
	s_wait_xcnt 0x0
	s_and_saveexec_b32 s22, s0
	s_cbranch_execz .LBB59_255
; %bb.246:
	s_and_not1_b32 vcc_lo, exec_lo, s3
	s_cbranch_vccnz .LBB59_248
; %bb.247:
	scratch_load_b64 v[124:125], v39, off
	ds_load_b64 v[126:127], v1
	s_wait_loadcnt_dscnt 0x0
	v_pk_mul_f32 v[128:129], v[126:127], v[124:125] op_sel:[1,1] op_sel_hi:[0,1]
	s_delay_alu instid0(VALU_DEP_1) | instskip(SKIP_1) | instid1(VALU_DEP_2)
	v_pk_fma_f32 v[130:131], v[126:127], v[124:125], v[128:129] op_sel_hi:[1,0,1]
	v_pk_fma_f32 v[124:125], v[126:127], v[124:125], v[128:129] neg_lo:[0,0,1] neg_hi:[0,0,1]
	v_mov_b32_e32 v125, v131
	s_cbranch_execz .LBB59_249
	s_branch .LBB59_250
.LBB59_248:
                                        ; implicit-def: $vgpr124_vgpr125
.LBB59_249:
	ds_load_b64 v[124:125], v1
.LBB59_250:
	s_and_saveexec_b32 s23, s1
	s_cbranch_execz .LBB59_254
; %bb.251:
	v_subrev_nc_u32_e32 v126, 35, v0
	s_movk_i32 s1, 0x118
	s_movk_i32 s25, 0x2f8
	s_mov_b32 s24, 0
.LBB59_252:                             ; =>This Inner Loop Header: Depth=1
	scratch_load_b64 v[128:129], off, s1
	v_dual_mov_b32 v127, s25 :: v_dual_add_nc_u32 v126, -1, v126
	s_add_co_i32 s25, s25, 8
	s_wait_xcnt 0x0
	s_add_co_i32 s1, s1, 8
	ds_load_b64 v[130:131], v127
	v_cmp_eq_u32_e32 vcc_lo, 0, v126
	s_or_b32 s24, vcc_lo, s24
	s_wait_loadcnt_dscnt 0x0
	v_pk_mul_f32 v[132:133], v[130:131], v[128:129] op_sel:[1,1] op_sel_hi:[0,1]
	s_delay_alu instid0(VALU_DEP_1) | instskip(SKIP_1) | instid1(VALU_DEP_2)
	v_pk_fma_f32 v[134:135], v[130:131], v[128:129], v[132:133] op_sel_hi:[1,0,1]
	v_pk_fma_f32 v[128:129], v[130:131], v[128:129], v[132:133] neg_lo:[0,0,1] neg_hi:[0,0,1]
	v_mov_b32_e32 v129, v135
	s_delay_alu instid0(VALU_DEP_1)
	v_pk_add_f32 v[124:125], v[124:125], v[128:129]
	s_and_not1_b32 exec_lo, exec_lo, s24
	s_cbranch_execnz .LBB59_252
; %bb.253:
	s_or_b32 exec_lo, exec_lo, s24
.LBB59_254:
	s_delay_alu instid0(SALU_CYCLE_1) | instskip(SKIP_4) | instid1(VALU_DEP_1)
	s_or_b32 exec_lo, exec_lo, s23
	v_mov_b32_e32 v126, 0
	ds_load_b64 v[126:127], v126 offset:272
	s_wait_dscnt 0x0
	v_pk_mul_f32 v[128:129], v[124:125], v[126:127] op_sel:[1,1] op_sel_hi:[0,1]
	v_pk_fma_f32 v[130:131], v[124:125], v[126:127], v[128:129] op_sel_hi:[1,0,1]
	v_pk_fma_f32 v[124:125], v[124:125], v[126:127], v[128:129] neg_lo:[0,0,1] neg_hi:[0,0,1]
	s_delay_alu instid0(VALU_DEP_2)
	v_mov_b32_e32 v125, v131
	scratch_store_b64 off, v[124:125], off offset:272
.LBB59_255:
	s_wait_xcnt 0x0
	s_or_b32 exec_lo, exec_lo, s22
	scratch_load_b64 v[124:125], off, off offset:264
	v_cmp_lt_u32_e64 s1, 33, v0
	s_wait_loadcnt 0x0
	ds_store_b64 v1, v[124:125]
	s_wait_storecnt_dscnt 0x0
	s_barrier_signal -1
	s_barrier_wait -1
	s_wait_xcnt 0x0
	s_and_saveexec_b32 s22, s1
	s_cbranch_execz .LBB59_265
; %bb.256:
	s_and_not1_b32 vcc_lo, exec_lo, s3
	s_cbranch_vccnz .LBB59_258
; %bb.257:
	scratch_load_b64 v[124:125], v39, off
	ds_load_b64 v[126:127], v1
	s_wait_loadcnt_dscnt 0x0
	v_pk_mul_f32 v[128:129], v[126:127], v[124:125] op_sel:[1,1] op_sel_hi:[0,1]
	s_delay_alu instid0(VALU_DEP_1) | instskip(SKIP_1) | instid1(VALU_DEP_2)
	v_pk_fma_f32 v[130:131], v[126:127], v[124:125], v[128:129] op_sel_hi:[1,0,1]
	v_pk_fma_f32 v[124:125], v[126:127], v[124:125], v[128:129] neg_lo:[0,0,1] neg_hi:[0,0,1]
	v_mov_b32_e32 v125, v131
	s_cbranch_execz .LBB59_259
	s_branch .LBB59_260
.LBB59_258:
                                        ; implicit-def: $vgpr124_vgpr125
.LBB59_259:
	ds_load_b64 v[124:125], v1
.LBB59_260:
	s_and_saveexec_b32 s23, s0
	s_cbranch_execz .LBB59_264
; %bb.261:
	v_subrev_nc_u32_e32 v126, 34, v0
	s_movk_i32 s24, 0x2f0
	s_mov_b32 s0, 0
.LBB59_262:                             ; =>This Inner Loop Header: Depth=1
	scratch_load_b64 v[128:129], off, s21
	v_dual_mov_b32 v127, s24 :: v_dual_add_nc_u32 v126, -1, v126
	s_add_co_i32 s24, s24, 8
	s_wait_xcnt 0x0
	s_add_co_i32 s21, s21, 8
	ds_load_b64 v[130:131], v127
	v_cmp_eq_u32_e32 vcc_lo, 0, v126
	s_or_b32 s0, vcc_lo, s0
	s_wait_loadcnt_dscnt 0x0
	v_pk_mul_f32 v[132:133], v[130:131], v[128:129] op_sel:[1,1] op_sel_hi:[0,1]
	s_delay_alu instid0(VALU_DEP_1) | instskip(SKIP_1) | instid1(VALU_DEP_2)
	v_pk_fma_f32 v[134:135], v[130:131], v[128:129], v[132:133] op_sel_hi:[1,0,1]
	v_pk_fma_f32 v[128:129], v[130:131], v[128:129], v[132:133] neg_lo:[0,0,1] neg_hi:[0,0,1]
	v_mov_b32_e32 v129, v135
	s_delay_alu instid0(VALU_DEP_1)
	v_pk_add_f32 v[124:125], v[124:125], v[128:129]
	s_and_not1_b32 exec_lo, exec_lo, s0
	s_cbranch_execnz .LBB59_262
; %bb.263:
	s_or_b32 exec_lo, exec_lo, s0
.LBB59_264:
	s_delay_alu instid0(SALU_CYCLE_1) | instskip(SKIP_4) | instid1(VALU_DEP_1)
	s_or_b32 exec_lo, exec_lo, s23
	v_mov_b32_e32 v126, 0
	ds_load_b64 v[126:127], v126 offset:264
	s_wait_dscnt 0x0
	v_pk_mul_f32 v[128:129], v[124:125], v[126:127] op_sel:[1,1] op_sel_hi:[0,1]
	v_pk_fma_f32 v[130:131], v[124:125], v[126:127], v[128:129] op_sel_hi:[1,0,1]
	v_pk_fma_f32 v[124:125], v[124:125], v[126:127], v[128:129] neg_lo:[0,0,1] neg_hi:[0,0,1]
	s_delay_alu instid0(VALU_DEP_2)
	v_mov_b32_e32 v125, v131
	scratch_store_b64 off, v[124:125], off offset:264
.LBB59_265:
	s_wait_xcnt 0x0
	s_or_b32 exec_lo, exec_lo, s22
	scratch_load_b64 v[124:125], off, off offset:256
	v_cmp_lt_u32_e64 s0, 32, v0
	s_wait_loadcnt 0x0
	ds_store_b64 v1, v[124:125]
	s_wait_storecnt_dscnt 0x0
	s_barrier_signal -1
	s_barrier_wait -1
	s_wait_xcnt 0x0
	s_and_saveexec_b32 s21, s0
	s_cbranch_execz .LBB59_275
; %bb.266:
	s_and_not1_b32 vcc_lo, exec_lo, s3
	s_cbranch_vccnz .LBB59_268
; %bb.267:
	scratch_load_b64 v[124:125], v39, off
	ds_load_b64 v[126:127], v1
	s_wait_loadcnt_dscnt 0x0
	v_pk_mul_f32 v[128:129], v[126:127], v[124:125] op_sel:[1,1] op_sel_hi:[0,1]
	s_delay_alu instid0(VALU_DEP_1) | instskip(SKIP_1) | instid1(VALU_DEP_2)
	v_pk_fma_f32 v[130:131], v[126:127], v[124:125], v[128:129] op_sel_hi:[1,0,1]
	v_pk_fma_f32 v[124:125], v[126:127], v[124:125], v[128:129] neg_lo:[0,0,1] neg_hi:[0,0,1]
	v_mov_b32_e32 v125, v131
	s_cbranch_execz .LBB59_269
	s_branch .LBB59_270
.LBB59_268:
                                        ; implicit-def: $vgpr124_vgpr125
.LBB59_269:
	ds_load_b64 v[124:125], v1
.LBB59_270:
	s_and_saveexec_b32 s22, s1
	s_cbranch_execz .LBB59_274
; %bb.271:
	v_subrev_nc_u32_e32 v126, 33, v0
	s_movk_i32 s1, 0x108
	s_movk_i32 s24, 0x2e8
	s_mov_b32 s23, 0
.LBB59_272:                             ; =>This Inner Loop Header: Depth=1
	scratch_load_b64 v[128:129], off, s1
	v_dual_mov_b32 v127, s24 :: v_dual_add_nc_u32 v126, -1, v126
	s_add_co_i32 s24, s24, 8
	s_wait_xcnt 0x0
	s_add_co_i32 s1, s1, 8
	ds_load_b64 v[130:131], v127
	v_cmp_eq_u32_e32 vcc_lo, 0, v126
	s_or_b32 s23, vcc_lo, s23
	s_wait_loadcnt_dscnt 0x0
	v_pk_mul_f32 v[132:133], v[130:131], v[128:129] op_sel:[1,1] op_sel_hi:[0,1]
	s_delay_alu instid0(VALU_DEP_1) | instskip(SKIP_1) | instid1(VALU_DEP_2)
	v_pk_fma_f32 v[134:135], v[130:131], v[128:129], v[132:133] op_sel_hi:[1,0,1]
	v_pk_fma_f32 v[128:129], v[130:131], v[128:129], v[132:133] neg_lo:[0,0,1] neg_hi:[0,0,1]
	v_mov_b32_e32 v129, v135
	s_delay_alu instid0(VALU_DEP_1)
	v_pk_add_f32 v[124:125], v[124:125], v[128:129]
	s_and_not1_b32 exec_lo, exec_lo, s23
	s_cbranch_execnz .LBB59_272
; %bb.273:
	s_or_b32 exec_lo, exec_lo, s23
.LBB59_274:
	s_delay_alu instid0(SALU_CYCLE_1) | instskip(SKIP_4) | instid1(VALU_DEP_1)
	s_or_b32 exec_lo, exec_lo, s22
	v_mov_b32_e32 v126, 0
	ds_load_b64 v[126:127], v126 offset:256
	s_wait_dscnt 0x0
	v_pk_mul_f32 v[128:129], v[124:125], v[126:127] op_sel:[1,1] op_sel_hi:[0,1]
	v_pk_fma_f32 v[130:131], v[124:125], v[126:127], v[128:129] op_sel_hi:[1,0,1]
	v_pk_fma_f32 v[124:125], v[124:125], v[126:127], v[128:129] neg_lo:[0,0,1] neg_hi:[0,0,1]
	s_delay_alu instid0(VALU_DEP_2)
	v_mov_b32_e32 v125, v131
	scratch_store_b64 off, v[124:125], off offset:256
.LBB59_275:
	s_wait_xcnt 0x0
	s_or_b32 exec_lo, exec_lo, s21
	scratch_load_b64 v[124:125], off, off offset:248
	v_cmp_lt_u32_e64 s1, 31, v0
	s_wait_loadcnt 0x0
	ds_store_b64 v1, v[124:125]
	s_wait_storecnt_dscnt 0x0
	s_barrier_signal -1
	s_barrier_wait -1
	s_wait_xcnt 0x0
	s_and_saveexec_b32 s21, s1
	s_cbranch_execz .LBB59_285
; %bb.276:
	s_and_not1_b32 vcc_lo, exec_lo, s3
	s_cbranch_vccnz .LBB59_278
; %bb.277:
	scratch_load_b64 v[124:125], v39, off
	ds_load_b64 v[126:127], v1
	s_wait_loadcnt_dscnt 0x0
	v_pk_mul_f32 v[128:129], v[126:127], v[124:125] op_sel:[1,1] op_sel_hi:[0,1]
	s_delay_alu instid0(VALU_DEP_1) | instskip(SKIP_1) | instid1(VALU_DEP_2)
	v_pk_fma_f32 v[130:131], v[126:127], v[124:125], v[128:129] op_sel_hi:[1,0,1]
	v_pk_fma_f32 v[124:125], v[126:127], v[124:125], v[128:129] neg_lo:[0,0,1] neg_hi:[0,0,1]
	v_mov_b32_e32 v125, v131
	s_cbranch_execz .LBB59_279
	s_branch .LBB59_280
.LBB59_278:
                                        ; implicit-def: $vgpr124_vgpr125
.LBB59_279:
	ds_load_b64 v[124:125], v1
.LBB59_280:
	s_and_saveexec_b32 s22, s0
	s_cbranch_execz .LBB59_284
; %bb.281:
	v_subrev_nc_u32_e32 v126, 32, v0
	s_movk_i32 s23, 0x2e0
	s_mov_b32 s0, 0
.LBB59_282:                             ; =>This Inner Loop Header: Depth=1
	scratch_load_b64 v[128:129], off, s20
	v_dual_mov_b32 v127, s23 :: v_dual_add_nc_u32 v126, -1, v126
	s_add_co_i32 s23, s23, 8
	s_wait_xcnt 0x0
	s_add_co_i32 s20, s20, 8
	ds_load_b64 v[130:131], v127
	v_cmp_eq_u32_e32 vcc_lo, 0, v126
	s_or_b32 s0, vcc_lo, s0
	s_wait_loadcnt_dscnt 0x0
	v_pk_mul_f32 v[132:133], v[130:131], v[128:129] op_sel:[1,1] op_sel_hi:[0,1]
	s_delay_alu instid0(VALU_DEP_1) | instskip(SKIP_1) | instid1(VALU_DEP_2)
	v_pk_fma_f32 v[134:135], v[130:131], v[128:129], v[132:133] op_sel_hi:[1,0,1]
	v_pk_fma_f32 v[128:129], v[130:131], v[128:129], v[132:133] neg_lo:[0,0,1] neg_hi:[0,0,1]
	v_mov_b32_e32 v129, v135
	s_delay_alu instid0(VALU_DEP_1)
	v_pk_add_f32 v[124:125], v[124:125], v[128:129]
	s_and_not1_b32 exec_lo, exec_lo, s0
	s_cbranch_execnz .LBB59_282
; %bb.283:
	s_or_b32 exec_lo, exec_lo, s0
.LBB59_284:
	s_delay_alu instid0(SALU_CYCLE_1) | instskip(SKIP_4) | instid1(VALU_DEP_1)
	s_or_b32 exec_lo, exec_lo, s22
	v_mov_b32_e32 v126, 0
	ds_load_b64 v[126:127], v126 offset:248
	s_wait_dscnt 0x0
	v_pk_mul_f32 v[128:129], v[124:125], v[126:127] op_sel:[1,1] op_sel_hi:[0,1]
	v_pk_fma_f32 v[130:131], v[124:125], v[126:127], v[128:129] op_sel_hi:[1,0,1]
	v_pk_fma_f32 v[124:125], v[124:125], v[126:127], v[128:129] neg_lo:[0,0,1] neg_hi:[0,0,1]
	s_delay_alu instid0(VALU_DEP_2)
	v_mov_b32_e32 v125, v131
	scratch_store_b64 off, v[124:125], off offset:248
.LBB59_285:
	s_wait_xcnt 0x0
	s_or_b32 exec_lo, exec_lo, s21
	scratch_load_b64 v[124:125], off, off offset:240
	v_cmp_lt_u32_e64 s0, 30, v0
	s_wait_loadcnt 0x0
	ds_store_b64 v1, v[124:125]
	s_wait_storecnt_dscnt 0x0
	s_barrier_signal -1
	s_barrier_wait -1
	s_wait_xcnt 0x0
	s_and_saveexec_b32 s20, s0
	s_cbranch_execz .LBB59_295
; %bb.286:
	s_and_not1_b32 vcc_lo, exec_lo, s3
	s_cbranch_vccnz .LBB59_288
; %bb.287:
	scratch_load_b64 v[124:125], v39, off
	ds_load_b64 v[126:127], v1
	s_wait_loadcnt_dscnt 0x0
	v_pk_mul_f32 v[128:129], v[126:127], v[124:125] op_sel:[1,1] op_sel_hi:[0,1]
	s_delay_alu instid0(VALU_DEP_1) | instskip(SKIP_1) | instid1(VALU_DEP_2)
	v_pk_fma_f32 v[130:131], v[126:127], v[124:125], v[128:129] op_sel_hi:[1,0,1]
	v_pk_fma_f32 v[124:125], v[126:127], v[124:125], v[128:129] neg_lo:[0,0,1] neg_hi:[0,0,1]
	v_mov_b32_e32 v125, v131
	s_cbranch_execz .LBB59_289
	s_branch .LBB59_290
.LBB59_288:
                                        ; implicit-def: $vgpr124_vgpr125
.LBB59_289:
	ds_load_b64 v[124:125], v1
.LBB59_290:
	s_and_saveexec_b32 s21, s1
	s_cbranch_execz .LBB59_294
; %bb.291:
	v_subrev_nc_u32_e32 v126, 31, v0
	s_movk_i32 s1, 0xf8
	s_movk_i32 s23, 0x2d8
	s_mov_b32 s22, 0
.LBB59_292:                             ; =>This Inner Loop Header: Depth=1
	scratch_load_b64 v[128:129], off, s1
	v_dual_mov_b32 v127, s23 :: v_dual_add_nc_u32 v126, -1, v126
	s_add_co_i32 s23, s23, 8
	s_wait_xcnt 0x0
	s_add_co_i32 s1, s1, 8
	ds_load_b64 v[130:131], v127
	v_cmp_eq_u32_e32 vcc_lo, 0, v126
	s_or_b32 s22, vcc_lo, s22
	s_wait_loadcnt_dscnt 0x0
	v_pk_mul_f32 v[132:133], v[130:131], v[128:129] op_sel:[1,1] op_sel_hi:[0,1]
	s_delay_alu instid0(VALU_DEP_1) | instskip(SKIP_1) | instid1(VALU_DEP_2)
	v_pk_fma_f32 v[134:135], v[130:131], v[128:129], v[132:133] op_sel_hi:[1,0,1]
	v_pk_fma_f32 v[128:129], v[130:131], v[128:129], v[132:133] neg_lo:[0,0,1] neg_hi:[0,0,1]
	v_mov_b32_e32 v129, v135
	s_delay_alu instid0(VALU_DEP_1)
	v_pk_add_f32 v[124:125], v[124:125], v[128:129]
	s_and_not1_b32 exec_lo, exec_lo, s22
	s_cbranch_execnz .LBB59_292
; %bb.293:
	s_or_b32 exec_lo, exec_lo, s22
.LBB59_294:
	s_delay_alu instid0(SALU_CYCLE_1) | instskip(SKIP_4) | instid1(VALU_DEP_1)
	s_or_b32 exec_lo, exec_lo, s21
	v_mov_b32_e32 v126, 0
	ds_load_b64 v[126:127], v126 offset:240
	s_wait_dscnt 0x0
	v_pk_mul_f32 v[128:129], v[124:125], v[126:127] op_sel:[1,1] op_sel_hi:[0,1]
	v_pk_fma_f32 v[130:131], v[124:125], v[126:127], v[128:129] op_sel_hi:[1,0,1]
	v_pk_fma_f32 v[124:125], v[124:125], v[126:127], v[128:129] neg_lo:[0,0,1] neg_hi:[0,0,1]
	s_delay_alu instid0(VALU_DEP_2)
	v_mov_b32_e32 v125, v131
	scratch_store_b64 off, v[124:125], off offset:240
.LBB59_295:
	s_wait_xcnt 0x0
	s_or_b32 exec_lo, exec_lo, s20
	scratch_load_b64 v[124:125], off, off offset:232
	v_cmp_lt_u32_e64 s1, 29, v0
	s_wait_loadcnt 0x0
	ds_store_b64 v1, v[124:125]
	s_wait_storecnt_dscnt 0x0
	s_barrier_signal -1
	s_barrier_wait -1
	s_wait_xcnt 0x0
	s_and_saveexec_b32 s20, s1
	s_cbranch_execz .LBB59_305
; %bb.296:
	s_and_not1_b32 vcc_lo, exec_lo, s3
	s_cbranch_vccnz .LBB59_298
; %bb.297:
	scratch_load_b64 v[124:125], v39, off
	ds_load_b64 v[126:127], v1
	s_wait_loadcnt_dscnt 0x0
	v_pk_mul_f32 v[128:129], v[126:127], v[124:125] op_sel:[1,1] op_sel_hi:[0,1]
	s_delay_alu instid0(VALU_DEP_1) | instskip(SKIP_1) | instid1(VALU_DEP_2)
	v_pk_fma_f32 v[130:131], v[126:127], v[124:125], v[128:129] op_sel_hi:[1,0,1]
	v_pk_fma_f32 v[124:125], v[126:127], v[124:125], v[128:129] neg_lo:[0,0,1] neg_hi:[0,0,1]
	v_mov_b32_e32 v125, v131
	s_cbranch_execz .LBB59_299
	s_branch .LBB59_300
.LBB59_298:
                                        ; implicit-def: $vgpr124_vgpr125
.LBB59_299:
	ds_load_b64 v[124:125], v1
.LBB59_300:
	s_and_saveexec_b32 s21, s0
	s_cbranch_execz .LBB59_304
; %bb.301:
	v_subrev_nc_u32_e32 v126, 30, v0
	s_movk_i32 s22, 0x2d0
	s_mov_b32 s0, 0
.LBB59_302:                             ; =>This Inner Loop Header: Depth=1
	scratch_load_b64 v[128:129], off, s19
	v_dual_mov_b32 v127, s22 :: v_dual_add_nc_u32 v126, -1, v126
	s_add_co_i32 s22, s22, 8
	s_wait_xcnt 0x0
	s_add_co_i32 s19, s19, 8
	ds_load_b64 v[130:131], v127
	v_cmp_eq_u32_e32 vcc_lo, 0, v126
	s_or_b32 s0, vcc_lo, s0
	s_wait_loadcnt_dscnt 0x0
	v_pk_mul_f32 v[132:133], v[130:131], v[128:129] op_sel:[1,1] op_sel_hi:[0,1]
	s_delay_alu instid0(VALU_DEP_1) | instskip(SKIP_1) | instid1(VALU_DEP_2)
	v_pk_fma_f32 v[134:135], v[130:131], v[128:129], v[132:133] op_sel_hi:[1,0,1]
	v_pk_fma_f32 v[128:129], v[130:131], v[128:129], v[132:133] neg_lo:[0,0,1] neg_hi:[0,0,1]
	v_mov_b32_e32 v129, v135
	s_delay_alu instid0(VALU_DEP_1)
	v_pk_add_f32 v[124:125], v[124:125], v[128:129]
	s_and_not1_b32 exec_lo, exec_lo, s0
	s_cbranch_execnz .LBB59_302
; %bb.303:
	s_or_b32 exec_lo, exec_lo, s0
.LBB59_304:
	s_delay_alu instid0(SALU_CYCLE_1) | instskip(SKIP_4) | instid1(VALU_DEP_1)
	s_or_b32 exec_lo, exec_lo, s21
	v_mov_b32_e32 v126, 0
	ds_load_b64 v[126:127], v126 offset:232
	s_wait_dscnt 0x0
	v_pk_mul_f32 v[128:129], v[124:125], v[126:127] op_sel:[1,1] op_sel_hi:[0,1]
	v_pk_fma_f32 v[130:131], v[124:125], v[126:127], v[128:129] op_sel_hi:[1,0,1]
	v_pk_fma_f32 v[124:125], v[124:125], v[126:127], v[128:129] neg_lo:[0,0,1] neg_hi:[0,0,1]
	s_delay_alu instid0(VALU_DEP_2)
	v_mov_b32_e32 v125, v131
	scratch_store_b64 off, v[124:125], off offset:232
.LBB59_305:
	s_wait_xcnt 0x0
	s_or_b32 exec_lo, exec_lo, s20
	scratch_load_b64 v[124:125], off, off offset:224
	v_cmp_lt_u32_e64 s0, 28, v0
	s_wait_loadcnt 0x0
	ds_store_b64 v1, v[124:125]
	s_wait_storecnt_dscnt 0x0
	s_barrier_signal -1
	s_barrier_wait -1
	s_wait_xcnt 0x0
	s_and_saveexec_b32 s19, s0
	s_cbranch_execz .LBB59_315
; %bb.306:
	s_and_not1_b32 vcc_lo, exec_lo, s3
	s_cbranch_vccnz .LBB59_308
; %bb.307:
	scratch_load_b64 v[124:125], v39, off
	ds_load_b64 v[126:127], v1
	s_wait_loadcnt_dscnt 0x0
	v_pk_mul_f32 v[128:129], v[126:127], v[124:125] op_sel:[1,1] op_sel_hi:[0,1]
	s_delay_alu instid0(VALU_DEP_1) | instskip(SKIP_1) | instid1(VALU_DEP_2)
	v_pk_fma_f32 v[130:131], v[126:127], v[124:125], v[128:129] op_sel_hi:[1,0,1]
	v_pk_fma_f32 v[124:125], v[126:127], v[124:125], v[128:129] neg_lo:[0,0,1] neg_hi:[0,0,1]
	v_mov_b32_e32 v125, v131
	s_cbranch_execz .LBB59_309
	s_branch .LBB59_310
.LBB59_308:
                                        ; implicit-def: $vgpr124_vgpr125
.LBB59_309:
	ds_load_b64 v[124:125], v1
.LBB59_310:
	s_and_saveexec_b32 s20, s1
	s_cbranch_execz .LBB59_314
; %bb.311:
	v_subrev_nc_u32_e32 v126, 29, v0
	s_movk_i32 s1, 0xe8
	s_movk_i32 s22, 0x2c8
	s_mov_b32 s21, 0
.LBB59_312:                             ; =>This Inner Loop Header: Depth=1
	scratch_load_b64 v[128:129], off, s1
	v_dual_mov_b32 v127, s22 :: v_dual_add_nc_u32 v126, -1, v126
	s_add_co_i32 s22, s22, 8
	s_wait_xcnt 0x0
	s_add_co_i32 s1, s1, 8
	ds_load_b64 v[130:131], v127
	v_cmp_eq_u32_e32 vcc_lo, 0, v126
	s_or_b32 s21, vcc_lo, s21
	s_wait_loadcnt_dscnt 0x0
	v_pk_mul_f32 v[132:133], v[130:131], v[128:129] op_sel:[1,1] op_sel_hi:[0,1]
	s_delay_alu instid0(VALU_DEP_1) | instskip(SKIP_1) | instid1(VALU_DEP_2)
	v_pk_fma_f32 v[134:135], v[130:131], v[128:129], v[132:133] op_sel_hi:[1,0,1]
	v_pk_fma_f32 v[128:129], v[130:131], v[128:129], v[132:133] neg_lo:[0,0,1] neg_hi:[0,0,1]
	v_mov_b32_e32 v129, v135
	s_delay_alu instid0(VALU_DEP_1)
	v_pk_add_f32 v[124:125], v[124:125], v[128:129]
	s_and_not1_b32 exec_lo, exec_lo, s21
	s_cbranch_execnz .LBB59_312
; %bb.313:
	s_or_b32 exec_lo, exec_lo, s21
.LBB59_314:
	s_delay_alu instid0(SALU_CYCLE_1) | instskip(SKIP_4) | instid1(VALU_DEP_1)
	s_or_b32 exec_lo, exec_lo, s20
	v_mov_b32_e32 v126, 0
	ds_load_b64 v[126:127], v126 offset:224
	s_wait_dscnt 0x0
	v_pk_mul_f32 v[128:129], v[124:125], v[126:127] op_sel:[1,1] op_sel_hi:[0,1]
	v_pk_fma_f32 v[130:131], v[124:125], v[126:127], v[128:129] op_sel_hi:[1,0,1]
	v_pk_fma_f32 v[124:125], v[124:125], v[126:127], v[128:129] neg_lo:[0,0,1] neg_hi:[0,0,1]
	s_delay_alu instid0(VALU_DEP_2)
	v_mov_b32_e32 v125, v131
	scratch_store_b64 off, v[124:125], off offset:224
.LBB59_315:
	s_wait_xcnt 0x0
	s_or_b32 exec_lo, exec_lo, s19
	scratch_load_b64 v[124:125], off, off offset:216
	v_cmp_lt_u32_e64 s1, 27, v0
	s_wait_loadcnt 0x0
	ds_store_b64 v1, v[124:125]
	s_wait_storecnt_dscnt 0x0
	s_barrier_signal -1
	s_barrier_wait -1
	s_wait_xcnt 0x0
	s_and_saveexec_b32 s19, s1
	s_cbranch_execz .LBB59_325
; %bb.316:
	s_and_not1_b32 vcc_lo, exec_lo, s3
	s_cbranch_vccnz .LBB59_318
; %bb.317:
	scratch_load_b64 v[124:125], v39, off
	ds_load_b64 v[126:127], v1
	s_wait_loadcnt_dscnt 0x0
	v_pk_mul_f32 v[128:129], v[126:127], v[124:125] op_sel:[1,1] op_sel_hi:[0,1]
	s_delay_alu instid0(VALU_DEP_1) | instskip(SKIP_1) | instid1(VALU_DEP_2)
	v_pk_fma_f32 v[130:131], v[126:127], v[124:125], v[128:129] op_sel_hi:[1,0,1]
	v_pk_fma_f32 v[124:125], v[126:127], v[124:125], v[128:129] neg_lo:[0,0,1] neg_hi:[0,0,1]
	v_mov_b32_e32 v125, v131
	s_cbranch_execz .LBB59_319
	s_branch .LBB59_320
.LBB59_318:
                                        ; implicit-def: $vgpr124_vgpr125
.LBB59_319:
	ds_load_b64 v[124:125], v1
.LBB59_320:
	s_and_saveexec_b32 s20, s0
	s_cbranch_execz .LBB59_324
; %bb.321:
	v_subrev_nc_u32_e32 v126, 28, v0
	s_movk_i32 s21, 0x2c0
	s_mov_b32 s0, 0
.LBB59_322:                             ; =>This Inner Loop Header: Depth=1
	scratch_load_b64 v[128:129], off, s18
	v_dual_mov_b32 v127, s21 :: v_dual_add_nc_u32 v126, -1, v126
	s_add_co_i32 s21, s21, 8
	s_wait_xcnt 0x0
	s_add_co_i32 s18, s18, 8
	ds_load_b64 v[130:131], v127
	v_cmp_eq_u32_e32 vcc_lo, 0, v126
	s_or_b32 s0, vcc_lo, s0
	s_wait_loadcnt_dscnt 0x0
	v_pk_mul_f32 v[132:133], v[130:131], v[128:129] op_sel:[1,1] op_sel_hi:[0,1]
	s_delay_alu instid0(VALU_DEP_1) | instskip(SKIP_1) | instid1(VALU_DEP_2)
	v_pk_fma_f32 v[134:135], v[130:131], v[128:129], v[132:133] op_sel_hi:[1,0,1]
	v_pk_fma_f32 v[128:129], v[130:131], v[128:129], v[132:133] neg_lo:[0,0,1] neg_hi:[0,0,1]
	v_mov_b32_e32 v129, v135
	s_delay_alu instid0(VALU_DEP_1)
	v_pk_add_f32 v[124:125], v[124:125], v[128:129]
	s_and_not1_b32 exec_lo, exec_lo, s0
	s_cbranch_execnz .LBB59_322
; %bb.323:
	s_or_b32 exec_lo, exec_lo, s0
.LBB59_324:
	s_delay_alu instid0(SALU_CYCLE_1) | instskip(SKIP_4) | instid1(VALU_DEP_1)
	s_or_b32 exec_lo, exec_lo, s20
	v_mov_b32_e32 v126, 0
	ds_load_b64 v[126:127], v126 offset:216
	s_wait_dscnt 0x0
	v_pk_mul_f32 v[128:129], v[124:125], v[126:127] op_sel:[1,1] op_sel_hi:[0,1]
	v_pk_fma_f32 v[130:131], v[124:125], v[126:127], v[128:129] op_sel_hi:[1,0,1]
	v_pk_fma_f32 v[124:125], v[124:125], v[126:127], v[128:129] neg_lo:[0,0,1] neg_hi:[0,0,1]
	s_delay_alu instid0(VALU_DEP_2)
	v_mov_b32_e32 v125, v131
	scratch_store_b64 off, v[124:125], off offset:216
.LBB59_325:
	s_wait_xcnt 0x0
	s_or_b32 exec_lo, exec_lo, s19
	scratch_load_b64 v[124:125], off, off offset:208
	v_cmp_lt_u32_e64 s0, 26, v0
	s_wait_loadcnt 0x0
	ds_store_b64 v1, v[124:125]
	s_wait_storecnt_dscnt 0x0
	s_barrier_signal -1
	s_barrier_wait -1
	s_wait_xcnt 0x0
	s_and_saveexec_b32 s18, s0
	s_cbranch_execz .LBB59_335
; %bb.326:
	s_and_not1_b32 vcc_lo, exec_lo, s3
	s_cbranch_vccnz .LBB59_328
; %bb.327:
	scratch_load_b64 v[124:125], v39, off
	ds_load_b64 v[126:127], v1
	s_wait_loadcnt_dscnt 0x0
	v_pk_mul_f32 v[128:129], v[126:127], v[124:125] op_sel:[1,1] op_sel_hi:[0,1]
	s_delay_alu instid0(VALU_DEP_1) | instskip(SKIP_1) | instid1(VALU_DEP_2)
	v_pk_fma_f32 v[130:131], v[126:127], v[124:125], v[128:129] op_sel_hi:[1,0,1]
	v_pk_fma_f32 v[124:125], v[126:127], v[124:125], v[128:129] neg_lo:[0,0,1] neg_hi:[0,0,1]
	v_mov_b32_e32 v125, v131
	s_cbranch_execz .LBB59_329
	s_branch .LBB59_330
.LBB59_328:
                                        ; implicit-def: $vgpr124_vgpr125
.LBB59_329:
	ds_load_b64 v[124:125], v1
.LBB59_330:
	s_and_saveexec_b32 s19, s1
	s_cbranch_execz .LBB59_334
; %bb.331:
	v_subrev_nc_u32_e32 v126, 27, v0
	s_movk_i32 s1, 0xd8
	s_movk_i32 s21, 0x2b8
	s_mov_b32 s20, 0
.LBB59_332:                             ; =>This Inner Loop Header: Depth=1
	scratch_load_b64 v[128:129], off, s1
	v_dual_mov_b32 v127, s21 :: v_dual_add_nc_u32 v126, -1, v126
	s_add_co_i32 s21, s21, 8
	s_wait_xcnt 0x0
	s_add_co_i32 s1, s1, 8
	ds_load_b64 v[130:131], v127
	v_cmp_eq_u32_e32 vcc_lo, 0, v126
	s_or_b32 s20, vcc_lo, s20
	s_wait_loadcnt_dscnt 0x0
	v_pk_mul_f32 v[132:133], v[130:131], v[128:129] op_sel:[1,1] op_sel_hi:[0,1]
	s_delay_alu instid0(VALU_DEP_1) | instskip(SKIP_1) | instid1(VALU_DEP_2)
	v_pk_fma_f32 v[134:135], v[130:131], v[128:129], v[132:133] op_sel_hi:[1,0,1]
	v_pk_fma_f32 v[128:129], v[130:131], v[128:129], v[132:133] neg_lo:[0,0,1] neg_hi:[0,0,1]
	v_mov_b32_e32 v129, v135
	s_delay_alu instid0(VALU_DEP_1)
	v_pk_add_f32 v[124:125], v[124:125], v[128:129]
	s_and_not1_b32 exec_lo, exec_lo, s20
	s_cbranch_execnz .LBB59_332
; %bb.333:
	s_or_b32 exec_lo, exec_lo, s20
.LBB59_334:
	s_delay_alu instid0(SALU_CYCLE_1) | instskip(SKIP_4) | instid1(VALU_DEP_1)
	s_or_b32 exec_lo, exec_lo, s19
	v_mov_b32_e32 v126, 0
	ds_load_b64 v[126:127], v126 offset:208
	s_wait_dscnt 0x0
	v_pk_mul_f32 v[128:129], v[124:125], v[126:127] op_sel:[1,1] op_sel_hi:[0,1]
	v_pk_fma_f32 v[130:131], v[124:125], v[126:127], v[128:129] op_sel_hi:[1,0,1]
	v_pk_fma_f32 v[124:125], v[124:125], v[126:127], v[128:129] neg_lo:[0,0,1] neg_hi:[0,0,1]
	s_delay_alu instid0(VALU_DEP_2)
	v_mov_b32_e32 v125, v131
	scratch_store_b64 off, v[124:125], off offset:208
.LBB59_335:
	s_wait_xcnt 0x0
	s_or_b32 exec_lo, exec_lo, s18
	scratch_load_b64 v[124:125], off, off offset:200
	v_cmp_lt_u32_e64 s1, 25, v0
	s_wait_loadcnt 0x0
	ds_store_b64 v1, v[124:125]
	s_wait_storecnt_dscnt 0x0
	s_barrier_signal -1
	s_barrier_wait -1
	s_wait_xcnt 0x0
	s_and_saveexec_b32 s18, s1
	s_cbranch_execz .LBB59_345
; %bb.336:
	s_and_not1_b32 vcc_lo, exec_lo, s3
	s_cbranch_vccnz .LBB59_338
; %bb.337:
	scratch_load_b64 v[124:125], v39, off
	ds_load_b64 v[126:127], v1
	s_wait_loadcnt_dscnt 0x0
	v_pk_mul_f32 v[128:129], v[126:127], v[124:125] op_sel:[1,1] op_sel_hi:[0,1]
	s_delay_alu instid0(VALU_DEP_1) | instskip(SKIP_1) | instid1(VALU_DEP_2)
	v_pk_fma_f32 v[130:131], v[126:127], v[124:125], v[128:129] op_sel_hi:[1,0,1]
	v_pk_fma_f32 v[124:125], v[126:127], v[124:125], v[128:129] neg_lo:[0,0,1] neg_hi:[0,0,1]
	v_mov_b32_e32 v125, v131
	s_cbranch_execz .LBB59_339
	s_branch .LBB59_340
.LBB59_338:
                                        ; implicit-def: $vgpr124_vgpr125
.LBB59_339:
	ds_load_b64 v[124:125], v1
.LBB59_340:
	s_and_saveexec_b32 s19, s0
	s_cbranch_execz .LBB59_344
; %bb.341:
	v_subrev_nc_u32_e32 v126, 26, v0
	s_movk_i32 s20, 0x2b0
	s_mov_b32 s0, 0
.LBB59_342:                             ; =>This Inner Loop Header: Depth=1
	scratch_load_b64 v[128:129], off, s17
	v_dual_mov_b32 v127, s20 :: v_dual_add_nc_u32 v126, -1, v126
	s_add_co_i32 s20, s20, 8
	s_wait_xcnt 0x0
	s_add_co_i32 s17, s17, 8
	ds_load_b64 v[130:131], v127
	v_cmp_eq_u32_e32 vcc_lo, 0, v126
	s_or_b32 s0, vcc_lo, s0
	s_wait_loadcnt_dscnt 0x0
	v_pk_mul_f32 v[132:133], v[130:131], v[128:129] op_sel:[1,1] op_sel_hi:[0,1]
	s_delay_alu instid0(VALU_DEP_1) | instskip(SKIP_1) | instid1(VALU_DEP_2)
	v_pk_fma_f32 v[134:135], v[130:131], v[128:129], v[132:133] op_sel_hi:[1,0,1]
	v_pk_fma_f32 v[128:129], v[130:131], v[128:129], v[132:133] neg_lo:[0,0,1] neg_hi:[0,0,1]
	v_mov_b32_e32 v129, v135
	s_delay_alu instid0(VALU_DEP_1)
	v_pk_add_f32 v[124:125], v[124:125], v[128:129]
	s_and_not1_b32 exec_lo, exec_lo, s0
	s_cbranch_execnz .LBB59_342
; %bb.343:
	s_or_b32 exec_lo, exec_lo, s0
.LBB59_344:
	s_delay_alu instid0(SALU_CYCLE_1) | instskip(SKIP_4) | instid1(VALU_DEP_1)
	s_or_b32 exec_lo, exec_lo, s19
	v_mov_b32_e32 v126, 0
	ds_load_b64 v[126:127], v126 offset:200
	s_wait_dscnt 0x0
	v_pk_mul_f32 v[128:129], v[124:125], v[126:127] op_sel:[1,1] op_sel_hi:[0,1]
	v_pk_fma_f32 v[130:131], v[124:125], v[126:127], v[128:129] op_sel_hi:[1,0,1]
	v_pk_fma_f32 v[124:125], v[124:125], v[126:127], v[128:129] neg_lo:[0,0,1] neg_hi:[0,0,1]
	s_delay_alu instid0(VALU_DEP_2)
	v_mov_b32_e32 v125, v131
	scratch_store_b64 off, v[124:125], off offset:200
.LBB59_345:
	s_wait_xcnt 0x0
	s_or_b32 exec_lo, exec_lo, s18
	scratch_load_b64 v[124:125], off, off offset:192
	v_cmp_lt_u32_e64 s0, 24, v0
	s_wait_loadcnt 0x0
	ds_store_b64 v1, v[124:125]
	s_wait_storecnt_dscnt 0x0
	s_barrier_signal -1
	s_barrier_wait -1
	s_wait_xcnt 0x0
	s_and_saveexec_b32 s17, s0
	s_cbranch_execz .LBB59_355
; %bb.346:
	s_and_not1_b32 vcc_lo, exec_lo, s3
	s_cbranch_vccnz .LBB59_348
; %bb.347:
	scratch_load_b64 v[124:125], v39, off
	ds_load_b64 v[126:127], v1
	s_wait_loadcnt_dscnt 0x0
	v_pk_mul_f32 v[128:129], v[126:127], v[124:125] op_sel:[1,1] op_sel_hi:[0,1]
	s_delay_alu instid0(VALU_DEP_1) | instskip(SKIP_1) | instid1(VALU_DEP_2)
	v_pk_fma_f32 v[130:131], v[126:127], v[124:125], v[128:129] op_sel_hi:[1,0,1]
	v_pk_fma_f32 v[124:125], v[126:127], v[124:125], v[128:129] neg_lo:[0,0,1] neg_hi:[0,0,1]
	v_mov_b32_e32 v125, v131
	s_cbranch_execz .LBB59_349
	s_branch .LBB59_350
.LBB59_348:
                                        ; implicit-def: $vgpr124_vgpr125
.LBB59_349:
	ds_load_b64 v[124:125], v1
.LBB59_350:
	s_and_saveexec_b32 s18, s1
	s_cbranch_execz .LBB59_354
; %bb.351:
	v_subrev_nc_u32_e32 v126, 25, v0
	s_movk_i32 s1, 0xc8
	s_movk_i32 s20, 0x2a8
	s_mov_b32 s19, 0
.LBB59_352:                             ; =>This Inner Loop Header: Depth=1
	scratch_load_b64 v[128:129], off, s1
	v_dual_mov_b32 v127, s20 :: v_dual_add_nc_u32 v126, -1, v126
	s_add_co_i32 s20, s20, 8
	s_wait_xcnt 0x0
	s_add_co_i32 s1, s1, 8
	ds_load_b64 v[130:131], v127
	v_cmp_eq_u32_e32 vcc_lo, 0, v126
	s_or_b32 s19, vcc_lo, s19
	s_wait_loadcnt_dscnt 0x0
	v_pk_mul_f32 v[132:133], v[130:131], v[128:129] op_sel:[1,1] op_sel_hi:[0,1]
	s_delay_alu instid0(VALU_DEP_1) | instskip(SKIP_1) | instid1(VALU_DEP_2)
	v_pk_fma_f32 v[134:135], v[130:131], v[128:129], v[132:133] op_sel_hi:[1,0,1]
	v_pk_fma_f32 v[128:129], v[130:131], v[128:129], v[132:133] neg_lo:[0,0,1] neg_hi:[0,0,1]
	v_mov_b32_e32 v129, v135
	s_delay_alu instid0(VALU_DEP_1)
	v_pk_add_f32 v[124:125], v[124:125], v[128:129]
	s_and_not1_b32 exec_lo, exec_lo, s19
	s_cbranch_execnz .LBB59_352
; %bb.353:
	s_or_b32 exec_lo, exec_lo, s19
.LBB59_354:
	s_delay_alu instid0(SALU_CYCLE_1) | instskip(SKIP_4) | instid1(VALU_DEP_1)
	s_or_b32 exec_lo, exec_lo, s18
	v_mov_b32_e32 v126, 0
	ds_load_b64 v[126:127], v126 offset:192
	s_wait_dscnt 0x0
	v_pk_mul_f32 v[128:129], v[124:125], v[126:127] op_sel:[1,1] op_sel_hi:[0,1]
	v_pk_fma_f32 v[130:131], v[124:125], v[126:127], v[128:129] op_sel_hi:[1,0,1]
	v_pk_fma_f32 v[124:125], v[124:125], v[126:127], v[128:129] neg_lo:[0,0,1] neg_hi:[0,0,1]
	s_delay_alu instid0(VALU_DEP_2)
	v_mov_b32_e32 v125, v131
	scratch_store_b64 off, v[124:125], off offset:192
.LBB59_355:
	s_wait_xcnt 0x0
	s_or_b32 exec_lo, exec_lo, s17
	scratch_load_b64 v[124:125], off, off offset:184
	v_cmp_lt_u32_e64 s1, 23, v0
	s_wait_loadcnt 0x0
	ds_store_b64 v1, v[124:125]
	s_wait_storecnt_dscnt 0x0
	s_barrier_signal -1
	s_barrier_wait -1
	s_wait_xcnt 0x0
	s_and_saveexec_b32 s17, s1
	s_cbranch_execz .LBB59_365
; %bb.356:
	s_and_not1_b32 vcc_lo, exec_lo, s3
	s_cbranch_vccnz .LBB59_358
; %bb.357:
	scratch_load_b64 v[124:125], v39, off
	ds_load_b64 v[126:127], v1
	s_wait_loadcnt_dscnt 0x0
	v_pk_mul_f32 v[128:129], v[126:127], v[124:125] op_sel:[1,1] op_sel_hi:[0,1]
	s_delay_alu instid0(VALU_DEP_1) | instskip(SKIP_1) | instid1(VALU_DEP_2)
	v_pk_fma_f32 v[130:131], v[126:127], v[124:125], v[128:129] op_sel_hi:[1,0,1]
	v_pk_fma_f32 v[124:125], v[126:127], v[124:125], v[128:129] neg_lo:[0,0,1] neg_hi:[0,0,1]
	v_mov_b32_e32 v125, v131
	s_cbranch_execz .LBB59_359
	s_branch .LBB59_360
.LBB59_358:
                                        ; implicit-def: $vgpr124_vgpr125
.LBB59_359:
	ds_load_b64 v[124:125], v1
.LBB59_360:
	s_and_saveexec_b32 s18, s0
	s_cbranch_execz .LBB59_364
; %bb.361:
	v_subrev_nc_u32_e32 v126, 24, v0
	s_movk_i32 s19, 0x2a0
	s_mov_b32 s0, 0
.LBB59_362:                             ; =>This Inner Loop Header: Depth=1
	scratch_load_b64 v[128:129], off, s16
	v_dual_mov_b32 v127, s19 :: v_dual_add_nc_u32 v126, -1, v126
	s_add_co_i32 s19, s19, 8
	s_wait_xcnt 0x0
	s_add_co_i32 s16, s16, 8
	ds_load_b64 v[130:131], v127
	v_cmp_eq_u32_e32 vcc_lo, 0, v126
	s_or_b32 s0, vcc_lo, s0
	s_wait_loadcnt_dscnt 0x0
	v_pk_mul_f32 v[132:133], v[130:131], v[128:129] op_sel:[1,1] op_sel_hi:[0,1]
	s_delay_alu instid0(VALU_DEP_1) | instskip(SKIP_1) | instid1(VALU_DEP_2)
	v_pk_fma_f32 v[134:135], v[130:131], v[128:129], v[132:133] op_sel_hi:[1,0,1]
	v_pk_fma_f32 v[128:129], v[130:131], v[128:129], v[132:133] neg_lo:[0,0,1] neg_hi:[0,0,1]
	v_mov_b32_e32 v129, v135
	s_delay_alu instid0(VALU_DEP_1)
	v_pk_add_f32 v[124:125], v[124:125], v[128:129]
	s_and_not1_b32 exec_lo, exec_lo, s0
	s_cbranch_execnz .LBB59_362
; %bb.363:
	s_or_b32 exec_lo, exec_lo, s0
.LBB59_364:
	s_delay_alu instid0(SALU_CYCLE_1) | instskip(SKIP_4) | instid1(VALU_DEP_1)
	s_or_b32 exec_lo, exec_lo, s18
	v_mov_b32_e32 v126, 0
	ds_load_b64 v[126:127], v126 offset:184
	s_wait_dscnt 0x0
	v_pk_mul_f32 v[128:129], v[124:125], v[126:127] op_sel:[1,1] op_sel_hi:[0,1]
	v_pk_fma_f32 v[130:131], v[124:125], v[126:127], v[128:129] op_sel_hi:[1,0,1]
	v_pk_fma_f32 v[124:125], v[124:125], v[126:127], v[128:129] neg_lo:[0,0,1] neg_hi:[0,0,1]
	s_delay_alu instid0(VALU_DEP_2)
	v_mov_b32_e32 v125, v131
	scratch_store_b64 off, v[124:125], off offset:184
.LBB59_365:
	s_wait_xcnt 0x0
	s_or_b32 exec_lo, exec_lo, s17
	scratch_load_b64 v[124:125], off, off offset:176
	v_cmp_lt_u32_e64 s0, 22, v0
	s_wait_loadcnt 0x0
	ds_store_b64 v1, v[124:125]
	s_wait_storecnt_dscnt 0x0
	s_barrier_signal -1
	s_barrier_wait -1
	s_wait_xcnt 0x0
	s_and_saveexec_b32 s16, s0
	s_cbranch_execz .LBB59_375
; %bb.366:
	s_and_not1_b32 vcc_lo, exec_lo, s3
	s_cbranch_vccnz .LBB59_368
; %bb.367:
	scratch_load_b64 v[124:125], v39, off
	ds_load_b64 v[126:127], v1
	s_wait_loadcnt_dscnt 0x0
	v_pk_mul_f32 v[128:129], v[126:127], v[124:125] op_sel:[1,1] op_sel_hi:[0,1]
	s_delay_alu instid0(VALU_DEP_1) | instskip(SKIP_1) | instid1(VALU_DEP_2)
	v_pk_fma_f32 v[130:131], v[126:127], v[124:125], v[128:129] op_sel_hi:[1,0,1]
	v_pk_fma_f32 v[124:125], v[126:127], v[124:125], v[128:129] neg_lo:[0,0,1] neg_hi:[0,0,1]
	v_mov_b32_e32 v125, v131
	s_cbranch_execz .LBB59_369
	s_branch .LBB59_370
.LBB59_368:
                                        ; implicit-def: $vgpr124_vgpr125
.LBB59_369:
	ds_load_b64 v[124:125], v1
.LBB59_370:
	s_and_saveexec_b32 s17, s1
	s_cbranch_execz .LBB59_374
; %bb.371:
	v_subrev_nc_u32_e32 v126, 23, v0
	s_movk_i32 s1, 0xb8
	s_movk_i32 s19, 0x298
	s_mov_b32 s18, 0
.LBB59_372:                             ; =>This Inner Loop Header: Depth=1
	scratch_load_b64 v[128:129], off, s1
	v_dual_mov_b32 v127, s19 :: v_dual_add_nc_u32 v126, -1, v126
	s_add_co_i32 s19, s19, 8
	s_wait_xcnt 0x0
	s_add_co_i32 s1, s1, 8
	ds_load_b64 v[130:131], v127
	v_cmp_eq_u32_e32 vcc_lo, 0, v126
	s_or_b32 s18, vcc_lo, s18
	s_wait_loadcnt_dscnt 0x0
	v_pk_mul_f32 v[132:133], v[130:131], v[128:129] op_sel:[1,1] op_sel_hi:[0,1]
	s_delay_alu instid0(VALU_DEP_1) | instskip(SKIP_1) | instid1(VALU_DEP_2)
	v_pk_fma_f32 v[134:135], v[130:131], v[128:129], v[132:133] op_sel_hi:[1,0,1]
	v_pk_fma_f32 v[128:129], v[130:131], v[128:129], v[132:133] neg_lo:[0,0,1] neg_hi:[0,0,1]
	v_mov_b32_e32 v129, v135
	s_delay_alu instid0(VALU_DEP_1)
	v_pk_add_f32 v[124:125], v[124:125], v[128:129]
	s_and_not1_b32 exec_lo, exec_lo, s18
	s_cbranch_execnz .LBB59_372
; %bb.373:
	s_or_b32 exec_lo, exec_lo, s18
.LBB59_374:
	s_delay_alu instid0(SALU_CYCLE_1) | instskip(SKIP_4) | instid1(VALU_DEP_1)
	s_or_b32 exec_lo, exec_lo, s17
	v_mov_b32_e32 v126, 0
	ds_load_b64 v[126:127], v126 offset:176
	s_wait_dscnt 0x0
	v_pk_mul_f32 v[128:129], v[124:125], v[126:127] op_sel:[1,1] op_sel_hi:[0,1]
	v_pk_fma_f32 v[130:131], v[124:125], v[126:127], v[128:129] op_sel_hi:[1,0,1]
	v_pk_fma_f32 v[124:125], v[124:125], v[126:127], v[128:129] neg_lo:[0,0,1] neg_hi:[0,0,1]
	s_delay_alu instid0(VALU_DEP_2)
	v_mov_b32_e32 v125, v131
	scratch_store_b64 off, v[124:125], off offset:176
.LBB59_375:
	s_wait_xcnt 0x0
	s_or_b32 exec_lo, exec_lo, s16
	scratch_load_b64 v[124:125], off, off offset:168
	v_cmp_lt_u32_e64 s1, 21, v0
	s_wait_loadcnt 0x0
	ds_store_b64 v1, v[124:125]
	s_wait_storecnt_dscnt 0x0
	s_barrier_signal -1
	s_barrier_wait -1
	s_wait_xcnt 0x0
	s_and_saveexec_b32 s16, s1
	s_cbranch_execz .LBB59_385
; %bb.376:
	s_and_not1_b32 vcc_lo, exec_lo, s3
	s_cbranch_vccnz .LBB59_378
; %bb.377:
	scratch_load_b64 v[124:125], v39, off
	ds_load_b64 v[126:127], v1
	s_wait_loadcnt_dscnt 0x0
	v_pk_mul_f32 v[128:129], v[126:127], v[124:125] op_sel:[1,1] op_sel_hi:[0,1]
	s_delay_alu instid0(VALU_DEP_1) | instskip(SKIP_1) | instid1(VALU_DEP_2)
	v_pk_fma_f32 v[130:131], v[126:127], v[124:125], v[128:129] op_sel_hi:[1,0,1]
	v_pk_fma_f32 v[124:125], v[126:127], v[124:125], v[128:129] neg_lo:[0,0,1] neg_hi:[0,0,1]
	v_mov_b32_e32 v125, v131
	s_cbranch_execz .LBB59_379
	s_branch .LBB59_380
.LBB59_378:
                                        ; implicit-def: $vgpr124_vgpr125
.LBB59_379:
	ds_load_b64 v[124:125], v1
.LBB59_380:
	s_and_saveexec_b32 s17, s0
	s_cbranch_execz .LBB59_384
; %bb.381:
	v_subrev_nc_u32_e32 v126, 22, v0
	s_movk_i32 s18, 0x290
	s_mov_b32 s0, 0
.LBB59_382:                             ; =>This Inner Loop Header: Depth=1
	scratch_load_b64 v[128:129], off, s15
	v_dual_mov_b32 v127, s18 :: v_dual_add_nc_u32 v126, -1, v126
	s_add_co_i32 s18, s18, 8
	s_wait_xcnt 0x0
	s_add_co_i32 s15, s15, 8
	ds_load_b64 v[130:131], v127
	v_cmp_eq_u32_e32 vcc_lo, 0, v126
	s_or_b32 s0, vcc_lo, s0
	s_wait_loadcnt_dscnt 0x0
	v_pk_mul_f32 v[132:133], v[130:131], v[128:129] op_sel:[1,1] op_sel_hi:[0,1]
	s_delay_alu instid0(VALU_DEP_1) | instskip(SKIP_1) | instid1(VALU_DEP_2)
	v_pk_fma_f32 v[134:135], v[130:131], v[128:129], v[132:133] op_sel_hi:[1,0,1]
	v_pk_fma_f32 v[128:129], v[130:131], v[128:129], v[132:133] neg_lo:[0,0,1] neg_hi:[0,0,1]
	v_mov_b32_e32 v129, v135
	s_delay_alu instid0(VALU_DEP_1)
	v_pk_add_f32 v[124:125], v[124:125], v[128:129]
	s_and_not1_b32 exec_lo, exec_lo, s0
	s_cbranch_execnz .LBB59_382
; %bb.383:
	s_or_b32 exec_lo, exec_lo, s0
.LBB59_384:
	s_delay_alu instid0(SALU_CYCLE_1) | instskip(SKIP_4) | instid1(VALU_DEP_1)
	s_or_b32 exec_lo, exec_lo, s17
	v_mov_b32_e32 v126, 0
	ds_load_b64 v[126:127], v126 offset:168
	s_wait_dscnt 0x0
	v_pk_mul_f32 v[128:129], v[124:125], v[126:127] op_sel:[1,1] op_sel_hi:[0,1]
	v_pk_fma_f32 v[130:131], v[124:125], v[126:127], v[128:129] op_sel_hi:[1,0,1]
	v_pk_fma_f32 v[124:125], v[124:125], v[126:127], v[128:129] neg_lo:[0,0,1] neg_hi:[0,0,1]
	s_delay_alu instid0(VALU_DEP_2)
	v_mov_b32_e32 v125, v131
	scratch_store_b64 off, v[124:125], off offset:168
.LBB59_385:
	s_wait_xcnt 0x0
	s_or_b32 exec_lo, exec_lo, s16
	scratch_load_b64 v[124:125], off, off offset:160
	v_cmp_lt_u32_e64 s0, 20, v0
	s_wait_loadcnt 0x0
	ds_store_b64 v1, v[124:125]
	s_wait_storecnt_dscnt 0x0
	s_barrier_signal -1
	s_barrier_wait -1
	s_wait_xcnt 0x0
	s_and_saveexec_b32 s15, s0
	s_cbranch_execz .LBB59_395
; %bb.386:
	s_and_not1_b32 vcc_lo, exec_lo, s3
	s_cbranch_vccnz .LBB59_388
; %bb.387:
	scratch_load_b64 v[124:125], v39, off
	ds_load_b64 v[126:127], v1
	s_wait_loadcnt_dscnt 0x0
	v_pk_mul_f32 v[128:129], v[126:127], v[124:125] op_sel:[1,1] op_sel_hi:[0,1]
	s_delay_alu instid0(VALU_DEP_1) | instskip(SKIP_1) | instid1(VALU_DEP_2)
	v_pk_fma_f32 v[130:131], v[126:127], v[124:125], v[128:129] op_sel_hi:[1,0,1]
	v_pk_fma_f32 v[124:125], v[126:127], v[124:125], v[128:129] neg_lo:[0,0,1] neg_hi:[0,0,1]
	v_mov_b32_e32 v125, v131
	s_cbranch_execz .LBB59_389
	s_branch .LBB59_390
.LBB59_388:
                                        ; implicit-def: $vgpr124_vgpr125
.LBB59_389:
	ds_load_b64 v[124:125], v1
.LBB59_390:
	s_and_saveexec_b32 s16, s1
	s_cbranch_execz .LBB59_394
; %bb.391:
	v_subrev_nc_u32_e32 v126, 21, v0
	s_movk_i32 s1, 0xa8
	s_movk_i32 s18, 0x288
	s_mov_b32 s17, 0
.LBB59_392:                             ; =>This Inner Loop Header: Depth=1
	scratch_load_b64 v[128:129], off, s1
	v_dual_mov_b32 v127, s18 :: v_dual_add_nc_u32 v126, -1, v126
	s_add_co_i32 s18, s18, 8
	s_wait_xcnt 0x0
	s_add_co_i32 s1, s1, 8
	ds_load_b64 v[130:131], v127
	v_cmp_eq_u32_e32 vcc_lo, 0, v126
	s_or_b32 s17, vcc_lo, s17
	s_wait_loadcnt_dscnt 0x0
	v_pk_mul_f32 v[132:133], v[130:131], v[128:129] op_sel:[1,1] op_sel_hi:[0,1]
	s_delay_alu instid0(VALU_DEP_1) | instskip(SKIP_1) | instid1(VALU_DEP_2)
	v_pk_fma_f32 v[134:135], v[130:131], v[128:129], v[132:133] op_sel_hi:[1,0,1]
	v_pk_fma_f32 v[128:129], v[130:131], v[128:129], v[132:133] neg_lo:[0,0,1] neg_hi:[0,0,1]
	v_mov_b32_e32 v129, v135
	s_delay_alu instid0(VALU_DEP_1)
	v_pk_add_f32 v[124:125], v[124:125], v[128:129]
	s_and_not1_b32 exec_lo, exec_lo, s17
	s_cbranch_execnz .LBB59_392
; %bb.393:
	s_or_b32 exec_lo, exec_lo, s17
.LBB59_394:
	s_delay_alu instid0(SALU_CYCLE_1) | instskip(SKIP_4) | instid1(VALU_DEP_1)
	s_or_b32 exec_lo, exec_lo, s16
	v_mov_b32_e32 v126, 0
	ds_load_b64 v[126:127], v126 offset:160
	s_wait_dscnt 0x0
	v_pk_mul_f32 v[128:129], v[124:125], v[126:127] op_sel:[1,1] op_sel_hi:[0,1]
	v_pk_fma_f32 v[130:131], v[124:125], v[126:127], v[128:129] op_sel_hi:[1,0,1]
	v_pk_fma_f32 v[124:125], v[124:125], v[126:127], v[128:129] neg_lo:[0,0,1] neg_hi:[0,0,1]
	s_delay_alu instid0(VALU_DEP_2)
	v_mov_b32_e32 v125, v131
	scratch_store_b64 off, v[124:125], off offset:160
.LBB59_395:
	s_wait_xcnt 0x0
	s_or_b32 exec_lo, exec_lo, s15
	scratch_load_b64 v[124:125], off, off offset:152
	v_cmp_lt_u32_e64 s1, 19, v0
	s_wait_loadcnt 0x0
	ds_store_b64 v1, v[124:125]
	s_wait_storecnt_dscnt 0x0
	s_barrier_signal -1
	s_barrier_wait -1
	s_wait_xcnt 0x0
	s_and_saveexec_b32 s15, s1
	s_cbranch_execz .LBB59_405
; %bb.396:
	s_and_not1_b32 vcc_lo, exec_lo, s3
	s_cbranch_vccnz .LBB59_398
; %bb.397:
	scratch_load_b64 v[124:125], v39, off
	ds_load_b64 v[126:127], v1
	s_wait_loadcnt_dscnt 0x0
	v_pk_mul_f32 v[128:129], v[126:127], v[124:125] op_sel:[1,1] op_sel_hi:[0,1]
	s_delay_alu instid0(VALU_DEP_1) | instskip(SKIP_1) | instid1(VALU_DEP_2)
	v_pk_fma_f32 v[130:131], v[126:127], v[124:125], v[128:129] op_sel_hi:[1,0,1]
	v_pk_fma_f32 v[124:125], v[126:127], v[124:125], v[128:129] neg_lo:[0,0,1] neg_hi:[0,0,1]
	v_mov_b32_e32 v125, v131
	s_cbranch_execz .LBB59_399
	s_branch .LBB59_400
.LBB59_398:
                                        ; implicit-def: $vgpr124_vgpr125
.LBB59_399:
	ds_load_b64 v[124:125], v1
.LBB59_400:
	s_and_saveexec_b32 s16, s0
	s_cbranch_execz .LBB59_404
; %bb.401:
	v_subrev_nc_u32_e32 v126, 20, v0
	s_movk_i32 s17, 0x280
	s_mov_b32 s0, 0
.LBB59_402:                             ; =>This Inner Loop Header: Depth=1
	scratch_load_b64 v[128:129], off, s14
	v_dual_mov_b32 v127, s17 :: v_dual_add_nc_u32 v126, -1, v126
	s_add_co_i32 s17, s17, 8
	s_wait_xcnt 0x0
	s_add_co_i32 s14, s14, 8
	ds_load_b64 v[130:131], v127
	v_cmp_eq_u32_e32 vcc_lo, 0, v126
	s_or_b32 s0, vcc_lo, s0
	s_wait_loadcnt_dscnt 0x0
	v_pk_mul_f32 v[132:133], v[130:131], v[128:129] op_sel:[1,1] op_sel_hi:[0,1]
	s_delay_alu instid0(VALU_DEP_1) | instskip(SKIP_1) | instid1(VALU_DEP_2)
	v_pk_fma_f32 v[134:135], v[130:131], v[128:129], v[132:133] op_sel_hi:[1,0,1]
	v_pk_fma_f32 v[128:129], v[130:131], v[128:129], v[132:133] neg_lo:[0,0,1] neg_hi:[0,0,1]
	v_mov_b32_e32 v129, v135
	s_delay_alu instid0(VALU_DEP_1)
	v_pk_add_f32 v[124:125], v[124:125], v[128:129]
	s_and_not1_b32 exec_lo, exec_lo, s0
	s_cbranch_execnz .LBB59_402
; %bb.403:
	s_or_b32 exec_lo, exec_lo, s0
.LBB59_404:
	s_delay_alu instid0(SALU_CYCLE_1) | instskip(SKIP_4) | instid1(VALU_DEP_1)
	s_or_b32 exec_lo, exec_lo, s16
	v_mov_b32_e32 v126, 0
	ds_load_b64 v[126:127], v126 offset:152
	s_wait_dscnt 0x0
	v_pk_mul_f32 v[128:129], v[124:125], v[126:127] op_sel:[1,1] op_sel_hi:[0,1]
	v_pk_fma_f32 v[130:131], v[124:125], v[126:127], v[128:129] op_sel_hi:[1,0,1]
	v_pk_fma_f32 v[124:125], v[124:125], v[126:127], v[128:129] neg_lo:[0,0,1] neg_hi:[0,0,1]
	s_delay_alu instid0(VALU_DEP_2)
	v_mov_b32_e32 v125, v131
	scratch_store_b64 off, v[124:125], off offset:152
.LBB59_405:
	s_wait_xcnt 0x0
	s_or_b32 exec_lo, exec_lo, s15
	scratch_load_b64 v[124:125], off, off offset:144
	v_cmp_lt_u32_e64 s0, 18, v0
	s_wait_loadcnt 0x0
	ds_store_b64 v1, v[124:125]
	s_wait_storecnt_dscnt 0x0
	s_barrier_signal -1
	s_barrier_wait -1
	s_wait_xcnt 0x0
	s_and_saveexec_b32 s14, s0
	s_cbranch_execz .LBB59_415
; %bb.406:
	s_and_not1_b32 vcc_lo, exec_lo, s3
	s_cbranch_vccnz .LBB59_408
; %bb.407:
	scratch_load_b64 v[124:125], v39, off
	ds_load_b64 v[126:127], v1
	s_wait_loadcnt_dscnt 0x0
	v_pk_mul_f32 v[128:129], v[126:127], v[124:125] op_sel:[1,1] op_sel_hi:[0,1]
	s_delay_alu instid0(VALU_DEP_1) | instskip(SKIP_1) | instid1(VALU_DEP_2)
	v_pk_fma_f32 v[130:131], v[126:127], v[124:125], v[128:129] op_sel_hi:[1,0,1]
	v_pk_fma_f32 v[124:125], v[126:127], v[124:125], v[128:129] neg_lo:[0,0,1] neg_hi:[0,0,1]
	v_mov_b32_e32 v125, v131
	s_cbranch_execz .LBB59_409
	s_branch .LBB59_410
.LBB59_408:
                                        ; implicit-def: $vgpr124_vgpr125
.LBB59_409:
	ds_load_b64 v[124:125], v1
.LBB59_410:
	s_and_saveexec_b32 s15, s1
	s_cbranch_execz .LBB59_414
; %bb.411:
	v_subrev_nc_u32_e32 v126, 19, v0
	s_movk_i32 s1, 0x98
	s_movk_i32 s17, 0x278
	s_mov_b32 s16, 0
.LBB59_412:                             ; =>This Inner Loop Header: Depth=1
	scratch_load_b64 v[128:129], off, s1
	v_dual_mov_b32 v127, s17 :: v_dual_add_nc_u32 v126, -1, v126
	s_add_co_i32 s17, s17, 8
	s_wait_xcnt 0x0
	s_add_co_i32 s1, s1, 8
	ds_load_b64 v[130:131], v127
	v_cmp_eq_u32_e32 vcc_lo, 0, v126
	s_or_b32 s16, vcc_lo, s16
	s_wait_loadcnt_dscnt 0x0
	v_pk_mul_f32 v[132:133], v[130:131], v[128:129] op_sel:[1,1] op_sel_hi:[0,1]
	s_delay_alu instid0(VALU_DEP_1) | instskip(SKIP_1) | instid1(VALU_DEP_2)
	v_pk_fma_f32 v[134:135], v[130:131], v[128:129], v[132:133] op_sel_hi:[1,0,1]
	v_pk_fma_f32 v[128:129], v[130:131], v[128:129], v[132:133] neg_lo:[0,0,1] neg_hi:[0,0,1]
	v_mov_b32_e32 v129, v135
	s_delay_alu instid0(VALU_DEP_1)
	v_pk_add_f32 v[124:125], v[124:125], v[128:129]
	s_and_not1_b32 exec_lo, exec_lo, s16
	s_cbranch_execnz .LBB59_412
; %bb.413:
	s_or_b32 exec_lo, exec_lo, s16
.LBB59_414:
	s_delay_alu instid0(SALU_CYCLE_1) | instskip(SKIP_4) | instid1(VALU_DEP_1)
	s_or_b32 exec_lo, exec_lo, s15
	v_mov_b32_e32 v126, 0
	ds_load_b64 v[126:127], v126 offset:144
	s_wait_dscnt 0x0
	v_pk_mul_f32 v[128:129], v[124:125], v[126:127] op_sel:[1,1] op_sel_hi:[0,1]
	v_pk_fma_f32 v[130:131], v[124:125], v[126:127], v[128:129] op_sel_hi:[1,0,1]
	v_pk_fma_f32 v[124:125], v[124:125], v[126:127], v[128:129] neg_lo:[0,0,1] neg_hi:[0,0,1]
	s_delay_alu instid0(VALU_DEP_2)
	v_mov_b32_e32 v125, v131
	scratch_store_b64 off, v[124:125], off offset:144
.LBB59_415:
	s_wait_xcnt 0x0
	s_or_b32 exec_lo, exec_lo, s14
	scratch_load_b64 v[124:125], off, off offset:136
	v_cmp_lt_u32_e64 s1, 17, v0
	s_wait_loadcnt 0x0
	ds_store_b64 v1, v[124:125]
	s_wait_storecnt_dscnt 0x0
	s_barrier_signal -1
	s_barrier_wait -1
	s_wait_xcnt 0x0
	s_and_saveexec_b32 s14, s1
	s_cbranch_execz .LBB59_425
; %bb.416:
	s_and_not1_b32 vcc_lo, exec_lo, s3
	s_cbranch_vccnz .LBB59_418
; %bb.417:
	scratch_load_b64 v[124:125], v39, off
	ds_load_b64 v[126:127], v1
	s_wait_loadcnt_dscnt 0x0
	v_pk_mul_f32 v[128:129], v[126:127], v[124:125] op_sel:[1,1] op_sel_hi:[0,1]
	s_delay_alu instid0(VALU_DEP_1) | instskip(SKIP_1) | instid1(VALU_DEP_2)
	v_pk_fma_f32 v[130:131], v[126:127], v[124:125], v[128:129] op_sel_hi:[1,0,1]
	v_pk_fma_f32 v[124:125], v[126:127], v[124:125], v[128:129] neg_lo:[0,0,1] neg_hi:[0,0,1]
	v_mov_b32_e32 v125, v131
	s_cbranch_execz .LBB59_419
	s_branch .LBB59_420
.LBB59_418:
                                        ; implicit-def: $vgpr124_vgpr125
.LBB59_419:
	ds_load_b64 v[124:125], v1
.LBB59_420:
	s_and_saveexec_b32 s15, s0
	s_cbranch_execz .LBB59_424
; %bb.421:
	v_subrev_nc_u32_e32 v126, 18, v0
	s_movk_i32 s16, 0x270
	s_mov_b32 s0, 0
.LBB59_422:                             ; =>This Inner Loop Header: Depth=1
	scratch_load_b64 v[128:129], off, s13
	v_dual_mov_b32 v127, s16 :: v_dual_add_nc_u32 v126, -1, v126
	s_add_co_i32 s16, s16, 8
	s_wait_xcnt 0x0
	s_add_co_i32 s13, s13, 8
	ds_load_b64 v[130:131], v127
	v_cmp_eq_u32_e32 vcc_lo, 0, v126
	s_or_b32 s0, vcc_lo, s0
	s_wait_loadcnt_dscnt 0x0
	v_pk_mul_f32 v[132:133], v[130:131], v[128:129] op_sel:[1,1] op_sel_hi:[0,1]
	s_delay_alu instid0(VALU_DEP_1) | instskip(SKIP_1) | instid1(VALU_DEP_2)
	v_pk_fma_f32 v[134:135], v[130:131], v[128:129], v[132:133] op_sel_hi:[1,0,1]
	v_pk_fma_f32 v[128:129], v[130:131], v[128:129], v[132:133] neg_lo:[0,0,1] neg_hi:[0,0,1]
	v_mov_b32_e32 v129, v135
	s_delay_alu instid0(VALU_DEP_1)
	v_pk_add_f32 v[124:125], v[124:125], v[128:129]
	s_and_not1_b32 exec_lo, exec_lo, s0
	s_cbranch_execnz .LBB59_422
; %bb.423:
	s_or_b32 exec_lo, exec_lo, s0
.LBB59_424:
	s_delay_alu instid0(SALU_CYCLE_1) | instskip(SKIP_4) | instid1(VALU_DEP_1)
	s_or_b32 exec_lo, exec_lo, s15
	v_mov_b32_e32 v126, 0
	ds_load_b64 v[126:127], v126 offset:136
	s_wait_dscnt 0x0
	v_pk_mul_f32 v[128:129], v[124:125], v[126:127] op_sel:[1,1] op_sel_hi:[0,1]
	v_pk_fma_f32 v[130:131], v[124:125], v[126:127], v[128:129] op_sel_hi:[1,0,1]
	v_pk_fma_f32 v[124:125], v[124:125], v[126:127], v[128:129] neg_lo:[0,0,1] neg_hi:[0,0,1]
	s_delay_alu instid0(VALU_DEP_2)
	v_mov_b32_e32 v125, v131
	scratch_store_b64 off, v[124:125], off offset:136
.LBB59_425:
	s_wait_xcnt 0x0
	s_or_b32 exec_lo, exec_lo, s14
	scratch_load_b64 v[124:125], off, off offset:128
	v_cmp_lt_u32_e64 s0, 16, v0
	s_wait_loadcnt 0x0
	ds_store_b64 v1, v[124:125]
	s_wait_storecnt_dscnt 0x0
	s_barrier_signal -1
	s_barrier_wait -1
	s_wait_xcnt 0x0
	s_and_saveexec_b32 s13, s0
	s_cbranch_execz .LBB59_435
; %bb.426:
	s_and_not1_b32 vcc_lo, exec_lo, s3
	s_cbranch_vccnz .LBB59_428
; %bb.427:
	scratch_load_b64 v[124:125], v39, off
	ds_load_b64 v[126:127], v1
	s_wait_loadcnt_dscnt 0x0
	v_pk_mul_f32 v[128:129], v[126:127], v[124:125] op_sel:[1,1] op_sel_hi:[0,1]
	s_delay_alu instid0(VALU_DEP_1) | instskip(SKIP_1) | instid1(VALU_DEP_2)
	v_pk_fma_f32 v[130:131], v[126:127], v[124:125], v[128:129] op_sel_hi:[1,0,1]
	v_pk_fma_f32 v[124:125], v[126:127], v[124:125], v[128:129] neg_lo:[0,0,1] neg_hi:[0,0,1]
	v_mov_b32_e32 v125, v131
	s_cbranch_execz .LBB59_429
	s_branch .LBB59_430
.LBB59_428:
                                        ; implicit-def: $vgpr124_vgpr125
.LBB59_429:
	ds_load_b64 v[124:125], v1
.LBB59_430:
	s_and_saveexec_b32 s14, s1
	s_cbranch_execz .LBB59_434
; %bb.431:
	v_subrev_nc_u32_e32 v126, 17, v0
	s_movk_i32 s1, 0x88
	s_movk_i32 s16, 0x268
	s_mov_b32 s15, 0
.LBB59_432:                             ; =>This Inner Loop Header: Depth=1
	scratch_load_b64 v[128:129], off, s1
	v_dual_mov_b32 v127, s16 :: v_dual_add_nc_u32 v126, -1, v126
	s_add_co_i32 s16, s16, 8
	s_wait_xcnt 0x0
	s_add_co_i32 s1, s1, 8
	ds_load_b64 v[130:131], v127
	v_cmp_eq_u32_e32 vcc_lo, 0, v126
	s_or_b32 s15, vcc_lo, s15
	s_wait_loadcnt_dscnt 0x0
	v_pk_mul_f32 v[132:133], v[130:131], v[128:129] op_sel:[1,1] op_sel_hi:[0,1]
	s_delay_alu instid0(VALU_DEP_1) | instskip(SKIP_1) | instid1(VALU_DEP_2)
	v_pk_fma_f32 v[134:135], v[130:131], v[128:129], v[132:133] op_sel_hi:[1,0,1]
	v_pk_fma_f32 v[128:129], v[130:131], v[128:129], v[132:133] neg_lo:[0,0,1] neg_hi:[0,0,1]
	v_mov_b32_e32 v129, v135
	s_delay_alu instid0(VALU_DEP_1)
	v_pk_add_f32 v[124:125], v[124:125], v[128:129]
	s_and_not1_b32 exec_lo, exec_lo, s15
	s_cbranch_execnz .LBB59_432
; %bb.433:
	s_or_b32 exec_lo, exec_lo, s15
.LBB59_434:
	s_delay_alu instid0(SALU_CYCLE_1) | instskip(SKIP_4) | instid1(VALU_DEP_1)
	s_or_b32 exec_lo, exec_lo, s14
	v_mov_b32_e32 v126, 0
	ds_load_b64 v[126:127], v126 offset:128
	s_wait_dscnt 0x0
	v_pk_mul_f32 v[128:129], v[124:125], v[126:127] op_sel:[1,1] op_sel_hi:[0,1]
	v_pk_fma_f32 v[130:131], v[124:125], v[126:127], v[128:129] op_sel_hi:[1,0,1]
	v_pk_fma_f32 v[124:125], v[124:125], v[126:127], v[128:129] neg_lo:[0,0,1] neg_hi:[0,0,1]
	s_delay_alu instid0(VALU_DEP_2)
	v_mov_b32_e32 v125, v131
	scratch_store_b64 off, v[124:125], off offset:128
.LBB59_435:
	s_wait_xcnt 0x0
	s_or_b32 exec_lo, exec_lo, s13
	scratch_load_b64 v[124:125], off, off offset:120
	v_cmp_lt_u32_e64 s1, 15, v0
	s_wait_loadcnt 0x0
	ds_store_b64 v1, v[124:125]
	s_wait_storecnt_dscnt 0x0
	s_barrier_signal -1
	s_barrier_wait -1
	s_wait_xcnt 0x0
	s_and_saveexec_b32 s13, s1
	s_cbranch_execz .LBB59_445
; %bb.436:
	s_and_not1_b32 vcc_lo, exec_lo, s3
	s_cbranch_vccnz .LBB59_438
; %bb.437:
	scratch_load_b64 v[124:125], v39, off
	ds_load_b64 v[126:127], v1
	s_wait_loadcnt_dscnt 0x0
	v_pk_mul_f32 v[128:129], v[126:127], v[124:125] op_sel:[1,1] op_sel_hi:[0,1]
	s_delay_alu instid0(VALU_DEP_1) | instskip(SKIP_1) | instid1(VALU_DEP_2)
	v_pk_fma_f32 v[130:131], v[126:127], v[124:125], v[128:129] op_sel_hi:[1,0,1]
	v_pk_fma_f32 v[124:125], v[126:127], v[124:125], v[128:129] neg_lo:[0,0,1] neg_hi:[0,0,1]
	v_mov_b32_e32 v125, v131
	s_cbranch_execz .LBB59_439
	s_branch .LBB59_440
.LBB59_438:
                                        ; implicit-def: $vgpr124_vgpr125
.LBB59_439:
	ds_load_b64 v[124:125], v1
.LBB59_440:
	s_and_saveexec_b32 s14, s0
	s_cbranch_execz .LBB59_444
; %bb.441:
	v_add_nc_u32_e32 v126, -16, v0
	s_movk_i32 s15, 0x260
	s_mov_b32 s0, 0
.LBB59_442:                             ; =>This Inner Loop Header: Depth=1
	scratch_load_b64 v[128:129], off, s12
	v_dual_mov_b32 v127, s15 :: v_dual_add_nc_u32 v126, -1, v126
	s_add_co_i32 s15, s15, 8
	s_wait_xcnt 0x0
	s_add_co_i32 s12, s12, 8
	ds_load_b64 v[130:131], v127
	v_cmp_eq_u32_e32 vcc_lo, 0, v126
	s_or_b32 s0, vcc_lo, s0
	s_wait_loadcnt_dscnt 0x0
	v_pk_mul_f32 v[132:133], v[130:131], v[128:129] op_sel:[1,1] op_sel_hi:[0,1]
	s_delay_alu instid0(VALU_DEP_1) | instskip(SKIP_1) | instid1(VALU_DEP_2)
	v_pk_fma_f32 v[134:135], v[130:131], v[128:129], v[132:133] op_sel_hi:[1,0,1]
	v_pk_fma_f32 v[128:129], v[130:131], v[128:129], v[132:133] neg_lo:[0,0,1] neg_hi:[0,0,1]
	v_mov_b32_e32 v129, v135
	s_delay_alu instid0(VALU_DEP_1)
	v_pk_add_f32 v[124:125], v[124:125], v[128:129]
	s_and_not1_b32 exec_lo, exec_lo, s0
	s_cbranch_execnz .LBB59_442
; %bb.443:
	s_or_b32 exec_lo, exec_lo, s0
.LBB59_444:
	s_delay_alu instid0(SALU_CYCLE_1) | instskip(SKIP_4) | instid1(VALU_DEP_1)
	s_or_b32 exec_lo, exec_lo, s14
	v_mov_b32_e32 v126, 0
	ds_load_b64 v[126:127], v126 offset:120
	s_wait_dscnt 0x0
	v_pk_mul_f32 v[128:129], v[124:125], v[126:127] op_sel:[1,1] op_sel_hi:[0,1]
	v_pk_fma_f32 v[130:131], v[124:125], v[126:127], v[128:129] op_sel_hi:[1,0,1]
	v_pk_fma_f32 v[124:125], v[124:125], v[126:127], v[128:129] neg_lo:[0,0,1] neg_hi:[0,0,1]
	s_delay_alu instid0(VALU_DEP_2)
	v_mov_b32_e32 v125, v131
	scratch_store_b64 off, v[124:125], off offset:120
.LBB59_445:
	s_wait_xcnt 0x0
	s_or_b32 exec_lo, exec_lo, s13
	scratch_load_b64 v[124:125], off, off offset:112
	v_cmp_lt_u32_e64 s0, 14, v0
	s_wait_loadcnt 0x0
	ds_store_b64 v1, v[124:125]
	s_wait_storecnt_dscnt 0x0
	s_barrier_signal -1
	s_barrier_wait -1
	s_wait_xcnt 0x0
	s_and_saveexec_b32 s12, s0
	s_cbranch_execz .LBB59_455
; %bb.446:
	s_and_not1_b32 vcc_lo, exec_lo, s3
	s_cbranch_vccnz .LBB59_448
; %bb.447:
	scratch_load_b64 v[124:125], v39, off
	ds_load_b64 v[126:127], v1
	s_wait_loadcnt_dscnt 0x0
	v_pk_mul_f32 v[128:129], v[126:127], v[124:125] op_sel:[1,1] op_sel_hi:[0,1]
	s_delay_alu instid0(VALU_DEP_1) | instskip(SKIP_1) | instid1(VALU_DEP_2)
	v_pk_fma_f32 v[130:131], v[126:127], v[124:125], v[128:129] op_sel_hi:[1,0,1]
	v_pk_fma_f32 v[124:125], v[126:127], v[124:125], v[128:129] neg_lo:[0,0,1] neg_hi:[0,0,1]
	v_mov_b32_e32 v125, v131
	s_cbranch_execz .LBB59_449
	s_branch .LBB59_450
.LBB59_448:
                                        ; implicit-def: $vgpr124_vgpr125
.LBB59_449:
	ds_load_b64 v[124:125], v1
.LBB59_450:
	s_and_saveexec_b32 s13, s1
	s_cbranch_execz .LBB59_454
; %bb.451:
	v_add_nc_u32_e32 v126, -15, v0
	s_movk_i32 s1, 0x78
	s_movk_i32 s15, 0x258
	s_mov_b32 s14, 0
.LBB59_452:                             ; =>This Inner Loop Header: Depth=1
	scratch_load_b64 v[128:129], off, s1
	v_dual_mov_b32 v127, s15 :: v_dual_add_nc_u32 v126, -1, v126
	s_add_co_i32 s15, s15, 8
	s_wait_xcnt 0x0
	s_add_co_i32 s1, s1, 8
	ds_load_b64 v[130:131], v127
	v_cmp_eq_u32_e32 vcc_lo, 0, v126
	s_or_b32 s14, vcc_lo, s14
	s_wait_loadcnt_dscnt 0x0
	v_pk_mul_f32 v[132:133], v[130:131], v[128:129] op_sel:[1,1] op_sel_hi:[0,1]
	s_delay_alu instid0(VALU_DEP_1) | instskip(SKIP_1) | instid1(VALU_DEP_2)
	v_pk_fma_f32 v[134:135], v[130:131], v[128:129], v[132:133] op_sel_hi:[1,0,1]
	v_pk_fma_f32 v[128:129], v[130:131], v[128:129], v[132:133] neg_lo:[0,0,1] neg_hi:[0,0,1]
	v_mov_b32_e32 v129, v135
	s_delay_alu instid0(VALU_DEP_1)
	v_pk_add_f32 v[124:125], v[124:125], v[128:129]
	s_and_not1_b32 exec_lo, exec_lo, s14
	s_cbranch_execnz .LBB59_452
; %bb.453:
	s_or_b32 exec_lo, exec_lo, s14
.LBB59_454:
	s_delay_alu instid0(SALU_CYCLE_1) | instskip(SKIP_4) | instid1(VALU_DEP_1)
	s_or_b32 exec_lo, exec_lo, s13
	v_mov_b32_e32 v126, 0
	ds_load_b64 v[126:127], v126 offset:112
	s_wait_dscnt 0x0
	v_pk_mul_f32 v[128:129], v[124:125], v[126:127] op_sel:[1,1] op_sel_hi:[0,1]
	v_pk_fma_f32 v[130:131], v[124:125], v[126:127], v[128:129] op_sel_hi:[1,0,1]
	v_pk_fma_f32 v[124:125], v[124:125], v[126:127], v[128:129] neg_lo:[0,0,1] neg_hi:[0,0,1]
	s_delay_alu instid0(VALU_DEP_2)
	v_mov_b32_e32 v125, v131
	scratch_store_b64 off, v[124:125], off offset:112
.LBB59_455:
	s_wait_xcnt 0x0
	s_or_b32 exec_lo, exec_lo, s12
	scratch_load_b64 v[124:125], off, off offset:104
	v_cmp_lt_u32_e64 s1, 13, v0
	s_wait_loadcnt 0x0
	ds_store_b64 v1, v[124:125]
	s_wait_storecnt_dscnt 0x0
	s_barrier_signal -1
	s_barrier_wait -1
	s_wait_xcnt 0x0
	s_and_saveexec_b32 s12, s1
	s_cbranch_execz .LBB59_465
; %bb.456:
	s_and_not1_b32 vcc_lo, exec_lo, s3
	s_cbranch_vccnz .LBB59_458
; %bb.457:
	scratch_load_b64 v[124:125], v39, off
	ds_load_b64 v[126:127], v1
	s_wait_loadcnt_dscnt 0x0
	v_pk_mul_f32 v[128:129], v[126:127], v[124:125] op_sel:[1,1] op_sel_hi:[0,1]
	s_delay_alu instid0(VALU_DEP_1) | instskip(SKIP_1) | instid1(VALU_DEP_2)
	v_pk_fma_f32 v[130:131], v[126:127], v[124:125], v[128:129] op_sel_hi:[1,0,1]
	v_pk_fma_f32 v[124:125], v[126:127], v[124:125], v[128:129] neg_lo:[0,0,1] neg_hi:[0,0,1]
	v_mov_b32_e32 v125, v131
	s_cbranch_execz .LBB59_459
	s_branch .LBB59_460
.LBB59_458:
                                        ; implicit-def: $vgpr124_vgpr125
.LBB59_459:
	ds_load_b64 v[124:125], v1
.LBB59_460:
	s_and_saveexec_b32 s13, s0
	s_cbranch_execz .LBB59_464
; %bb.461:
	v_add_nc_u32_e32 v126, -14, v0
	s_movk_i32 s14, 0x250
	s_mov_b32 s0, 0
.LBB59_462:                             ; =>This Inner Loop Header: Depth=1
	scratch_load_b64 v[128:129], off, s11
	v_dual_mov_b32 v127, s14 :: v_dual_add_nc_u32 v126, -1, v126
	s_add_co_i32 s14, s14, 8
	s_wait_xcnt 0x0
	s_add_co_i32 s11, s11, 8
	ds_load_b64 v[130:131], v127
	v_cmp_eq_u32_e32 vcc_lo, 0, v126
	s_or_b32 s0, vcc_lo, s0
	s_wait_loadcnt_dscnt 0x0
	v_pk_mul_f32 v[132:133], v[130:131], v[128:129] op_sel:[1,1] op_sel_hi:[0,1]
	s_delay_alu instid0(VALU_DEP_1) | instskip(SKIP_1) | instid1(VALU_DEP_2)
	v_pk_fma_f32 v[134:135], v[130:131], v[128:129], v[132:133] op_sel_hi:[1,0,1]
	v_pk_fma_f32 v[128:129], v[130:131], v[128:129], v[132:133] neg_lo:[0,0,1] neg_hi:[0,0,1]
	v_mov_b32_e32 v129, v135
	s_delay_alu instid0(VALU_DEP_1)
	v_pk_add_f32 v[124:125], v[124:125], v[128:129]
	s_and_not1_b32 exec_lo, exec_lo, s0
	s_cbranch_execnz .LBB59_462
; %bb.463:
	s_or_b32 exec_lo, exec_lo, s0
.LBB59_464:
	s_delay_alu instid0(SALU_CYCLE_1) | instskip(SKIP_4) | instid1(VALU_DEP_1)
	s_or_b32 exec_lo, exec_lo, s13
	v_mov_b32_e32 v126, 0
	ds_load_b64 v[126:127], v126 offset:104
	s_wait_dscnt 0x0
	v_pk_mul_f32 v[128:129], v[124:125], v[126:127] op_sel:[1,1] op_sel_hi:[0,1]
	v_pk_fma_f32 v[130:131], v[124:125], v[126:127], v[128:129] op_sel_hi:[1,0,1]
	v_pk_fma_f32 v[124:125], v[124:125], v[126:127], v[128:129] neg_lo:[0,0,1] neg_hi:[0,0,1]
	s_delay_alu instid0(VALU_DEP_2)
	v_mov_b32_e32 v125, v131
	scratch_store_b64 off, v[124:125], off offset:104
.LBB59_465:
	s_wait_xcnt 0x0
	s_or_b32 exec_lo, exec_lo, s12
	scratch_load_b64 v[124:125], off, off offset:96
	v_cmp_lt_u32_e64 s0, 12, v0
	s_wait_loadcnt 0x0
	ds_store_b64 v1, v[124:125]
	s_wait_storecnt_dscnt 0x0
	s_barrier_signal -1
	s_barrier_wait -1
	s_wait_xcnt 0x0
	s_and_saveexec_b32 s11, s0
	s_cbranch_execz .LBB59_475
; %bb.466:
	s_and_not1_b32 vcc_lo, exec_lo, s3
	s_cbranch_vccnz .LBB59_468
; %bb.467:
	scratch_load_b64 v[124:125], v39, off
	ds_load_b64 v[126:127], v1
	s_wait_loadcnt_dscnt 0x0
	v_pk_mul_f32 v[128:129], v[126:127], v[124:125] op_sel:[1,1] op_sel_hi:[0,1]
	s_delay_alu instid0(VALU_DEP_1) | instskip(SKIP_1) | instid1(VALU_DEP_2)
	v_pk_fma_f32 v[130:131], v[126:127], v[124:125], v[128:129] op_sel_hi:[1,0,1]
	v_pk_fma_f32 v[124:125], v[126:127], v[124:125], v[128:129] neg_lo:[0,0,1] neg_hi:[0,0,1]
	v_mov_b32_e32 v125, v131
	s_cbranch_execz .LBB59_469
	s_branch .LBB59_470
.LBB59_468:
                                        ; implicit-def: $vgpr124_vgpr125
.LBB59_469:
	ds_load_b64 v[124:125], v1
.LBB59_470:
	s_and_saveexec_b32 s12, s1
	s_cbranch_execz .LBB59_474
; %bb.471:
	v_add_nc_u32_e32 v126, -13, v0
	s_movk_i32 s1, 0x68
	s_movk_i32 s14, 0x248
	s_mov_b32 s13, 0
.LBB59_472:                             ; =>This Inner Loop Header: Depth=1
	scratch_load_b64 v[128:129], off, s1
	v_dual_mov_b32 v127, s14 :: v_dual_add_nc_u32 v126, -1, v126
	s_add_co_i32 s14, s14, 8
	s_wait_xcnt 0x0
	s_add_co_i32 s1, s1, 8
	ds_load_b64 v[130:131], v127
	v_cmp_eq_u32_e32 vcc_lo, 0, v126
	s_or_b32 s13, vcc_lo, s13
	s_wait_loadcnt_dscnt 0x0
	v_pk_mul_f32 v[132:133], v[130:131], v[128:129] op_sel:[1,1] op_sel_hi:[0,1]
	s_delay_alu instid0(VALU_DEP_1) | instskip(SKIP_1) | instid1(VALU_DEP_2)
	v_pk_fma_f32 v[134:135], v[130:131], v[128:129], v[132:133] op_sel_hi:[1,0,1]
	v_pk_fma_f32 v[128:129], v[130:131], v[128:129], v[132:133] neg_lo:[0,0,1] neg_hi:[0,0,1]
	v_mov_b32_e32 v129, v135
	s_delay_alu instid0(VALU_DEP_1)
	v_pk_add_f32 v[124:125], v[124:125], v[128:129]
	s_and_not1_b32 exec_lo, exec_lo, s13
	s_cbranch_execnz .LBB59_472
; %bb.473:
	s_or_b32 exec_lo, exec_lo, s13
.LBB59_474:
	s_delay_alu instid0(SALU_CYCLE_1) | instskip(SKIP_4) | instid1(VALU_DEP_1)
	s_or_b32 exec_lo, exec_lo, s12
	v_mov_b32_e32 v126, 0
	ds_load_b64 v[126:127], v126 offset:96
	s_wait_dscnt 0x0
	v_pk_mul_f32 v[128:129], v[124:125], v[126:127] op_sel:[1,1] op_sel_hi:[0,1]
	v_pk_fma_f32 v[130:131], v[124:125], v[126:127], v[128:129] op_sel_hi:[1,0,1]
	v_pk_fma_f32 v[124:125], v[124:125], v[126:127], v[128:129] neg_lo:[0,0,1] neg_hi:[0,0,1]
	s_delay_alu instid0(VALU_DEP_2)
	v_mov_b32_e32 v125, v131
	scratch_store_b64 off, v[124:125], off offset:96
.LBB59_475:
	s_wait_xcnt 0x0
	s_or_b32 exec_lo, exec_lo, s11
	scratch_load_b64 v[124:125], off, off offset:88
	v_cmp_lt_u32_e64 s1, 11, v0
	s_wait_loadcnt 0x0
	ds_store_b64 v1, v[124:125]
	s_wait_storecnt_dscnt 0x0
	s_barrier_signal -1
	s_barrier_wait -1
	s_wait_xcnt 0x0
	s_and_saveexec_b32 s11, s1
	s_cbranch_execz .LBB59_485
; %bb.476:
	s_and_not1_b32 vcc_lo, exec_lo, s3
	s_cbranch_vccnz .LBB59_478
; %bb.477:
	scratch_load_b64 v[124:125], v39, off
	ds_load_b64 v[126:127], v1
	s_wait_loadcnt_dscnt 0x0
	v_pk_mul_f32 v[128:129], v[126:127], v[124:125] op_sel:[1,1] op_sel_hi:[0,1]
	s_delay_alu instid0(VALU_DEP_1) | instskip(SKIP_1) | instid1(VALU_DEP_2)
	v_pk_fma_f32 v[130:131], v[126:127], v[124:125], v[128:129] op_sel_hi:[1,0,1]
	v_pk_fma_f32 v[124:125], v[126:127], v[124:125], v[128:129] neg_lo:[0,0,1] neg_hi:[0,0,1]
	v_mov_b32_e32 v125, v131
	s_cbranch_execz .LBB59_479
	s_branch .LBB59_480
.LBB59_478:
                                        ; implicit-def: $vgpr124_vgpr125
.LBB59_479:
	ds_load_b64 v[124:125], v1
.LBB59_480:
	s_and_saveexec_b32 s12, s0
	s_cbranch_execz .LBB59_484
; %bb.481:
	v_add_nc_u32_e32 v126, -12, v0
	s_movk_i32 s13, 0x240
	s_mov_b32 s0, 0
.LBB59_482:                             ; =>This Inner Loop Header: Depth=1
	scratch_load_b64 v[128:129], off, s10
	v_dual_mov_b32 v127, s13 :: v_dual_add_nc_u32 v126, -1, v126
	s_add_co_i32 s13, s13, 8
	s_wait_xcnt 0x0
	s_add_co_i32 s10, s10, 8
	ds_load_b64 v[130:131], v127
	v_cmp_eq_u32_e32 vcc_lo, 0, v126
	s_or_b32 s0, vcc_lo, s0
	s_wait_loadcnt_dscnt 0x0
	v_pk_mul_f32 v[132:133], v[130:131], v[128:129] op_sel:[1,1] op_sel_hi:[0,1]
	s_delay_alu instid0(VALU_DEP_1) | instskip(SKIP_1) | instid1(VALU_DEP_2)
	v_pk_fma_f32 v[134:135], v[130:131], v[128:129], v[132:133] op_sel_hi:[1,0,1]
	v_pk_fma_f32 v[128:129], v[130:131], v[128:129], v[132:133] neg_lo:[0,0,1] neg_hi:[0,0,1]
	v_mov_b32_e32 v129, v135
	s_delay_alu instid0(VALU_DEP_1)
	v_pk_add_f32 v[124:125], v[124:125], v[128:129]
	s_and_not1_b32 exec_lo, exec_lo, s0
	s_cbranch_execnz .LBB59_482
; %bb.483:
	s_or_b32 exec_lo, exec_lo, s0
.LBB59_484:
	s_delay_alu instid0(SALU_CYCLE_1) | instskip(SKIP_4) | instid1(VALU_DEP_1)
	s_or_b32 exec_lo, exec_lo, s12
	v_mov_b32_e32 v126, 0
	ds_load_b64 v[126:127], v126 offset:88
	s_wait_dscnt 0x0
	v_pk_mul_f32 v[128:129], v[124:125], v[126:127] op_sel:[1,1] op_sel_hi:[0,1]
	v_pk_fma_f32 v[130:131], v[124:125], v[126:127], v[128:129] op_sel_hi:[1,0,1]
	v_pk_fma_f32 v[124:125], v[124:125], v[126:127], v[128:129] neg_lo:[0,0,1] neg_hi:[0,0,1]
	s_delay_alu instid0(VALU_DEP_2)
	v_mov_b32_e32 v125, v131
	scratch_store_b64 off, v[124:125], off offset:88
.LBB59_485:
	s_wait_xcnt 0x0
	s_or_b32 exec_lo, exec_lo, s11
	scratch_load_b64 v[124:125], off, off offset:80
	v_cmp_lt_u32_e64 s0, 10, v0
	s_wait_loadcnt 0x0
	ds_store_b64 v1, v[124:125]
	s_wait_storecnt_dscnt 0x0
	s_barrier_signal -1
	s_barrier_wait -1
	s_wait_xcnt 0x0
	s_and_saveexec_b32 s10, s0
	s_cbranch_execz .LBB59_495
; %bb.486:
	s_and_not1_b32 vcc_lo, exec_lo, s3
	s_cbranch_vccnz .LBB59_488
; %bb.487:
	scratch_load_b64 v[124:125], v39, off
	ds_load_b64 v[126:127], v1
	s_wait_loadcnt_dscnt 0x0
	v_pk_mul_f32 v[128:129], v[126:127], v[124:125] op_sel:[1,1] op_sel_hi:[0,1]
	s_delay_alu instid0(VALU_DEP_1) | instskip(SKIP_1) | instid1(VALU_DEP_2)
	v_pk_fma_f32 v[130:131], v[126:127], v[124:125], v[128:129] op_sel_hi:[1,0,1]
	v_pk_fma_f32 v[124:125], v[126:127], v[124:125], v[128:129] neg_lo:[0,0,1] neg_hi:[0,0,1]
	v_mov_b32_e32 v125, v131
	s_cbranch_execz .LBB59_489
	s_branch .LBB59_490
.LBB59_488:
                                        ; implicit-def: $vgpr124_vgpr125
.LBB59_489:
	ds_load_b64 v[124:125], v1
.LBB59_490:
	s_and_saveexec_b32 s11, s1
	s_cbranch_execz .LBB59_494
; %bb.491:
	v_add_nc_u32_e32 v126, -11, v0
	s_movk_i32 s1, 0x58
	s_movk_i32 s13, 0x238
	s_mov_b32 s12, 0
.LBB59_492:                             ; =>This Inner Loop Header: Depth=1
	scratch_load_b64 v[128:129], off, s1
	v_dual_mov_b32 v127, s13 :: v_dual_add_nc_u32 v126, -1, v126
	s_add_co_i32 s13, s13, 8
	s_wait_xcnt 0x0
	s_add_co_i32 s1, s1, 8
	ds_load_b64 v[130:131], v127
	v_cmp_eq_u32_e32 vcc_lo, 0, v126
	s_or_b32 s12, vcc_lo, s12
	s_wait_loadcnt_dscnt 0x0
	v_pk_mul_f32 v[132:133], v[130:131], v[128:129] op_sel:[1,1] op_sel_hi:[0,1]
	s_delay_alu instid0(VALU_DEP_1) | instskip(SKIP_1) | instid1(VALU_DEP_2)
	v_pk_fma_f32 v[134:135], v[130:131], v[128:129], v[132:133] op_sel_hi:[1,0,1]
	v_pk_fma_f32 v[128:129], v[130:131], v[128:129], v[132:133] neg_lo:[0,0,1] neg_hi:[0,0,1]
	v_mov_b32_e32 v129, v135
	s_delay_alu instid0(VALU_DEP_1)
	v_pk_add_f32 v[124:125], v[124:125], v[128:129]
	s_and_not1_b32 exec_lo, exec_lo, s12
	s_cbranch_execnz .LBB59_492
; %bb.493:
	s_or_b32 exec_lo, exec_lo, s12
.LBB59_494:
	s_delay_alu instid0(SALU_CYCLE_1) | instskip(SKIP_4) | instid1(VALU_DEP_1)
	s_or_b32 exec_lo, exec_lo, s11
	v_mov_b32_e32 v126, 0
	ds_load_b64 v[126:127], v126 offset:80
	s_wait_dscnt 0x0
	v_pk_mul_f32 v[128:129], v[124:125], v[126:127] op_sel:[1,1] op_sel_hi:[0,1]
	v_pk_fma_f32 v[130:131], v[124:125], v[126:127], v[128:129] op_sel_hi:[1,0,1]
	v_pk_fma_f32 v[124:125], v[124:125], v[126:127], v[128:129] neg_lo:[0,0,1] neg_hi:[0,0,1]
	s_delay_alu instid0(VALU_DEP_2)
	v_mov_b32_e32 v125, v131
	scratch_store_b64 off, v[124:125], off offset:80
.LBB59_495:
	s_wait_xcnt 0x0
	s_or_b32 exec_lo, exec_lo, s10
	scratch_load_b64 v[124:125], off, off offset:72
	v_cmp_lt_u32_e64 s1, 9, v0
	s_wait_loadcnt 0x0
	ds_store_b64 v1, v[124:125]
	s_wait_storecnt_dscnt 0x0
	s_barrier_signal -1
	s_barrier_wait -1
	s_wait_xcnt 0x0
	s_and_saveexec_b32 s10, s1
	s_cbranch_execz .LBB59_505
; %bb.496:
	s_and_not1_b32 vcc_lo, exec_lo, s3
	s_cbranch_vccnz .LBB59_498
; %bb.497:
	scratch_load_b64 v[124:125], v39, off
	ds_load_b64 v[126:127], v1
	s_wait_loadcnt_dscnt 0x0
	v_pk_mul_f32 v[128:129], v[126:127], v[124:125] op_sel:[1,1] op_sel_hi:[0,1]
	s_delay_alu instid0(VALU_DEP_1) | instskip(SKIP_1) | instid1(VALU_DEP_2)
	v_pk_fma_f32 v[130:131], v[126:127], v[124:125], v[128:129] op_sel_hi:[1,0,1]
	v_pk_fma_f32 v[124:125], v[126:127], v[124:125], v[128:129] neg_lo:[0,0,1] neg_hi:[0,0,1]
	v_mov_b32_e32 v125, v131
	s_cbranch_execz .LBB59_499
	s_branch .LBB59_500
.LBB59_498:
                                        ; implicit-def: $vgpr124_vgpr125
.LBB59_499:
	ds_load_b64 v[124:125], v1
.LBB59_500:
	s_and_saveexec_b32 s11, s0
	s_cbranch_execz .LBB59_504
; %bb.501:
	v_add_nc_u32_e32 v126, -10, v0
	s_movk_i32 s12, 0x230
	s_mov_b32 s0, 0
.LBB59_502:                             ; =>This Inner Loop Header: Depth=1
	scratch_load_b64 v[128:129], off, s9
	v_dual_mov_b32 v127, s12 :: v_dual_add_nc_u32 v126, -1, v126
	s_add_co_i32 s12, s12, 8
	s_wait_xcnt 0x0
	s_add_co_i32 s9, s9, 8
	ds_load_b64 v[130:131], v127
	v_cmp_eq_u32_e32 vcc_lo, 0, v126
	s_or_b32 s0, vcc_lo, s0
	s_wait_loadcnt_dscnt 0x0
	v_pk_mul_f32 v[132:133], v[130:131], v[128:129] op_sel:[1,1] op_sel_hi:[0,1]
	s_delay_alu instid0(VALU_DEP_1) | instskip(SKIP_1) | instid1(VALU_DEP_2)
	v_pk_fma_f32 v[134:135], v[130:131], v[128:129], v[132:133] op_sel_hi:[1,0,1]
	v_pk_fma_f32 v[128:129], v[130:131], v[128:129], v[132:133] neg_lo:[0,0,1] neg_hi:[0,0,1]
	v_mov_b32_e32 v129, v135
	s_delay_alu instid0(VALU_DEP_1)
	v_pk_add_f32 v[124:125], v[124:125], v[128:129]
	s_and_not1_b32 exec_lo, exec_lo, s0
	s_cbranch_execnz .LBB59_502
; %bb.503:
	s_or_b32 exec_lo, exec_lo, s0
.LBB59_504:
	s_delay_alu instid0(SALU_CYCLE_1) | instskip(SKIP_4) | instid1(VALU_DEP_1)
	s_or_b32 exec_lo, exec_lo, s11
	v_mov_b32_e32 v126, 0
	ds_load_b64 v[126:127], v126 offset:72
	s_wait_dscnt 0x0
	v_pk_mul_f32 v[128:129], v[124:125], v[126:127] op_sel:[1,1] op_sel_hi:[0,1]
	v_pk_fma_f32 v[130:131], v[124:125], v[126:127], v[128:129] op_sel_hi:[1,0,1]
	v_pk_fma_f32 v[124:125], v[124:125], v[126:127], v[128:129] neg_lo:[0,0,1] neg_hi:[0,0,1]
	s_delay_alu instid0(VALU_DEP_2)
	v_mov_b32_e32 v125, v131
	scratch_store_b64 off, v[124:125], off offset:72
.LBB59_505:
	s_wait_xcnt 0x0
	s_or_b32 exec_lo, exec_lo, s10
	scratch_load_b64 v[124:125], off, off offset:64
	v_cmp_lt_u32_e64 s0, 8, v0
	s_wait_loadcnt 0x0
	ds_store_b64 v1, v[124:125]
	s_wait_storecnt_dscnt 0x0
	s_barrier_signal -1
	s_barrier_wait -1
	s_wait_xcnt 0x0
	s_and_saveexec_b32 s9, s0
	s_cbranch_execz .LBB59_515
; %bb.506:
	s_and_not1_b32 vcc_lo, exec_lo, s3
	s_cbranch_vccnz .LBB59_508
; %bb.507:
	scratch_load_b64 v[124:125], v39, off
	ds_load_b64 v[126:127], v1
	s_wait_loadcnt_dscnt 0x0
	v_pk_mul_f32 v[128:129], v[126:127], v[124:125] op_sel:[1,1] op_sel_hi:[0,1]
	s_delay_alu instid0(VALU_DEP_1) | instskip(SKIP_1) | instid1(VALU_DEP_2)
	v_pk_fma_f32 v[130:131], v[126:127], v[124:125], v[128:129] op_sel_hi:[1,0,1]
	v_pk_fma_f32 v[124:125], v[126:127], v[124:125], v[128:129] neg_lo:[0,0,1] neg_hi:[0,0,1]
	v_mov_b32_e32 v125, v131
	s_cbranch_execz .LBB59_509
	s_branch .LBB59_510
.LBB59_508:
                                        ; implicit-def: $vgpr124_vgpr125
.LBB59_509:
	ds_load_b64 v[124:125], v1
.LBB59_510:
	s_and_saveexec_b32 s10, s1
	s_cbranch_execz .LBB59_514
; %bb.511:
	v_add_nc_u32_e32 v126, -9, v0
	s_movk_i32 s1, 0x48
	s_movk_i32 s12, 0x228
	s_mov_b32 s11, 0
.LBB59_512:                             ; =>This Inner Loop Header: Depth=1
	scratch_load_b64 v[128:129], off, s1
	v_dual_mov_b32 v127, s12 :: v_dual_add_nc_u32 v126, -1, v126
	s_add_co_i32 s12, s12, 8
	s_wait_xcnt 0x0
	s_add_co_i32 s1, s1, 8
	ds_load_b64 v[130:131], v127
	v_cmp_eq_u32_e32 vcc_lo, 0, v126
	s_or_b32 s11, vcc_lo, s11
	s_wait_loadcnt_dscnt 0x0
	v_pk_mul_f32 v[132:133], v[130:131], v[128:129] op_sel:[1,1] op_sel_hi:[0,1]
	s_delay_alu instid0(VALU_DEP_1) | instskip(SKIP_1) | instid1(VALU_DEP_2)
	v_pk_fma_f32 v[134:135], v[130:131], v[128:129], v[132:133] op_sel_hi:[1,0,1]
	v_pk_fma_f32 v[128:129], v[130:131], v[128:129], v[132:133] neg_lo:[0,0,1] neg_hi:[0,0,1]
	v_mov_b32_e32 v129, v135
	s_delay_alu instid0(VALU_DEP_1)
	v_pk_add_f32 v[124:125], v[124:125], v[128:129]
	s_and_not1_b32 exec_lo, exec_lo, s11
	s_cbranch_execnz .LBB59_512
; %bb.513:
	s_or_b32 exec_lo, exec_lo, s11
.LBB59_514:
	s_delay_alu instid0(SALU_CYCLE_1) | instskip(SKIP_4) | instid1(VALU_DEP_1)
	s_or_b32 exec_lo, exec_lo, s10
	v_mov_b32_e32 v126, 0
	ds_load_b64 v[126:127], v126 offset:64
	s_wait_dscnt 0x0
	v_pk_mul_f32 v[128:129], v[124:125], v[126:127] op_sel:[1,1] op_sel_hi:[0,1]
	v_pk_fma_f32 v[130:131], v[124:125], v[126:127], v[128:129] op_sel_hi:[1,0,1]
	v_pk_fma_f32 v[124:125], v[124:125], v[126:127], v[128:129] neg_lo:[0,0,1] neg_hi:[0,0,1]
	s_delay_alu instid0(VALU_DEP_2)
	v_mov_b32_e32 v125, v131
	scratch_store_b64 off, v[124:125], off offset:64
.LBB59_515:
	s_wait_xcnt 0x0
	s_or_b32 exec_lo, exec_lo, s9
	scratch_load_b64 v[124:125], off, off offset:56
	v_cmp_lt_u32_e64 s1, 7, v0
	s_wait_loadcnt 0x0
	ds_store_b64 v1, v[124:125]
	s_wait_storecnt_dscnt 0x0
	s_barrier_signal -1
	s_barrier_wait -1
	s_wait_xcnt 0x0
	s_and_saveexec_b32 s9, s1
	s_cbranch_execz .LBB59_525
; %bb.516:
	s_and_not1_b32 vcc_lo, exec_lo, s3
	s_cbranch_vccnz .LBB59_518
; %bb.517:
	scratch_load_b64 v[124:125], v39, off
	ds_load_b64 v[126:127], v1
	s_wait_loadcnt_dscnt 0x0
	v_pk_mul_f32 v[128:129], v[126:127], v[124:125] op_sel:[1,1] op_sel_hi:[0,1]
	s_delay_alu instid0(VALU_DEP_1) | instskip(SKIP_1) | instid1(VALU_DEP_2)
	v_pk_fma_f32 v[130:131], v[126:127], v[124:125], v[128:129] op_sel_hi:[1,0,1]
	v_pk_fma_f32 v[124:125], v[126:127], v[124:125], v[128:129] neg_lo:[0,0,1] neg_hi:[0,0,1]
	v_mov_b32_e32 v125, v131
	s_cbranch_execz .LBB59_519
	s_branch .LBB59_520
.LBB59_518:
                                        ; implicit-def: $vgpr124_vgpr125
.LBB59_519:
	ds_load_b64 v[124:125], v1
.LBB59_520:
	s_and_saveexec_b32 s10, s0
	s_cbranch_execz .LBB59_524
; %bb.521:
	v_add_nc_u32_e32 v126, -8, v0
	s_movk_i32 s11, 0x220
	s_mov_b32 s0, 0
.LBB59_522:                             ; =>This Inner Loop Header: Depth=1
	scratch_load_b64 v[128:129], off, s8
	v_dual_mov_b32 v127, s11 :: v_dual_add_nc_u32 v126, -1, v126
	s_add_co_i32 s11, s11, 8
	s_wait_xcnt 0x0
	s_add_co_i32 s8, s8, 8
	ds_load_b64 v[130:131], v127
	v_cmp_eq_u32_e32 vcc_lo, 0, v126
	s_or_b32 s0, vcc_lo, s0
	s_wait_loadcnt_dscnt 0x0
	v_pk_mul_f32 v[132:133], v[130:131], v[128:129] op_sel:[1,1] op_sel_hi:[0,1]
	s_delay_alu instid0(VALU_DEP_1) | instskip(SKIP_1) | instid1(VALU_DEP_2)
	v_pk_fma_f32 v[134:135], v[130:131], v[128:129], v[132:133] op_sel_hi:[1,0,1]
	v_pk_fma_f32 v[128:129], v[130:131], v[128:129], v[132:133] neg_lo:[0,0,1] neg_hi:[0,0,1]
	v_mov_b32_e32 v129, v135
	s_delay_alu instid0(VALU_DEP_1)
	v_pk_add_f32 v[124:125], v[124:125], v[128:129]
	s_and_not1_b32 exec_lo, exec_lo, s0
	s_cbranch_execnz .LBB59_522
; %bb.523:
	s_or_b32 exec_lo, exec_lo, s0
.LBB59_524:
	s_delay_alu instid0(SALU_CYCLE_1) | instskip(SKIP_4) | instid1(VALU_DEP_1)
	s_or_b32 exec_lo, exec_lo, s10
	v_mov_b32_e32 v126, 0
	ds_load_b64 v[126:127], v126 offset:56
	s_wait_dscnt 0x0
	v_pk_mul_f32 v[128:129], v[124:125], v[126:127] op_sel:[1,1] op_sel_hi:[0,1]
	v_pk_fma_f32 v[130:131], v[124:125], v[126:127], v[128:129] op_sel_hi:[1,0,1]
	v_pk_fma_f32 v[124:125], v[124:125], v[126:127], v[128:129] neg_lo:[0,0,1] neg_hi:[0,0,1]
	s_delay_alu instid0(VALU_DEP_2)
	v_mov_b32_e32 v125, v131
	scratch_store_b64 off, v[124:125], off offset:56
.LBB59_525:
	s_wait_xcnt 0x0
	s_or_b32 exec_lo, exec_lo, s9
	scratch_load_b64 v[124:125], off, off offset:48
	v_cmp_lt_u32_e64 s0, 6, v0
	s_wait_loadcnt 0x0
	ds_store_b64 v1, v[124:125]
	s_wait_storecnt_dscnt 0x0
	s_barrier_signal -1
	s_barrier_wait -1
	s_wait_xcnt 0x0
	s_and_saveexec_b32 s8, s0
	s_cbranch_execz .LBB59_535
; %bb.526:
	s_and_not1_b32 vcc_lo, exec_lo, s3
	s_cbranch_vccnz .LBB59_528
; %bb.527:
	scratch_load_b64 v[124:125], v39, off
	ds_load_b64 v[126:127], v1
	s_wait_loadcnt_dscnt 0x0
	v_pk_mul_f32 v[128:129], v[126:127], v[124:125] op_sel:[1,1] op_sel_hi:[0,1]
	s_delay_alu instid0(VALU_DEP_1) | instskip(SKIP_1) | instid1(VALU_DEP_2)
	v_pk_fma_f32 v[130:131], v[126:127], v[124:125], v[128:129] op_sel_hi:[1,0,1]
	v_pk_fma_f32 v[124:125], v[126:127], v[124:125], v[128:129] neg_lo:[0,0,1] neg_hi:[0,0,1]
	v_mov_b32_e32 v125, v131
	s_cbranch_execz .LBB59_529
	s_branch .LBB59_530
.LBB59_528:
                                        ; implicit-def: $vgpr124_vgpr125
.LBB59_529:
	ds_load_b64 v[124:125], v1
.LBB59_530:
	s_and_saveexec_b32 s9, s1
	s_cbranch_execz .LBB59_534
; %bb.531:
	v_add_nc_u32_e32 v126, -7, v0
	s_mov_b32 s1, 56
	s_movk_i32 s11, 0x218
	s_mov_b32 s10, 0
.LBB59_532:                             ; =>This Inner Loop Header: Depth=1
	scratch_load_b64 v[128:129], off, s1
	v_dual_mov_b32 v127, s11 :: v_dual_add_nc_u32 v126, -1, v126
	s_add_co_i32 s11, s11, 8
	s_wait_xcnt 0x0
	s_add_co_i32 s1, s1, 8
	ds_load_b64 v[130:131], v127
	v_cmp_eq_u32_e32 vcc_lo, 0, v126
	s_or_b32 s10, vcc_lo, s10
	s_wait_loadcnt_dscnt 0x0
	v_pk_mul_f32 v[132:133], v[130:131], v[128:129] op_sel:[1,1] op_sel_hi:[0,1]
	s_delay_alu instid0(VALU_DEP_1) | instskip(SKIP_1) | instid1(VALU_DEP_2)
	v_pk_fma_f32 v[134:135], v[130:131], v[128:129], v[132:133] op_sel_hi:[1,0,1]
	v_pk_fma_f32 v[128:129], v[130:131], v[128:129], v[132:133] neg_lo:[0,0,1] neg_hi:[0,0,1]
	v_mov_b32_e32 v129, v135
	s_delay_alu instid0(VALU_DEP_1)
	v_pk_add_f32 v[124:125], v[124:125], v[128:129]
	s_and_not1_b32 exec_lo, exec_lo, s10
	s_cbranch_execnz .LBB59_532
; %bb.533:
	s_or_b32 exec_lo, exec_lo, s10
.LBB59_534:
	s_delay_alu instid0(SALU_CYCLE_1) | instskip(SKIP_4) | instid1(VALU_DEP_1)
	s_or_b32 exec_lo, exec_lo, s9
	v_mov_b32_e32 v126, 0
	ds_load_b64 v[126:127], v126 offset:48
	s_wait_dscnt 0x0
	v_pk_mul_f32 v[128:129], v[124:125], v[126:127] op_sel:[1,1] op_sel_hi:[0,1]
	v_pk_fma_f32 v[130:131], v[124:125], v[126:127], v[128:129] op_sel_hi:[1,0,1]
	v_pk_fma_f32 v[124:125], v[124:125], v[126:127], v[128:129] neg_lo:[0,0,1] neg_hi:[0,0,1]
	s_delay_alu instid0(VALU_DEP_2)
	v_mov_b32_e32 v125, v131
	scratch_store_b64 off, v[124:125], off offset:48
.LBB59_535:
	s_wait_xcnt 0x0
	s_or_b32 exec_lo, exec_lo, s8
	scratch_load_b64 v[124:125], off, off offset:40
	v_cmp_lt_u32_e64 s1, 5, v0
	s_wait_loadcnt 0x0
	ds_store_b64 v1, v[124:125]
	s_wait_storecnt_dscnt 0x0
	s_barrier_signal -1
	s_barrier_wait -1
	s_wait_xcnt 0x0
	s_and_saveexec_b32 s8, s1
	s_cbranch_execz .LBB59_545
; %bb.536:
	s_and_not1_b32 vcc_lo, exec_lo, s3
	s_cbranch_vccnz .LBB59_538
; %bb.537:
	scratch_load_b64 v[124:125], v39, off
	ds_load_b64 v[126:127], v1
	s_wait_loadcnt_dscnt 0x0
	v_pk_mul_f32 v[128:129], v[126:127], v[124:125] op_sel:[1,1] op_sel_hi:[0,1]
	s_delay_alu instid0(VALU_DEP_1) | instskip(SKIP_1) | instid1(VALU_DEP_2)
	v_pk_fma_f32 v[130:131], v[126:127], v[124:125], v[128:129] op_sel_hi:[1,0,1]
	v_pk_fma_f32 v[124:125], v[126:127], v[124:125], v[128:129] neg_lo:[0,0,1] neg_hi:[0,0,1]
	v_mov_b32_e32 v125, v131
	s_cbranch_execz .LBB59_539
	s_branch .LBB59_540
.LBB59_538:
                                        ; implicit-def: $vgpr124_vgpr125
.LBB59_539:
	ds_load_b64 v[124:125], v1
.LBB59_540:
	s_and_saveexec_b32 s9, s0
	s_cbranch_execz .LBB59_544
; %bb.541:
	v_add_nc_u32_e32 v126, -6, v0
	s_movk_i32 s10, 0x210
	s_mov_b32 s0, 0
.LBB59_542:                             ; =>This Inner Loop Header: Depth=1
	scratch_load_b64 v[128:129], off, s2
	v_dual_mov_b32 v127, s10 :: v_dual_add_nc_u32 v126, -1, v126
	s_add_co_i32 s10, s10, 8
	s_wait_xcnt 0x0
	s_add_co_i32 s2, s2, 8
	ds_load_b64 v[130:131], v127
	v_cmp_eq_u32_e32 vcc_lo, 0, v126
	s_or_b32 s0, vcc_lo, s0
	s_wait_loadcnt_dscnt 0x0
	v_pk_mul_f32 v[132:133], v[130:131], v[128:129] op_sel:[1,1] op_sel_hi:[0,1]
	s_delay_alu instid0(VALU_DEP_1) | instskip(SKIP_1) | instid1(VALU_DEP_2)
	v_pk_fma_f32 v[134:135], v[130:131], v[128:129], v[132:133] op_sel_hi:[1,0,1]
	v_pk_fma_f32 v[128:129], v[130:131], v[128:129], v[132:133] neg_lo:[0,0,1] neg_hi:[0,0,1]
	v_mov_b32_e32 v129, v135
	s_delay_alu instid0(VALU_DEP_1)
	v_pk_add_f32 v[124:125], v[124:125], v[128:129]
	s_and_not1_b32 exec_lo, exec_lo, s0
	s_cbranch_execnz .LBB59_542
; %bb.543:
	s_or_b32 exec_lo, exec_lo, s0
.LBB59_544:
	s_delay_alu instid0(SALU_CYCLE_1) | instskip(SKIP_4) | instid1(VALU_DEP_1)
	s_or_b32 exec_lo, exec_lo, s9
	v_mov_b32_e32 v126, 0
	ds_load_b64 v[126:127], v126 offset:40
	s_wait_dscnt 0x0
	v_pk_mul_f32 v[128:129], v[124:125], v[126:127] op_sel:[1,1] op_sel_hi:[0,1]
	v_pk_fma_f32 v[130:131], v[124:125], v[126:127], v[128:129] op_sel_hi:[1,0,1]
	v_pk_fma_f32 v[124:125], v[124:125], v[126:127], v[128:129] neg_lo:[0,0,1] neg_hi:[0,0,1]
	s_delay_alu instid0(VALU_DEP_2)
	v_mov_b32_e32 v125, v131
	scratch_store_b64 off, v[124:125], off offset:40
.LBB59_545:
	s_wait_xcnt 0x0
	s_or_b32 exec_lo, exec_lo, s8
	scratch_load_b64 v[124:125], off, off offset:32
	v_cmp_lt_u32_e64 s0, 4, v0
	s_wait_loadcnt 0x0
	ds_store_b64 v1, v[124:125]
	s_wait_storecnt_dscnt 0x0
	s_barrier_signal -1
	s_barrier_wait -1
	s_wait_xcnt 0x0
	s_and_saveexec_b32 s2, s0
	s_cbranch_execz .LBB59_555
; %bb.546:
	s_and_not1_b32 vcc_lo, exec_lo, s3
	s_cbranch_vccnz .LBB59_548
; %bb.547:
	scratch_load_b64 v[124:125], v39, off
	ds_load_b64 v[126:127], v1
	s_wait_loadcnt_dscnt 0x0
	v_pk_mul_f32 v[128:129], v[126:127], v[124:125] op_sel:[1,1] op_sel_hi:[0,1]
	s_delay_alu instid0(VALU_DEP_1) | instskip(SKIP_1) | instid1(VALU_DEP_2)
	v_pk_fma_f32 v[130:131], v[126:127], v[124:125], v[128:129] op_sel_hi:[1,0,1]
	v_pk_fma_f32 v[124:125], v[126:127], v[124:125], v[128:129] neg_lo:[0,0,1] neg_hi:[0,0,1]
	v_mov_b32_e32 v125, v131
	s_cbranch_execz .LBB59_549
	s_branch .LBB59_550
.LBB59_548:
                                        ; implicit-def: $vgpr124_vgpr125
.LBB59_549:
	ds_load_b64 v[124:125], v1
.LBB59_550:
	s_and_saveexec_b32 s8, s1
	s_cbranch_execz .LBB59_554
; %bb.551:
	v_add_nc_u32_e32 v126, -5, v0
	s_mov_b32 s1, 40
	s_movk_i32 s10, 0x208
	s_mov_b32 s9, 0
.LBB59_552:                             ; =>This Inner Loop Header: Depth=1
	scratch_load_b64 v[128:129], off, s1
	v_dual_mov_b32 v127, s10 :: v_dual_add_nc_u32 v126, -1, v126
	s_add_co_i32 s10, s10, 8
	s_wait_xcnt 0x0
	s_add_co_i32 s1, s1, 8
	ds_load_b64 v[130:131], v127
	v_cmp_eq_u32_e32 vcc_lo, 0, v126
	s_or_b32 s9, vcc_lo, s9
	s_wait_loadcnt_dscnt 0x0
	v_pk_mul_f32 v[132:133], v[130:131], v[128:129] op_sel:[1,1] op_sel_hi:[0,1]
	s_delay_alu instid0(VALU_DEP_1) | instskip(SKIP_1) | instid1(VALU_DEP_2)
	v_pk_fma_f32 v[134:135], v[130:131], v[128:129], v[132:133] op_sel_hi:[1,0,1]
	v_pk_fma_f32 v[128:129], v[130:131], v[128:129], v[132:133] neg_lo:[0,0,1] neg_hi:[0,0,1]
	v_mov_b32_e32 v129, v135
	s_delay_alu instid0(VALU_DEP_1)
	v_pk_add_f32 v[124:125], v[124:125], v[128:129]
	s_and_not1_b32 exec_lo, exec_lo, s9
	s_cbranch_execnz .LBB59_552
; %bb.553:
	s_or_b32 exec_lo, exec_lo, s9
.LBB59_554:
	s_delay_alu instid0(SALU_CYCLE_1) | instskip(SKIP_4) | instid1(VALU_DEP_1)
	s_or_b32 exec_lo, exec_lo, s8
	v_mov_b32_e32 v126, 0
	ds_load_b64 v[126:127], v126 offset:32
	s_wait_dscnt 0x0
	v_pk_mul_f32 v[128:129], v[124:125], v[126:127] op_sel:[1,1] op_sel_hi:[0,1]
	v_pk_fma_f32 v[130:131], v[124:125], v[126:127], v[128:129] op_sel_hi:[1,0,1]
	v_pk_fma_f32 v[124:125], v[124:125], v[126:127], v[128:129] neg_lo:[0,0,1] neg_hi:[0,0,1]
	s_delay_alu instid0(VALU_DEP_2)
	v_mov_b32_e32 v125, v131
	scratch_store_b64 off, v[124:125], off offset:32
.LBB59_555:
	s_wait_xcnt 0x0
	s_or_b32 exec_lo, exec_lo, s2
	scratch_load_b64 v[124:125], off, off offset:24
	v_cmp_lt_u32_e64 s2, 3, v0
	s_wait_loadcnt 0x0
	ds_store_b64 v1, v[124:125]
	s_wait_storecnt_dscnt 0x0
	s_barrier_signal -1
	s_barrier_wait -1
	s_wait_xcnt 0x0
	s_and_saveexec_b32 s1, s2
	s_cbranch_execz .LBB59_565
; %bb.556:
	s_and_not1_b32 vcc_lo, exec_lo, s3
	s_cbranch_vccnz .LBB59_558
; %bb.557:
	scratch_load_b64 v[124:125], v39, off
	ds_load_b64 v[126:127], v1
	s_wait_loadcnt_dscnt 0x0
	v_pk_mul_f32 v[128:129], v[126:127], v[124:125] op_sel:[1,1] op_sel_hi:[0,1]
	s_delay_alu instid0(VALU_DEP_1) | instskip(SKIP_1) | instid1(VALU_DEP_2)
	v_pk_fma_f32 v[130:131], v[126:127], v[124:125], v[128:129] op_sel_hi:[1,0,1]
	v_pk_fma_f32 v[124:125], v[126:127], v[124:125], v[128:129] neg_lo:[0,0,1] neg_hi:[0,0,1]
	v_mov_b32_e32 v125, v131
	s_cbranch_execz .LBB59_559
	s_branch .LBB59_560
.LBB59_558:
                                        ; implicit-def: $vgpr124_vgpr125
.LBB59_559:
	ds_load_b64 v[124:125], v1
.LBB59_560:
	s_and_saveexec_b32 s8, s0
	s_cbranch_execz .LBB59_564
; %bb.561:
	v_add_nc_u32_e32 v126, -4, v0
	s_movk_i32 s9, 0x200
	s_mov_b32 s0, 0
.LBB59_562:                             ; =>This Inner Loop Header: Depth=1
	scratch_load_b64 v[128:129], off, s5
	v_dual_mov_b32 v127, s9 :: v_dual_add_nc_u32 v126, -1, v126
	s_add_co_i32 s9, s9, 8
	s_wait_xcnt 0x0
	s_add_co_i32 s5, s5, 8
	ds_load_b64 v[130:131], v127
	v_cmp_eq_u32_e32 vcc_lo, 0, v126
	s_or_b32 s0, vcc_lo, s0
	s_wait_loadcnt_dscnt 0x0
	v_pk_mul_f32 v[132:133], v[130:131], v[128:129] op_sel:[1,1] op_sel_hi:[0,1]
	s_delay_alu instid0(VALU_DEP_1) | instskip(SKIP_1) | instid1(VALU_DEP_2)
	v_pk_fma_f32 v[134:135], v[130:131], v[128:129], v[132:133] op_sel_hi:[1,0,1]
	v_pk_fma_f32 v[128:129], v[130:131], v[128:129], v[132:133] neg_lo:[0,0,1] neg_hi:[0,0,1]
	v_mov_b32_e32 v129, v135
	s_delay_alu instid0(VALU_DEP_1)
	v_pk_add_f32 v[124:125], v[124:125], v[128:129]
	s_and_not1_b32 exec_lo, exec_lo, s0
	s_cbranch_execnz .LBB59_562
; %bb.563:
	s_or_b32 exec_lo, exec_lo, s0
.LBB59_564:
	s_delay_alu instid0(SALU_CYCLE_1) | instskip(SKIP_4) | instid1(VALU_DEP_1)
	s_or_b32 exec_lo, exec_lo, s8
	v_mov_b32_e32 v126, 0
	ds_load_b64 v[126:127], v126 offset:24
	s_wait_dscnt 0x0
	v_pk_mul_f32 v[128:129], v[124:125], v[126:127] op_sel:[1,1] op_sel_hi:[0,1]
	v_pk_fma_f32 v[130:131], v[124:125], v[126:127], v[128:129] op_sel_hi:[1,0,1]
	v_pk_fma_f32 v[124:125], v[124:125], v[126:127], v[128:129] neg_lo:[0,0,1] neg_hi:[0,0,1]
	s_delay_alu instid0(VALU_DEP_2)
	v_mov_b32_e32 v125, v131
	scratch_store_b64 off, v[124:125], off offset:24
.LBB59_565:
	s_wait_xcnt 0x0
	s_or_b32 exec_lo, exec_lo, s1
	scratch_load_b64 v[124:125], off, off offset:16
	v_cmp_lt_u32_e64 s1, 2, v0
	s_wait_loadcnt 0x0
	ds_store_b64 v1, v[124:125]
	s_wait_storecnt_dscnt 0x0
	s_barrier_signal -1
	s_barrier_wait -1
	s_wait_xcnt 0x0
	s_and_saveexec_b32 s0, s1
	s_cbranch_execz .LBB59_575
; %bb.566:
	s_and_not1_b32 vcc_lo, exec_lo, s3
	s_cbranch_vccnz .LBB59_568
; %bb.567:
	scratch_load_b64 v[124:125], v39, off
	ds_load_b64 v[126:127], v1
	s_wait_loadcnt_dscnt 0x0
	v_pk_mul_f32 v[128:129], v[126:127], v[124:125] op_sel:[1,1] op_sel_hi:[0,1]
	s_delay_alu instid0(VALU_DEP_1) | instskip(SKIP_1) | instid1(VALU_DEP_2)
	v_pk_fma_f32 v[130:131], v[126:127], v[124:125], v[128:129] op_sel_hi:[1,0,1]
	v_pk_fma_f32 v[124:125], v[126:127], v[124:125], v[128:129] neg_lo:[0,0,1] neg_hi:[0,0,1]
	v_mov_b32_e32 v125, v131
	s_cbranch_execz .LBB59_569
	s_branch .LBB59_570
.LBB59_568:
                                        ; implicit-def: $vgpr124_vgpr125
.LBB59_569:
	ds_load_b64 v[124:125], v1
.LBB59_570:
	s_and_saveexec_b32 s5, s2
	s_cbranch_execz .LBB59_574
; %bb.571:
	v_add_nc_u32_e32 v126, -3, v0
	s_mov_b32 s2, 24
	s_movk_i32 s9, 0x1f8
	s_mov_b32 s8, 0
.LBB59_572:                             ; =>This Inner Loop Header: Depth=1
	scratch_load_b64 v[128:129], off, s2
	v_dual_mov_b32 v127, s9 :: v_dual_add_nc_u32 v126, -1, v126
	s_add_co_i32 s9, s9, 8
	s_wait_xcnt 0x0
	s_add_co_i32 s2, s2, 8
	ds_load_b64 v[130:131], v127
	v_cmp_eq_u32_e32 vcc_lo, 0, v126
	s_or_b32 s8, vcc_lo, s8
	s_wait_loadcnt_dscnt 0x0
	v_pk_mul_f32 v[132:133], v[130:131], v[128:129] op_sel:[1,1] op_sel_hi:[0,1]
	s_delay_alu instid0(VALU_DEP_1) | instskip(SKIP_1) | instid1(VALU_DEP_2)
	v_pk_fma_f32 v[134:135], v[130:131], v[128:129], v[132:133] op_sel_hi:[1,0,1]
	v_pk_fma_f32 v[128:129], v[130:131], v[128:129], v[132:133] neg_lo:[0,0,1] neg_hi:[0,0,1]
	v_mov_b32_e32 v129, v135
	s_delay_alu instid0(VALU_DEP_1)
	v_pk_add_f32 v[124:125], v[124:125], v[128:129]
	s_and_not1_b32 exec_lo, exec_lo, s8
	s_cbranch_execnz .LBB59_572
; %bb.573:
	s_or_b32 exec_lo, exec_lo, s8
.LBB59_574:
	s_delay_alu instid0(SALU_CYCLE_1) | instskip(SKIP_4) | instid1(VALU_DEP_1)
	s_or_b32 exec_lo, exec_lo, s5
	v_mov_b32_e32 v126, 0
	ds_load_b64 v[126:127], v126 offset:16
	s_wait_dscnt 0x0
	v_pk_mul_f32 v[128:129], v[124:125], v[126:127] op_sel:[1,1] op_sel_hi:[0,1]
	v_pk_fma_f32 v[130:131], v[124:125], v[126:127], v[128:129] op_sel_hi:[1,0,1]
	v_pk_fma_f32 v[124:125], v[124:125], v[126:127], v[128:129] neg_lo:[0,0,1] neg_hi:[0,0,1]
	s_delay_alu instid0(VALU_DEP_2)
	v_mov_b32_e32 v125, v131
	scratch_store_b64 off, v[124:125], off offset:16
.LBB59_575:
	s_wait_xcnt 0x0
	s_or_b32 exec_lo, exec_lo, s0
	scratch_load_b64 v[124:125], off, off offset:8
	v_cmp_lt_u32_e64 s0, 1, v0
	s_wait_loadcnt 0x0
	ds_store_b64 v1, v[124:125]
	s_wait_storecnt_dscnt 0x0
	s_barrier_signal -1
	s_barrier_wait -1
	s_wait_xcnt 0x0
	s_and_saveexec_b32 s2, s0
	s_cbranch_execz .LBB59_585
; %bb.576:
	s_and_not1_b32 vcc_lo, exec_lo, s3
	s_cbranch_vccnz .LBB59_578
; %bb.577:
	scratch_load_b64 v[124:125], v39, off
	ds_load_b64 v[126:127], v1
	s_wait_loadcnt_dscnt 0x0
	v_pk_mul_f32 v[128:129], v[126:127], v[124:125] op_sel:[1,1] op_sel_hi:[0,1]
	s_delay_alu instid0(VALU_DEP_1) | instskip(SKIP_1) | instid1(VALU_DEP_2)
	v_pk_fma_f32 v[130:131], v[126:127], v[124:125], v[128:129] op_sel_hi:[1,0,1]
	v_pk_fma_f32 v[124:125], v[126:127], v[124:125], v[128:129] neg_lo:[0,0,1] neg_hi:[0,0,1]
	v_mov_b32_e32 v125, v131
	s_cbranch_execz .LBB59_579
	s_branch .LBB59_580
.LBB59_578:
                                        ; implicit-def: $vgpr124_vgpr125
.LBB59_579:
	ds_load_b64 v[124:125], v1
.LBB59_580:
	s_and_saveexec_b32 s5, s1
	s_cbranch_execz .LBB59_584
; %bb.581:
	v_add_nc_u32_e32 v126, -2, v0
	s_movk_i32 s8, 0x1f0
	s_mov_b32 s1, 0
.LBB59_582:                             ; =>This Inner Loop Header: Depth=1
	scratch_load_b64 v[128:129], off, s4
	v_dual_mov_b32 v127, s8 :: v_dual_add_nc_u32 v126, -1, v126
	s_add_co_i32 s8, s8, 8
	s_wait_xcnt 0x0
	s_add_co_i32 s4, s4, 8
	ds_load_b64 v[130:131], v127
	v_cmp_eq_u32_e32 vcc_lo, 0, v126
	s_or_b32 s1, vcc_lo, s1
	s_wait_loadcnt_dscnt 0x0
	v_pk_mul_f32 v[132:133], v[130:131], v[128:129] op_sel:[1,1] op_sel_hi:[0,1]
	s_delay_alu instid0(VALU_DEP_1) | instskip(SKIP_1) | instid1(VALU_DEP_2)
	v_pk_fma_f32 v[134:135], v[130:131], v[128:129], v[132:133] op_sel_hi:[1,0,1]
	v_pk_fma_f32 v[128:129], v[130:131], v[128:129], v[132:133] neg_lo:[0,0,1] neg_hi:[0,0,1]
	v_mov_b32_e32 v129, v135
	s_delay_alu instid0(VALU_DEP_1)
	v_pk_add_f32 v[124:125], v[124:125], v[128:129]
	s_and_not1_b32 exec_lo, exec_lo, s1
	s_cbranch_execnz .LBB59_582
; %bb.583:
	s_or_b32 exec_lo, exec_lo, s1
.LBB59_584:
	s_delay_alu instid0(SALU_CYCLE_1) | instskip(SKIP_4) | instid1(VALU_DEP_1)
	s_or_b32 exec_lo, exec_lo, s5
	v_mov_b32_e32 v126, 0
	ds_load_b64 v[126:127], v126 offset:8
	s_wait_dscnt 0x0
	v_pk_mul_f32 v[128:129], v[124:125], v[126:127] op_sel:[1,1] op_sel_hi:[0,1]
	v_pk_fma_f32 v[130:131], v[124:125], v[126:127], v[128:129] op_sel_hi:[1,0,1]
	v_pk_fma_f32 v[124:125], v[124:125], v[126:127], v[128:129] neg_lo:[0,0,1] neg_hi:[0,0,1]
	s_delay_alu instid0(VALU_DEP_2)
	v_mov_b32_e32 v125, v131
	scratch_store_b64 off, v[124:125], off offset:8
.LBB59_585:
	s_wait_xcnt 0x0
	s_or_b32 exec_lo, exec_lo, s2
	scratch_load_b64 v[124:125], off, off
	s_mov_b32 s2, 0
	s_mov_b32 s1, 0
	s_mov_b32 s5, exec_lo
                                        ; implicit-def: $vgpr172
                                        ; implicit-def: $sgpr4
	s_wait_loadcnt 0x0
	ds_store_b64 v1, v[124:125]
	s_wait_storecnt_dscnt 0x0
	s_barrier_signal -1
	s_barrier_wait -1
	s_wait_xcnt 0x0
	v_cmpx_ne_u32_e32 0, v0
	s_cbranch_execz .LBB59_595
; %bb.586:
	s_and_not1_b32 vcc_lo, exec_lo, s3
	s_cbranch_vccnz .LBB59_588
; %bb.587:
	scratch_load_b64 v[126:127], v39, off
	ds_load_b64 v[128:129], v1
	s_wait_loadcnt_dscnt 0x0
	v_dual_mul_f32 v124, v129, v127 :: v_dual_mul_f32 v125, v128, v127
	s_delay_alu instid0(VALU_DEP_1)
	v_dual_fma_f32 v124, v128, v126, -v124 :: v_dual_fmac_f32 v125, v129, v126
	s_and_not1_b32 vcc_lo, exec_lo, s1
	s_cbranch_vccz .LBB59_589
	s_branch .LBB59_590
.LBB59_588:
                                        ; implicit-def: $vgpr124
.LBB59_589:
	ds_load_b64 v[124:125], v1
.LBB59_590:
	s_and_saveexec_b32 s1, s0
	s_cbranch_execz .LBB59_594
; %bb.591:
	v_add_nc_u32_e32 v126, -1, v0
	s_or_b32 s0, 0, 8
	s_movk_i32 s8, 0x1e8
	s_mov_b32 s4, 0
.LBB59_592:                             ; =>This Inner Loop Header: Depth=1
	scratch_load_b64 v[128:129], off, s0
	v_mov_b32_e32 v127, s8
	s_add_co_i32 s8, s8, 8
	s_wait_xcnt 0x0
	s_add_co_i32 s0, s0, 8
	v_add_nc_u32_e32 v126, -1, v126
	ds_load_b64 v[130:131], v127
	v_cmp_eq_u32_e32 vcc_lo, 0, v126
	s_or_b32 s4, vcc_lo, s4
	s_wait_loadcnt_dscnt 0x0
	v_dual_mul_f32 v127, v131, v129 :: v_dual_mul_f32 v129, v130, v129
	s_delay_alu instid0(VALU_DEP_1) | instskip(NEXT) | instid1(VALU_DEP_1)
	v_dual_fma_f32 v127, v130, v128, -v127 :: v_dual_fmac_f32 v129, v131, v128
	v_dual_add_f32 v124, v124, v127 :: v_dual_add_f32 v125, v125, v129
	s_and_not1_b32 exec_lo, exec_lo, s4
	s_cbranch_execnz .LBB59_592
; %bb.593:
	s_or_b32 exec_lo, exec_lo, s4
.LBB59_594:
	s_delay_alu instid0(SALU_CYCLE_1)
	s_or_b32 exec_lo, exec_lo, s1
	v_mov_b32_e32 v126, 0
	s_mov_b32 s1, exec_lo
	s_or_b32 s4, 0, 4
	ds_load_b64 v[126:127], v126
	s_wait_dscnt 0x0
	v_dual_mul_f32 v128, v125, v127 :: v_dual_mul_f32 v172, v124, v127
	s_delay_alu instid0(VALU_DEP_1) | instskip(NEXT) | instid1(VALU_DEP_2)
	v_fma_f32 v124, v124, v126, -v128
	v_fmac_f32_e32 v172, v125, v126
	scratch_store_b32 off, v124, off
.LBB59_595:
	s_wait_xcnt 0x0
	s_or_b32 exec_lo, exec_lo, s5
	s_delay_alu instid0(SALU_CYCLE_1)
	s_and_b32 vcc_lo, exec_lo, s2
	s_cbranch_vccz .LBB59_1181
.LBB59_596:
	scratch_load_b64 v[124:125], off, off offset:8
	v_cmp_eq_u32_e64 s0, 0, v0
	s_wait_loadcnt 0x0
	ds_store_b64 v1, v[124:125]
	s_wait_storecnt_dscnt 0x0
	s_barrier_signal -1
	s_barrier_wait -1
	s_wait_xcnt 0x0
	s_and_saveexec_b32 s2, s0
	s_cbranch_execz .LBB59_602
; %bb.597:
	s_and_b32 vcc_lo, exec_lo, s3
	s_cbranch_vccz .LBB59_599
; %bb.598:
	scratch_load_b64 v[124:125], v39, off
	ds_load_b64 v[126:127], v1
	s_wait_loadcnt_dscnt 0x0
	v_pk_mul_f32 v[128:129], v[126:127], v[124:125] op_sel:[1,1] op_sel_hi:[0,1]
	v_pk_mul_f32 v[130:131], v[126:127], v[124:125] op_sel_hi:[1,0]
	s_delay_alu instid0(VALU_DEP_2) | instskip(NEXT) | instid1(VALU_DEP_2)
	v_pk_fma_f32 v[124:125], v[126:127], v[124:125], v[128:129] op_sel_hi:[1,0,1]
	v_sub_f32_e32 v124, v130, v128
	s_cbranch_execz .LBB59_600
	s_branch .LBB59_601
.LBB59_599:
                                        ; implicit-def: $vgpr125
.LBB59_600:
	ds_load_b64 v[124:125], v1
.LBB59_601:
	s_wait_dscnt 0x0
	v_dual_mov_b32 v126, 0 :: v_dual_mov_b32 v128, v125
	v_mov_b32_e32 v129, v124
	ds_load_b64 v[126:127], v126 offset:8
	s_wait_dscnt 0x0
	v_pk_mul_f32 v[128:129], v[128:129], v[126:127] op_sel:[0,1]
	s_delay_alu instid0(VALU_DEP_1) | instskip(SKIP_1) | instid1(VALU_DEP_2)
	v_pk_fma_f32 v[130:131], v[124:125], v[126:127], v[128:129] op_sel_hi:[1,0,1]
	v_pk_fma_f32 v[124:125], v[124:125], v[126:127], v[128:129] neg_lo:[0,0,1] neg_hi:[0,0,1]
	v_mov_b32_e32 v125, v131
	scratch_store_b64 off, v[124:125], off offset:8
.LBB59_602:
	s_wait_xcnt 0x0
	s_or_b32 exec_lo, exec_lo, s2
	scratch_load_b64 v[124:125], off, off offset:16
	v_cndmask_b32_e64 v126, 0, 1, s3
	s_mov_b32 s2, exec_lo
	s_wait_loadcnt 0x0
	ds_store_b64 v1, v[124:125]
	s_wait_storecnt_dscnt 0x0
	s_barrier_signal -1
	s_barrier_wait -1
	s_wait_xcnt 0x0
	v_cmpx_gt_u32_e32 2, v0
	s_cbranch_execz .LBB59_610
; %bb.603:
	s_and_not1_b32 vcc_lo, exec_lo, s3
	s_cbranch_vccnz .LBB59_605
; %bb.604:
	scratch_load_b64 v[124:125], v39, off
	ds_load_b64 v[128:129], v1
	s_wait_loadcnt_dscnt 0x0
	v_pk_mul_f32 v[130:131], v[128:129], v[124:125] op_sel:[1,1] op_sel_hi:[0,1]
	s_delay_alu instid0(VALU_DEP_1) | instskip(SKIP_1) | instid1(VALU_DEP_2)
	v_pk_fma_f32 v[132:133], v[128:129], v[124:125], v[130:131] op_sel_hi:[1,0,1]
	v_pk_fma_f32 v[124:125], v[128:129], v[124:125], v[130:131] neg_lo:[0,0,1] neg_hi:[0,0,1]
	v_mov_b32_e32 v125, v133
	s_cbranch_execz .LBB59_606
	s_branch .LBB59_607
.LBB59_605:
                                        ; implicit-def: $vgpr124_vgpr125
.LBB59_606:
	ds_load_b64 v[124:125], v1
.LBB59_607:
	s_and_saveexec_b32 s3, s0
	s_cbranch_execz .LBB59_609
; %bb.608:
	scratch_load_b64 v[128:129], off, off offset:8
	v_mov_b32_e32 v127, 0
	ds_load_b64 v[130:131], v127 offset:488
	s_wait_loadcnt_dscnt 0x0
	v_pk_mul_f32 v[132:133], v[130:131], v[128:129] op_sel:[1,1] op_sel_hi:[0,1]
	s_delay_alu instid0(VALU_DEP_1) | instskip(SKIP_1) | instid1(VALU_DEP_2)
	v_pk_fma_f32 v[134:135], v[130:131], v[128:129], v[132:133] op_sel_hi:[1,0,1]
	v_pk_fma_f32 v[128:129], v[130:131], v[128:129], v[132:133] neg_lo:[0,0,1] neg_hi:[0,0,1]
	v_mov_b32_e32 v129, v135
	s_delay_alu instid0(VALU_DEP_1)
	v_pk_add_f32 v[124:125], v[124:125], v[128:129]
.LBB59_609:
	s_or_b32 exec_lo, exec_lo, s3
	v_mov_b32_e32 v127, 0
	ds_load_b64 v[128:129], v127 offset:16
	s_wait_dscnt 0x0
	v_pk_mul_f32 v[130:131], v[124:125], v[128:129] op_sel:[1,1] op_sel_hi:[0,1]
	s_delay_alu instid0(VALU_DEP_1) | instskip(SKIP_1) | instid1(VALU_DEP_2)
	v_pk_fma_f32 v[132:133], v[124:125], v[128:129], v[130:131] op_sel_hi:[1,0,1]
	v_pk_fma_f32 v[124:125], v[124:125], v[128:129], v[130:131] neg_lo:[0,0,1] neg_hi:[0,0,1]
	v_mov_b32_e32 v125, v133
	scratch_store_b64 off, v[124:125], off offset:16
.LBB59_610:
	s_wait_xcnt 0x0
	s_or_b32 exec_lo, exec_lo, s2
	scratch_load_b64 v[124:125], off, off offset:24
	s_mov_b32 s2, exec_lo
	s_wait_loadcnt 0x0
	ds_store_b64 v1, v[124:125]
	s_wait_storecnt_dscnt 0x0
	s_barrier_signal -1
	s_barrier_wait -1
	s_wait_xcnt 0x0
	v_cmpx_gt_u32_e32 3, v0
	s_cbranch_execz .LBB59_620
; %bb.611:
	v_cmp_ne_u32_e32 vcc_lo, 1, v126
	s_cbranch_vccnz .LBB59_613
; %bb.612:
	scratch_load_b64 v[124:125], v39, off
	ds_load_b64 v[128:129], v1
	s_wait_loadcnt_dscnt 0x0
	v_pk_mul_f32 v[130:131], v[128:129], v[124:125] op_sel:[1,1] op_sel_hi:[0,1]
	s_delay_alu instid0(VALU_DEP_1) | instskip(SKIP_1) | instid1(VALU_DEP_2)
	v_pk_fma_f32 v[132:133], v[128:129], v[124:125], v[130:131] op_sel_hi:[1,0,1]
	v_pk_fma_f32 v[124:125], v[128:129], v[124:125], v[130:131] neg_lo:[0,0,1] neg_hi:[0,0,1]
	v_mov_b32_e32 v125, v133
	s_cbranch_execz .LBB59_614
	s_branch .LBB59_615
.LBB59_613:
                                        ; implicit-def: $vgpr124_vgpr125
.LBB59_614:
	ds_load_b64 v[124:125], v1
.LBB59_615:
	s_mov_b32 s3, exec_lo
	v_cmpx_ne_u32_e32 2, v0
	s_cbranch_execz .LBB59_619
; %bb.616:
	scratch_load_b64 v[128:129], v39, off offset:8
	ds_load_b64 v[130:131], v1 offset:8
	s_wait_loadcnt_dscnt 0x0
	v_pk_mul_f32 v[132:133], v[130:131], v[128:129] op_sel:[1,1] op_sel_hi:[0,1]
	s_delay_alu instid0(VALU_DEP_1) | instskip(SKIP_1) | instid1(VALU_DEP_2)
	v_pk_fma_f32 v[134:135], v[130:131], v[128:129], v[132:133] op_sel_hi:[1,0,1]
	v_pk_fma_f32 v[128:129], v[130:131], v[128:129], v[132:133] neg_lo:[0,0,1] neg_hi:[0,0,1]
	v_mov_b32_e32 v129, v135
	s_delay_alu instid0(VALU_DEP_1)
	v_pk_add_f32 v[124:125], v[124:125], v[128:129]
	s_and_saveexec_b32 s4, s0
	s_cbranch_execz .LBB59_618
; %bb.617:
	scratch_load_b64 v[128:129], off, off offset:16
	v_mov_b32_e32 v127, 0
	ds_load_b64 v[130:131], v127 offset:496
	s_wait_loadcnt_dscnt 0x0
	v_pk_mul_f32 v[132:133], v[130:131], v[128:129] op_sel:[1,1] op_sel_hi:[0,1]
	s_delay_alu instid0(VALU_DEP_1) | instskip(SKIP_1) | instid1(VALU_DEP_2)
	v_pk_fma_f32 v[134:135], v[130:131], v[128:129], v[132:133] op_sel_hi:[1,0,1]
	v_pk_fma_f32 v[128:129], v[130:131], v[128:129], v[132:133] neg_lo:[0,0,1] neg_hi:[0,0,1]
	v_mov_b32_e32 v129, v135
	s_delay_alu instid0(VALU_DEP_1)
	v_pk_add_f32 v[124:125], v[124:125], v[128:129]
.LBB59_618:
	s_or_b32 exec_lo, exec_lo, s4
.LBB59_619:
	s_delay_alu instid0(SALU_CYCLE_1) | instskip(SKIP_4) | instid1(VALU_DEP_1)
	s_or_b32 exec_lo, exec_lo, s3
	v_mov_b32_e32 v127, 0
	ds_load_b64 v[128:129], v127 offset:24
	s_wait_dscnt 0x0
	v_pk_mul_f32 v[130:131], v[124:125], v[128:129] op_sel:[1,1] op_sel_hi:[0,1]
	v_pk_fma_f32 v[132:133], v[124:125], v[128:129], v[130:131] op_sel_hi:[1,0,1]
	v_pk_fma_f32 v[124:125], v[124:125], v[128:129], v[130:131] neg_lo:[0,0,1] neg_hi:[0,0,1]
	s_delay_alu instid0(VALU_DEP_2)
	v_mov_b32_e32 v125, v133
	scratch_store_b64 off, v[124:125], off offset:24
.LBB59_620:
	s_wait_xcnt 0x0
	s_or_b32 exec_lo, exec_lo, s2
	scratch_load_b64 v[124:125], off, off offset:32
	s_mov_b32 s0, exec_lo
	s_wait_loadcnt 0x0
	ds_store_b64 v1, v[124:125]
	s_wait_storecnt_dscnt 0x0
	s_barrier_signal -1
	s_barrier_wait -1
	s_wait_xcnt 0x0
	v_cmpx_gt_u32_e32 4, v0
	s_cbranch_execz .LBB59_630
; %bb.621:
	v_cmp_ne_u32_e32 vcc_lo, 1, v126
	s_cbranch_vccnz .LBB59_623
; %bb.622:
	scratch_load_b64 v[124:125], v39, off
	ds_load_b64 v[128:129], v1
	s_wait_loadcnt_dscnt 0x0
	v_pk_mul_f32 v[130:131], v[128:129], v[124:125] op_sel:[1,1] op_sel_hi:[0,1]
	s_delay_alu instid0(VALU_DEP_1) | instskip(SKIP_1) | instid1(VALU_DEP_2)
	v_pk_fma_f32 v[132:133], v[128:129], v[124:125], v[130:131] op_sel_hi:[1,0,1]
	v_pk_fma_f32 v[124:125], v[128:129], v[124:125], v[130:131] neg_lo:[0,0,1] neg_hi:[0,0,1]
	v_mov_b32_e32 v125, v133
	s_cbranch_execz .LBB59_624
	s_branch .LBB59_625
.LBB59_623:
                                        ; implicit-def: $vgpr124_vgpr125
.LBB59_624:
	ds_load_b64 v[124:125], v1
.LBB59_625:
	s_mov_b32 s2, exec_lo
	v_cmpx_ne_u32_e32 3, v0
	s_cbranch_execz .LBB59_629
; %bb.626:
	v_add_nc_u32_e32 v127, 0x1e8, v38
	v_add3_u32 v128, 0, v38, 8
	v_mov_b32_e32 v129, v0
	s_mov_b32 s3, 0
.LBB59_627:                             ; =>This Inner Loop Header: Depth=1
	scratch_load_b64 v[130:131], v128, off
	ds_load_b64 v[132:133], v127
	s_wait_xcnt 0x0
	v_dual_add_nc_u32 v127, 8, v127 :: v_dual_add_nc_u32 v128, 8, v128
	s_wait_loadcnt_dscnt 0x0
	v_pk_mul_f32 v[134:135], v[132:133], v[130:131] op_sel:[1,1] op_sel_hi:[0,1]
	s_delay_alu instid0(VALU_DEP_1) | instskip(SKIP_2) | instid1(VALU_DEP_3)
	v_pk_fma_f32 v[136:137], v[132:133], v[130:131], v[134:135] op_sel_hi:[1,0,1]
	v_add_nc_u32_e32 v129, 1, v129
	v_pk_fma_f32 v[130:131], v[132:133], v[130:131], v[134:135] neg_lo:[0,0,1] neg_hi:[0,0,1]
	v_mov_b32_e32 v131, v137
	s_delay_alu instid0(VALU_DEP_3) | instskip(NEXT) | instid1(VALU_DEP_2)
	v_cmp_lt_u32_e32 vcc_lo, 2, v129
	v_pk_add_f32 v[124:125], v[124:125], v[130:131]
	s_or_b32 s3, vcc_lo, s3
	s_delay_alu instid0(SALU_CYCLE_1)
	s_and_not1_b32 exec_lo, exec_lo, s3
	s_cbranch_execnz .LBB59_627
; %bb.628:
	s_or_b32 exec_lo, exec_lo, s3
.LBB59_629:
	s_delay_alu instid0(SALU_CYCLE_1) | instskip(SKIP_4) | instid1(VALU_DEP_1)
	s_or_b32 exec_lo, exec_lo, s2
	v_mov_b32_e32 v127, 0
	ds_load_b64 v[128:129], v127 offset:32
	s_wait_dscnt 0x0
	v_pk_mul_f32 v[130:131], v[124:125], v[128:129] op_sel:[1,1] op_sel_hi:[0,1]
	v_pk_fma_f32 v[132:133], v[124:125], v[128:129], v[130:131] op_sel_hi:[1,0,1]
	v_pk_fma_f32 v[124:125], v[124:125], v[128:129], v[130:131] neg_lo:[0,0,1] neg_hi:[0,0,1]
	s_delay_alu instid0(VALU_DEP_2)
	v_mov_b32_e32 v125, v133
	scratch_store_b64 off, v[124:125], off offset:32
.LBB59_630:
	s_wait_xcnt 0x0
	s_or_b32 exec_lo, exec_lo, s0
	scratch_load_b64 v[124:125], off, off offset:40
	s_mov_b32 s0, exec_lo
	s_wait_loadcnt 0x0
	ds_store_b64 v1, v[124:125]
	s_wait_storecnt_dscnt 0x0
	s_barrier_signal -1
	s_barrier_wait -1
	s_wait_xcnt 0x0
	v_cmpx_gt_u32_e32 5, v0
	s_cbranch_execz .LBB59_640
; %bb.631:
	v_cmp_ne_u32_e32 vcc_lo, 1, v126
	s_cbranch_vccnz .LBB59_633
; %bb.632:
	scratch_load_b64 v[124:125], v39, off
	ds_load_b64 v[128:129], v1
	s_wait_loadcnt_dscnt 0x0
	v_pk_mul_f32 v[130:131], v[128:129], v[124:125] op_sel:[1,1] op_sel_hi:[0,1]
	s_delay_alu instid0(VALU_DEP_1) | instskip(SKIP_1) | instid1(VALU_DEP_2)
	v_pk_fma_f32 v[132:133], v[128:129], v[124:125], v[130:131] op_sel_hi:[1,0,1]
	v_pk_fma_f32 v[124:125], v[128:129], v[124:125], v[130:131] neg_lo:[0,0,1] neg_hi:[0,0,1]
	v_mov_b32_e32 v125, v133
	s_cbranch_execz .LBB59_634
	s_branch .LBB59_635
.LBB59_633:
                                        ; implicit-def: $vgpr124_vgpr125
.LBB59_634:
	ds_load_b64 v[124:125], v1
.LBB59_635:
	s_mov_b32 s2, exec_lo
	v_cmpx_ne_u32_e32 4, v0
	s_cbranch_execz .LBB59_639
; %bb.636:
	v_add_nc_u32_e32 v127, 0x1e8, v38
	v_add3_u32 v128, 0, v38, 8
	v_mov_b32_e32 v129, v0
	s_mov_b32 s3, 0
.LBB59_637:                             ; =>This Inner Loop Header: Depth=1
	scratch_load_b64 v[130:131], v128, off
	ds_load_b64 v[132:133], v127
	s_wait_xcnt 0x0
	v_dual_add_nc_u32 v127, 8, v127 :: v_dual_add_nc_u32 v128, 8, v128
	s_wait_loadcnt_dscnt 0x0
	v_pk_mul_f32 v[134:135], v[132:133], v[130:131] op_sel:[1,1] op_sel_hi:[0,1]
	s_delay_alu instid0(VALU_DEP_1) | instskip(SKIP_2) | instid1(VALU_DEP_3)
	v_pk_fma_f32 v[136:137], v[132:133], v[130:131], v[134:135] op_sel_hi:[1,0,1]
	v_add_nc_u32_e32 v129, 1, v129
	v_pk_fma_f32 v[130:131], v[132:133], v[130:131], v[134:135] neg_lo:[0,0,1] neg_hi:[0,0,1]
	v_mov_b32_e32 v131, v137
	s_delay_alu instid0(VALU_DEP_3) | instskip(NEXT) | instid1(VALU_DEP_2)
	v_cmp_lt_u32_e32 vcc_lo, 3, v129
	v_pk_add_f32 v[124:125], v[124:125], v[130:131]
	s_or_b32 s3, vcc_lo, s3
	s_delay_alu instid0(SALU_CYCLE_1)
	s_and_not1_b32 exec_lo, exec_lo, s3
	s_cbranch_execnz .LBB59_637
; %bb.638:
	s_or_b32 exec_lo, exec_lo, s3
.LBB59_639:
	s_delay_alu instid0(SALU_CYCLE_1) | instskip(SKIP_4) | instid1(VALU_DEP_1)
	s_or_b32 exec_lo, exec_lo, s2
	v_mov_b32_e32 v127, 0
	ds_load_b64 v[128:129], v127 offset:40
	s_wait_dscnt 0x0
	v_pk_mul_f32 v[130:131], v[124:125], v[128:129] op_sel:[1,1] op_sel_hi:[0,1]
	v_pk_fma_f32 v[132:133], v[124:125], v[128:129], v[130:131] op_sel_hi:[1,0,1]
	v_pk_fma_f32 v[124:125], v[124:125], v[128:129], v[130:131] neg_lo:[0,0,1] neg_hi:[0,0,1]
	s_delay_alu instid0(VALU_DEP_2)
	v_mov_b32_e32 v125, v133
	scratch_store_b64 off, v[124:125], off offset:40
.LBB59_640:
	s_wait_xcnt 0x0
	s_or_b32 exec_lo, exec_lo, s0
	scratch_load_b64 v[124:125], off, off offset:48
	s_mov_b32 s0, exec_lo
	s_wait_loadcnt 0x0
	ds_store_b64 v1, v[124:125]
	s_wait_storecnt_dscnt 0x0
	s_barrier_signal -1
	s_barrier_wait -1
	s_wait_xcnt 0x0
	v_cmpx_gt_u32_e32 6, v0
	s_cbranch_execz .LBB59_650
; %bb.641:
	v_cmp_ne_u32_e32 vcc_lo, 1, v126
	s_cbranch_vccnz .LBB59_643
; %bb.642:
	scratch_load_b64 v[124:125], v39, off
	ds_load_b64 v[128:129], v1
	s_wait_loadcnt_dscnt 0x0
	v_pk_mul_f32 v[130:131], v[128:129], v[124:125] op_sel:[1,1] op_sel_hi:[0,1]
	s_delay_alu instid0(VALU_DEP_1) | instskip(SKIP_1) | instid1(VALU_DEP_2)
	v_pk_fma_f32 v[132:133], v[128:129], v[124:125], v[130:131] op_sel_hi:[1,0,1]
	v_pk_fma_f32 v[124:125], v[128:129], v[124:125], v[130:131] neg_lo:[0,0,1] neg_hi:[0,0,1]
	v_mov_b32_e32 v125, v133
	s_cbranch_execz .LBB59_644
	s_branch .LBB59_645
.LBB59_643:
                                        ; implicit-def: $vgpr124_vgpr125
.LBB59_644:
	ds_load_b64 v[124:125], v1
.LBB59_645:
	s_mov_b32 s2, exec_lo
	v_cmpx_ne_u32_e32 5, v0
	s_cbranch_execz .LBB59_649
; %bb.646:
	v_add_nc_u32_e32 v127, 0x1e8, v38
	v_add3_u32 v128, 0, v38, 8
	v_mov_b32_e32 v129, v0
	s_mov_b32 s3, 0
.LBB59_647:                             ; =>This Inner Loop Header: Depth=1
	scratch_load_b64 v[130:131], v128, off
	ds_load_b64 v[132:133], v127
	s_wait_xcnt 0x0
	v_dual_add_nc_u32 v127, 8, v127 :: v_dual_add_nc_u32 v128, 8, v128
	s_wait_loadcnt_dscnt 0x0
	v_pk_mul_f32 v[134:135], v[132:133], v[130:131] op_sel:[1,1] op_sel_hi:[0,1]
	s_delay_alu instid0(VALU_DEP_1) | instskip(SKIP_2) | instid1(VALU_DEP_3)
	v_pk_fma_f32 v[136:137], v[132:133], v[130:131], v[134:135] op_sel_hi:[1,0,1]
	v_add_nc_u32_e32 v129, 1, v129
	v_pk_fma_f32 v[130:131], v[132:133], v[130:131], v[134:135] neg_lo:[0,0,1] neg_hi:[0,0,1]
	v_mov_b32_e32 v131, v137
	s_delay_alu instid0(VALU_DEP_3) | instskip(NEXT) | instid1(VALU_DEP_2)
	v_cmp_lt_u32_e32 vcc_lo, 4, v129
	v_pk_add_f32 v[124:125], v[124:125], v[130:131]
	s_or_b32 s3, vcc_lo, s3
	s_delay_alu instid0(SALU_CYCLE_1)
	s_and_not1_b32 exec_lo, exec_lo, s3
	s_cbranch_execnz .LBB59_647
; %bb.648:
	s_or_b32 exec_lo, exec_lo, s3
.LBB59_649:
	s_delay_alu instid0(SALU_CYCLE_1) | instskip(SKIP_4) | instid1(VALU_DEP_1)
	s_or_b32 exec_lo, exec_lo, s2
	v_mov_b32_e32 v127, 0
	ds_load_b64 v[128:129], v127 offset:48
	s_wait_dscnt 0x0
	v_pk_mul_f32 v[130:131], v[124:125], v[128:129] op_sel:[1,1] op_sel_hi:[0,1]
	v_pk_fma_f32 v[132:133], v[124:125], v[128:129], v[130:131] op_sel_hi:[1,0,1]
	v_pk_fma_f32 v[124:125], v[124:125], v[128:129], v[130:131] neg_lo:[0,0,1] neg_hi:[0,0,1]
	s_delay_alu instid0(VALU_DEP_2)
	v_mov_b32_e32 v125, v133
	scratch_store_b64 off, v[124:125], off offset:48
.LBB59_650:
	s_wait_xcnt 0x0
	s_or_b32 exec_lo, exec_lo, s0
	scratch_load_b64 v[124:125], off, off offset:56
	s_mov_b32 s0, exec_lo
	s_wait_loadcnt 0x0
	ds_store_b64 v1, v[124:125]
	s_wait_storecnt_dscnt 0x0
	s_barrier_signal -1
	s_barrier_wait -1
	s_wait_xcnt 0x0
	v_cmpx_gt_u32_e32 7, v0
	s_cbranch_execz .LBB59_660
; %bb.651:
	v_cmp_ne_u32_e32 vcc_lo, 1, v126
	s_cbranch_vccnz .LBB59_653
; %bb.652:
	scratch_load_b64 v[124:125], v39, off
	ds_load_b64 v[128:129], v1
	s_wait_loadcnt_dscnt 0x0
	v_pk_mul_f32 v[130:131], v[128:129], v[124:125] op_sel:[1,1] op_sel_hi:[0,1]
	s_delay_alu instid0(VALU_DEP_1) | instskip(SKIP_1) | instid1(VALU_DEP_2)
	v_pk_fma_f32 v[132:133], v[128:129], v[124:125], v[130:131] op_sel_hi:[1,0,1]
	v_pk_fma_f32 v[124:125], v[128:129], v[124:125], v[130:131] neg_lo:[0,0,1] neg_hi:[0,0,1]
	v_mov_b32_e32 v125, v133
	s_cbranch_execz .LBB59_654
	s_branch .LBB59_655
.LBB59_653:
                                        ; implicit-def: $vgpr124_vgpr125
.LBB59_654:
	ds_load_b64 v[124:125], v1
.LBB59_655:
	s_mov_b32 s2, exec_lo
	v_cmpx_ne_u32_e32 6, v0
	s_cbranch_execz .LBB59_659
; %bb.656:
	v_add_nc_u32_e32 v127, 0x1e8, v38
	v_add3_u32 v128, 0, v38, 8
	v_mov_b32_e32 v129, v0
	s_mov_b32 s3, 0
.LBB59_657:                             ; =>This Inner Loop Header: Depth=1
	scratch_load_b64 v[130:131], v128, off
	ds_load_b64 v[132:133], v127
	s_wait_xcnt 0x0
	v_dual_add_nc_u32 v127, 8, v127 :: v_dual_add_nc_u32 v128, 8, v128
	s_wait_loadcnt_dscnt 0x0
	v_pk_mul_f32 v[134:135], v[132:133], v[130:131] op_sel:[1,1] op_sel_hi:[0,1]
	s_delay_alu instid0(VALU_DEP_1) | instskip(SKIP_2) | instid1(VALU_DEP_3)
	v_pk_fma_f32 v[136:137], v[132:133], v[130:131], v[134:135] op_sel_hi:[1,0,1]
	v_add_nc_u32_e32 v129, 1, v129
	v_pk_fma_f32 v[130:131], v[132:133], v[130:131], v[134:135] neg_lo:[0,0,1] neg_hi:[0,0,1]
	v_mov_b32_e32 v131, v137
	s_delay_alu instid0(VALU_DEP_3) | instskip(NEXT) | instid1(VALU_DEP_2)
	v_cmp_lt_u32_e32 vcc_lo, 5, v129
	v_pk_add_f32 v[124:125], v[124:125], v[130:131]
	s_or_b32 s3, vcc_lo, s3
	s_delay_alu instid0(SALU_CYCLE_1)
	s_and_not1_b32 exec_lo, exec_lo, s3
	s_cbranch_execnz .LBB59_657
; %bb.658:
	s_or_b32 exec_lo, exec_lo, s3
.LBB59_659:
	s_delay_alu instid0(SALU_CYCLE_1) | instskip(SKIP_4) | instid1(VALU_DEP_1)
	s_or_b32 exec_lo, exec_lo, s2
	v_mov_b32_e32 v127, 0
	ds_load_b64 v[128:129], v127 offset:56
	s_wait_dscnt 0x0
	v_pk_mul_f32 v[130:131], v[124:125], v[128:129] op_sel:[1,1] op_sel_hi:[0,1]
	v_pk_fma_f32 v[132:133], v[124:125], v[128:129], v[130:131] op_sel_hi:[1,0,1]
	v_pk_fma_f32 v[124:125], v[124:125], v[128:129], v[130:131] neg_lo:[0,0,1] neg_hi:[0,0,1]
	s_delay_alu instid0(VALU_DEP_2)
	v_mov_b32_e32 v125, v133
	scratch_store_b64 off, v[124:125], off offset:56
.LBB59_660:
	s_wait_xcnt 0x0
	s_or_b32 exec_lo, exec_lo, s0
	scratch_load_b64 v[124:125], off, off offset:64
	s_mov_b32 s0, exec_lo
	s_wait_loadcnt 0x0
	ds_store_b64 v1, v[124:125]
	s_wait_storecnt_dscnt 0x0
	s_barrier_signal -1
	s_barrier_wait -1
	s_wait_xcnt 0x0
	v_cmpx_gt_u32_e32 8, v0
	s_cbranch_execz .LBB59_670
; %bb.661:
	v_cmp_ne_u32_e32 vcc_lo, 1, v126
	s_cbranch_vccnz .LBB59_663
; %bb.662:
	scratch_load_b64 v[124:125], v39, off
	ds_load_b64 v[128:129], v1
	s_wait_loadcnt_dscnt 0x0
	v_pk_mul_f32 v[130:131], v[128:129], v[124:125] op_sel:[1,1] op_sel_hi:[0,1]
	s_delay_alu instid0(VALU_DEP_1) | instskip(SKIP_1) | instid1(VALU_DEP_2)
	v_pk_fma_f32 v[132:133], v[128:129], v[124:125], v[130:131] op_sel_hi:[1,0,1]
	v_pk_fma_f32 v[124:125], v[128:129], v[124:125], v[130:131] neg_lo:[0,0,1] neg_hi:[0,0,1]
	v_mov_b32_e32 v125, v133
	s_cbranch_execz .LBB59_664
	s_branch .LBB59_665
.LBB59_663:
                                        ; implicit-def: $vgpr124_vgpr125
.LBB59_664:
	ds_load_b64 v[124:125], v1
.LBB59_665:
	s_mov_b32 s2, exec_lo
	v_cmpx_ne_u32_e32 7, v0
	s_cbranch_execz .LBB59_669
; %bb.666:
	v_add_nc_u32_e32 v127, 0x1e8, v38
	v_add3_u32 v128, 0, v38, 8
	v_mov_b32_e32 v129, v0
	s_mov_b32 s3, 0
.LBB59_667:                             ; =>This Inner Loop Header: Depth=1
	scratch_load_b64 v[130:131], v128, off
	ds_load_b64 v[132:133], v127
	s_wait_xcnt 0x0
	v_dual_add_nc_u32 v127, 8, v127 :: v_dual_add_nc_u32 v128, 8, v128
	s_wait_loadcnt_dscnt 0x0
	v_pk_mul_f32 v[134:135], v[132:133], v[130:131] op_sel:[1,1] op_sel_hi:[0,1]
	s_delay_alu instid0(VALU_DEP_1) | instskip(SKIP_2) | instid1(VALU_DEP_3)
	v_pk_fma_f32 v[136:137], v[132:133], v[130:131], v[134:135] op_sel_hi:[1,0,1]
	v_add_nc_u32_e32 v129, 1, v129
	v_pk_fma_f32 v[130:131], v[132:133], v[130:131], v[134:135] neg_lo:[0,0,1] neg_hi:[0,0,1]
	v_mov_b32_e32 v131, v137
	s_delay_alu instid0(VALU_DEP_3) | instskip(NEXT) | instid1(VALU_DEP_2)
	v_cmp_lt_u32_e32 vcc_lo, 6, v129
	v_pk_add_f32 v[124:125], v[124:125], v[130:131]
	s_or_b32 s3, vcc_lo, s3
	s_delay_alu instid0(SALU_CYCLE_1)
	s_and_not1_b32 exec_lo, exec_lo, s3
	s_cbranch_execnz .LBB59_667
; %bb.668:
	s_or_b32 exec_lo, exec_lo, s3
.LBB59_669:
	s_delay_alu instid0(SALU_CYCLE_1) | instskip(SKIP_4) | instid1(VALU_DEP_1)
	s_or_b32 exec_lo, exec_lo, s2
	v_mov_b32_e32 v127, 0
	ds_load_b64 v[128:129], v127 offset:64
	s_wait_dscnt 0x0
	v_pk_mul_f32 v[130:131], v[124:125], v[128:129] op_sel:[1,1] op_sel_hi:[0,1]
	v_pk_fma_f32 v[132:133], v[124:125], v[128:129], v[130:131] op_sel_hi:[1,0,1]
	v_pk_fma_f32 v[124:125], v[124:125], v[128:129], v[130:131] neg_lo:[0,0,1] neg_hi:[0,0,1]
	s_delay_alu instid0(VALU_DEP_2)
	v_mov_b32_e32 v125, v133
	scratch_store_b64 off, v[124:125], off offset:64
.LBB59_670:
	s_wait_xcnt 0x0
	s_or_b32 exec_lo, exec_lo, s0
	scratch_load_b64 v[124:125], off, off offset:72
	s_mov_b32 s0, exec_lo
	s_wait_loadcnt 0x0
	ds_store_b64 v1, v[124:125]
	s_wait_storecnt_dscnt 0x0
	s_barrier_signal -1
	s_barrier_wait -1
	s_wait_xcnt 0x0
	v_cmpx_gt_u32_e32 9, v0
	s_cbranch_execz .LBB59_680
; %bb.671:
	v_cmp_ne_u32_e32 vcc_lo, 1, v126
	s_cbranch_vccnz .LBB59_673
; %bb.672:
	scratch_load_b64 v[124:125], v39, off
	ds_load_b64 v[128:129], v1
	s_wait_loadcnt_dscnt 0x0
	v_pk_mul_f32 v[130:131], v[128:129], v[124:125] op_sel:[1,1] op_sel_hi:[0,1]
	s_delay_alu instid0(VALU_DEP_1) | instskip(SKIP_1) | instid1(VALU_DEP_2)
	v_pk_fma_f32 v[132:133], v[128:129], v[124:125], v[130:131] op_sel_hi:[1,0,1]
	v_pk_fma_f32 v[124:125], v[128:129], v[124:125], v[130:131] neg_lo:[0,0,1] neg_hi:[0,0,1]
	v_mov_b32_e32 v125, v133
	s_cbranch_execz .LBB59_674
	s_branch .LBB59_675
.LBB59_673:
                                        ; implicit-def: $vgpr124_vgpr125
.LBB59_674:
	ds_load_b64 v[124:125], v1
.LBB59_675:
	s_mov_b32 s2, exec_lo
	v_cmpx_ne_u32_e32 8, v0
	s_cbranch_execz .LBB59_679
; %bb.676:
	v_add_nc_u32_e32 v127, 0x1e8, v38
	v_add3_u32 v128, 0, v38, 8
	v_mov_b32_e32 v129, v0
	s_mov_b32 s3, 0
.LBB59_677:                             ; =>This Inner Loop Header: Depth=1
	scratch_load_b64 v[130:131], v128, off
	ds_load_b64 v[132:133], v127
	s_wait_xcnt 0x0
	v_dual_add_nc_u32 v127, 8, v127 :: v_dual_add_nc_u32 v128, 8, v128
	s_wait_loadcnt_dscnt 0x0
	v_pk_mul_f32 v[134:135], v[132:133], v[130:131] op_sel:[1,1] op_sel_hi:[0,1]
	s_delay_alu instid0(VALU_DEP_1) | instskip(SKIP_2) | instid1(VALU_DEP_3)
	v_pk_fma_f32 v[136:137], v[132:133], v[130:131], v[134:135] op_sel_hi:[1,0,1]
	v_add_nc_u32_e32 v129, 1, v129
	v_pk_fma_f32 v[130:131], v[132:133], v[130:131], v[134:135] neg_lo:[0,0,1] neg_hi:[0,0,1]
	v_mov_b32_e32 v131, v137
	s_delay_alu instid0(VALU_DEP_3) | instskip(NEXT) | instid1(VALU_DEP_2)
	v_cmp_lt_u32_e32 vcc_lo, 7, v129
	v_pk_add_f32 v[124:125], v[124:125], v[130:131]
	s_or_b32 s3, vcc_lo, s3
	s_delay_alu instid0(SALU_CYCLE_1)
	s_and_not1_b32 exec_lo, exec_lo, s3
	s_cbranch_execnz .LBB59_677
; %bb.678:
	s_or_b32 exec_lo, exec_lo, s3
.LBB59_679:
	s_delay_alu instid0(SALU_CYCLE_1) | instskip(SKIP_4) | instid1(VALU_DEP_1)
	s_or_b32 exec_lo, exec_lo, s2
	v_mov_b32_e32 v127, 0
	ds_load_b64 v[128:129], v127 offset:72
	s_wait_dscnt 0x0
	v_pk_mul_f32 v[130:131], v[124:125], v[128:129] op_sel:[1,1] op_sel_hi:[0,1]
	v_pk_fma_f32 v[132:133], v[124:125], v[128:129], v[130:131] op_sel_hi:[1,0,1]
	v_pk_fma_f32 v[124:125], v[124:125], v[128:129], v[130:131] neg_lo:[0,0,1] neg_hi:[0,0,1]
	s_delay_alu instid0(VALU_DEP_2)
	v_mov_b32_e32 v125, v133
	scratch_store_b64 off, v[124:125], off offset:72
.LBB59_680:
	s_wait_xcnt 0x0
	s_or_b32 exec_lo, exec_lo, s0
	scratch_load_b64 v[124:125], off, off offset:80
	s_mov_b32 s0, exec_lo
	s_wait_loadcnt 0x0
	ds_store_b64 v1, v[124:125]
	s_wait_storecnt_dscnt 0x0
	s_barrier_signal -1
	s_barrier_wait -1
	s_wait_xcnt 0x0
	v_cmpx_gt_u32_e32 10, v0
	s_cbranch_execz .LBB59_690
; %bb.681:
	v_cmp_ne_u32_e32 vcc_lo, 1, v126
	s_cbranch_vccnz .LBB59_683
; %bb.682:
	scratch_load_b64 v[124:125], v39, off
	ds_load_b64 v[128:129], v1
	s_wait_loadcnt_dscnt 0x0
	v_pk_mul_f32 v[130:131], v[128:129], v[124:125] op_sel:[1,1] op_sel_hi:[0,1]
	s_delay_alu instid0(VALU_DEP_1) | instskip(SKIP_1) | instid1(VALU_DEP_2)
	v_pk_fma_f32 v[132:133], v[128:129], v[124:125], v[130:131] op_sel_hi:[1,0,1]
	v_pk_fma_f32 v[124:125], v[128:129], v[124:125], v[130:131] neg_lo:[0,0,1] neg_hi:[0,0,1]
	v_mov_b32_e32 v125, v133
	s_cbranch_execz .LBB59_684
	s_branch .LBB59_685
.LBB59_683:
                                        ; implicit-def: $vgpr124_vgpr125
.LBB59_684:
	ds_load_b64 v[124:125], v1
.LBB59_685:
	s_mov_b32 s2, exec_lo
	v_cmpx_ne_u32_e32 9, v0
	s_cbranch_execz .LBB59_689
; %bb.686:
	v_add_nc_u32_e32 v127, 0x1e8, v38
	v_add3_u32 v128, 0, v38, 8
	v_mov_b32_e32 v129, v0
	s_mov_b32 s3, 0
.LBB59_687:                             ; =>This Inner Loop Header: Depth=1
	scratch_load_b64 v[130:131], v128, off
	ds_load_b64 v[132:133], v127
	s_wait_xcnt 0x0
	v_dual_add_nc_u32 v127, 8, v127 :: v_dual_add_nc_u32 v128, 8, v128
	s_wait_loadcnt_dscnt 0x0
	v_pk_mul_f32 v[134:135], v[132:133], v[130:131] op_sel:[1,1] op_sel_hi:[0,1]
	s_delay_alu instid0(VALU_DEP_1) | instskip(SKIP_2) | instid1(VALU_DEP_3)
	v_pk_fma_f32 v[136:137], v[132:133], v[130:131], v[134:135] op_sel_hi:[1,0,1]
	v_add_nc_u32_e32 v129, 1, v129
	v_pk_fma_f32 v[130:131], v[132:133], v[130:131], v[134:135] neg_lo:[0,0,1] neg_hi:[0,0,1]
	v_mov_b32_e32 v131, v137
	s_delay_alu instid0(VALU_DEP_3) | instskip(NEXT) | instid1(VALU_DEP_2)
	v_cmp_lt_u32_e32 vcc_lo, 8, v129
	v_pk_add_f32 v[124:125], v[124:125], v[130:131]
	s_or_b32 s3, vcc_lo, s3
	s_delay_alu instid0(SALU_CYCLE_1)
	s_and_not1_b32 exec_lo, exec_lo, s3
	s_cbranch_execnz .LBB59_687
; %bb.688:
	s_or_b32 exec_lo, exec_lo, s3
.LBB59_689:
	s_delay_alu instid0(SALU_CYCLE_1) | instskip(SKIP_4) | instid1(VALU_DEP_1)
	s_or_b32 exec_lo, exec_lo, s2
	v_mov_b32_e32 v127, 0
	ds_load_b64 v[128:129], v127 offset:80
	s_wait_dscnt 0x0
	v_pk_mul_f32 v[130:131], v[124:125], v[128:129] op_sel:[1,1] op_sel_hi:[0,1]
	v_pk_fma_f32 v[132:133], v[124:125], v[128:129], v[130:131] op_sel_hi:[1,0,1]
	v_pk_fma_f32 v[124:125], v[124:125], v[128:129], v[130:131] neg_lo:[0,0,1] neg_hi:[0,0,1]
	s_delay_alu instid0(VALU_DEP_2)
	v_mov_b32_e32 v125, v133
	scratch_store_b64 off, v[124:125], off offset:80
.LBB59_690:
	s_wait_xcnt 0x0
	s_or_b32 exec_lo, exec_lo, s0
	scratch_load_b64 v[124:125], off, off offset:88
	s_mov_b32 s0, exec_lo
	s_wait_loadcnt 0x0
	ds_store_b64 v1, v[124:125]
	s_wait_storecnt_dscnt 0x0
	s_barrier_signal -1
	s_barrier_wait -1
	s_wait_xcnt 0x0
	v_cmpx_gt_u32_e32 11, v0
	s_cbranch_execz .LBB59_700
; %bb.691:
	v_cmp_ne_u32_e32 vcc_lo, 1, v126
	s_cbranch_vccnz .LBB59_693
; %bb.692:
	scratch_load_b64 v[124:125], v39, off
	ds_load_b64 v[128:129], v1
	s_wait_loadcnt_dscnt 0x0
	v_pk_mul_f32 v[130:131], v[128:129], v[124:125] op_sel:[1,1] op_sel_hi:[0,1]
	s_delay_alu instid0(VALU_DEP_1) | instskip(SKIP_1) | instid1(VALU_DEP_2)
	v_pk_fma_f32 v[132:133], v[128:129], v[124:125], v[130:131] op_sel_hi:[1,0,1]
	v_pk_fma_f32 v[124:125], v[128:129], v[124:125], v[130:131] neg_lo:[0,0,1] neg_hi:[0,0,1]
	v_mov_b32_e32 v125, v133
	s_cbranch_execz .LBB59_694
	s_branch .LBB59_695
.LBB59_693:
                                        ; implicit-def: $vgpr124_vgpr125
.LBB59_694:
	ds_load_b64 v[124:125], v1
.LBB59_695:
	s_mov_b32 s2, exec_lo
	v_cmpx_ne_u32_e32 10, v0
	s_cbranch_execz .LBB59_699
; %bb.696:
	v_add_nc_u32_e32 v127, 0x1e8, v38
	v_add3_u32 v128, 0, v38, 8
	v_mov_b32_e32 v129, v0
	s_mov_b32 s3, 0
.LBB59_697:                             ; =>This Inner Loop Header: Depth=1
	scratch_load_b64 v[130:131], v128, off
	ds_load_b64 v[132:133], v127
	s_wait_xcnt 0x0
	v_dual_add_nc_u32 v127, 8, v127 :: v_dual_add_nc_u32 v128, 8, v128
	s_wait_loadcnt_dscnt 0x0
	v_pk_mul_f32 v[134:135], v[132:133], v[130:131] op_sel:[1,1] op_sel_hi:[0,1]
	s_delay_alu instid0(VALU_DEP_1) | instskip(SKIP_2) | instid1(VALU_DEP_3)
	v_pk_fma_f32 v[136:137], v[132:133], v[130:131], v[134:135] op_sel_hi:[1,0,1]
	v_add_nc_u32_e32 v129, 1, v129
	v_pk_fma_f32 v[130:131], v[132:133], v[130:131], v[134:135] neg_lo:[0,0,1] neg_hi:[0,0,1]
	v_mov_b32_e32 v131, v137
	s_delay_alu instid0(VALU_DEP_3) | instskip(NEXT) | instid1(VALU_DEP_2)
	v_cmp_lt_u32_e32 vcc_lo, 9, v129
	v_pk_add_f32 v[124:125], v[124:125], v[130:131]
	s_or_b32 s3, vcc_lo, s3
	s_delay_alu instid0(SALU_CYCLE_1)
	s_and_not1_b32 exec_lo, exec_lo, s3
	s_cbranch_execnz .LBB59_697
; %bb.698:
	s_or_b32 exec_lo, exec_lo, s3
.LBB59_699:
	s_delay_alu instid0(SALU_CYCLE_1) | instskip(SKIP_4) | instid1(VALU_DEP_1)
	s_or_b32 exec_lo, exec_lo, s2
	v_mov_b32_e32 v127, 0
	ds_load_b64 v[128:129], v127 offset:88
	s_wait_dscnt 0x0
	v_pk_mul_f32 v[130:131], v[124:125], v[128:129] op_sel:[1,1] op_sel_hi:[0,1]
	v_pk_fma_f32 v[132:133], v[124:125], v[128:129], v[130:131] op_sel_hi:[1,0,1]
	v_pk_fma_f32 v[124:125], v[124:125], v[128:129], v[130:131] neg_lo:[0,0,1] neg_hi:[0,0,1]
	s_delay_alu instid0(VALU_DEP_2)
	v_mov_b32_e32 v125, v133
	scratch_store_b64 off, v[124:125], off offset:88
.LBB59_700:
	s_wait_xcnt 0x0
	s_or_b32 exec_lo, exec_lo, s0
	scratch_load_b64 v[124:125], off, off offset:96
	s_mov_b32 s0, exec_lo
	s_wait_loadcnt 0x0
	ds_store_b64 v1, v[124:125]
	s_wait_storecnt_dscnt 0x0
	s_barrier_signal -1
	s_barrier_wait -1
	s_wait_xcnt 0x0
	v_cmpx_gt_u32_e32 12, v0
	s_cbranch_execz .LBB59_710
; %bb.701:
	v_cmp_ne_u32_e32 vcc_lo, 1, v126
	s_cbranch_vccnz .LBB59_703
; %bb.702:
	scratch_load_b64 v[124:125], v39, off
	ds_load_b64 v[128:129], v1
	s_wait_loadcnt_dscnt 0x0
	v_pk_mul_f32 v[130:131], v[128:129], v[124:125] op_sel:[1,1] op_sel_hi:[0,1]
	s_delay_alu instid0(VALU_DEP_1) | instskip(SKIP_1) | instid1(VALU_DEP_2)
	v_pk_fma_f32 v[132:133], v[128:129], v[124:125], v[130:131] op_sel_hi:[1,0,1]
	v_pk_fma_f32 v[124:125], v[128:129], v[124:125], v[130:131] neg_lo:[0,0,1] neg_hi:[0,0,1]
	v_mov_b32_e32 v125, v133
	s_cbranch_execz .LBB59_704
	s_branch .LBB59_705
.LBB59_703:
                                        ; implicit-def: $vgpr124_vgpr125
.LBB59_704:
	ds_load_b64 v[124:125], v1
.LBB59_705:
	s_mov_b32 s2, exec_lo
	v_cmpx_ne_u32_e32 11, v0
	s_cbranch_execz .LBB59_709
; %bb.706:
	v_add_nc_u32_e32 v127, 0x1e8, v38
	v_add3_u32 v128, 0, v38, 8
	v_mov_b32_e32 v129, v0
	s_mov_b32 s3, 0
.LBB59_707:                             ; =>This Inner Loop Header: Depth=1
	scratch_load_b64 v[130:131], v128, off
	ds_load_b64 v[132:133], v127
	s_wait_xcnt 0x0
	v_dual_add_nc_u32 v127, 8, v127 :: v_dual_add_nc_u32 v128, 8, v128
	s_wait_loadcnt_dscnt 0x0
	v_pk_mul_f32 v[134:135], v[132:133], v[130:131] op_sel:[1,1] op_sel_hi:[0,1]
	s_delay_alu instid0(VALU_DEP_1) | instskip(SKIP_2) | instid1(VALU_DEP_3)
	v_pk_fma_f32 v[136:137], v[132:133], v[130:131], v[134:135] op_sel_hi:[1,0,1]
	v_add_nc_u32_e32 v129, 1, v129
	v_pk_fma_f32 v[130:131], v[132:133], v[130:131], v[134:135] neg_lo:[0,0,1] neg_hi:[0,0,1]
	v_mov_b32_e32 v131, v137
	s_delay_alu instid0(VALU_DEP_3) | instskip(NEXT) | instid1(VALU_DEP_2)
	v_cmp_lt_u32_e32 vcc_lo, 10, v129
	v_pk_add_f32 v[124:125], v[124:125], v[130:131]
	s_or_b32 s3, vcc_lo, s3
	s_delay_alu instid0(SALU_CYCLE_1)
	s_and_not1_b32 exec_lo, exec_lo, s3
	s_cbranch_execnz .LBB59_707
; %bb.708:
	s_or_b32 exec_lo, exec_lo, s3
.LBB59_709:
	s_delay_alu instid0(SALU_CYCLE_1) | instskip(SKIP_4) | instid1(VALU_DEP_1)
	s_or_b32 exec_lo, exec_lo, s2
	v_mov_b32_e32 v127, 0
	ds_load_b64 v[128:129], v127 offset:96
	s_wait_dscnt 0x0
	v_pk_mul_f32 v[130:131], v[124:125], v[128:129] op_sel:[1,1] op_sel_hi:[0,1]
	v_pk_fma_f32 v[132:133], v[124:125], v[128:129], v[130:131] op_sel_hi:[1,0,1]
	v_pk_fma_f32 v[124:125], v[124:125], v[128:129], v[130:131] neg_lo:[0,0,1] neg_hi:[0,0,1]
	s_delay_alu instid0(VALU_DEP_2)
	v_mov_b32_e32 v125, v133
	scratch_store_b64 off, v[124:125], off offset:96
.LBB59_710:
	s_wait_xcnt 0x0
	s_or_b32 exec_lo, exec_lo, s0
	scratch_load_b64 v[124:125], off, off offset:104
	s_mov_b32 s0, exec_lo
	s_wait_loadcnt 0x0
	ds_store_b64 v1, v[124:125]
	s_wait_storecnt_dscnt 0x0
	s_barrier_signal -1
	s_barrier_wait -1
	s_wait_xcnt 0x0
	v_cmpx_gt_u32_e32 13, v0
	s_cbranch_execz .LBB59_720
; %bb.711:
	v_cmp_ne_u32_e32 vcc_lo, 1, v126
	s_cbranch_vccnz .LBB59_713
; %bb.712:
	scratch_load_b64 v[124:125], v39, off
	ds_load_b64 v[128:129], v1
	s_wait_loadcnt_dscnt 0x0
	v_pk_mul_f32 v[130:131], v[128:129], v[124:125] op_sel:[1,1] op_sel_hi:[0,1]
	s_delay_alu instid0(VALU_DEP_1) | instskip(SKIP_1) | instid1(VALU_DEP_2)
	v_pk_fma_f32 v[132:133], v[128:129], v[124:125], v[130:131] op_sel_hi:[1,0,1]
	v_pk_fma_f32 v[124:125], v[128:129], v[124:125], v[130:131] neg_lo:[0,0,1] neg_hi:[0,0,1]
	v_mov_b32_e32 v125, v133
	s_cbranch_execz .LBB59_714
	s_branch .LBB59_715
.LBB59_713:
                                        ; implicit-def: $vgpr124_vgpr125
.LBB59_714:
	ds_load_b64 v[124:125], v1
.LBB59_715:
	s_mov_b32 s2, exec_lo
	v_cmpx_ne_u32_e32 12, v0
	s_cbranch_execz .LBB59_719
; %bb.716:
	v_add_nc_u32_e32 v127, 0x1e8, v38
	v_add3_u32 v128, 0, v38, 8
	v_mov_b32_e32 v129, v0
	s_mov_b32 s3, 0
.LBB59_717:                             ; =>This Inner Loop Header: Depth=1
	scratch_load_b64 v[130:131], v128, off
	ds_load_b64 v[132:133], v127
	s_wait_xcnt 0x0
	v_dual_add_nc_u32 v127, 8, v127 :: v_dual_add_nc_u32 v128, 8, v128
	s_wait_loadcnt_dscnt 0x0
	v_pk_mul_f32 v[134:135], v[132:133], v[130:131] op_sel:[1,1] op_sel_hi:[0,1]
	s_delay_alu instid0(VALU_DEP_1) | instskip(SKIP_2) | instid1(VALU_DEP_3)
	v_pk_fma_f32 v[136:137], v[132:133], v[130:131], v[134:135] op_sel_hi:[1,0,1]
	v_add_nc_u32_e32 v129, 1, v129
	v_pk_fma_f32 v[130:131], v[132:133], v[130:131], v[134:135] neg_lo:[0,0,1] neg_hi:[0,0,1]
	v_mov_b32_e32 v131, v137
	s_delay_alu instid0(VALU_DEP_3) | instskip(NEXT) | instid1(VALU_DEP_2)
	v_cmp_lt_u32_e32 vcc_lo, 11, v129
	v_pk_add_f32 v[124:125], v[124:125], v[130:131]
	s_or_b32 s3, vcc_lo, s3
	s_delay_alu instid0(SALU_CYCLE_1)
	s_and_not1_b32 exec_lo, exec_lo, s3
	s_cbranch_execnz .LBB59_717
; %bb.718:
	s_or_b32 exec_lo, exec_lo, s3
.LBB59_719:
	s_delay_alu instid0(SALU_CYCLE_1) | instskip(SKIP_4) | instid1(VALU_DEP_1)
	s_or_b32 exec_lo, exec_lo, s2
	v_mov_b32_e32 v127, 0
	ds_load_b64 v[128:129], v127 offset:104
	s_wait_dscnt 0x0
	v_pk_mul_f32 v[130:131], v[124:125], v[128:129] op_sel:[1,1] op_sel_hi:[0,1]
	v_pk_fma_f32 v[132:133], v[124:125], v[128:129], v[130:131] op_sel_hi:[1,0,1]
	v_pk_fma_f32 v[124:125], v[124:125], v[128:129], v[130:131] neg_lo:[0,0,1] neg_hi:[0,0,1]
	s_delay_alu instid0(VALU_DEP_2)
	v_mov_b32_e32 v125, v133
	scratch_store_b64 off, v[124:125], off offset:104
.LBB59_720:
	s_wait_xcnt 0x0
	s_or_b32 exec_lo, exec_lo, s0
	scratch_load_b64 v[124:125], off, off offset:112
	s_mov_b32 s0, exec_lo
	s_wait_loadcnt 0x0
	ds_store_b64 v1, v[124:125]
	s_wait_storecnt_dscnt 0x0
	s_barrier_signal -1
	s_barrier_wait -1
	s_wait_xcnt 0x0
	v_cmpx_gt_u32_e32 14, v0
	s_cbranch_execz .LBB59_730
; %bb.721:
	v_cmp_ne_u32_e32 vcc_lo, 1, v126
	s_cbranch_vccnz .LBB59_723
; %bb.722:
	scratch_load_b64 v[124:125], v39, off
	ds_load_b64 v[128:129], v1
	s_wait_loadcnt_dscnt 0x0
	v_pk_mul_f32 v[130:131], v[128:129], v[124:125] op_sel:[1,1] op_sel_hi:[0,1]
	s_delay_alu instid0(VALU_DEP_1) | instskip(SKIP_1) | instid1(VALU_DEP_2)
	v_pk_fma_f32 v[132:133], v[128:129], v[124:125], v[130:131] op_sel_hi:[1,0,1]
	v_pk_fma_f32 v[124:125], v[128:129], v[124:125], v[130:131] neg_lo:[0,0,1] neg_hi:[0,0,1]
	v_mov_b32_e32 v125, v133
	s_cbranch_execz .LBB59_724
	s_branch .LBB59_725
.LBB59_723:
                                        ; implicit-def: $vgpr124_vgpr125
.LBB59_724:
	ds_load_b64 v[124:125], v1
.LBB59_725:
	s_mov_b32 s2, exec_lo
	v_cmpx_ne_u32_e32 13, v0
	s_cbranch_execz .LBB59_729
; %bb.726:
	v_add_nc_u32_e32 v127, 0x1e8, v38
	v_add3_u32 v128, 0, v38, 8
	v_mov_b32_e32 v129, v0
	s_mov_b32 s3, 0
.LBB59_727:                             ; =>This Inner Loop Header: Depth=1
	scratch_load_b64 v[130:131], v128, off
	ds_load_b64 v[132:133], v127
	s_wait_xcnt 0x0
	v_dual_add_nc_u32 v127, 8, v127 :: v_dual_add_nc_u32 v128, 8, v128
	s_wait_loadcnt_dscnt 0x0
	v_pk_mul_f32 v[134:135], v[132:133], v[130:131] op_sel:[1,1] op_sel_hi:[0,1]
	s_delay_alu instid0(VALU_DEP_1) | instskip(SKIP_2) | instid1(VALU_DEP_3)
	v_pk_fma_f32 v[136:137], v[132:133], v[130:131], v[134:135] op_sel_hi:[1,0,1]
	v_add_nc_u32_e32 v129, 1, v129
	v_pk_fma_f32 v[130:131], v[132:133], v[130:131], v[134:135] neg_lo:[0,0,1] neg_hi:[0,0,1]
	v_mov_b32_e32 v131, v137
	s_delay_alu instid0(VALU_DEP_3) | instskip(NEXT) | instid1(VALU_DEP_2)
	v_cmp_lt_u32_e32 vcc_lo, 12, v129
	v_pk_add_f32 v[124:125], v[124:125], v[130:131]
	s_or_b32 s3, vcc_lo, s3
	s_delay_alu instid0(SALU_CYCLE_1)
	s_and_not1_b32 exec_lo, exec_lo, s3
	s_cbranch_execnz .LBB59_727
; %bb.728:
	s_or_b32 exec_lo, exec_lo, s3
.LBB59_729:
	s_delay_alu instid0(SALU_CYCLE_1) | instskip(SKIP_4) | instid1(VALU_DEP_1)
	s_or_b32 exec_lo, exec_lo, s2
	v_mov_b32_e32 v127, 0
	ds_load_b64 v[128:129], v127 offset:112
	s_wait_dscnt 0x0
	v_pk_mul_f32 v[130:131], v[124:125], v[128:129] op_sel:[1,1] op_sel_hi:[0,1]
	v_pk_fma_f32 v[132:133], v[124:125], v[128:129], v[130:131] op_sel_hi:[1,0,1]
	v_pk_fma_f32 v[124:125], v[124:125], v[128:129], v[130:131] neg_lo:[0,0,1] neg_hi:[0,0,1]
	s_delay_alu instid0(VALU_DEP_2)
	v_mov_b32_e32 v125, v133
	scratch_store_b64 off, v[124:125], off offset:112
.LBB59_730:
	s_wait_xcnt 0x0
	s_or_b32 exec_lo, exec_lo, s0
	scratch_load_b64 v[124:125], off, off offset:120
	s_mov_b32 s0, exec_lo
	s_wait_loadcnt 0x0
	ds_store_b64 v1, v[124:125]
	s_wait_storecnt_dscnt 0x0
	s_barrier_signal -1
	s_barrier_wait -1
	s_wait_xcnt 0x0
	v_cmpx_gt_u32_e32 15, v0
	s_cbranch_execz .LBB59_740
; %bb.731:
	v_cmp_ne_u32_e32 vcc_lo, 1, v126
	s_cbranch_vccnz .LBB59_733
; %bb.732:
	scratch_load_b64 v[124:125], v39, off
	ds_load_b64 v[128:129], v1
	s_wait_loadcnt_dscnt 0x0
	v_pk_mul_f32 v[130:131], v[128:129], v[124:125] op_sel:[1,1] op_sel_hi:[0,1]
	s_delay_alu instid0(VALU_DEP_1) | instskip(SKIP_1) | instid1(VALU_DEP_2)
	v_pk_fma_f32 v[132:133], v[128:129], v[124:125], v[130:131] op_sel_hi:[1,0,1]
	v_pk_fma_f32 v[124:125], v[128:129], v[124:125], v[130:131] neg_lo:[0,0,1] neg_hi:[0,0,1]
	v_mov_b32_e32 v125, v133
	s_cbranch_execz .LBB59_734
	s_branch .LBB59_735
.LBB59_733:
                                        ; implicit-def: $vgpr124_vgpr125
.LBB59_734:
	ds_load_b64 v[124:125], v1
.LBB59_735:
	s_mov_b32 s2, exec_lo
	v_cmpx_ne_u32_e32 14, v0
	s_cbranch_execz .LBB59_739
; %bb.736:
	v_add_nc_u32_e32 v127, 0x1e8, v38
	v_add3_u32 v128, 0, v38, 8
	v_mov_b32_e32 v129, v0
	s_mov_b32 s3, 0
.LBB59_737:                             ; =>This Inner Loop Header: Depth=1
	scratch_load_b64 v[130:131], v128, off
	ds_load_b64 v[132:133], v127
	s_wait_xcnt 0x0
	v_dual_add_nc_u32 v127, 8, v127 :: v_dual_add_nc_u32 v128, 8, v128
	s_wait_loadcnt_dscnt 0x0
	v_pk_mul_f32 v[134:135], v[132:133], v[130:131] op_sel:[1,1] op_sel_hi:[0,1]
	s_delay_alu instid0(VALU_DEP_1) | instskip(SKIP_2) | instid1(VALU_DEP_3)
	v_pk_fma_f32 v[136:137], v[132:133], v[130:131], v[134:135] op_sel_hi:[1,0,1]
	v_add_nc_u32_e32 v129, 1, v129
	v_pk_fma_f32 v[130:131], v[132:133], v[130:131], v[134:135] neg_lo:[0,0,1] neg_hi:[0,0,1]
	v_mov_b32_e32 v131, v137
	s_delay_alu instid0(VALU_DEP_3) | instskip(NEXT) | instid1(VALU_DEP_2)
	v_cmp_lt_u32_e32 vcc_lo, 13, v129
	v_pk_add_f32 v[124:125], v[124:125], v[130:131]
	s_or_b32 s3, vcc_lo, s3
	s_delay_alu instid0(SALU_CYCLE_1)
	s_and_not1_b32 exec_lo, exec_lo, s3
	s_cbranch_execnz .LBB59_737
; %bb.738:
	s_or_b32 exec_lo, exec_lo, s3
.LBB59_739:
	s_delay_alu instid0(SALU_CYCLE_1) | instskip(SKIP_4) | instid1(VALU_DEP_1)
	s_or_b32 exec_lo, exec_lo, s2
	v_mov_b32_e32 v127, 0
	ds_load_b64 v[128:129], v127 offset:120
	s_wait_dscnt 0x0
	v_pk_mul_f32 v[130:131], v[124:125], v[128:129] op_sel:[1,1] op_sel_hi:[0,1]
	v_pk_fma_f32 v[132:133], v[124:125], v[128:129], v[130:131] op_sel_hi:[1,0,1]
	v_pk_fma_f32 v[124:125], v[124:125], v[128:129], v[130:131] neg_lo:[0,0,1] neg_hi:[0,0,1]
	s_delay_alu instid0(VALU_DEP_2)
	v_mov_b32_e32 v125, v133
	scratch_store_b64 off, v[124:125], off offset:120
.LBB59_740:
	s_wait_xcnt 0x0
	s_or_b32 exec_lo, exec_lo, s0
	scratch_load_b64 v[124:125], off, off offset:128
	s_mov_b32 s0, exec_lo
	s_wait_loadcnt 0x0
	ds_store_b64 v1, v[124:125]
	s_wait_storecnt_dscnt 0x0
	s_barrier_signal -1
	s_barrier_wait -1
	s_wait_xcnt 0x0
	v_cmpx_gt_u32_e32 16, v0
	s_cbranch_execz .LBB59_750
; %bb.741:
	v_cmp_ne_u32_e32 vcc_lo, 1, v126
	s_cbranch_vccnz .LBB59_743
; %bb.742:
	scratch_load_b64 v[124:125], v39, off
	ds_load_b64 v[128:129], v1
	s_wait_loadcnt_dscnt 0x0
	v_pk_mul_f32 v[130:131], v[128:129], v[124:125] op_sel:[1,1] op_sel_hi:[0,1]
	s_delay_alu instid0(VALU_DEP_1) | instskip(SKIP_1) | instid1(VALU_DEP_2)
	v_pk_fma_f32 v[132:133], v[128:129], v[124:125], v[130:131] op_sel_hi:[1,0,1]
	v_pk_fma_f32 v[124:125], v[128:129], v[124:125], v[130:131] neg_lo:[0,0,1] neg_hi:[0,0,1]
	v_mov_b32_e32 v125, v133
	s_cbranch_execz .LBB59_744
	s_branch .LBB59_745
.LBB59_743:
                                        ; implicit-def: $vgpr124_vgpr125
.LBB59_744:
	ds_load_b64 v[124:125], v1
.LBB59_745:
	s_mov_b32 s2, exec_lo
	v_cmpx_ne_u32_e32 15, v0
	s_cbranch_execz .LBB59_749
; %bb.746:
	v_add_nc_u32_e32 v127, 0x1e8, v38
	v_add3_u32 v128, 0, v38, 8
	v_mov_b32_e32 v129, v0
	s_mov_b32 s3, 0
.LBB59_747:                             ; =>This Inner Loop Header: Depth=1
	scratch_load_b64 v[130:131], v128, off
	ds_load_b64 v[132:133], v127
	s_wait_xcnt 0x0
	v_dual_add_nc_u32 v127, 8, v127 :: v_dual_add_nc_u32 v128, 8, v128
	s_wait_loadcnt_dscnt 0x0
	v_pk_mul_f32 v[134:135], v[132:133], v[130:131] op_sel:[1,1] op_sel_hi:[0,1]
	s_delay_alu instid0(VALU_DEP_1) | instskip(SKIP_2) | instid1(VALU_DEP_3)
	v_pk_fma_f32 v[136:137], v[132:133], v[130:131], v[134:135] op_sel_hi:[1,0,1]
	v_add_nc_u32_e32 v129, 1, v129
	v_pk_fma_f32 v[130:131], v[132:133], v[130:131], v[134:135] neg_lo:[0,0,1] neg_hi:[0,0,1]
	v_mov_b32_e32 v131, v137
	s_delay_alu instid0(VALU_DEP_3) | instskip(NEXT) | instid1(VALU_DEP_2)
	v_cmp_lt_u32_e32 vcc_lo, 14, v129
	v_pk_add_f32 v[124:125], v[124:125], v[130:131]
	s_or_b32 s3, vcc_lo, s3
	s_delay_alu instid0(SALU_CYCLE_1)
	s_and_not1_b32 exec_lo, exec_lo, s3
	s_cbranch_execnz .LBB59_747
; %bb.748:
	s_or_b32 exec_lo, exec_lo, s3
.LBB59_749:
	s_delay_alu instid0(SALU_CYCLE_1) | instskip(SKIP_4) | instid1(VALU_DEP_1)
	s_or_b32 exec_lo, exec_lo, s2
	v_mov_b32_e32 v127, 0
	ds_load_b64 v[128:129], v127 offset:128
	s_wait_dscnt 0x0
	v_pk_mul_f32 v[130:131], v[124:125], v[128:129] op_sel:[1,1] op_sel_hi:[0,1]
	v_pk_fma_f32 v[132:133], v[124:125], v[128:129], v[130:131] op_sel_hi:[1,0,1]
	v_pk_fma_f32 v[124:125], v[124:125], v[128:129], v[130:131] neg_lo:[0,0,1] neg_hi:[0,0,1]
	s_delay_alu instid0(VALU_DEP_2)
	v_mov_b32_e32 v125, v133
	scratch_store_b64 off, v[124:125], off offset:128
.LBB59_750:
	s_wait_xcnt 0x0
	s_or_b32 exec_lo, exec_lo, s0
	scratch_load_b64 v[124:125], off, off offset:136
	s_mov_b32 s0, exec_lo
	s_wait_loadcnt 0x0
	ds_store_b64 v1, v[124:125]
	s_wait_storecnt_dscnt 0x0
	s_barrier_signal -1
	s_barrier_wait -1
	s_wait_xcnt 0x0
	v_cmpx_gt_u32_e32 17, v0
	s_cbranch_execz .LBB59_760
; %bb.751:
	v_cmp_ne_u32_e32 vcc_lo, 1, v126
	s_cbranch_vccnz .LBB59_753
; %bb.752:
	scratch_load_b64 v[124:125], v39, off
	ds_load_b64 v[128:129], v1
	s_wait_loadcnt_dscnt 0x0
	v_pk_mul_f32 v[130:131], v[128:129], v[124:125] op_sel:[1,1] op_sel_hi:[0,1]
	s_delay_alu instid0(VALU_DEP_1) | instskip(SKIP_1) | instid1(VALU_DEP_2)
	v_pk_fma_f32 v[132:133], v[128:129], v[124:125], v[130:131] op_sel_hi:[1,0,1]
	v_pk_fma_f32 v[124:125], v[128:129], v[124:125], v[130:131] neg_lo:[0,0,1] neg_hi:[0,0,1]
	v_mov_b32_e32 v125, v133
	s_cbranch_execz .LBB59_754
	s_branch .LBB59_755
.LBB59_753:
                                        ; implicit-def: $vgpr124_vgpr125
.LBB59_754:
	ds_load_b64 v[124:125], v1
.LBB59_755:
	s_mov_b32 s2, exec_lo
	v_cmpx_ne_u32_e32 16, v0
	s_cbranch_execz .LBB59_759
; %bb.756:
	v_add_nc_u32_e32 v127, 0x1e8, v38
	v_add3_u32 v128, 0, v38, 8
	v_mov_b32_e32 v129, v0
	s_mov_b32 s3, 0
.LBB59_757:                             ; =>This Inner Loop Header: Depth=1
	scratch_load_b64 v[130:131], v128, off
	ds_load_b64 v[132:133], v127
	s_wait_xcnt 0x0
	v_dual_add_nc_u32 v127, 8, v127 :: v_dual_add_nc_u32 v128, 8, v128
	s_wait_loadcnt_dscnt 0x0
	v_pk_mul_f32 v[134:135], v[132:133], v[130:131] op_sel:[1,1] op_sel_hi:[0,1]
	s_delay_alu instid0(VALU_DEP_1) | instskip(SKIP_2) | instid1(VALU_DEP_3)
	v_pk_fma_f32 v[136:137], v[132:133], v[130:131], v[134:135] op_sel_hi:[1,0,1]
	v_add_nc_u32_e32 v129, 1, v129
	v_pk_fma_f32 v[130:131], v[132:133], v[130:131], v[134:135] neg_lo:[0,0,1] neg_hi:[0,0,1]
	v_mov_b32_e32 v131, v137
	s_delay_alu instid0(VALU_DEP_3) | instskip(NEXT) | instid1(VALU_DEP_2)
	v_cmp_lt_u32_e32 vcc_lo, 15, v129
	v_pk_add_f32 v[124:125], v[124:125], v[130:131]
	s_or_b32 s3, vcc_lo, s3
	s_delay_alu instid0(SALU_CYCLE_1)
	s_and_not1_b32 exec_lo, exec_lo, s3
	s_cbranch_execnz .LBB59_757
; %bb.758:
	s_or_b32 exec_lo, exec_lo, s3
.LBB59_759:
	s_delay_alu instid0(SALU_CYCLE_1) | instskip(SKIP_4) | instid1(VALU_DEP_1)
	s_or_b32 exec_lo, exec_lo, s2
	v_mov_b32_e32 v127, 0
	ds_load_b64 v[128:129], v127 offset:136
	s_wait_dscnt 0x0
	v_pk_mul_f32 v[130:131], v[124:125], v[128:129] op_sel:[1,1] op_sel_hi:[0,1]
	v_pk_fma_f32 v[132:133], v[124:125], v[128:129], v[130:131] op_sel_hi:[1,0,1]
	v_pk_fma_f32 v[124:125], v[124:125], v[128:129], v[130:131] neg_lo:[0,0,1] neg_hi:[0,0,1]
	s_delay_alu instid0(VALU_DEP_2)
	v_mov_b32_e32 v125, v133
	scratch_store_b64 off, v[124:125], off offset:136
.LBB59_760:
	s_wait_xcnt 0x0
	s_or_b32 exec_lo, exec_lo, s0
	scratch_load_b64 v[124:125], off, off offset:144
	s_mov_b32 s0, exec_lo
	s_wait_loadcnt 0x0
	ds_store_b64 v1, v[124:125]
	s_wait_storecnt_dscnt 0x0
	s_barrier_signal -1
	s_barrier_wait -1
	s_wait_xcnt 0x0
	v_cmpx_gt_u32_e32 18, v0
	s_cbranch_execz .LBB59_770
; %bb.761:
	v_cmp_ne_u32_e32 vcc_lo, 1, v126
	s_cbranch_vccnz .LBB59_763
; %bb.762:
	scratch_load_b64 v[124:125], v39, off
	ds_load_b64 v[128:129], v1
	s_wait_loadcnt_dscnt 0x0
	v_pk_mul_f32 v[130:131], v[128:129], v[124:125] op_sel:[1,1] op_sel_hi:[0,1]
	s_delay_alu instid0(VALU_DEP_1) | instskip(SKIP_1) | instid1(VALU_DEP_2)
	v_pk_fma_f32 v[132:133], v[128:129], v[124:125], v[130:131] op_sel_hi:[1,0,1]
	v_pk_fma_f32 v[124:125], v[128:129], v[124:125], v[130:131] neg_lo:[0,0,1] neg_hi:[0,0,1]
	v_mov_b32_e32 v125, v133
	s_cbranch_execz .LBB59_764
	s_branch .LBB59_765
.LBB59_763:
                                        ; implicit-def: $vgpr124_vgpr125
.LBB59_764:
	ds_load_b64 v[124:125], v1
.LBB59_765:
	s_mov_b32 s2, exec_lo
	v_cmpx_ne_u32_e32 17, v0
	s_cbranch_execz .LBB59_769
; %bb.766:
	v_add_nc_u32_e32 v127, 0x1e8, v38
	v_add3_u32 v128, 0, v38, 8
	v_mov_b32_e32 v129, v0
	s_mov_b32 s3, 0
.LBB59_767:                             ; =>This Inner Loop Header: Depth=1
	scratch_load_b64 v[130:131], v128, off
	ds_load_b64 v[132:133], v127
	s_wait_xcnt 0x0
	v_dual_add_nc_u32 v127, 8, v127 :: v_dual_add_nc_u32 v128, 8, v128
	s_wait_loadcnt_dscnt 0x0
	v_pk_mul_f32 v[134:135], v[132:133], v[130:131] op_sel:[1,1] op_sel_hi:[0,1]
	s_delay_alu instid0(VALU_DEP_1) | instskip(SKIP_2) | instid1(VALU_DEP_3)
	v_pk_fma_f32 v[136:137], v[132:133], v[130:131], v[134:135] op_sel_hi:[1,0,1]
	v_add_nc_u32_e32 v129, 1, v129
	v_pk_fma_f32 v[130:131], v[132:133], v[130:131], v[134:135] neg_lo:[0,0,1] neg_hi:[0,0,1]
	v_mov_b32_e32 v131, v137
	s_delay_alu instid0(VALU_DEP_3) | instskip(NEXT) | instid1(VALU_DEP_2)
	v_cmp_lt_u32_e32 vcc_lo, 16, v129
	v_pk_add_f32 v[124:125], v[124:125], v[130:131]
	s_or_b32 s3, vcc_lo, s3
	s_delay_alu instid0(SALU_CYCLE_1)
	s_and_not1_b32 exec_lo, exec_lo, s3
	s_cbranch_execnz .LBB59_767
; %bb.768:
	s_or_b32 exec_lo, exec_lo, s3
.LBB59_769:
	s_delay_alu instid0(SALU_CYCLE_1) | instskip(SKIP_4) | instid1(VALU_DEP_1)
	s_or_b32 exec_lo, exec_lo, s2
	v_mov_b32_e32 v127, 0
	ds_load_b64 v[128:129], v127 offset:144
	s_wait_dscnt 0x0
	v_pk_mul_f32 v[130:131], v[124:125], v[128:129] op_sel:[1,1] op_sel_hi:[0,1]
	v_pk_fma_f32 v[132:133], v[124:125], v[128:129], v[130:131] op_sel_hi:[1,0,1]
	v_pk_fma_f32 v[124:125], v[124:125], v[128:129], v[130:131] neg_lo:[0,0,1] neg_hi:[0,0,1]
	s_delay_alu instid0(VALU_DEP_2)
	v_mov_b32_e32 v125, v133
	scratch_store_b64 off, v[124:125], off offset:144
.LBB59_770:
	s_wait_xcnt 0x0
	s_or_b32 exec_lo, exec_lo, s0
	scratch_load_b64 v[124:125], off, off offset:152
	s_mov_b32 s0, exec_lo
	s_wait_loadcnt 0x0
	ds_store_b64 v1, v[124:125]
	s_wait_storecnt_dscnt 0x0
	s_barrier_signal -1
	s_barrier_wait -1
	s_wait_xcnt 0x0
	v_cmpx_gt_u32_e32 19, v0
	s_cbranch_execz .LBB59_780
; %bb.771:
	v_cmp_ne_u32_e32 vcc_lo, 1, v126
	s_cbranch_vccnz .LBB59_773
; %bb.772:
	scratch_load_b64 v[124:125], v39, off
	ds_load_b64 v[128:129], v1
	s_wait_loadcnt_dscnt 0x0
	v_pk_mul_f32 v[130:131], v[128:129], v[124:125] op_sel:[1,1] op_sel_hi:[0,1]
	s_delay_alu instid0(VALU_DEP_1) | instskip(SKIP_1) | instid1(VALU_DEP_2)
	v_pk_fma_f32 v[132:133], v[128:129], v[124:125], v[130:131] op_sel_hi:[1,0,1]
	v_pk_fma_f32 v[124:125], v[128:129], v[124:125], v[130:131] neg_lo:[0,0,1] neg_hi:[0,0,1]
	v_mov_b32_e32 v125, v133
	s_cbranch_execz .LBB59_774
	s_branch .LBB59_775
.LBB59_773:
                                        ; implicit-def: $vgpr124_vgpr125
.LBB59_774:
	ds_load_b64 v[124:125], v1
.LBB59_775:
	s_mov_b32 s2, exec_lo
	v_cmpx_ne_u32_e32 18, v0
	s_cbranch_execz .LBB59_779
; %bb.776:
	v_add_nc_u32_e32 v127, 0x1e8, v38
	v_add3_u32 v128, 0, v38, 8
	v_mov_b32_e32 v129, v0
	s_mov_b32 s3, 0
.LBB59_777:                             ; =>This Inner Loop Header: Depth=1
	scratch_load_b64 v[130:131], v128, off
	ds_load_b64 v[132:133], v127
	s_wait_xcnt 0x0
	v_dual_add_nc_u32 v127, 8, v127 :: v_dual_add_nc_u32 v128, 8, v128
	s_wait_loadcnt_dscnt 0x0
	v_pk_mul_f32 v[134:135], v[132:133], v[130:131] op_sel:[1,1] op_sel_hi:[0,1]
	s_delay_alu instid0(VALU_DEP_1) | instskip(SKIP_2) | instid1(VALU_DEP_3)
	v_pk_fma_f32 v[136:137], v[132:133], v[130:131], v[134:135] op_sel_hi:[1,0,1]
	v_add_nc_u32_e32 v129, 1, v129
	v_pk_fma_f32 v[130:131], v[132:133], v[130:131], v[134:135] neg_lo:[0,0,1] neg_hi:[0,0,1]
	v_mov_b32_e32 v131, v137
	s_delay_alu instid0(VALU_DEP_3) | instskip(NEXT) | instid1(VALU_DEP_2)
	v_cmp_lt_u32_e32 vcc_lo, 17, v129
	v_pk_add_f32 v[124:125], v[124:125], v[130:131]
	s_or_b32 s3, vcc_lo, s3
	s_delay_alu instid0(SALU_CYCLE_1)
	s_and_not1_b32 exec_lo, exec_lo, s3
	s_cbranch_execnz .LBB59_777
; %bb.778:
	s_or_b32 exec_lo, exec_lo, s3
.LBB59_779:
	s_delay_alu instid0(SALU_CYCLE_1) | instskip(SKIP_4) | instid1(VALU_DEP_1)
	s_or_b32 exec_lo, exec_lo, s2
	v_mov_b32_e32 v127, 0
	ds_load_b64 v[128:129], v127 offset:152
	s_wait_dscnt 0x0
	v_pk_mul_f32 v[130:131], v[124:125], v[128:129] op_sel:[1,1] op_sel_hi:[0,1]
	v_pk_fma_f32 v[132:133], v[124:125], v[128:129], v[130:131] op_sel_hi:[1,0,1]
	v_pk_fma_f32 v[124:125], v[124:125], v[128:129], v[130:131] neg_lo:[0,0,1] neg_hi:[0,0,1]
	s_delay_alu instid0(VALU_DEP_2)
	v_mov_b32_e32 v125, v133
	scratch_store_b64 off, v[124:125], off offset:152
.LBB59_780:
	s_wait_xcnt 0x0
	s_or_b32 exec_lo, exec_lo, s0
	scratch_load_b64 v[124:125], off, off offset:160
	s_mov_b32 s0, exec_lo
	s_wait_loadcnt 0x0
	ds_store_b64 v1, v[124:125]
	s_wait_storecnt_dscnt 0x0
	s_barrier_signal -1
	s_barrier_wait -1
	s_wait_xcnt 0x0
	v_cmpx_gt_u32_e32 20, v0
	s_cbranch_execz .LBB59_790
; %bb.781:
	v_cmp_ne_u32_e32 vcc_lo, 1, v126
	s_cbranch_vccnz .LBB59_783
; %bb.782:
	scratch_load_b64 v[124:125], v39, off
	ds_load_b64 v[128:129], v1
	s_wait_loadcnt_dscnt 0x0
	v_pk_mul_f32 v[130:131], v[128:129], v[124:125] op_sel:[1,1] op_sel_hi:[0,1]
	s_delay_alu instid0(VALU_DEP_1) | instskip(SKIP_1) | instid1(VALU_DEP_2)
	v_pk_fma_f32 v[132:133], v[128:129], v[124:125], v[130:131] op_sel_hi:[1,0,1]
	v_pk_fma_f32 v[124:125], v[128:129], v[124:125], v[130:131] neg_lo:[0,0,1] neg_hi:[0,0,1]
	v_mov_b32_e32 v125, v133
	s_cbranch_execz .LBB59_784
	s_branch .LBB59_785
.LBB59_783:
                                        ; implicit-def: $vgpr124_vgpr125
.LBB59_784:
	ds_load_b64 v[124:125], v1
.LBB59_785:
	s_mov_b32 s2, exec_lo
	v_cmpx_ne_u32_e32 19, v0
	s_cbranch_execz .LBB59_789
; %bb.786:
	v_add_nc_u32_e32 v127, 0x1e8, v38
	v_add3_u32 v128, 0, v38, 8
	v_mov_b32_e32 v129, v0
	s_mov_b32 s3, 0
.LBB59_787:                             ; =>This Inner Loop Header: Depth=1
	scratch_load_b64 v[130:131], v128, off
	ds_load_b64 v[132:133], v127
	s_wait_xcnt 0x0
	v_dual_add_nc_u32 v127, 8, v127 :: v_dual_add_nc_u32 v128, 8, v128
	s_wait_loadcnt_dscnt 0x0
	v_pk_mul_f32 v[134:135], v[132:133], v[130:131] op_sel:[1,1] op_sel_hi:[0,1]
	s_delay_alu instid0(VALU_DEP_1) | instskip(SKIP_2) | instid1(VALU_DEP_3)
	v_pk_fma_f32 v[136:137], v[132:133], v[130:131], v[134:135] op_sel_hi:[1,0,1]
	v_add_nc_u32_e32 v129, 1, v129
	v_pk_fma_f32 v[130:131], v[132:133], v[130:131], v[134:135] neg_lo:[0,0,1] neg_hi:[0,0,1]
	v_mov_b32_e32 v131, v137
	s_delay_alu instid0(VALU_DEP_3) | instskip(NEXT) | instid1(VALU_DEP_2)
	v_cmp_lt_u32_e32 vcc_lo, 18, v129
	v_pk_add_f32 v[124:125], v[124:125], v[130:131]
	s_or_b32 s3, vcc_lo, s3
	s_delay_alu instid0(SALU_CYCLE_1)
	s_and_not1_b32 exec_lo, exec_lo, s3
	s_cbranch_execnz .LBB59_787
; %bb.788:
	s_or_b32 exec_lo, exec_lo, s3
.LBB59_789:
	s_delay_alu instid0(SALU_CYCLE_1) | instskip(SKIP_4) | instid1(VALU_DEP_1)
	s_or_b32 exec_lo, exec_lo, s2
	v_mov_b32_e32 v127, 0
	ds_load_b64 v[128:129], v127 offset:160
	s_wait_dscnt 0x0
	v_pk_mul_f32 v[130:131], v[124:125], v[128:129] op_sel:[1,1] op_sel_hi:[0,1]
	v_pk_fma_f32 v[132:133], v[124:125], v[128:129], v[130:131] op_sel_hi:[1,0,1]
	v_pk_fma_f32 v[124:125], v[124:125], v[128:129], v[130:131] neg_lo:[0,0,1] neg_hi:[0,0,1]
	s_delay_alu instid0(VALU_DEP_2)
	v_mov_b32_e32 v125, v133
	scratch_store_b64 off, v[124:125], off offset:160
.LBB59_790:
	s_wait_xcnt 0x0
	s_or_b32 exec_lo, exec_lo, s0
	scratch_load_b64 v[124:125], off, off offset:168
	s_mov_b32 s0, exec_lo
	s_wait_loadcnt 0x0
	ds_store_b64 v1, v[124:125]
	s_wait_storecnt_dscnt 0x0
	s_barrier_signal -1
	s_barrier_wait -1
	s_wait_xcnt 0x0
	v_cmpx_gt_u32_e32 21, v0
	s_cbranch_execz .LBB59_800
; %bb.791:
	v_cmp_ne_u32_e32 vcc_lo, 1, v126
	s_cbranch_vccnz .LBB59_793
; %bb.792:
	scratch_load_b64 v[124:125], v39, off
	ds_load_b64 v[128:129], v1
	s_wait_loadcnt_dscnt 0x0
	v_pk_mul_f32 v[130:131], v[128:129], v[124:125] op_sel:[1,1] op_sel_hi:[0,1]
	s_delay_alu instid0(VALU_DEP_1) | instskip(SKIP_1) | instid1(VALU_DEP_2)
	v_pk_fma_f32 v[132:133], v[128:129], v[124:125], v[130:131] op_sel_hi:[1,0,1]
	v_pk_fma_f32 v[124:125], v[128:129], v[124:125], v[130:131] neg_lo:[0,0,1] neg_hi:[0,0,1]
	v_mov_b32_e32 v125, v133
	s_cbranch_execz .LBB59_794
	s_branch .LBB59_795
.LBB59_793:
                                        ; implicit-def: $vgpr124_vgpr125
.LBB59_794:
	ds_load_b64 v[124:125], v1
.LBB59_795:
	s_mov_b32 s2, exec_lo
	v_cmpx_ne_u32_e32 20, v0
	s_cbranch_execz .LBB59_799
; %bb.796:
	v_add_nc_u32_e32 v127, 0x1e8, v38
	v_add3_u32 v128, 0, v38, 8
	v_mov_b32_e32 v129, v0
	s_mov_b32 s3, 0
.LBB59_797:                             ; =>This Inner Loop Header: Depth=1
	scratch_load_b64 v[130:131], v128, off
	ds_load_b64 v[132:133], v127
	s_wait_xcnt 0x0
	v_dual_add_nc_u32 v127, 8, v127 :: v_dual_add_nc_u32 v128, 8, v128
	s_wait_loadcnt_dscnt 0x0
	v_pk_mul_f32 v[134:135], v[132:133], v[130:131] op_sel:[1,1] op_sel_hi:[0,1]
	s_delay_alu instid0(VALU_DEP_1) | instskip(SKIP_2) | instid1(VALU_DEP_3)
	v_pk_fma_f32 v[136:137], v[132:133], v[130:131], v[134:135] op_sel_hi:[1,0,1]
	v_add_nc_u32_e32 v129, 1, v129
	v_pk_fma_f32 v[130:131], v[132:133], v[130:131], v[134:135] neg_lo:[0,0,1] neg_hi:[0,0,1]
	v_mov_b32_e32 v131, v137
	s_delay_alu instid0(VALU_DEP_3) | instskip(NEXT) | instid1(VALU_DEP_2)
	v_cmp_lt_u32_e32 vcc_lo, 19, v129
	v_pk_add_f32 v[124:125], v[124:125], v[130:131]
	s_or_b32 s3, vcc_lo, s3
	s_delay_alu instid0(SALU_CYCLE_1)
	s_and_not1_b32 exec_lo, exec_lo, s3
	s_cbranch_execnz .LBB59_797
; %bb.798:
	s_or_b32 exec_lo, exec_lo, s3
.LBB59_799:
	s_delay_alu instid0(SALU_CYCLE_1) | instskip(SKIP_4) | instid1(VALU_DEP_1)
	s_or_b32 exec_lo, exec_lo, s2
	v_mov_b32_e32 v127, 0
	ds_load_b64 v[128:129], v127 offset:168
	s_wait_dscnt 0x0
	v_pk_mul_f32 v[130:131], v[124:125], v[128:129] op_sel:[1,1] op_sel_hi:[0,1]
	v_pk_fma_f32 v[132:133], v[124:125], v[128:129], v[130:131] op_sel_hi:[1,0,1]
	v_pk_fma_f32 v[124:125], v[124:125], v[128:129], v[130:131] neg_lo:[0,0,1] neg_hi:[0,0,1]
	s_delay_alu instid0(VALU_DEP_2)
	v_mov_b32_e32 v125, v133
	scratch_store_b64 off, v[124:125], off offset:168
.LBB59_800:
	s_wait_xcnt 0x0
	s_or_b32 exec_lo, exec_lo, s0
	scratch_load_b64 v[124:125], off, off offset:176
	s_mov_b32 s0, exec_lo
	s_wait_loadcnt 0x0
	ds_store_b64 v1, v[124:125]
	s_wait_storecnt_dscnt 0x0
	s_barrier_signal -1
	s_barrier_wait -1
	s_wait_xcnt 0x0
	v_cmpx_gt_u32_e32 22, v0
	s_cbranch_execz .LBB59_810
; %bb.801:
	v_cmp_ne_u32_e32 vcc_lo, 1, v126
	s_cbranch_vccnz .LBB59_803
; %bb.802:
	scratch_load_b64 v[124:125], v39, off
	ds_load_b64 v[128:129], v1
	s_wait_loadcnt_dscnt 0x0
	v_pk_mul_f32 v[130:131], v[128:129], v[124:125] op_sel:[1,1] op_sel_hi:[0,1]
	s_delay_alu instid0(VALU_DEP_1) | instskip(SKIP_1) | instid1(VALU_DEP_2)
	v_pk_fma_f32 v[132:133], v[128:129], v[124:125], v[130:131] op_sel_hi:[1,0,1]
	v_pk_fma_f32 v[124:125], v[128:129], v[124:125], v[130:131] neg_lo:[0,0,1] neg_hi:[0,0,1]
	v_mov_b32_e32 v125, v133
	s_cbranch_execz .LBB59_804
	s_branch .LBB59_805
.LBB59_803:
                                        ; implicit-def: $vgpr124_vgpr125
.LBB59_804:
	ds_load_b64 v[124:125], v1
.LBB59_805:
	s_mov_b32 s2, exec_lo
	v_cmpx_ne_u32_e32 21, v0
	s_cbranch_execz .LBB59_809
; %bb.806:
	v_add_nc_u32_e32 v127, 0x1e8, v38
	v_add3_u32 v128, 0, v38, 8
	v_mov_b32_e32 v129, v0
	s_mov_b32 s3, 0
.LBB59_807:                             ; =>This Inner Loop Header: Depth=1
	scratch_load_b64 v[130:131], v128, off
	ds_load_b64 v[132:133], v127
	s_wait_xcnt 0x0
	v_dual_add_nc_u32 v127, 8, v127 :: v_dual_add_nc_u32 v128, 8, v128
	s_wait_loadcnt_dscnt 0x0
	v_pk_mul_f32 v[134:135], v[132:133], v[130:131] op_sel:[1,1] op_sel_hi:[0,1]
	s_delay_alu instid0(VALU_DEP_1) | instskip(SKIP_2) | instid1(VALU_DEP_3)
	v_pk_fma_f32 v[136:137], v[132:133], v[130:131], v[134:135] op_sel_hi:[1,0,1]
	v_add_nc_u32_e32 v129, 1, v129
	v_pk_fma_f32 v[130:131], v[132:133], v[130:131], v[134:135] neg_lo:[0,0,1] neg_hi:[0,0,1]
	v_mov_b32_e32 v131, v137
	s_delay_alu instid0(VALU_DEP_3) | instskip(NEXT) | instid1(VALU_DEP_2)
	v_cmp_lt_u32_e32 vcc_lo, 20, v129
	v_pk_add_f32 v[124:125], v[124:125], v[130:131]
	s_or_b32 s3, vcc_lo, s3
	s_delay_alu instid0(SALU_CYCLE_1)
	s_and_not1_b32 exec_lo, exec_lo, s3
	s_cbranch_execnz .LBB59_807
; %bb.808:
	s_or_b32 exec_lo, exec_lo, s3
.LBB59_809:
	s_delay_alu instid0(SALU_CYCLE_1) | instskip(SKIP_4) | instid1(VALU_DEP_1)
	s_or_b32 exec_lo, exec_lo, s2
	v_mov_b32_e32 v127, 0
	ds_load_b64 v[128:129], v127 offset:176
	s_wait_dscnt 0x0
	v_pk_mul_f32 v[130:131], v[124:125], v[128:129] op_sel:[1,1] op_sel_hi:[0,1]
	v_pk_fma_f32 v[132:133], v[124:125], v[128:129], v[130:131] op_sel_hi:[1,0,1]
	v_pk_fma_f32 v[124:125], v[124:125], v[128:129], v[130:131] neg_lo:[0,0,1] neg_hi:[0,0,1]
	s_delay_alu instid0(VALU_DEP_2)
	v_mov_b32_e32 v125, v133
	scratch_store_b64 off, v[124:125], off offset:176
.LBB59_810:
	s_wait_xcnt 0x0
	s_or_b32 exec_lo, exec_lo, s0
	scratch_load_b64 v[124:125], off, off offset:184
	s_mov_b32 s0, exec_lo
	s_wait_loadcnt 0x0
	ds_store_b64 v1, v[124:125]
	s_wait_storecnt_dscnt 0x0
	s_barrier_signal -1
	s_barrier_wait -1
	s_wait_xcnt 0x0
	v_cmpx_gt_u32_e32 23, v0
	s_cbranch_execz .LBB59_820
; %bb.811:
	v_cmp_ne_u32_e32 vcc_lo, 1, v126
	s_cbranch_vccnz .LBB59_813
; %bb.812:
	scratch_load_b64 v[124:125], v39, off
	ds_load_b64 v[128:129], v1
	s_wait_loadcnt_dscnt 0x0
	v_pk_mul_f32 v[130:131], v[128:129], v[124:125] op_sel:[1,1] op_sel_hi:[0,1]
	s_delay_alu instid0(VALU_DEP_1) | instskip(SKIP_1) | instid1(VALU_DEP_2)
	v_pk_fma_f32 v[132:133], v[128:129], v[124:125], v[130:131] op_sel_hi:[1,0,1]
	v_pk_fma_f32 v[124:125], v[128:129], v[124:125], v[130:131] neg_lo:[0,0,1] neg_hi:[0,0,1]
	v_mov_b32_e32 v125, v133
	s_cbranch_execz .LBB59_814
	s_branch .LBB59_815
.LBB59_813:
                                        ; implicit-def: $vgpr124_vgpr125
.LBB59_814:
	ds_load_b64 v[124:125], v1
.LBB59_815:
	s_mov_b32 s2, exec_lo
	v_cmpx_ne_u32_e32 22, v0
	s_cbranch_execz .LBB59_819
; %bb.816:
	v_add_nc_u32_e32 v127, 0x1e8, v38
	v_add3_u32 v128, 0, v38, 8
	v_mov_b32_e32 v129, v0
	s_mov_b32 s3, 0
.LBB59_817:                             ; =>This Inner Loop Header: Depth=1
	scratch_load_b64 v[130:131], v128, off
	ds_load_b64 v[132:133], v127
	s_wait_xcnt 0x0
	v_dual_add_nc_u32 v127, 8, v127 :: v_dual_add_nc_u32 v128, 8, v128
	s_wait_loadcnt_dscnt 0x0
	v_pk_mul_f32 v[134:135], v[132:133], v[130:131] op_sel:[1,1] op_sel_hi:[0,1]
	s_delay_alu instid0(VALU_DEP_1) | instskip(SKIP_2) | instid1(VALU_DEP_3)
	v_pk_fma_f32 v[136:137], v[132:133], v[130:131], v[134:135] op_sel_hi:[1,0,1]
	v_add_nc_u32_e32 v129, 1, v129
	v_pk_fma_f32 v[130:131], v[132:133], v[130:131], v[134:135] neg_lo:[0,0,1] neg_hi:[0,0,1]
	v_mov_b32_e32 v131, v137
	s_delay_alu instid0(VALU_DEP_3) | instskip(NEXT) | instid1(VALU_DEP_2)
	v_cmp_lt_u32_e32 vcc_lo, 21, v129
	v_pk_add_f32 v[124:125], v[124:125], v[130:131]
	s_or_b32 s3, vcc_lo, s3
	s_delay_alu instid0(SALU_CYCLE_1)
	s_and_not1_b32 exec_lo, exec_lo, s3
	s_cbranch_execnz .LBB59_817
; %bb.818:
	s_or_b32 exec_lo, exec_lo, s3
.LBB59_819:
	s_delay_alu instid0(SALU_CYCLE_1) | instskip(SKIP_4) | instid1(VALU_DEP_1)
	s_or_b32 exec_lo, exec_lo, s2
	v_mov_b32_e32 v127, 0
	ds_load_b64 v[128:129], v127 offset:184
	s_wait_dscnt 0x0
	v_pk_mul_f32 v[130:131], v[124:125], v[128:129] op_sel:[1,1] op_sel_hi:[0,1]
	v_pk_fma_f32 v[132:133], v[124:125], v[128:129], v[130:131] op_sel_hi:[1,0,1]
	v_pk_fma_f32 v[124:125], v[124:125], v[128:129], v[130:131] neg_lo:[0,0,1] neg_hi:[0,0,1]
	s_delay_alu instid0(VALU_DEP_2)
	v_mov_b32_e32 v125, v133
	scratch_store_b64 off, v[124:125], off offset:184
.LBB59_820:
	s_wait_xcnt 0x0
	s_or_b32 exec_lo, exec_lo, s0
	scratch_load_b64 v[124:125], off, off offset:192
	s_mov_b32 s0, exec_lo
	s_wait_loadcnt 0x0
	ds_store_b64 v1, v[124:125]
	s_wait_storecnt_dscnt 0x0
	s_barrier_signal -1
	s_barrier_wait -1
	s_wait_xcnt 0x0
	v_cmpx_gt_u32_e32 24, v0
	s_cbranch_execz .LBB59_830
; %bb.821:
	v_cmp_ne_u32_e32 vcc_lo, 1, v126
	s_cbranch_vccnz .LBB59_823
; %bb.822:
	scratch_load_b64 v[124:125], v39, off
	ds_load_b64 v[128:129], v1
	s_wait_loadcnt_dscnt 0x0
	v_pk_mul_f32 v[130:131], v[128:129], v[124:125] op_sel:[1,1] op_sel_hi:[0,1]
	s_delay_alu instid0(VALU_DEP_1) | instskip(SKIP_1) | instid1(VALU_DEP_2)
	v_pk_fma_f32 v[132:133], v[128:129], v[124:125], v[130:131] op_sel_hi:[1,0,1]
	v_pk_fma_f32 v[124:125], v[128:129], v[124:125], v[130:131] neg_lo:[0,0,1] neg_hi:[0,0,1]
	v_mov_b32_e32 v125, v133
	s_cbranch_execz .LBB59_824
	s_branch .LBB59_825
.LBB59_823:
                                        ; implicit-def: $vgpr124_vgpr125
.LBB59_824:
	ds_load_b64 v[124:125], v1
.LBB59_825:
	s_mov_b32 s2, exec_lo
	v_cmpx_ne_u32_e32 23, v0
	s_cbranch_execz .LBB59_829
; %bb.826:
	v_add_nc_u32_e32 v127, 0x1e8, v38
	v_add3_u32 v128, 0, v38, 8
	v_mov_b32_e32 v129, v0
	s_mov_b32 s3, 0
.LBB59_827:                             ; =>This Inner Loop Header: Depth=1
	scratch_load_b64 v[130:131], v128, off
	ds_load_b64 v[132:133], v127
	s_wait_xcnt 0x0
	v_dual_add_nc_u32 v127, 8, v127 :: v_dual_add_nc_u32 v128, 8, v128
	s_wait_loadcnt_dscnt 0x0
	v_pk_mul_f32 v[134:135], v[132:133], v[130:131] op_sel:[1,1] op_sel_hi:[0,1]
	s_delay_alu instid0(VALU_DEP_1) | instskip(SKIP_2) | instid1(VALU_DEP_3)
	v_pk_fma_f32 v[136:137], v[132:133], v[130:131], v[134:135] op_sel_hi:[1,0,1]
	v_add_nc_u32_e32 v129, 1, v129
	v_pk_fma_f32 v[130:131], v[132:133], v[130:131], v[134:135] neg_lo:[0,0,1] neg_hi:[0,0,1]
	v_mov_b32_e32 v131, v137
	s_delay_alu instid0(VALU_DEP_3) | instskip(NEXT) | instid1(VALU_DEP_2)
	v_cmp_lt_u32_e32 vcc_lo, 22, v129
	v_pk_add_f32 v[124:125], v[124:125], v[130:131]
	s_or_b32 s3, vcc_lo, s3
	s_delay_alu instid0(SALU_CYCLE_1)
	s_and_not1_b32 exec_lo, exec_lo, s3
	s_cbranch_execnz .LBB59_827
; %bb.828:
	s_or_b32 exec_lo, exec_lo, s3
.LBB59_829:
	s_delay_alu instid0(SALU_CYCLE_1) | instskip(SKIP_4) | instid1(VALU_DEP_1)
	s_or_b32 exec_lo, exec_lo, s2
	v_mov_b32_e32 v127, 0
	ds_load_b64 v[128:129], v127 offset:192
	s_wait_dscnt 0x0
	v_pk_mul_f32 v[130:131], v[124:125], v[128:129] op_sel:[1,1] op_sel_hi:[0,1]
	v_pk_fma_f32 v[132:133], v[124:125], v[128:129], v[130:131] op_sel_hi:[1,0,1]
	v_pk_fma_f32 v[124:125], v[124:125], v[128:129], v[130:131] neg_lo:[0,0,1] neg_hi:[0,0,1]
	s_delay_alu instid0(VALU_DEP_2)
	v_mov_b32_e32 v125, v133
	scratch_store_b64 off, v[124:125], off offset:192
.LBB59_830:
	s_wait_xcnt 0x0
	s_or_b32 exec_lo, exec_lo, s0
	scratch_load_b64 v[124:125], off, off offset:200
	s_mov_b32 s0, exec_lo
	s_wait_loadcnt 0x0
	ds_store_b64 v1, v[124:125]
	s_wait_storecnt_dscnt 0x0
	s_barrier_signal -1
	s_barrier_wait -1
	s_wait_xcnt 0x0
	v_cmpx_gt_u32_e32 25, v0
	s_cbranch_execz .LBB59_840
; %bb.831:
	v_cmp_ne_u32_e32 vcc_lo, 1, v126
	s_cbranch_vccnz .LBB59_833
; %bb.832:
	scratch_load_b64 v[124:125], v39, off
	ds_load_b64 v[128:129], v1
	s_wait_loadcnt_dscnt 0x0
	v_pk_mul_f32 v[130:131], v[128:129], v[124:125] op_sel:[1,1] op_sel_hi:[0,1]
	s_delay_alu instid0(VALU_DEP_1) | instskip(SKIP_1) | instid1(VALU_DEP_2)
	v_pk_fma_f32 v[132:133], v[128:129], v[124:125], v[130:131] op_sel_hi:[1,0,1]
	v_pk_fma_f32 v[124:125], v[128:129], v[124:125], v[130:131] neg_lo:[0,0,1] neg_hi:[0,0,1]
	v_mov_b32_e32 v125, v133
	s_cbranch_execz .LBB59_834
	s_branch .LBB59_835
.LBB59_833:
                                        ; implicit-def: $vgpr124_vgpr125
.LBB59_834:
	ds_load_b64 v[124:125], v1
.LBB59_835:
	s_mov_b32 s2, exec_lo
	v_cmpx_ne_u32_e32 24, v0
	s_cbranch_execz .LBB59_839
; %bb.836:
	v_add_nc_u32_e32 v127, 0x1e8, v38
	v_add3_u32 v128, 0, v38, 8
	v_mov_b32_e32 v129, v0
	s_mov_b32 s3, 0
.LBB59_837:                             ; =>This Inner Loop Header: Depth=1
	scratch_load_b64 v[130:131], v128, off
	ds_load_b64 v[132:133], v127
	s_wait_xcnt 0x0
	v_dual_add_nc_u32 v127, 8, v127 :: v_dual_add_nc_u32 v128, 8, v128
	s_wait_loadcnt_dscnt 0x0
	v_pk_mul_f32 v[134:135], v[132:133], v[130:131] op_sel:[1,1] op_sel_hi:[0,1]
	s_delay_alu instid0(VALU_DEP_1) | instskip(SKIP_2) | instid1(VALU_DEP_3)
	v_pk_fma_f32 v[136:137], v[132:133], v[130:131], v[134:135] op_sel_hi:[1,0,1]
	v_add_nc_u32_e32 v129, 1, v129
	v_pk_fma_f32 v[130:131], v[132:133], v[130:131], v[134:135] neg_lo:[0,0,1] neg_hi:[0,0,1]
	v_mov_b32_e32 v131, v137
	s_delay_alu instid0(VALU_DEP_3) | instskip(NEXT) | instid1(VALU_DEP_2)
	v_cmp_lt_u32_e32 vcc_lo, 23, v129
	v_pk_add_f32 v[124:125], v[124:125], v[130:131]
	s_or_b32 s3, vcc_lo, s3
	s_delay_alu instid0(SALU_CYCLE_1)
	s_and_not1_b32 exec_lo, exec_lo, s3
	s_cbranch_execnz .LBB59_837
; %bb.838:
	s_or_b32 exec_lo, exec_lo, s3
.LBB59_839:
	s_delay_alu instid0(SALU_CYCLE_1) | instskip(SKIP_4) | instid1(VALU_DEP_1)
	s_or_b32 exec_lo, exec_lo, s2
	v_mov_b32_e32 v127, 0
	ds_load_b64 v[128:129], v127 offset:200
	s_wait_dscnt 0x0
	v_pk_mul_f32 v[130:131], v[124:125], v[128:129] op_sel:[1,1] op_sel_hi:[0,1]
	v_pk_fma_f32 v[132:133], v[124:125], v[128:129], v[130:131] op_sel_hi:[1,0,1]
	v_pk_fma_f32 v[124:125], v[124:125], v[128:129], v[130:131] neg_lo:[0,0,1] neg_hi:[0,0,1]
	s_delay_alu instid0(VALU_DEP_2)
	v_mov_b32_e32 v125, v133
	scratch_store_b64 off, v[124:125], off offset:200
.LBB59_840:
	s_wait_xcnt 0x0
	s_or_b32 exec_lo, exec_lo, s0
	scratch_load_b64 v[124:125], off, off offset:208
	s_mov_b32 s0, exec_lo
	s_wait_loadcnt 0x0
	ds_store_b64 v1, v[124:125]
	s_wait_storecnt_dscnt 0x0
	s_barrier_signal -1
	s_barrier_wait -1
	s_wait_xcnt 0x0
	v_cmpx_gt_u32_e32 26, v0
	s_cbranch_execz .LBB59_850
; %bb.841:
	v_cmp_ne_u32_e32 vcc_lo, 1, v126
	s_cbranch_vccnz .LBB59_843
; %bb.842:
	scratch_load_b64 v[124:125], v39, off
	ds_load_b64 v[128:129], v1
	s_wait_loadcnt_dscnt 0x0
	v_pk_mul_f32 v[130:131], v[128:129], v[124:125] op_sel:[1,1] op_sel_hi:[0,1]
	s_delay_alu instid0(VALU_DEP_1) | instskip(SKIP_1) | instid1(VALU_DEP_2)
	v_pk_fma_f32 v[132:133], v[128:129], v[124:125], v[130:131] op_sel_hi:[1,0,1]
	v_pk_fma_f32 v[124:125], v[128:129], v[124:125], v[130:131] neg_lo:[0,0,1] neg_hi:[0,0,1]
	v_mov_b32_e32 v125, v133
	s_cbranch_execz .LBB59_844
	s_branch .LBB59_845
.LBB59_843:
                                        ; implicit-def: $vgpr124_vgpr125
.LBB59_844:
	ds_load_b64 v[124:125], v1
.LBB59_845:
	s_mov_b32 s2, exec_lo
	v_cmpx_ne_u32_e32 25, v0
	s_cbranch_execz .LBB59_849
; %bb.846:
	v_add_nc_u32_e32 v127, 0x1e8, v38
	v_add3_u32 v128, 0, v38, 8
	v_mov_b32_e32 v129, v0
	s_mov_b32 s3, 0
.LBB59_847:                             ; =>This Inner Loop Header: Depth=1
	scratch_load_b64 v[130:131], v128, off
	ds_load_b64 v[132:133], v127
	s_wait_xcnt 0x0
	v_dual_add_nc_u32 v127, 8, v127 :: v_dual_add_nc_u32 v128, 8, v128
	s_wait_loadcnt_dscnt 0x0
	v_pk_mul_f32 v[134:135], v[132:133], v[130:131] op_sel:[1,1] op_sel_hi:[0,1]
	s_delay_alu instid0(VALU_DEP_1) | instskip(SKIP_2) | instid1(VALU_DEP_3)
	v_pk_fma_f32 v[136:137], v[132:133], v[130:131], v[134:135] op_sel_hi:[1,0,1]
	v_add_nc_u32_e32 v129, 1, v129
	v_pk_fma_f32 v[130:131], v[132:133], v[130:131], v[134:135] neg_lo:[0,0,1] neg_hi:[0,0,1]
	v_mov_b32_e32 v131, v137
	s_delay_alu instid0(VALU_DEP_3) | instskip(NEXT) | instid1(VALU_DEP_2)
	v_cmp_lt_u32_e32 vcc_lo, 24, v129
	v_pk_add_f32 v[124:125], v[124:125], v[130:131]
	s_or_b32 s3, vcc_lo, s3
	s_delay_alu instid0(SALU_CYCLE_1)
	s_and_not1_b32 exec_lo, exec_lo, s3
	s_cbranch_execnz .LBB59_847
; %bb.848:
	s_or_b32 exec_lo, exec_lo, s3
.LBB59_849:
	s_delay_alu instid0(SALU_CYCLE_1) | instskip(SKIP_4) | instid1(VALU_DEP_1)
	s_or_b32 exec_lo, exec_lo, s2
	v_mov_b32_e32 v127, 0
	ds_load_b64 v[128:129], v127 offset:208
	s_wait_dscnt 0x0
	v_pk_mul_f32 v[130:131], v[124:125], v[128:129] op_sel:[1,1] op_sel_hi:[0,1]
	v_pk_fma_f32 v[132:133], v[124:125], v[128:129], v[130:131] op_sel_hi:[1,0,1]
	v_pk_fma_f32 v[124:125], v[124:125], v[128:129], v[130:131] neg_lo:[0,0,1] neg_hi:[0,0,1]
	s_delay_alu instid0(VALU_DEP_2)
	v_mov_b32_e32 v125, v133
	scratch_store_b64 off, v[124:125], off offset:208
.LBB59_850:
	s_wait_xcnt 0x0
	s_or_b32 exec_lo, exec_lo, s0
	scratch_load_b64 v[124:125], off, off offset:216
	s_mov_b32 s0, exec_lo
	s_wait_loadcnt 0x0
	ds_store_b64 v1, v[124:125]
	s_wait_storecnt_dscnt 0x0
	s_barrier_signal -1
	s_barrier_wait -1
	s_wait_xcnt 0x0
	v_cmpx_gt_u32_e32 27, v0
	s_cbranch_execz .LBB59_860
; %bb.851:
	v_cmp_ne_u32_e32 vcc_lo, 1, v126
	s_cbranch_vccnz .LBB59_853
; %bb.852:
	scratch_load_b64 v[124:125], v39, off
	ds_load_b64 v[128:129], v1
	s_wait_loadcnt_dscnt 0x0
	v_pk_mul_f32 v[130:131], v[128:129], v[124:125] op_sel:[1,1] op_sel_hi:[0,1]
	s_delay_alu instid0(VALU_DEP_1) | instskip(SKIP_1) | instid1(VALU_DEP_2)
	v_pk_fma_f32 v[132:133], v[128:129], v[124:125], v[130:131] op_sel_hi:[1,0,1]
	v_pk_fma_f32 v[124:125], v[128:129], v[124:125], v[130:131] neg_lo:[0,0,1] neg_hi:[0,0,1]
	v_mov_b32_e32 v125, v133
	s_cbranch_execz .LBB59_854
	s_branch .LBB59_855
.LBB59_853:
                                        ; implicit-def: $vgpr124_vgpr125
.LBB59_854:
	ds_load_b64 v[124:125], v1
.LBB59_855:
	s_mov_b32 s2, exec_lo
	v_cmpx_ne_u32_e32 26, v0
	s_cbranch_execz .LBB59_859
; %bb.856:
	v_add_nc_u32_e32 v127, 0x1e8, v38
	v_add3_u32 v128, 0, v38, 8
	v_mov_b32_e32 v129, v0
	s_mov_b32 s3, 0
.LBB59_857:                             ; =>This Inner Loop Header: Depth=1
	scratch_load_b64 v[130:131], v128, off
	ds_load_b64 v[132:133], v127
	s_wait_xcnt 0x0
	v_dual_add_nc_u32 v127, 8, v127 :: v_dual_add_nc_u32 v128, 8, v128
	s_wait_loadcnt_dscnt 0x0
	v_pk_mul_f32 v[134:135], v[132:133], v[130:131] op_sel:[1,1] op_sel_hi:[0,1]
	s_delay_alu instid0(VALU_DEP_1) | instskip(SKIP_2) | instid1(VALU_DEP_3)
	v_pk_fma_f32 v[136:137], v[132:133], v[130:131], v[134:135] op_sel_hi:[1,0,1]
	v_add_nc_u32_e32 v129, 1, v129
	v_pk_fma_f32 v[130:131], v[132:133], v[130:131], v[134:135] neg_lo:[0,0,1] neg_hi:[0,0,1]
	v_mov_b32_e32 v131, v137
	s_delay_alu instid0(VALU_DEP_3) | instskip(NEXT) | instid1(VALU_DEP_2)
	v_cmp_lt_u32_e32 vcc_lo, 25, v129
	v_pk_add_f32 v[124:125], v[124:125], v[130:131]
	s_or_b32 s3, vcc_lo, s3
	s_delay_alu instid0(SALU_CYCLE_1)
	s_and_not1_b32 exec_lo, exec_lo, s3
	s_cbranch_execnz .LBB59_857
; %bb.858:
	s_or_b32 exec_lo, exec_lo, s3
.LBB59_859:
	s_delay_alu instid0(SALU_CYCLE_1) | instskip(SKIP_4) | instid1(VALU_DEP_1)
	s_or_b32 exec_lo, exec_lo, s2
	v_mov_b32_e32 v127, 0
	ds_load_b64 v[128:129], v127 offset:216
	s_wait_dscnt 0x0
	v_pk_mul_f32 v[130:131], v[124:125], v[128:129] op_sel:[1,1] op_sel_hi:[0,1]
	v_pk_fma_f32 v[132:133], v[124:125], v[128:129], v[130:131] op_sel_hi:[1,0,1]
	v_pk_fma_f32 v[124:125], v[124:125], v[128:129], v[130:131] neg_lo:[0,0,1] neg_hi:[0,0,1]
	s_delay_alu instid0(VALU_DEP_2)
	v_mov_b32_e32 v125, v133
	scratch_store_b64 off, v[124:125], off offset:216
.LBB59_860:
	s_wait_xcnt 0x0
	s_or_b32 exec_lo, exec_lo, s0
	scratch_load_b64 v[124:125], off, off offset:224
	s_mov_b32 s0, exec_lo
	s_wait_loadcnt 0x0
	ds_store_b64 v1, v[124:125]
	s_wait_storecnt_dscnt 0x0
	s_barrier_signal -1
	s_barrier_wait -1
	s_wait_xcnt 0x0
	v_cmpx_gt_u32_e32 28, v0
	s_cbranch_execz .LBB59_870
; %bb.861:
	v_cmp_ne_u32_e32 vcc_lo, 1, v126
	s_cbranch_vccnz .LBB59_863
; %bb.862:
	scratch_load_b64 v[124:125], v39, off
	ds_load_b64 v[128:129], v1
	s_wait_loadcnt_dscnt 0x0
	v_pk_mul_f32 v[130:131], v[128:129], v[124:125] op_sel:[1,1] op_sel_hi:[0,1]
	s_delay_alu instid0(VALU_DEP_1) | instskip(SKIP_1) | instid1(VALU_DEP_2)
	v_pk_fma_f32 v[132:133], v[128:129], v[124:125], v[130:131] op_sel_hi:[1,0,1]
	v_pk_fma_f32 v[124:125], v[128:129], v[124:125], v[130:131] neg_lo:[0,0,1] neg_hi:[0,0,1]
	v_mov_b32_e32 v125, v133
	s_cbranch_execz .LBB59_864
	s_branch .LBB59_865
.LBB59_863:
                                        ; implicit-def: $vgpr124_vgpr125
.LBB59_864:
	ds_load_b64 v[124:125], v1
.LBB59_865:
	s_mov_b32 s2, exec_lo
	v_cmpx_ne_u32_e32 27, v0
	s_cbranch_execz .LBB59_869
; %bb.866:
	v_add_nc_u32_e32 v127, 0x1e8, v38
	v_add3_u32 v128, 0, v38, 8
	v_mov_b32_e32 v129, v0
	s_mov_b32 s3, 0
.LBB59_867:                             ; =>This Inner Loop Header: Depth=1
	scratch_load_b64 v[130:131], v128, off
	ds_load_b64 v[132:133], v127
	s_wait_xcnt 0x0
	v_dual_add_nc_u32 v127, 8, v127 :: v_dual_add_nc_u32 v128, 8, v128
	s_wait_loadcnt_dscnt 0x0
	v_pk_mul_f32 v[134:135], v[132:133], v[130:131] op_sel:[1,1] op_sel_hi:[0,1]
	s_delay_alu instid0(VALU_DEP_1) | instskip(SKIP_2) | instid1(VALU_DEP_3)
	v_pk_fma_f32 v[136:137], v[132:133], v[130:131], v[134:135] op_sel_hi:[1,0,1]
	v_add_nc_u32_e32 v129, 1, v129
	v_pk_fma_f32 v[130:131], v[132:133], v[130:131], v[134:135] neg_lo:[0,0,1] neg_hi:[0,0,1]
	v_mov_b32_e32 v131, v137
	s_delay_alu instid0(VALU_DEP_3) | instskip(NEXT) | instid1(VALU_DEP_2)
	v_cmp_lt_u32_e32 vcc_lo, 26, v129
	v_pk_add_f32 v[124:125], v[124:125], v[130:131]
	s_or_b32 s3, vcc_lo, s3
	s_delay_alu instid0(SALU_CYCLE_1)
	s_and_not1_b32 exec_lo, exec_lo, s3
	s_cbranch_execnz .LBB59_867
; %bb.868:
	s_or_b32 exec_lo, exec_lo, s3
.LBB59_869:
	s_delay_alu instid0(SALU_CYCLE_1) | instskip(SKIP_4) | instid1(VALU_DEP_1)
	s_or_b32 exec_lo, exec_lo, s2
	v_mov_b32_e32 v127, 0
	ds_load_b64 v[128:129], v127 offset:224
	s_wait_dscnt 0x0
	v_pk_mul_f32 v[130:131], v[124:125], v[128:129] op_sel:[1,1] op_sel_hi:[0,1]
	v_pk_fma_f32 v[132:133], v[124:125], v[128:129], v[130:131] op_sel_hi:[1,0,1]
	v_pk_fma_f32 v[124:125], v[124:125], v[128:129], v[130:131] neg_lo:[0,0,1] neg_hi:[0,0,1]
	s_delay_alu instid0(VALU_DEP_2)
	v_mov_b32_e32 v125, v133
	scratch_store_b64 off, v[124:125], off offset:224
.LBB59_870:
	s_wait_xcnt 0x0
	s_or_b32 exec_lo, exec_lo, s0
	scratch_load_b64 v[124:125], off, off offset:232
	s_mov_b32 s0, exec_lo
	s_wait_loadcnt 0x0
	ds_store_b64 v1, v[124:125]
	s_wait_storecnt_dscnt 0x0
	s_barrier_signal -1
	s_barrier_wait -1
	s_wait_xcnt 0x0
	v_cmpx_gt_u32_e32 29, v0
	s_cbranch_execz .LBB59_880
; %bb.871:
	v_cmp_ne_u32_e32 vcc_lo, 1, v126
	s_cbranch_vccnz .LBB59_873
; %bb.872:
	scratch_load_b64 v[124:125], v39, off
	ds_load_b64 v[128:129], v1
	s_wait_loadcnt_dscnt 0x0
	v_pk_mul_f32 v[130:131], v[128:129], v[124:125] op_sel:[1,1] op_sel_hi:[0,1]
	s_delay_alu instid0(VALU_DEP_1) | instskip(SKIP_1) | instid1(VALU_DEP_2)
	v_pk_fma_f32 v[132:133], v[128:129], v[124:125], v[130:131] op_sel_hi:[1,0,1]
	v_pk_fma_f32 v[124:125], v[128:129], v[124:125], v[130:131] neg_lo:[0,0,1] neg_hi:[0,0,1]
	v_mov_b32_e32 v125, v133
	s_cbranch_execz .LBB59_874
	s_branch .LBB59_875
.LBB59_873:
                                        ; implicit-def: $vgpr124_vgpr125
.LBB59_874:
	ds_load_b64 v[124:125], v1
.LBB59_875:
	s_mov_b32 s2, exec_lo
	v_cmpx_ne_u32_e32 28, v0
	s_cbranch_execz .LBB59_879
; %bb.876:
	v_add_nc_u32_e32 v127, 0x1e8, v38
	v_add3_u32 v128, 0, v38, 8
	v_mov_b32_e32 v129, v0
	s_mov_b32 s3, 0
.LBB59_877:                             ; =>This Inner Loop Header: Depth=1
	scratch_load_b64 v[130:131], v128, off
	ds_load_b64 v[132:133], v127
	s_wait_xcnt 0x0
	v_dual_add_nc_u32 v127, 8, v127 :: v_dual_add_nc_u32 v128, 8, v128
	s_wait_loadcnt_dscnt 0x0
	v_pk_mul_f32 v[134:135], v[132:133], v[130:131] op_sel:[1,1] op_sel_hi:[0,1]
	s_delay_alu instid0(VALU_DEP_1) | instskip(SKIP_2) | instid1(VALU_DEP_3)
	v_pk_fma_f32 v[136:137], v[132:133], v[130:131], v[134:135] op_sel_hi:[1,0,1]
	v_add_nc_u32_e32 v129, 1, v129
	v_pk_fma_f32 v[130:131], v[132:133], v[130:131], v[134:135] neg_lo:[0,0,1] neg_hi:[0,0,1]
	v_mov_b32_e32 v131, v137
	s_delay_alu instid0(VALU_DEP_3) | instskip(NEXT) | instid1(VALU_DEP_2)
	v_cmp_lt_u32_e32 vcc_lo, 27, v129
	v_pk_add_f32 v[124:125], v[124:125], v[130:131]
	s_or_b32 s3, vcc_lo, s3
	s_delay_alu instid0(SALU_CYCLE_1)
	s_and_not1_b32 exec_lo, exec_lo, s3
	s_cbranch_execnz .LBB59_877
; %bb.878:
	s_or_b32 exec_lo, exec_lo, s3
.LBB59_879:
	s_delay_alu instid0(SALU_CYCLE_1) | instskip(SKIP_4) | instid1(VALU_DEP_1)
	s_or_b32 exec_lo, exec_lo, s2
	v_mov_b32_e32 v127, 0
	ds_load_b64 v[128:129], v127 offset:232
	s_wait_dscnt 0x0
	v_pk_mul_f32 v[130:131], v[124:125], v[128:129] op_sel:[1,1] op_sel_hi:[0,1]
	v_pk_fma_f32 v[132:133], v[124:125], v[128:129], v[130:131] op_sel_hi:[1,0,1]
	v_pk_fma_f32 v[124:125], v[124:125], v[128:129], v[130:131] neg_lo:[0,0,1] neg_hi:[0,0,1]
	s_delay_alu instid0(VALU_DEP_2)
	v_mov_b32_e32 v125, v133
	scratch_store_b64 off, v[124:125], off offset:232
.LBB59_880:
	s_wait_xcnt 0x0
	s_or_b32 exec_lo, exec_lo, s0
	scratch_load_b64 v[124:125], off, off offset:240
	s_mov_b32 s0, exec_lo
	s_wait_loadcnt 0x0
	ds_store_b64 v1, v[124:125]
	s_wait_storecnt_dscnt 0x0
	s_barrier_signal -1
	s_barrier_wait -1
	s_wait_xcnt 0x0
	v_cmpx_gt_u32_e32 30, v0
	s_cbranch_execz .LBB59_890
; %bb.881:
	v_cmp_ne_u32_e32 vcc_lo, 1, v126
	s_cbranch_vccnz .LBB59_883
; %bb.882:
	scratch_load_b64 v[124:125], v39, off
	ds_load_b64 v[128:129], v1
	s_wait_loadcnt_dscnt 0x0
	v_pk_mul_f32 v[130:131], v[128:129], v[124:125] op_sel:[1,1] op_sel_hi:[0,1]
	s_delay_alu instid0(VALU_DEP_1) | instskip(SKIP_1) | instid1(VALU_DEP_2)
	v_pk_fma_f32 v[132:133], v[128:129], v[124:125], v[130:131] op_sel_hi:[1,0,1]
	v_pk_fma_f32 v[124:125], v[128:129], v[124:125], v[130:131] neg_lo:[0,0,1] neg_hi:[0,0,1]
	v_mov_b32_e32 v125, v133
	s_cbranch_execz .LBB59_884
	s_branch .LBB59_885
.LBB59_883:
                                        ; implicit-def: $vgpr124_vgpr125
.LBB59_884:
	ds_load_b64 v[124:125], v1
.LBB59_885:
	s_mov_b32 s2, exec_lo
	v_cmpx_ne_u32_e32 29, v0
	s_cbranch_execz .LBB59_889
; %bb.886:
	v_add_nc_u32_e32 v127, 0x1e8, v38
	v_add3_u32 v128, 0, v38, 8
	v_mov_b32_e32 v129, v0
	s_mov_b32 s3, 0
.LBB59_887:                             ; =>This Inner Loop Header: Depth=1
	scratch_load_b64 v[130:131], v128, off
	ds_load_b64 v[132:133], v127
	s_wait_xcnt 0x0
	v_dual_add_nc_u32 v127, 8, v127 :: v_dual_add_nc_u32 v128, 8, v128
	s_wait_loadcnt_dscnt 0x0
	v_pk_mul_f32 v[134:135], v[132:133], v[130:131] op_sel:[1,1] op_sel_hi:[0,1]
	s_delay_alu instid0(VALU_DEP_1) | instskip(SKIP_2) | instid1(VALU_DEP_3)
	v_pk_fma_f32 v[136:137], v[132:133], v[130:131], v[134:135] op_sel_hi:[1,0,1]
	v_add_nc_u32_e32 v129, 1, v129
	v_pk_fma_f32 v[130:131], v[132:133], v[130:131], v[134:135] neg_lo:[0,0,1] neg_hi:[0,0,1]
	v_mov_b32_e32 v131, v137
	s_delay_alu instid0(VALU_DEP_3) | instskip(NEXT) | instid1(VALU_DEP_2)
	v_cmp_lt_u32_e32 vcc_lo, 28, v129
	v_pk_add_f32 v[124:125], v[124:125], v[130:131]
	s_or_b32 s3, vcc_lo, s3
	s_delay_alu instid0(SALU_CYCLE_1)
	s_and_not1_b32 exec_lo, exec_lo, s3
	s_cbranch_execnz .LBB59_887
; %bb.888:
	s_or_b32 exec_lo, exec_lo, s3
.LBB59_889:
	s_delay_alu instid0(SALU_CYCLE_1) | instskip(SKIP_4) | instid1(VALU_DEP_1)
	s_or_b32 exec_lo, exec_lo, s2
	v_mov_b32_e32 v127, 0
	ds_load_b64 v[128:129], v127 offset:240
	s_wait_dscnt 0x0
	v_pk_mul_f32 v[130:131], v[124:125], v[128:129] op_sel:[1,1] op_sel_hi:[0,1]
	v_pk_fma_f32 v[132:133], v[124:125], v[128:129], v[130:131] op_sel_hi:[1,0,1]
	v_pk_fma_f32 v[124:125], v[124:125], v[128:129], v[130:131] neg_lo:[0,0,1] neg_hi:[0,0,1]
	s_delay_alu instid0(VALU_DEP_2)
	v_mov_b32_e32 v125, v133
	scratch_store_b64 off, v[124:125], off offset:240
.LBB59_890:
	s_wait_xcnt 0x0
	s_or_b32 exec_lo, exec_lo, s0
	scratch_load_b64 v[124:125], off, off offset:248
	s_mov_b32 s0, exec_lo
	s_wait_loadcnt 0x0
	ds_store_b64 v1, v[124:125]
	s_wait_storecnt_dscnt 0x0
	s_barrier_signal -1
	s_barrier_wait -1
	s_wait_xcnt 0x0
	v_cmpx_gt_u32_e32 31, v0
	s_cbranch_execz .LBB59_900
; %bb.891:
	v_cmp_ne_u32_e32 vcc_lo, 1, v126
	s_cbranch_vccnz .LBB59_893
; %bb.892:
	scratch_load_b64 v[124:125], v39, off
	ds_load_b64 v[128:129], v1
	s_wait_loadcnt_dscnt 0x0
	v_pk_mul_f32 v[130:131], v[128:129], v[124:125] op_sel:[1,1] op_sel_hi:[0,1]
	s_delay_alu instid0(VALU_DEP_1) | instskip(SKIP_1) | instid1(VALU_DEP_2)
	v_pk_fma_f32 v[132:133], v[128:129], v[124:125], v[130:131] op_sel_hi:[1,0,1]
	v_pk_fma_f32 v[124:125], v[128:129], v[124:125], v[130:131] neg_lo:[0,0,1] neg_hi:[0,0,1]
	v_mov_b32_e32 v125, v133
	s_cbranch_execz .LBB59_894
	s_branch .LBB59_895
.LBB59_893:
                                        ; implicit-def: $vgpr124_vgpr125
.LBB59_894:
	ds_load_b64 v[124:125], v1
.LBB59_895:
	s_mov_b32 s2, exec_lo
	v_cmpx_ne_u32_e32 30, v0
	s_cbranch_execz .LBB59_899
; %bb.896:
	v_add_nc_u32_e32 v127, 0x1e8, v38
	v_add3_u32 v128, 0, v38, 8
	v_mov_b32_e32 v129, v0
	s_mov_b32 s3, 0
.LBB59_897:                             ; =>This Inner Loop Header: Depth=1
	scratch_load_b64 v[130:131], v128, off
	ds_load_b64 v[132:133], v127
	s_wait_xcnt 0x0
	v_dual_add_nc_u32 v127, 8, v127 :: v_dual_add_nc_u32 v128, 8, v128
	s_wait_loadcnt_dscnt 0x0
	v_pk_mul_f32 v[134:135], v[132:133], v[130:131] op_sel:[1,1] op_sel_hi:[0,1]
	s_delay_alu instid0(VALU_DEP_1) | instskip(SKIP_2) | instid1(VALU_DEP_3)
	v_pk_fma_f32 v[136:137], v[132:133], v[130:131], v[134:135] op_sel_hi:[1,0,1]
	v_add_nc_u32_e32 v129, 1, v129
	v_pk_fma_f32 v[130:131], v[132:133], v[130:131], v[134:135] neg_lo:[0,0,1] neg_hi:[0,0,1]
	v_mov_b32_e32 v131, v137
	s_delay_alu instid0(VALU_DEP_3) | instskip(NEXT) | instid1(VALU_DEP_2)
	v_cmp_lt_u32_e32 vcc_lo, 29, v129
	v_pk_add_f32 v[124:125], v[124:125], v[130:131]
	s_or_b32 s3, vcc_lo, s3
	s_delay_alu instid0(SALU_CYCLE_1)
	s_and_not1_b32 exec_lo, exec_lo, s3
	s_cbranch_execnz .LBB59_897
; %bb.898:
	s_or_b32 exec_lo, exec_lo, s3
.LBB59_899:
	s_delay_alu instid0(SALU_CYCLE_1) | instskip(SKIP_4) | instid1(VALU_DEP_1)
	s_or_b32 exec_lo, exec_lo, s2
	v_mov_b32_e32 v127, 0
	ds_load_b64 v[128:129], v127 offset:248
	s_wait_dscnt 0x0
	v_pk_mul_f32 v[130:131], v[124:125], v[128:129] op_sel:[1,1] op_sel_hi:[0,1]
	v_pk_fma_f32 v[132:133], v[124:125], v[128:129], v[130:131] op_sel_hi:[1,0,1]
	v_pk_fma_f32 v[124:125], v[124:125], v[128:129], v[130:131] neg_lo:[0,0,1] neg_hi:[0,0,1]
	s_delay_alu instid0(VALU_DEP_2)
	v_mov_b32_e32 v125, v133
	scratch_store_b64 off, v[124:125], off offset:248
.LBB59_900:
	s_wait_xcnt 0x0
	s_or_b32 exec_lo, exec_lo, s0
	scratch_load_b64 v[124:125], off, off offset:256
	s_mov_b32 s0, exec_lo
	s_wait_loadcnt 0x0
	ds_store_b64 v1, v[124:125]
	s_wait_storecnt_dscnt 0x0
	s_barrier_signal -1
	s_barrier_wait -1
	s_wait_xcnt 0x0
	v_cmpx_gt_u32_e32 32, v0
	s_cbranch_execz .LBB59_910
; %bb.901:
	v_cmp_ne_u32_e32 vcc_lo, 1, v126
	s_cbranch_vccnz .LBB59_903
; %bb.902:
	scratch_load_b64 v[124:125], v39, off
	ds_load_b64 v[128:129], v1
	s_wait_loadcnt_dscnt 0x0
	v_pk_mul_f32 v[130:131], v[128:129], v[124:125] op_sel:[1,1] op_sel_hi:[0,1]
	s_delay_alu instid0(VALU_DEP_1) | instskip(SKIP_1) | instid1(VALU_DEP_2)
	v_pk_fma_f32 v[132:133], v[128:129], v[124:125], v[130:131] op_sel_hi:[1,0,1]
	v_pk_fma_f32 v[124:125], v[128:129], v[124:125], v[130:131] neg_lo:[0,0,1] neg_hi:[0,0,1]
	v_mov_b32_e32 v125, v133
	s_cbranch_execz .LBB59_904
	s_branch .LBB59_905
.LBB59_903:
                                        ; implicit-def: $vgpr124_vgpr125
.LBB59_904:
	ds_load_b64 v[124:125], v1
.LBB59_905:
	s_mov_b32 s2, exec_lo
	v_cmpx_ne_u32_e32 31, v0
	s_cbranch_execz .LBB59_909
; %bb.906:
	v_add_nc_u32_e32 v127, 0x1e8, v38
	v_add3_u32 v128, 0, v38, 8
	v_mov_b32_e32 v129, v0
	s_mov_b32 s3, 0
.LBB59_907:                             ; =>This Inner Loop Header: Depth=1
	scratch_load_b64 v[130:131], v128, off
	ds_load_b64 v[132:133], v127
	s_wait_xcnt 0x0
	v_dual_add_nc_u32 v127, 8, v127 :: v_dual_add_nc_u32 v128, 8, v128
	s_wait_loadcnt_dscnt 0x0
	v_pk_mul_f32 v[134:135], v[132:133], v[130:131] op_sel:[1,1] op_sel_hi:[0,1]
	s_delay_alu instid0(VALU_DEP_1) | instskip(SKIP_2) | instid1(VALU_DEP_3)
	v_pk_fma_f32 v[136:137], v[132:133], v[130:131], v[134:135] op_sel_hi:[1,0,1]
	v_add_nc_u32_e32 v129, 1, v129
	v_pk_fma_f32 v[130:131], v[132:133], v[130:131], v[134:135] neg_lo:[0,0,1] neg_hi:[0,0,1]
	v_mov_b32_e32 v131, v137
	s_delay_alu instid0(VALU_DEP_3) | instskip(NEXT) | instid1(VALU_DEP_2)
	v_cmp_lt_u32_e32 vcc_lo, 30, v129
	v_pk_add_f32 v[124:125], v[124:125], v[130:131]
	s_or_b32 s3, vcc_lo, s3
	s_delay_alu instid0(SALU_CYCLE_1)
	s_and_not1_b32 exec_lo, exec_lo, s3
	s_cbranch_execnz .LBB59_907
; %bb.908:
	s_or_b32 exec_lo, exec_lo, s3
.LBB59_909:
	s_delay_alu instid0(SALU_CYCLE_1) | instskip(SKIP_4) | instid1(VALU_DEP_1)
	s_or_b32 exec_lo, exec_lo, s2
	v_mov_b32_e32 v127, 0
	ds_load_b64 v[128:129], v127 offset:256
	s_wait_dscnt 0x0
	v_pk_mul_f32 v[130:131], v[124:125], v[128:129] op_sel:[1,1] op_sel_hi:[0,1]
	v_pk_fma_f32 v[132:133], v[124:125], v[128:129], v[130:131] op_sel_hi:[1,0,1]
	v_pk_fma_f32 v[124:125], v[124:125], v[128:129], v[130:131] neg_lo:[0,0,1] neg_hi:[0,0,1]
	s_delay_alu instid0(VALU_DEP_2)
	v_mov_b32_e32 v125, v133
	scratch_store_b64 off, v[124:125], off offset:256
.LBB59_910:
	s_wait_xcnt 0x0
	s_or_b32 exec_lo, exec_lo, s0
	scratch_load_b64 v[124:125], off, off offset:264
	s_mov_b32 s0, exec_lo
	s_wait_loadcnt 0x0
	ds_store_b64 v1, v[124:125]
	s_wait_storecnt_dscnt 0x0
	s_barrier_signal -1
	s_barrier_wait -1
	s_wait_xcnt 0x0
	v_cmpx_gt_u32_e32 33, v0
	s_cbranch_execz .LBB59_920
; %bb.911:
	v_cmp_ne_u32_e32 vcc_lo, 1, v126
	s_cbranch_vccnz .LBB59_913
; %bb.912:
	scratch_load_b64 v[124:125], v39, off
	ds_load_b64 v[128:129], v1
	s_wait_loadcnt_dscnt 0x0
	v_pk_mul_f32 v[130:131], v[128:129], v[124:125] op_sel:[1,1] op_sel_hi:[0,1]
	s_delay_alu instid0(VALU_DEP_1) | instskip(SKIP_1) | instid1(VALU_DEP_2)
	v_pk_fma_f32 v[132:133], v[128:129], v[124:125], v[130:131] op_sel_hi:[1,0,1]
	v_pk_fma_f32 v[124:125], v[128:129], v[124:125], v[130:131] neg_lo:[0,0,1] neg_hi:[0,0,1]
	v_mov_b32_e32 v125, v133
	s_cbranch_execz .LBB59_914
	s_branch .LBB59_915
.LBB59_913:
                                        ; implicit-def: $vgpr124_vgpr125
.LBB59_914:
	ds_load_b64 v[124:125], v1
.LBB59_915:
	s_mov_b32 s2, exec_lo
	v_cmpx_ne_u32_e32 32, v0
	s_cbranch_execz .LBB59_919
; %bb.916:
	v_add_nc_u32_e32 v127, 0x1e8, v38
	v_add3_u32 v128, 0, v38, 8
	v_mov_b32_e32 v129, v0
	s_mov_b32 s3, 0
.LBB59_917:                             ; =>This Inner Loop Header: Depth=1
	scratch_load_b64 v[130:131], v128, off
	ds_load_b64 v[132:133], v127
	s_wait_xcnt 0x0
	v_dual_add_nc_u32 v127, 8, v127 :: v_dual_add_nc_u32 v128, 8, v128
	s_wait_loadcnt_dscnt 0x0
	v_pk_mul_f32 v[134:135], v[132:133], v[130:131] op_sel:[1,1] op_sel_hi:[0,1]
	s_delay_alu instid0(VALU_DEP_1) | instskip(SKIP_2) | instid1(VALU_DEP_3)
	v_pk_fma_f32 v[136:137], v[132:133], v[130:131], v[134:135] op_sel_hi:[1,0,1]
	v_add_nc_u32_e32 v129, 1, v129
	v_pk_fma_f32 v[130:131], v[132:133], v[130:131], v[134:135] neg_lo:[0,0,1] neg_hi:[0,0,1]
	v_mov_b32_e32 v131, v137
	s_delay_alu instid0(VALU_DEP_3) | instskip(NEXT) | instid1(VALU_DEP_2)
	v_cmp_lt_u32_e32 vcc_lo, 31, v129
	v_pk_add_f32 v[124:125], v[124:125], v[130:131]
	s_or_b32 s3, vcc_lo, s3
	s_delay_alu instid0(SALU_CYCLE_1)
	s_and_not1_b32 exec_lo, exec_lo, s3
	s_cbranch_execnz .LBB59_917
; %bb.918:
	s_or_b32 exec_lo, exec_lo, s3
.LBB59_919:
	s_delay_alu instid0(SALU_CYCLE_1) | instskip(SKIP_4) | instid1(VALU_DEP_1)
	s_or_b32 exec_lo, exec_lo, s2
	v_mov_b32_e32 v127, 0
	ds_load_b64 v[128:129], v127 offset:264
	s_wait_dscnt 0x0
	v_pk_mul_f32 v[130:131], v[124:125], v[128:129] op_sel:[1,1] op_sel_hi:[0,1]
	v_pk_fma_f32 v[132:133], v[124:125], v[128:129], v[130:131] op_sel_hi:[1,0,1]
	v_pk_fma_f32 v[124:125], v[124:125], v[128:129], v[130:131] neg_lo:[0,0,1] neg_hi:[0,0,1]
	s_delay_alu instid0(VALU_DEP_2)
	v_mov_b32_e32 v125, v133
	scratch_store_b64 off, v[124:125], off offset:264
.LBB59_920:
	s_wait_xcnt 0x0
	s_or_b32 exec_lo, exec_lo, s0
	scratch_load_b64 v[124:125], off, off offset:272
	s_mov_b32 s0, exec_lo
	s_wait_loadcnt 0x0
	ds_store_b64 v1, v[124:125]
	s_wait_storecnt_dscnt 0x0
	s_barrier_signal -1
	s_barrier_wait -1
	s_wait_xcnt 0x0
	v_cmpx_gt_u32_e32 34, v0
	s_cbranch_execz .LBB59_930
; %bb.921:
	v_cmp_ne_u32_e32 vcc_lo, 1, v126
	s_cbranch_vccnz .LBB59_923
; %bb.922:
	scratch_load_b64 v[124:125], v39, off
	ds_load_b64 v[128:129], v1
	s_wait_loadcnt_dscnt 0x0
	v_pk_mul_f32 v[130:131], v[128:129], v[124:125] op_sel:[1,1] op_sel_hi:[0,1]
	s_delay_alu instid0(VALU_DEP_1) | instskip(SKIP_1) | instid1(VALU_DEP_2)
	v_pk_fma_f32 v[132:133], v[128:129], v[124:125], v[130:131] op_sel_hi:[1,0,1]
	v_pk_fma_f32 v[124:125], v[128:129], v[124:125], v[130:131] neg_lo:[0,0,1] neg_hi:[0,0,1]
	v_mov_b32_e32 v125, v133
	s_cbranch_execz .LBB59_924
	s_branch .LBB59_925
.LBB59_923:
                                        ; implicit-def: $vgpr124_vgpr125
.LBB59_924:
	ds_load_b64 v[124:125], v1
.LBB59_925:
	s_mov_b32 s2, exec_lo
	v_cmpx_ne_u32_e32 33, v0
	s_cbranch_execz .LBB59_929
; %bb.926:
	v_add_nc_u32_e32 v127, 0x1e8, v38
	v_add3_u32 v128, 0, v38, 8
	v_mov_b32_e32 v129, v0
	s_mov_b32 s3, 0
.LBB59_927:                             ; =>This Inner Loop Header: Depth=1
	scratch_load_b64 v[130:131], v128, off
	ds_load_b64 v[132:133], v127
	s_wait_xcnt 0x0
	v_dual_add_nc_u32 v127, 8, v127 :: v_dual_add_nc_u32 v128, 8, v128
	s_wait_loadcnt_dscnt 0x0
	v_pk_mul_f32 v[134:135], v[132:133], v[130:131] op_sel:[1,1] op_sel_hi:[0,1]
	s_delay_alu instid0(VALU_DEP_1) | instskip(SKIP_2) | instid1(VALU_DEP_3)
	v_pk_fma_f32 v[136:137], v[132:133], v[130:131], v[134:135] op_sel_hi:[1,0,1]
	v_add_nc_u32_e32 v129, 1, v129
	v_pk_fma_f32 v[130:131], v[132:133], v[130:131], v[134:135] neg_lo:[0,0,1] neg_hi:[0,0,1]
	v_mov_b32_e32 v131, v137
	s_delay_alu instid0(VALU_DEP_3) | instskip(NEXT) | instid1(VALU_DEP_2)
	v_cmp_lt_u32_e32 vcc_lo, 32, v129
	v_pk_add_f32 v[124:125], v[124:125], v[130:131]
	s_or_b32 s3, vcc_lo, s3
	s_delay_alu instid0(SALU_CYCLE_1)
	s_and_not1_b32 exec_lo, exec_lo, s3
	s_cbranch_execnz .LBB59_927
; %bb.928:
	s_or_b32 exec_lo, exec_lo, s3
.LBB59_929:
	s_delay_alu instid0(SALU_CYCLE_1) | instskip(SKIP_4) | instid1(VALU_DEP_1)
	s_or_b32 exec_lo, exec_lo, s2
	v_mov_b32_e32 v127, 0
	ds_load_b64 v[128:129], v127 offset:272
	s_wait_dscnt 0x0
	v_pk_mul_f32 v[130:131], v[124:125], v[128:129] op_sel:[1,1] op_sel_hi:[0,1]
	v_pk_fma_f32 v[132:133], v[124:125], v[128:129], v[130:131] op_sel_hi:[1,0,1]
	v_pk_fma_f32 v[124:125], v[124:125], v[128:129], v[130:131] neg_lo:[0,0,1] neg_hi:[0,0,1]
	s_delay_alu instid0(VALU_DEP_2)
	v_mov_b32_e32 v125, v133
	scratch_store_b64 off, v[124:125], off offset:272
.LBB59_930:
	s_wait_xcnt 0x0
	s_or_b32 exec_lo, exec_lo, s0
	scratch_load_b64 v[124:125], off, off offset:280
	s_mov_b32 s0, exec_lo
	s_wait_loadcnt 0x0
	ds_store_b64 v1, v[124:125]
	s_wait_storecnt_dscnt 0x0
	s_barrier_signal -1
	s_barrier_wait -1
	s_wait_xcnt 0x0
	v_cmpx_gt_u32_e32 35, v0
	s_cbranch_execz .LBB59_940
; %bb.931:
	v_cmp_ne_u32_e32 vcc_lo, 1, v126
	s_cbranch_vccnz .LBB59_933
; %bb.932:
	scratch_load_b64 v[124:125], v39, off
	ds_load_b64 v[128:129], v1
	s_wait_loadcnt_dscnt 0x0
	v_pk_mul_f32 v[130:131], v[128:129], v[124:125] op_sel:[1,1] op_sel_hi:[0,1]
	s_delay_alu instid0(VALU_DEP_1) | instskip(SKIP_1) | instid1(VALU_DEP_2)
	v_pk_fma_f32 v[132:133], v[128:129], v[124:125], v[130:131] op_sel_hi:[1,0,1]
	v_pk_fma_f32 v[124:125], v[128:129], v[124:125], v[130:131] neg_lo:[0,0,1] neg_hi:[0,0,1]
	v_mov_b32_e32 v125, v133
	s_cbranch_execz .LBB59_934
	s_branch .LBB59_935
.LBB59_933:
                                        ; implicit-def: $vgpr124_vgpr125
.LBB59_934:
	ds_load_b64 v[124:125], v1
.LBB59_935:
	s_mov_b32 s2, exec_lo
	v_cmpx_ne_u32_e32 34, v0
	s_cbranch_execz .LBB59_939
; %bb.936:
	v_add_nc_u32_e32 v127, 0x1e8, v38
	v_add3_u32 v128, 0, v38, 8
	v_mov_b32_e32 v129, v0
	s_mov_b32 s3, 0
.LBB59_937:                             ; =>This Inner Loop Header: Depth=1
	scratch_load_b64 v[130:131], v128, off
	ds_load_b64 v[132:133], v127
	s_wait_xcnt 0x0
	v_dual_add_nc_u32 v127, 8, v127 :: v_dual_add_nc_u32 v128, 8, v128
	s_wait_loadcnt_dscnt 0x0
	v_pk_mul_f32 v[134:135], v[132:133], v[130:131] op_sel:[1,1] op_sel_hi:[0,1]
	s_delay_alu instid0(VALU_DEP_1) | instskip(SKIP_2) | instid1(VALU_DEP_3)
	v_pk_fma_f32 v[136:137], v[132:133], v[130:131], v[134:135] op_sel_hi:[1,0,1]
	v_add_nc_u32_e32 v129, 1, v129
	v_pk_fma_f32 v[130:131], v[132:133], v[130:131], v[134:135] neg_lo:[0,0,1] neg_hi:[0,0,1]
	v_mov_b32_e32 v131, v137
	s_delay_alu instid0(VALU_DEP_3) | instskip(NEXT) | instid1(VALU_DEP_2)
	v_cmp_lt_u32_e32 vcc_lo, 33, v129
	v_pk_add_f32 v[124:125], v[124:125], v[130:131]
	s_or_b32 s3, vcc_lo, s3
	s_delay_alu instid0(SALU_CYCLE_1)
	s_and_not1_b32 exec_lo, exec_lo, s3
	s_cbranch_execnz .LBB59_937
; %bb.938:
	s_or_b32 exec_lo, exec_lo, s3
.LBB59_939:
	s_delay_alu instid0(SALU_CYCLE_1) | instskip(SKIP_4) | instid1(VALU_DEP_1)
	s_or_b32 exec_lo, exec_lo, s2
	v_mov_b32_e32 v127, 0
	ds_load_b64 v[128:129], v127 offset:280
	s_wait_dscnt 0x0
	v_pk_mul_f32 v[130:131], v[124:125], v[128:129] op_sel:[1,1] op_sel_hi:[0,1]
	v_pk_fma_f32 v[132:133], v[124:125], v[128:129], v[130:131] op_sel_hi:[1,0,1]
	v_pk_fma_f32 v[124:125], v[124:125], v[128:129], v[130:131] neg_lo:[0,0,1] neg_hi:[0,0,1]
	s_delay_alu instid0(VALU_DEP_2)
	v_mov_b32_e32 v125, v133
	scratch_store_b64 off, v[124:125], off offset:280
.LBB59_940:
	s_wait_xcnt 0x0
	s_or_b32 exec_lo, exec_lo, s0
	scratch_load_b64 v[124:125], off, off offset:288
	s_mov_b32 s0, exec_lo
	s_wait_loadcnt 0x0
	ds_store_b64 v1, v[124:125]
	s_wait_storecnt_dscnt 0x0
	s_barrier_signal -1
	s_barrier_wait -1
	s_wait_xcnt 0x0
	v_cmpx_gt_u32_e32 36, v0
	s_cbranch_execz .LBB59_950
; %bb.941:
	v_cmp_ne_u32_e32 vcc_lo, 1, v126
	s_cbranch_vccnz .LBB59_943
; %bb.942:
	scratch_load_b64 v[124:125], v39, off
	ds_load_b64 v[128:129], v1
	s_wait_loadcnt_dscnt 0x0
	v_pk_mul_f32 v[130:131], v[128:129], v[124:125] op_sel:[1,1] op_sel_hi:[0,1]
	s_delay_alu instid0(VALU_DEP_1) | instskip(SKIP_1) | instid1(VALU_DEP_2)
	v_pk_fma_f32 v[132:133], v[128:129], v[124:125], v[130:131] op_sel_hi:[1,0,1]
	v_pk_fma_f32 v[124:125], v[128:129], v[124:125], v[130:131] neg_lo:[0,0,1] neg_hi:[0,0,1]
	v_mov_b32_e32 v125, v133
	s_cbranch_execz .LBB59_944
	s_branch .LBB59_945
.LBB59_943:
                                        ; implicit-def: $vgpr124_vgpr125
.LBB59_944:
	ds_load_b64 v[124:125], v1
.LBB59_945:
	s_mov_b32 s2, exec_lo
	v_cmpx_ne_u32_e32 35, v0
	s_cbranch_execz .LBB59_949
; %bb.946:
	v_add_nc_u32_e32 v127, 0x1e8, v38
	v_add3_u32 v128, 0, v38, 8
	v_mov_b32_e32 v129, v0
	s_mov_b32 s3, 0
.LBB59_947:                             ; =>This Inner Loop Header: Depth=1
	scratch_load_b64 v[130:131], v128, off
	ds_load_b64 v[132:133], v127
	s_wait_xcnt 0x0
	v_dual_add_nc_u32 v127, 8, v127 :: v_dual_add_nc_u32 v128, 8, v128
	s_wait_loadcnt_dscnt 0x0
	v_pk_mul_f32 v[134:135], v[132:133], v[130:131] op_sel:[1,1] op_sel_hi:[0,1]
	s_delay_alu instid0(VALU_DEP_1) | instskip(SKIP_2) | instid1(VALU_DEP_3)
	v_pk_fma_f32 v[136:137], v[132:133], v[130:131], v[134:135] op_sel_hi:[1,0,1]
	v_add_nc_u32_e32 v129, 1, v129
	v_pk_fma_f32 v[130:131], v[132:133], v[130:131], v[134:135] neg_lo:[0,0,1] neg_hi:[0,0,1]
	v_mov_b32_e32 v131, v137
	s_delay_alu instid0(VALU_DEP_3) | instskip(NEXT) | instid1(VALU_DEP_2)
	v_cmp_lt_u32_e32 vcc_lo, 34, v129
	v_pk_add_f32 v[124:125], v[124:125], v[130:131]
	s_or_b32 s3, vcc_lo, s3
	s_delay_alu instid0(SALU_CYCLE_1)
	s_and_not1_b32 exec_lo, exec_lo, s3
	s_cbranch_execnz .LBB59_947
; %bb.948:
	s_or_b32 exec_lo, exec_lo, s3
.LBB59_949:
	s_delay_alu instid0(SALU_CYCLE_1) | instskip(SKIP_4) | instid1(VALU_DEP_1)
	s_or_b32 exec_lo, exec_lo, s2
	v_mov_b32_e32 v127, 0
	ds_load_b64 v[128:129], v127 offset:288
	s_wait_dscnt 0x0
	v_pk_mul_f32 v[130:131], v[124:125], v[128:129] op_sel:[1,1] op_sel_hi:[0,1]
	v_pk_fma_f32 v[132:133], v[124:125], v[128:129], v[130:131] op_sel_hi:[1,0,1]
	v_pk_fma_f32 v[124:125], v[124:125], v[128:129], v[130:131] neg_lo:[0,0,1] neg_hi:[0,0,1]
	s_delay_alu instid0(VALU_DEP_2)
	v_mov_b32_e32 v125, v133
	scratch_store_b64 off, v[124:125], off offset:288
.LBB59_950:
	s_wait_xcnt 0x0
	s_or_b32 exec_lo, exec_lo, s0
	scratch_load_b64 v[124:125], off, off offset:296
	s_mov_b32 s0, exec_lo
	s_wait_loadcnt 0x0
	ds_store_b64 v1, v[124:125]
	s_wait_storecnt_dscnt 0x0
	s_barrier_signal -1
	s_barrier_wait -1
	s_wait_xcnt 0x0
	v_cmpx_gt_u32_e32 37, v0
	s_cbranch_execz .LBB59_960
; %bb.951:
	v_cmp_ne_u32_e32 vcc_lo, 1, v126
	s_cbranch_vccnz .LBB59_953
; %bb.952:
	scratch_load_b64 v[124:125], v39, off
	ds_load_b64 v[128:129], v1
	s_wait_loadcnt_dscnt 0x0
	v_pk_mul_f32 v[130:131], v[128:129], v[124:125] op_sel:[1,1] op_sel_hi:[0,1]
	s_delay_alu instid0(VALU_DEP_1) | instskip(SKIP_1) | instid1(VALU_DEP_2)
	v_pk_fma_f32 v[132:133], v[128:129], v[124:125], v[130:131] op_sel_hi:[1,0,1]
	v_pk_fma_f32 v[124:125], v[128:129], v[124:125], v[130:131] neg_lo:[0,0,1] neg_hi:[0,0,1]
	v_mov_b32_e32 v125, v133
	s_cbranch_execz .LBB59_954
	s_branch .LBB59_955
.LBB59_953:
                                        ; implicit-def: $vgpr124_vgpr125
.LBB59_954:
	ds_load_b64 v[124:125], v1
.LBB59_955:
	s_mov_b32 s2, exec_lo
	v_cmpx_ne_u32_e32 36, v0
	s_cbranch_execz .LBB59_959
; %bb.956:
	v_add_nc_u32_e32 v127, 0x1e8, v38
	v_add3_u32 v128, 0, v38, 8
	v_mov_b32_e32 v129, v0
	s_mov_b32 s3, 0
.LBB59_957:                             ; =>This Inner Loop Header: Depth=1
	scratch_load_b64 v[130:131], v128, off
	ds_load_b64 v[132:133], v127
	s_wait_xcnt 0x0
	v_dual_add_nc_u32 v127, 8, v127 :: v_dual_add_nc_u32 v128, 8, v128
	s_wait_loadcnt_dscnt 0x0
	v_pk_mul_f32 v[134:135], v[132:133], v[130:131] op_sel:[1,1] op_sel_hi:[0,1]
	s_delay_alu instid0(VALU_DEP_1) | instskip(SKIP_2) | instid1(VALU_DEP_3)
	v_pk_fma_f32 v[136:137], v[132:133], v[130:131], v[134:135] op_sel_hi:[1,0,1]
	v_add_nc_u32_e32 v129, 1, v129
	v_pk_fma_f32 v[130:131], v[132:133], v[130:131], v[134:135] neg_lo:[0,0,1] neg_hi:[0,0,1]
	v_mov_b32_e32 v131, v137
	s_delay_alu instid0(VALU_DEP_3) | instskip(NEXT) | instid1(VALU_DEP_2)
	v_cmp_lt_u32_e32 vcc_lo, 35, v129
	v_pk_add_f32 v[124:125], v[124:125], v[130:131]
	s_or_b32 s3, vcc_lo, s3
	s_delay_alu instid0(SALU_CYCLE_1)
	s_and_not1_b32 exec_lo, exec_lo, s3
	s_cbranch_execnz .LBB59_957
; %bb.958:
	s_or_b32 exec_lo, exec_lo, s3
.LBB59_959:
	s_delay_alu instid0(SALU_CYCLE_1) | instskip(SKIP_4) | instid1(VALU_DEP_1)
	s_or_b32 exec_lo, exec_lo, s2
	v_mov_b32_e32 v127, 0
	ds_load_b64 v[128:129], v127 offset:296
	s_wait_dscnt 0x0
	v_pk_mul_f32 v[130:131], v[124:125], v[128:129] op_sel:[1,1] op_sel_hi:[0,1]
	v_pk_fma_f32 v[132:133], v[124:125], v[128:129], v[130:131] op_sel_hi:[1,0,1]
	v_pk_fma_f32 v[124:125], v[124:125], v[128:129], v[130:131] neg_lo:[0,0,1] neg_hi:[0,0,1]
	s_delay_alu instid0(VALU_DEP_2)
	v_mov_b32_e32 v125, v133
	scratch_store_b64 off, v[124:125], off offset:296
.LBB59_960:
	s_wait_xcnt 0x0
	s_or_b32 exec_lo, exec_lo, s0
	scratch_load_b64 v[124:125], off, off offset:304
	s_mov_b32 s0, exec_lo
	s_wait_loadcnt 0x0
	ds_store_b64 v1, v[124:125]
	s_wait_storecnt_dscnt 0x0
	s_barrier_signal -1
	s_barrier_wait -1
	s_wait_xcnt 0x0
	v_cmpx_gt_u32_e32 38, v0
	s_cbranch_execz .LBB59_970
; %bb.961:
	v_cmp_ne_u32_e32 vcc_lo, 1, v126
	s_cbranch_vccnz .LBB59_963
; %bb.962:
	scratch_load_b64 v[124:125], v39, off
	ds_load_b64 v[128:129], v1
	s_wait_loadcnt_dscnt 0x0
	v_pk_mul_f32 v[130:131], v[128:129], v[124:125] op_sel:[1,1] op_sel_hi:[0,1]
	s_delay_alu instid0(VALU_DEP_1) | instskip(SKIP_1) | instid1(VALU_DEP_2)
	v_pk_fma_f32 v[132:133], v[128:129], v[124:125], v[130:131] op_sel_hi:[1,0,1]
	v_pk_fma_f32 v[124:125], v[128:129], v[124:125], v[130:131] neg_lo:[0,0,1] neg_hi:[0,0,1]
	v_mov_b32_e32 v125, v133
	s_cbranch_execz .LBB59_964
	s_branch .LBB59_965
.LBB59_963:
                                        ; implicit-def: $vgpr124_vgpr125
.LBB59_964:
	ds_load_b64 v[124:125], v1
.LBB59_965:
	s_mov_b32 s2, exec_lo
	v_cmpx_ne_u32_e32 37, v0
	s_cbranch_execz .LBB59_969
; %bb.966:
	v_add_nc_u32_e32 v127, 0x1e8, v38
	v_add3_u32 v128, 0, v38, 8
	v_mov_b32_e32 v129, v0
	s_mov_b32 s3, 0
.LBB59_967:                             ; =>This Inner Loop Header: Depth=1
	scratch_load_b64 v[130:131], v128, off
	ds_load_b64 v[132:133], v127
	s_wait_xcnt 0x0
	v_dual_add_nc_u32 v127, 8, v127 :: v_dual_add_nc_u32 v128, 8, v128
	s_wait_loadcnt_dscnt 0x0
	v_pk_mul_f32 v[134:135], v[132:133], v[130:131] op_sel:[1,1] op_sel_hi:[0,1]
	s_delay_alu instid0(VALU_DEP_1) | instskip(SKIP_2) | instid1(VALU_DEP_3)
	v_pk_fma_f32 v[136:137], v[132:133], v[130:131], v[134:135] op_sel_hi:[1,0,1]
	v_add_nc_u32_e32 v129, 1, v129
	v_pk_fma_f32 v[130:131], v[132:133], v[130:131], v[134:135] neg_lo:[0,0,1] neg_hi:[0,0,1]
	v_mov_b32_e32 v131, v137
	s_delay_alu instid0(VALU_DEP_3) | instskip(NEXT) | instid1(VALU_DEP_2)
	v_cmp_lt_u32_e32 vcc_lo, 36, v129
	v_pk_add_f32 v[124:125], v[124:125], v[130:131]
	s_or_b32 s3, vcc_lo, s3
	s_delay_alu instid0(SALU_CYCLE_1)
	s_and_not1_b32 exec_lo, exec_lo, s3
	s_cbranch_execnz .LBB59_967
; %bb.968:
	s_or_b32 exec_lo, exec_lo, s3
.LBB59_969:
	s_delay_alu instid0(SALU_CYCLE_1) | instskip(SKIP_4) | instid1(VALU_DEP_1)
	s_or_b32 exec_lo, exec_lo, s2
	v_mov_b32_e32 v127, 0
	ds_load_b64 v[128:129], v127 offset:304
	s_wait_dscnt 0x0
	v_pk_mul_f32 v[130:131], v[124:125], v[128:129] op_sel:[1,1] op_sel_hi:[0,1]
	v_pk_fma_f32 v[132:133], v[124:125], v[128:129], v[130:131] op_sel_hi:[1,0,1]
	v_pk_fma_f32 v[124:125], v[124:125], v[128:129], v[130:131] neg_lo:[0,0,1] neg_hi:[0,0,1]
	s_delay_alu instid0(VALU_DEP_2)
	v_mov_b32_e32 v125, v133
	scratch_store_b64 off, v[124:125], off offset:304
.LBB59_970:
	s_wait_xcnt 0x0
	s_or_b32 exec_lo, exec_lo, s0
	scratch_load_b64 v[124:125], off, off offset:312
	s_mov_b32 s0, exec_lo
	s_wait_loadcnt 0x0
	ds_store_b64 v1, v[124:125]
	s_wait_storecnt_dscnt 0x0
	s_barrier_signal -1
	s_barrier_wait -1
	s_wait_xcnt 0x0
	v_cmpx_gt_u32_e32 39, v0
	s_cbranch_execz .LBB59_980
; %bb.971:
	v_cmp_ne_u32_e32 vcc_lo, 1, v126
	s_cbranch_vccnz .LBB59_973
; %bb.972:
	scratch_load_b64 v[124:125], v39, off
	ds_load_b64 v[128:129], v1
	s_wait_loadcnt_dscnt 0x0
	v_pk_mul_f32 v[130:131], v[128:129], v[124:125] op_sel:[1,1] op_sel_hi:[0,1]
	s_delay_alu instid0(VALU_DEP_1) | instskip(SKIP_1) | instid1(VALU_DEP_2)
	v_pk_fma_f32 v[132:133], v[128:129], v[124:125], v[130:131] op_sel_hi:[1,0,1]
	v_pk_fma_f32 v[124:125], v[128:129], v[124:125], v[130:131] neg_lo:[0,0,1] neg_hi:[0,0,1]
	v_mov_b32_e32 v125, v133
	s_cbranch_execz .LBB59_974
	s_branch .LBB59_975
.LBB59_973:
                                        ; implicit-def: $vgpr124_vgpr125
.LBB59_974:
	ds_load_b64 v[124:125], v1
.LBB59_975:
	s_mov_b32 s2, exec_lo
	v_cmpx_ne_u32_e32 38, v0
	s_cbranch_execz .LBB59_979
; %bb.976:
	v_add_nc_u32_e32 v127, 0x1e8, v38
	v_add3_u32 v128, 0, v38, 8
	v_mov_b32_e32 v129, v0
	s_mov_b32 s3, 0
.LBB59_977:                             ; =>This Inner Loop Header: Depth=1
	scratch_load_b64 v[130:131], v128, off
	ds_load_b64 v[132:133], v127
	s_wait_xcnt 0x0
	v_dual_add_nc_u32 v127, 8, v127 :: v_dual_add_nc_u32 v128, 8, v128
	s_wait_loadcnt_dscnt 0x0
	v_pk_mul_f32 v[134:135], v[132:133], v[130:131] op_sel:[1,1] op_sel_hi:[0,1]
	s_delay_alu instid0(VALU_DEP_1) | instskip(SKIP_2) | instid1(VALU_DEP_3)
	v_pk_fma_f32 v[136:137], v[132:133], v[130:131], v[134:135] op_sel_hi:[1,0,1]
	v_add_nc_u32_e32 v129, 1, v129
	v_pk_fma_f32 v[130:131], v[132:133], v[130:131], v[134:135] neg_lo:[0,0,1] neg_hi:[0,0,1]
	v_mov_b32_e32 v131, v137
	s_delay_alu instid0(VALU_DEP_3) | instskip(NEXT) | instid1(VALU_DEP_2)
	v_cmp_lt_u32_e32 vcc_lo, 37, v129
	v_pk_add_f32 v[124:125], v[124:125], v[130:131]
	s_or_b32 s3, vcc_lo, s3
	s_delay_alu instid0(SALU_CYCLE_1)
	s_and_not1_b32 exec_lo, exec_lo, s3
	s_cbranch_execnz .LBB59_977
; %bb.978:
	s_or_b32 exec_lo, exec_lo, s3
.LBB59_979:
	s_delay_alu instid0(SALU_CYCLE_1) | instskip(SKIP_4) | instid1(VALU_DEP_1)
	s_or_b32 exec_lo, exec_lo, s2
	v_mov_b32_e32 v127, 0
	ds_load_b64 v[128:129], v127 offset:312
	s_wait_dscnt 0x0
	v_pk_mul_f32 v[130:131], v[124:125], v[128:129] op_sel:[1,1] op_sel_hi:[0,1]
	v_pk_fma_f32 v[132:133], v[124:125], v[128:129], v[130:131] op_sel_hi:[1,0,1]
	v_pk_fma_f32 v[124:125], v[124:125], v[128:129], v[130:131] neg_lo:[0,0,1] neg_hi:[0,0,1]
	s_delay_alu instid0(VALU_DEP_2)
	v_mov_b32_e32 v125, v133
	scratch_store_b64 off, v[124:125], off offset:312
.LBB59_980:
	s_wait_xcnt 0x0
	s_or_b32 exec_lo, exec_lo, s0
	scratch_load_b64 v[124:125], off, off offset:320
	s_mov_b32 s0, exec_lo
	s_wait_loadcnt 0x0
	ds_store_b64 v1, v[124:125]
	s_wait_storecnt_dscnt 0x0
	s_barrier_signal -1
	s_barrier_wait -1
	s_wait_xcnt 0x0
	v_cmpx_gt_u32_e32 40, v0
	s_cbranch_execz .LBB59_990
; %bb.981:
	v_cmp_ne_u32_e32 vcc_lo, 1, v126
	s_cbranch_vccnz .LBB59_983
; %bb.982:
	scratch_load_b64 v[124:125], v39, off
	ds_load_b64 v[128:129], v1
	s_wait_loadcnt_dscnt 0x0
	v_pk_mul_f32 v[130:131], v[128:129], v[124:125] op_sel:[1,1] op_sel_hi:[0,1]
	s_delay_alu instid0(VALU_DEP_1) | instskip(SKIP_1) | instid1(VALU_DEP_2)
	v_pk_fma_f32 v[132:133], v[128:129], v[124:125], v[130:131] op_sel_hi:[1,0,1]
	v_pk_fma_f32 v[124:125], v[128:129], v[124:125], v[130:131] neg_lo:[0,0,1] neg_hi:[0,0,1]
	v_mov_b32_e32 v125, v133
	s_cbranch_execz .LBB59_984
	s_branch .LBB59_985
.LBB59_983:
                                        ; implicit-def: $vgpr124_vgpr125
.LBB59_984:
	ds_load_b64 v[124:125], v1
.LBB59_985:
	s_mov_b32 s2, exec_lo
	v_cmpx_ne_u32_e32 39, v0
	s_cbranch_execz .LBB59_989
; %bb.986:
	v_add_nc_u32_e32 v127, 0x1e8, v38
	v_add3_u32 v128, 0, v38, 8
	v_mov_b32_e32 v129, v0
	s_mov_b32 s3, 0
.LBB59_987:                             ; =>This Inner Loop Header: Depth=1
	scratch_load_b64 v[130:131], v128, off
	ds_load_b64 v[132:133], v127
	s_wait_xcnt 0x0
	v_dual_add_nc_u32 v127, 8, v127 :: v_dual_add_nc_u32 v128, 8, v128
	s_wait_loadcnt_dscnt 0x0
	v_pk_mul_f32 v[134:135], v[132:133], v[130:131] op_sel:[1,1] op_sel_hi:[0,1]
	s_delay_alu instid0(VALU_DEP_1) | instskip(SKIP_2) | instid1(VALU_DEP_3)
	v_pk_fma_f32 v[136:137], v[132:133], v[130:131], v[134:135] op_sel_hi:[1,0,1]
	v_add_nc_u32_e32 v129, 1, v129
	v_pk_fma_f32 v[130:131], v[132:133], v[130:131], v[134:135] neg_lo:[0,0,1] neg_hi:[0,0,1]
	v_mov_b32_e32 v131, v137
	s_delay_alu instid0(VALU_DEP_3) | instskip(NEXT) | instid1(VALU_DEP_2)
	v_cmp_lt_u32_e32 vcc_lo, 38, v129
	v_pk_add_f32 v[124:125], v[124:125], v[130:131]
	s_or_b32 s3, vcc_lo, s3
	s_delay_alu instid0(SALU_CYCLE_1)
	s_and_not1_b32 exec_lo, exec_lo, s3
	s_cbranch_execnz .LBB59_987
; %bb.988:
	s_or_b32 exec_lo, exec_lo, s3
.LBB59_989:
	s_delay_alu instid0(SALU_CYCLE_1) | instskip(SKIP_4) | instid1(VALU_DEP_1)
	s_or_b32 exec_lo, exec_lo, s2
	v_mov_b32_e32 v127, 0
	ds_load_b64 v[128:129], v127 offset:320
	s_wait_dscnt 0x0
	v_pk_mul_f32 v[130:131], v[124:125], v[128:129] op_sel:[1,1] op_sel_hi:[0,1]
	v_pk_fma_f32 v[132:133], v[124:125], v[128:129], v[130:131] op_sel_hi:[1,0,1]
	v_pk_fma_f32 v[124:125], v[124:125], v[128:129], v[130:131] neg_lo:[0,0,1] neg_hi:[0,0,1]
	s_delay_alu instid0(VALU_DEP_2)
	v_mov_b32_e32 v125, v133
	scratch_store_b64 off, v[124:125], off offset:320
.LBB59_990:
	s_wait_xcnt 0x0
	s_or_b32 exec_lo, exec_lo, s0
	scratch_load_b64 v[124:125], off, off offset:328
	s_mov_b32 s0, exec_lo
	s_wait_loadcnt 0x0
	ds_store_b64 v1, v[124:125]
	s_wait_storecnt_dscnt 0x0
	s_barrier_signal -1
	s_barrier_wait -1
	s_wait_xcnt 0x0
	v_cmpx_gt_u32_e32 41, v0
	s_cbranch_execz .LBB59_1000
; %bb.991:
	v_cmp_ne_u32_e32 vcc_lo, 1, v126
	s_cbranch_vccnz .LBB59_993
; %bb.992:
	scratch_load_b64 v[124:125], v39, off
	ds_load_b64 v[128:129], v1
	s_wait_loadcnt_dscnt 0x0
	v_pk_mul_f32 v[130:131], v[128:129], v[124:125] op_sel:[1,1] op_sel_hi:[0,1]
	s_delay_alu instid0(VALU_DEP_1) | instskip(SKIP_1) | instid1(VALU_DEP_2)
	v_pk_fma_f32 v[132:133], v[128:129], v[124:125], v[130:131] op_sel_hi:[1,0,1]
	v_pk_fma_f32 v[124:125], v[128:129], v[124:125], v[130:131] neg_lo:[0,0,1] neg_hi:[0,0,1]
	v_mov_b32_e32 v125, v133
	s_cbranch_execz .LBB59_994
	s_branch .LBB59_995
.LBB59_993:
                                        ; implicit-def: $vgpr124_vgpr125
.LBB59_994:
	ds_load_b64 v[124:125], v1
.LBB59_995:
	s_mov_b32 s2, exec_lo
	v_cmpx_ne_u32_e32 40, v0
	s_cbranch_execz .LBB59_999
; %bb.996:
	v_add_nc_u32_e32 v127, 0x1e8, v38
	v_add3_u32 v128, 0, v38, 8
	v_mov_b32_e32 v129, v0
	s_mov_b32 s3, 0
.LBB59_997:                             ; =>This Inner Loop Header: Depth=1
	scratch_load_b64 v[130:131], v128, off
	ds_load_b64 v[132:133], v127
	s_wait_xcnt 0x0
	v_dual_add_nc_u32 v127, 8, v127 :: v_dual_add_nc_u32 v128, 8, v128
	s_wait_loadcnt_dscnt 0x0
	v_pk_mul_f32 v[134:135], v[132:133], v[130:131] op_sel:[1,1] op_sel_hi:[0,1]
	s_delay_alu instid0(VALU_DEP_1) | instskip(SKIP_2) | instid1(VALU_DEP_3)
	v_pk_fma_f32 v[136:137], v[132:133], v[130:131], v[134:135] op_sel_hi:[1,0,1]
	v_add_nc_u32_e32 v129, 1, v129
	v_pk_fma_f32 v[130:131], v[132:133], v[130:131], v[134:135] neg_lo:[0,0,1] neg_hi:[0,0,1]
	v_mov_b32_e32 v131, v137
	s_delay_alu instid0(VALU_DEP_3) | instskip(NEXT) | instid1(VALU_DEP_2)
	v_cmp_lt_u32_e32 vcc_lo, 39, v129
	v_pk_add_f32 v[124:125], v[124:125], v[130:131]
	s_or_b32 s3, vcc_lo, s3
	s_delay_alu instid0(SALU_CYCLE_1)
	s_and_not1_b32 exec_lo, exec_lo, s3
	s_cbranch_execnz .LBB59_997
; %bb.998:
	s_or_b32 exec_lo, exec_lo, s3
.LBB59_999:
	s_delay_alu instid0(SALU_CYCLE_1) | instskip(SKIP_4) | instid1(VALU_DEP_1)
	s_or_b32 exec_lo, exec_lo, s2
	v_mov_b32_e32 v127, 0
	ds_load_b64 v[128:129], v127 offset:328
	s_wait_dscnt 0x0
	v_pk_mul_f32 v[130:131], v[124:125], v[128:129] op_sel:[1,1] op_sel_hi:[0,1]
	v_pk_fma_f32 v[132:133], v[124:125], v[128:129], v[130:131] op_sel_hi:[1,0,1]
	v_pk_fma_f32 v[124:125], v[124:125], v[128:129], v[130:131] neg_lo:[0,0,1] neg_hi:[0,0,1]
	s_delay_alu instid0(VALU_DEP_2)
	v_mov_b32_e32 v125, v133
	scratch_store_b64 off, v[124:125], off offset:328
.LBB59_1000:
	s_wait_xcnt 0x0
	s_or_b32 exec_lo, exec_lo, s0
	scratch_load_b64 v[124:125], off, off offset:336
	s_mov_b32 s0, exec_lo
	s_wait_loadcnt 0x0
	ds_store_b64 v1, v[124:125]
	s_wait_storecnt_dscnt 0x0
	s_barrier_signal -1
	s_barrier_wait -1
	s_wait_xcnt 0x0
	v_cmpx_gt_u32_e32 42, v0
	s_cbranch_execz .LBB59_1010
; %bb.1001:
	v_cmp_ne_u32_e32 vcc_lo, 1, v126
	s_cbranch_vccnz .LBB59_1003
; %bb.1002:
	scratch_load_b64 v[124:125], v39, off
	ds_load_b64 v[128:129], v1
	s_wait_loadcnt_dscnt 0x0
	v_pk_mul_f32 v[130:131], v[128:129], v[124:125] op_sel:[1,1] op_sel_hi:[0,1]
	s_delay_alu instid0(VALU_DEP_1) | instskip(SKIP_1) | instid1(VALU_DEP_2)
	v_pk_fma_f32 v[132:133], v[128:129], v[124:125], v[130:131] op_sel_hi:[1,0,1]
	v_pk_fma_f32 v[124:125], v[128:129], v[124:125], v[130:131] neg_lo:[0,0,1] neg_hi:[0,0,1]
	v_mov_b32_e32 v125, v133
	s_cbranch_execz .LBB59_1004
	s_branch .LBB59_1005
.LBB59_1003:
                                        ; implicit-def: $vgpr124_vgpr125
.LBB59_1004:
	ds_load_b64 v[124:125], v1
.LBB59_1005:
	s_mov_b32 s2, exec_lo
	v_cmpx_ne_u32_e32 41, v0
	s_cbranch_execz .LBB59_1009
; %bb.1006:
	v_add_nc_u32_e32 v127, 0x1e8, v38
	v_add3_u32 v128, 0, v38, 8
	v_mov_b32_e32 v129, v0
	s_mov_b32 s3, 0
.LBB59_1007:                            ; =>This Inner Loop Header: Depth=1
	scratch_load_b64 v[130:131], v128, off
	ds_load_b64 v[132:133], v127
	s_wait_xcnt 0x0
	v_dual_add_nc_u32 v127, 8, v127 :: v_dual_add_nc_u32 v128, 8, v128
	s_wait_loadcnt_dscnt 0x0
	v_pk_mul_f32 v[134:135], v[132:133], v[130:131] op_sel:[1,1] op_sel_hi:[0,1]
	s_delay_alu instid0(VALU_DEP_1) | instskip(SKIP_2) | instid1(VALU_DEP_3)
	v_pk_fma_f32 v[136:137], v[132:133], v[130:131], v[134:135] op_sel_hi:[1,0,1]
	v_add_nc_u32_e32 v129, 1, v129
	v_pk_fma_f32 v[130:131], v[132:133], v[130:131], v[134:135] neg_lo:[0,0,1] neg_hi:[0,0,1]
	v_mov_b32_e32 v131, v137
	s_delay_alu instid0(VALU_DEP_3) | instskip(NEXT) | instid1(VALU_DEP_2)
	v_cmp_lt_u32_e32 vcc_lo, 40, v129
	v_pk_add_f32 v[124:125], v[124:125], v[130:131]
	s_or_b32 s3, vcc_lo, s3
	s_delay_alu instid0(SALU_CYCLE_1)
	s_and_not1_b32 exec_lo, exec_lo, s3
	s_cbranch_execnz .LBB59_1007
; %bb.1008:
	s_or_b32 exec_lo, exec_lo, s3
.LBB59_1009:
	s_delay_alu instid0(SALU_CYCLE_1) | instskip(SKIP_4) | instid1(VALU_DEP_1)
	s_or_b32 exec_lo, exec_lo, s2
	v_mov_b32_e32 v127, 0
	ds_load_b64 v[128:129], v127 offset:336
	s_wait_dscnt 0x0
	v_pk_mul_f32 v[130:131], v[124:125], v[128:129] op_sel:[1,1] op_sel_hi:[0,1]
	v_pk_fma_f32 v[132:133], v[124:125], v[128:129], v[130:131] op_sel_hi:[1,0,1]
	v_pk_fma_f32 v[124:125], v[124:125], v[128:129], v[130:131] neg_lo:[0,0,1] neg_hi:[0,0,1]
	s_delay_alu instid0(VALU_DEP_2)
	v_mov_b32_e32 v125, v133
	scratch_store_b64 off, v[124:125], off offset:336
.LBB59_1010:
	s_wait_xcnt 0x0
	s_or_b32 exec_lo, exec_lo, s0
	scratch_load_b64 v[124:125], off, off offset:344
	s_mov_b32 s0, exec_lo
	s_wait_loadcnt 0x0
	ds_store_b64 v1, v[124:125]
	s_wait_storecnt_dscnt 0x0
	s_barrier_signal -1
	s_barrier_wait -1
	s_wait_xcnt 0x0
	v_cmpx_gt_u32_e32 43, v0
	s_cbranch_execz .LBB59_1020
; %bb.1011:
	v_cmp_ne_u32_e32 vcc_lo, 1, v126
	s_cbranch_vccnz .LBB59_1013
; %bb.1012:
	scratch_load_b64 v[124:125], v39, off
	ds_load_b64 v[128:129], v1
	s_wait_loadcnt_dscnt 0x0
	v_pk_mul_f32 v[130:131], v[128:129], v[124:125] op_sel:[1,1] op_sel_hi:[0,1]
	s_delay_alu instid0(VALU_DEP_1) | instskip(SKIP_1) | instid1(VALU_DEP_2)
	v_pk_fma_f32 v[132:133], v[128:129], v[124:125], v[130:131] op_sel_hi:[1,0,1]
	v_pk_fma_f32 v[124:125], v[128:129], v[124:125], v[130:131] neg_lo:[0,0,1] neg_hi:[0,0,1]
	v_mov_b32_e32 v125, v133
	s_cbranch_execz .LBB59_1014
	s_branch .LBB59_1015
.LBB59_1013:
                                        ; implicit-def: $vgpr124_vgpr125
.LBB59_1014:
	ds_load_b64 v[124:125], v1
.LBB59_1015:
	s_mov_b32 s2, exec_lo
	v_cmpx_ne_u32_e32 42, v0
	s_cbranch_execz .LBB59_1019
; %bb.1016:
	v_add_nc_u32_e32 v127, 0x1e8, v38
	v_add3_u32 v128, 0, v38, 8
	v_mov_b32_e32 v129, v0
	s_mov_b32 s3, 0
.LBB59_1017:                            ; =>This Inner Loop Header: Depth=1
	scratch_load_b64 v[130:131], v128, off
	ds_load_b64 v[132:133], v127
	s_wait_xcnt 0x0
	v_dual_add_nc_u32 v127, 8, v127 :: v_dual_add_nc_u32 v128, 8, v128
	s_wait_loadcnt_dscnt 0x0
	v_pk_mul_f32 v[134:135], v[132:133], v[130:131] op_sel:[1,1] op_sel_hi:[0,1]
	s_delay_alu instid0(VALU_DEP_1) | instskip(SKIP_2) | instid1(VALU_DEP_3)
	v_pk_fma_f32 v[136:137], v[132:133], v[130:131], v[134:135] op_sel_hi:[1,0,1]
	v_add_nc_u32_e32 v129, 1, v129
	v_pk_fma_f32 v[130:131], v[132:133], v[130:131], v[134:135] neg_lo:[0,0,1] neg_hi:[0,0,1]
	v_mov_b32_e32 v131, v137
	s_delay_alu instid0(VALU_DEP_3) | instskip(NEXT) | instid1(VALU_DEP_2)
	v_cmp_lt_u32_e32 vcc_lo, 41, v129
	v_pk_add_f32 v[124:125], v[124:125], v[130:131]
	s_or_b32 s3, vcc_lo, s3
	s_delay_alu instid0(SALU_CYCLE_1)
	s_and_not1_b32 exec_lo, exec_lo, s3
	s_cbranch_execnz .LBB59_1017
; %bb.1018:
	s_or_b32 exec_lo, exec_lo, s3
.LBB59_1019:
	s_delay_alu instid0(SALU_CYCLE_1) | instskip(SKIP_4) | instid1(VALU_DEP_1)
	s_or_b32 exec_lo, exec_lo, s2
	v_mov_b32_e32 v127, 0
	ds_load_b64 v[128:129], v127 offset:344
	s_wait_dscnt 0x0
	v_pk_mul_f32 v[130:131], v[124:125], v[128:129] op_sel:[1,1] op_sel_hi:[0,1]
	v_pk_fma_f32 v[132:133], v[124:125], v[128:129], v[130:131] op_sel_hi:[1,0,1]
	v_pk_fma_f32 v[124:125], v[124:125], v[128:129], v[130:131] neg_lo:[0,0,1] neg_hi:[0,0,1]
	s_delay_alu instid0(VALU_DEP_2)
	v_mov_b32_e32 v125, v133
	scratch_store_b64 off, v[124:125], off offset:344
.LBB59_1020:
	s_wait_xcnt 0x0
	s_or_b32 exec_lo, exec_lo, s0
	scratch_load_b64 v[124:125], off, off offset:352
	s_mov_b32 s0, exec_lo
	s_wait_loadcnt 0x0
	ds_store_b64 v1, v[124:125]
	s_wait_storecnt_dscnt 0x0
	s_barrier_signal -1
	s_barrier_wait -1
	s_wait_xcnt 0x0
	v_cmpx_gt_u32_e32 44, v0
	s_cbranch_execz .LBB59_1030
; %bb.1021:
	v_cmp_ne_u32_e32 vcc_lo, 1, v126
	s_cbranch_vccnz .LBB59_1023
; %bb.1022:
	scratch_load_b64 v[124:125], v39, off
	ds_load_b64 v[128:129], v1
	s_wait_loadcnt_dscnt 0x0
	v_pk_mul_f32 v[130:131], v[128:129], v[124:125] op_sel:[1,1] op_sel_hi:[0,1]
	s_delay_alu instid0(VALU_DEP_1) | instskip(SKIP_1) | instid1(VALU_DEP_2)
	v_pk_fma_f32 v[132:133], v[128:129], v[124:125], v[130:131] op_sel_hi:[1,0,1]
	v_pk_fma_f32 v[124:125], v[128:129], v[124:125], v[130:131] neg_lo:[0,0,1] neg_hi:[0,0,1]
	v_mov_b32_e32 v125, v133
	s_cbranch_execz .LBB59_1024
	s_branch .LBB59_1025
.LBB59_1023:
                                        ; implicit-def: $vgpr124_vgpr125
.LBB59_1024:
	ds_load_b64 v[124:125], v1
.LBB59_1025:
	s_mov_b32 s2, exec_lo
	v_cmpx_ne_u32_e32 43, v0
	s_cbranch_execz .LBB59_1029
; %bb.1026:
	v_add_nc_u32_e32 v127, 0x1e8, v38
	v_add3_u32 v128, 0, v38, 8
	v_mov_b32_e32 v129, v0
	s_mov_b32 s3, 0
.LBB59_1027:                            ; =>This Inner Loop Header: Depth=1
	scratch_load_b64 v[130:131], v128, off
	ds_load_b64 v[132:133], v127
	s_wait_xcnt 0x0
	v_dual_add_nc_u32 v127, 8, v127 :: v_dual_add_nc_u32 v128, 8, v128
	s_wait_loadcnt_dscnt 0x0
	v_pk_mul_f32 v[134:135], v[132:133], v[130:131] op_sel:[1,1] op_sel_hi:[0,1]
	s_delay_alu instid0(VALU_DEP_1) | instskip(SKIP_2) | instid1(VALU_DEP_3)
	v_pk_fma_f32 v[136:137], v[132:133], v[130:131], v[134:135] op_sel_hi:[1,0,1]
	v_add_nc_u32_e32 v129, 1, v129
	v_pk_fma_f32 v[130:131], v[132:133], v[130:131], v[134:135] neg_lo:[0,0,1] neg_hi:[0,0,1]
	v_mov_b32_e32 v131, v137
	s_delay_alu instid0(VALU_DEP_3) | instskip(NEXT) | instid1(VALU_DEP_2)
	v_cmp_lt_u32_e32 vcc_lo, 42, v129
	v_pk_add_f32 v[124:125], v[124:125], v[130:131]
	s_or_b32 s3, vcc_lo, s3
	s_delay_alu instid0(SALU_CYCLE_1)
	s_and_not1_b32 exec_lo, exec_lo, s3
	s_cbranch_execnz .LBB59_1027
; %bb.1028:
	s_or_b32 exec_lo, exec_lo, s3
.LBB59_1029:
	s_delay_alu instid0(SALU_CYCLE_1) | instskip(SKIP_4) | instid1(VALU_DEP_1)
	s_or_b32 exec_lo, exec_lo, s2
	v_mov_b32_e32 v127, 0
	ds_load_b64 v[128:129], v127 offset:352
	s_wait_dscnt 0x0
	v_pk_mul_f32 v[130:131], v[124:125], v[128:129] op_sel:[1,1] op_sel_hi:[0,1]
	v_pk_fma_f32 v[132:133], v[124:125], v[128:129], v[130:131] op_sel_hi:[1,0,1]
	v_pk_fma_f32 v[124:125], v[124:125], v[128:129], v[130:131] neg_lo:[0,0,1] neg_hi:[0,0,1]
	s_delay_alu instid0(VALU_DEP_2)
	v_mov_b32_e32 v125, v133
	scratch_store_b64 off, v[124:125], off offset:352
.LBB59_1030:
	s_wait_xcnt 0x0
	s_or_b32 exec_lo, exec_lo, s0
	scratch_load_b64 v[124:125], off, off offset:360
	s_mov_b32 s0, exec_lo
	s_wait_loadcnt 0x0
	ds_store_b64 v1, v[124:125]
	s_wait_storecnt_dscnt 0x0
	s_barrier_signal -1
	s_barrier_wait -1
	s_wait_xcnt 0x0
	v_cmpx_gt_u32_e32 45, v0
	s_cbranch_execz .LBB59_1040
; %bb.1031:
	v_cmp_ne_u32_e32 vcc_lo, 1, v126
	s_cbranch_vccnz .LBB59_1033
; %bb.1032:
	scratch_load_b64 v[124:125], v39, off
	ds_load_b64 v[128:129], v1
	s_wait_loadcnt_dscnt 0x0
	v_pk_mul_f32 v[130:131], v[128:129], v[124:125] op_sel:[1,1] op_sel_hi:[0,1]
	s_delay_alu instid0(VALU_DEP_1) | instskip(SKIP_1) | instid1(VALU_DEP_2)
	v_pk_fma_f32 v[132:133], v[128:129], v[124:125], v[130:131] op_sel_hi:[1,0,1]
	v_pk_fma_f32 v[124:125], v[128:129], v[124:125], v[130:131] neg_lo:[0,0,1] neg_hi:[0,0,1]
	v_mov_b32_e32 v125, v133
	s_cbranch_execz .LBB59_1034
	s_branch .LBB59_1035
.LBB59_1033:
                                        ; implicit-def: $vgpr124_vgpr125
.LBB59_1034:
	ds_load_b64 v[124:125], v1
.LBB59_1035:
	s_mov_b32 s2, exec_lo
	v_cmpx_ne_u32_e32 44, v0
	s_cbranch_execz .LBB59_1039
; %bb.1036:
	v_add_nc_u32_e32 v127, 0x1e8, v38
	v_add3_u32 v128, 0, v38, 8
	v_mov_b32_e32 v129, v0
	s_mov_b32 s3, 0
.LBB59_1037:                            ; =>This Inner Loop Header: Depth=1
	scratch_load_b64 v[130:131], v128, off
	ds_load_b64 v[132:133], v127
	s_wait_xcnt 0x0
	v_dual_add_nc_u32 v127, 8, v127 :: v_dual_add_nc_u32 v128, 8, v128
	s_wait_loadcnt_dscnt 0x0
	v_pk_mul_f32 v[134:135], v[132:133], v[130:131] op_sel:[1,1] op_sel_hi:[0,1]
	s_delay_alu instid0(VALU_DEP_1) | instskip(SKIP_2) | instid1(VALU_DEP_3)
	v_pk_fma_f32 v[136:137], v[132:133], v[130:131], v[134:135] op_sel_hi:[1,0,1]
	v_add_nc_u32_e32 v129, 1, v129
	v_pk_fma_f32 v[130:131], v[132:133], v[130:131], v[134:135] neg_lo:[0,0,1] neg_hi:[0,0,1]
	v_mov_b32_e32 v131, v137
	s_delay_alu instid0(VALU_DEP_3) | instskip(NEXT) | instid1(VALU_DEP_2)
	v_cmp_lt_u32_e32 vcc_lo, 43, v129
	v_pk_add_f32 v[124:125], v[124:125], v[130:131]
	s_or_b32 s3, vcc_lo, s3
	s_delay_alu instid0(SALU_CYCLE_1)
	s_and_not1_b32 exec_lo, exec_lo, s3
	s_cbranch_execnz .LBB59_1037
; %bb.1038:
	s_or_b32 exec_lo, exec_lo, s3
.LBB59_1039:
	s_delay_alu instid0(SALU_CYCLE_1) | instskip(SKIP_4) | instid1(VALU_DEP_1)
	s_or_b32 exec_lo, exec_lo, s2
	v_mov_b32_e32 v127, 0
	ds_load_b64 v[128:129], v127 offset:360
	s_wait_dscnt 0x0
	v_pk_mul_f32 v[130:131], v[124:125], v[128:129] op_sel:[1,1] op_sel_hi:[0,1]
	v_pk_fma_f32 v[132:133], v[124:125], v[128:129], v[130:131] op_sel_hi:[1,0,1]
	v_pk_fma_f32 v[124:125], v[124:125], v[128:129], v[130:131] neg_lo:[0,0,1] neg_hi:[0,0,1]
	s_delay_alu instid0(VALU_DEP_2)
	v_mov_b32_e32 v125, v133
	scratch_store_b64 off, v[124:125], off offset:360
.LBB59_1040:
	s_wait_xcnt 0x0
	s_or_b32 exec_lo, exec_lo, s0
	scratch_load_b64 v[124:125], off, off offset:368
	s_mov_b32 s0, exec_lo
	s_wait_loadcnt 0x0
	ds_store_b64 v1, v[124:125]
	s_wait_storecnt_dscnt 0x0
	s_barrier_signal -1
	s_barrier_wait -1
	s_wait_xcnt 0x0
	v_cmpx_gt_u32_e32 46, v0
	s_cbranch_execz .LBB59_1050
; %bb.1041:
	v_cmp_ne_u32_e32 vcc_lo, 1, v126
	s_cbranch_vccnz .LBB59_1043
; %bb.1042:
	scratch_load_b64 v[124:125], v39, off
	ds_load_b64 v[128:129], v1
	s_wait_loadcnt_dscnt 0x0
	v_pk_mul_f32 v[130:131], v[128:129], v[124:125] op_sel:[1,1] op_sel_hi:[0,1]
	s_delay_alu instid0(VALU_DEP_1) | instskip(SKIP_1) | instid1(VALU_DEP_2)
	v_pk_fma_f32 v[132:133], v[128:129], v[124:125], v[130:131] op_sel_hi:[1,0,1]
	v_pk_fma_f32 v[124:125], v[128:129], v[124:125], v[130:131] neg_lo:[0,0,1] neg_hi:[0,0,1]
	v_mov_b32_e32 v125, v133
	s_cbranch_execz .LBB59_1044
	s_branch .LBB59_1045
.LBB59_1043:
                                        ; implicit-def: $vgpr124_vgpr125
.LBB59_1044:
	ds_load_b64 v[124:125], v1
.LBB59_1045:
	s_mov_b32 s2, exec_lo
	v_cmpx_ne_u32_e32 45, v0
	s_cbranch_execz .LBB59_1049
; %bb.1046:
	v_add_nc_u32_e32 v127, 0x1e8, v38
	v_add3_u32 v128, 0, v38, 8
	v_mov_b32_e32 v129, v0
	s_mov_b32 s3, 0
.LBB59_1047:                            ; =>This Inner Loop Header: Depth=1
	scratch_load_b64 v[130:131], v128, off
	ds_load_b64 v[132:133], v127
	s_wait_xcnt 0x0
	v_dual_add_nc_u32 v127, 8, v127 :: v_dual_add_nc_u32 v128, 8, v128
	s_wait_loadcnt_dscnt 0x0
	v_pk_mul_f32 v[134:135], v[132:133], v[130:131] op_sel:[1,1] op_sel_hi:[0,1]
	s_delay_alu instid0(VALU_DEP_1) | instskip(SKIP_2) | instid1(VALU_DEP_3)
	v_pk_fma_f32 v[136:137], v[132:133], v[130:131], v[134:135] op_sel_hi:[1,0,1]
	v_add_nc_u32_e32 v129, 1, v129
	v_pk_fma_f32 v[130:131], v[132:133], v[130:131], v[134:135] neg_lo:[0,0,1] neg_hi:[0,0,1]
	v_mov_b32_e32 v131, v137
	s_delay_alu instid0(VALU_DEP_3) | instskip(NEXT) | instid1(VALU_DEP_2)
	v_cmp_lt_u32_e32 vcc_lo, 44, v129
	v_pk_add_f32 v[124:125], v[124:125], v[130:131]
	s_or_b32 s3, vcc_lo, s3
	s_delay_alu instid0(SALU_CYCLE_1)
	s_and_not1_b32 exec_lo, exec_lo, s3
	s_cbranch_execnz .LBB59_1047
; %bb.1048:
	s_or_b32 exec_lo, exec_lo, s3
.LBB59_1049:
	s_delay_alu instid0(SALU_CYCLE_1) | instskip(SKIP_4) | instid1(VALU_DEP_1)
	s_or_b32 exec_lo, exec_lo, s2
	v_mov_b32_e32 v127, 0
	ds_load_b64 v[128:129], v127 offset:368
	s_wait_dscnt 0x0
	v_pk_mul_f32 v[130:131], v[124:125], v[128:129] op_sel:[1,1] op_sel_hi:[0,1]
	v_pk_fma_f32 v[132:133], v[124:125], v[128:129], v[130:131] op_sel_hi:[1,0,1]
	v_pk_fma_f32 v[124:125], v[124:125], v[128:129], v[130:131] neg_lo:[0,0,1] neg_hi:[0,0,1]
	s_delay_alu instid0(VALU_DEP_2)
	v_mov_b32_e32 v125, v133
	scratch_store_b64 off, v[124:125], off offset:368
.LBB59_1050:
	s_wait_xcnt 0x0
	s_or_b32 exec_lo, exec_lo, s0
	scratch_load_b64 v[124:125], off, off offset:376
	s_mov_b32 s0, exec_lo
	s_wait_loadcnt 0x0
	ds_store_b64 v1, v[124:125]
	s_wait_storecnt_dscnt 0x0
	s_barrier_signal -1
	s_barrier_wait -1
	s_wait_xcnt 0x0
	v_cmpx_gt_u32_e32 47, v0
	s_cbranch_execz .LBB59_1060
; %bb.1051:
	v_cmp_ne_u32_e32 vcc_lo, 1, v126
	s_cbranch_vccnz .LBB59_1053
; %bb.1052:
	scratch_load_b64 v[124:125], v39, off
	ds_load_b64 v[128:129], v1
	s_wait_loadcnt_dscnt 0x0
	v_pk_mul_f32 v[130:131], v[128:129], v[124:125] op_sel:[1,1] op_sel_hi:[0,1]
	s_delay_alu instid0(VALU_DEP_1) | instskip(SKIP_1) | instid1(VALU_DEP_2)
	v_pk_fma_f32 v[132:133], v[128:129], v[124:125], v[130:131] op_sel_hi:[1,0,1]
	v_pk_fma_f32 v[124:125], v[128:129], v[124:125], v[130:131] neg_lo:[0,0,1] neg_hi:[0,0,1]
	v_mov_b32_e32 v125, v133
	s_cbranch_execz .LBB59_1054
	s_branch .LBB59_1055
.LBB59_1053:
                                        ; implicit-def: $vgpr124_vgpr125
.LBB59_1054:
	ds_load_b64 v[124:125], v1
.LBB59_1055:
	s_mov_b32 s2, exec_lo
	v_cmpx_ne_u32_e32 46, v0
	s_cbranch_execz .LBB59_1059
; %bb.1056:
	v_add_nc_u32_e32 v127, 0x1e8, v38
	v_add3_u32 v128, 0, v38, 8
	v_mov_b32_e32 v129, v0
	s_mov_b32 s3, 0
.LBB59_1057:                            ; =>This Inner Loop Header: Depth=1
	scratch_load_b64 v[130:131], v128, off
	ds_load_b64 v[132:133], v127
	s_wait_xcnt 0x0
	v_dual_add_nc_u32 v127, 8, v127 :: v_dual_add_nc_u32 v128, 8, v128
	s_wait_loadcnt_dscnt 0x0
	v_pk_mul_f32 v[134:135], v[132:133], v[130:131] op_sel:[1,1] op_sel_hi:[0,1]
	s_delay_alu instid0(VALU_DEP_1) | instskip(SKIP_2) | instid1(VALU_DEP_3)
	v_pk_fma_f32 v[136:137], v[132:133], v[130:131], v[134:135] op_sel_hi:[1,0,1]
	v_add_nc_u32_e32 v129, 1, v129
	v_pk_fma_f32 v[130:131], v[132:133], v[130:131], v[134:135] neg_lo:[0,0,1] neg_hi:[0,0,1]
	v_mov_b32_e32 v131, v137
	s_delay_alu instid0(VALU_DEP_3) | instskip(NEXT) | instid1(VALU_DEP_2)
	v_cmp_lt_u32_e32 vcc_lo, 45, v129
	v_pk_add_f32 v[124:125], v[124:125], v[130:131]
	s_or_b32 s3, vcc_lo, s3
	s_delay_alu instid0(SALU_CYCLE_1)
	s_and_not1_b32 exec_lo, exec_lo, s3
	s_cbranch_execnz .LBB59_1057
; %bb.1058:
	s_or_b32 exec_lo, exec_lo, s3
.LBB59_1059:
	s_delay_alu instid0(SALU_CYCLE_1) | instskip(SKIP_4) | instid1(VALU_DEP_1)
	s_or_b32 exec_lo, exec_lo, s2
	v_mov_b32_e32 v127, 0
	ds_load_b64 v[128:129], v127 offset:376
	s_wait_dscnt 0x0
	v_pk_mul_f32 v[130:131], v[124:125], v[128:129] op_sel:[1,1] op_sel_hi:[0,1]
	v_pk_fma_f32 v[132:133], v[124:125], v[128:129], v[130:131] op_sel_hi:[1,0,1]
	v_pk_fma_f32 v[124:125], v[124:125], v[128:129], v[130:131] neg_lo:[0,0,1] neg_hi:[0,0,1]
	s_delay_alu instid0(VALU_DEP_2)
	v_mov_b32_e32 v125, v133
	scratch_store_b64 off, v[124:125], off offset:376
.LBB59_1060:
	s_wait_xcnt 0x0
	s_or_b32 exec_lo, exec_lo, s0
	scratch_load_b64 v[124:125], off, off offset:384
	s_mov_b32 s0, exec_lo
	s_wait_loadcnt 0x0
	ds_store_b64 v1, v[124:125]
	s_wait_storecnt_dscnt 0x0
	s_barrier_signal -1
	s_barrier_wait -1
	s_wait_xcnt 0x0
	v_cmpx_gt_u32_e32 48, v0
	s_cbranch_execz .LBB59_1070
; %bb.1061:
	v_cmp_ne_u32_e32 vcc_lo, 1, v126
	s_cbranch_vccnz .LBB59_1063
; %bb.1062:
	scratch_load_b64 v[124:125], v39, off
	ds_load_b64 v[128:129], v1
	s_wait_loadcnt_dscnt 0x0
	v_pk_mul_f32 v[130:131], v[128:129], v[124:125] op_sel:[1,1] op_sel_hi:[0,1]
	s_delay_alu instid0(VALU_DEP_1) | instskip(SKIP_1) | instid1(VALU_DEP_2)
	v_pk_fma_f32 v[132:133], v[128:129], v[124:125], v[130:131] op_sel_hi:[1,0,1]
	v_pk_fma_f32 v[124:125], v[128:129], v[124:125], v[130:131] neg_lo:[0,0,1] neg_hi:[0,0,1]
	v_mov_b32_e32 v125, v133
	s_cbranch_execz .LBB59_1064
	s_branch .LBB59_1065
.LBB59_1063:
                                        ; implicit-def: $vgpr124_vgpr125
.LBB59_1064:
	ds_load_b64 v[124:125], v1
.LBB59_1065:
	s_mov_b32 s2, exec_lo
	v_cmpx_ne_u32_e32 47, v0
	s_cbranch_execz .LBB59_1069
; %bb.1066:
	v_add_nc_u32_e32 v127, 0x1e8, v38
	v_add3_u32 v128, 0, v38, 8
	v_mov_b32_e32 v129, v0
	s_mov_b32 s3, 0
.LBB59_1067:                            ; =>This Inner Loop Header: Depth=1
	scratch_load_b64 v[130:131], v128, off
	ds_load_b64 v[132:133], v127
	s_wait_xcnt 0x0
	v_dual_add_nc_u32 v127, 8, v127 :: v_dual_add_nc_u32 v128, 8, v128
	s_wait_loadcnt_dscnt 0x0
	v_pk_mul_f32 v[134:135], v[132:133], v[130:131] op_sel:[1,1] op_sel_hi:[0,1]
	s_delay_alu instid0(VALU_DEP_1) | instskip(SKIP_2) | instid1(VALU_DEP_3)
	v_pk_fma_f32 v[136:137], v[132:133], v[130:131], v[134:135] op_sel_hi:[1,0,1]
	v_add_nc_u32_e32 v129, 1, v129
	v_pk_fma_f32 v[130:131], v[132:133], v[130:131], v[134:135] neg_lo:[0,0,1] neg_hi:[0,0,1]
	v_mov_b32_e32 v131, v137
	s_delay_alu instid0(VALU_DEP_3) | instskip(NEXT) | instid1(VALU_DEP_2)
	v_cmp_lt_u32_e32 vcc_lo, 46, v129
	v_pk_add_f32 v[124:125], v[124:125], v[130:131]
	s_or_b32 s3, vcc_lo, s3
	s_delay_alu instid0(SALU_CYCLE_1)
	s_and_not1_b32 exec_lo, exec_lo, s3
	s_cbranch_execnz .LBB59_1067
; %bb.1068:
	s_or_b32 exec_lo, exec_lo, s3
.LBB59_1069:
	s_delay_alu instid0(SALU_CYCLE_1) | instskip(SKIP_4) | instid1(VALU_DEP_1)
	s_or_b32 exec_lo, exec_lo, s2
	v_mov_b32_e32 v127, 0
	ds_load_b64 v[128:129], v127 offset:384
	s_wait_dscnt 0x0
	v_pk_mul_f32 v[130:131], v[124:125], v[128:129] op_sel:[1,1] op_sel_hi:[0,1]
	v_pk_fma_f32 v[132:133], v[124:125], v[128:129], v[130:131] op_sel_hi:[1,0,1]
	v_pk_fma_f32 v[124:125], v[124:125], v[128:129], v[130:131] neg_lo:[0,0,1] neg_hi:[0,0,1]
	s_delay_alu instid0(VALU_DEP_2)
	v_mov_b32_e32 v125, v133
	scratch_store_b64 off, v[124:125], off offset:384
.LBB59_1070:
	s_wait_xcnt 0x0
	s_or_b32 exec_lo, exec_lo, s0
	scratch_load_b64 v[124:125], off, off offset:392
	s_mov_b32 s0, exec_lo
	s_wait_loadcnt 0x0
	ds_store_b64 v1, v[124:125]
	s_wait_storecnt_dscnt 0x0
	s_barrier_signal -1
	s_barrier_wait -1
	s_wait_xcnt 0x0
	v_cmpx_gt_u32_e32 49, v0
	s_cbranch_execz .LBB59_1080
; %bb.1071:
	v_cmp_ne_u32_e32 vcc_lo, 1, v126
	s_cbranch_vccnz .LBB59_1073
; %bb.1072:
	scratch_load_b64 v[124:125], v39, off
	ds_load_b64 v[128:129], v1
	s_wait_loadcnt_dscnt 0x0
	v_pk_mul_f32 v[130:131], v[128:129], v[124:125] op_sel:[1,1] op_sel_hi:[0,1]
	s_delay_alu instid0(VALU_DEP_1) | instskip(SKIP_1) | instid1(VALU_DEP_2)
	v_pk_fma_f32 v[132:133], v[128:129], v[124:125], v[130:131] op_sel_hi:[1,0,1]
	v_pk_fma_f32 v[124:125], v[128:129], v[124:125], v[130:131] neg_lo:[0,0,1] neg_hi:[0,0,1]
	v_mov_b32_e32 v125, v133
	s_cbranch_execz .LBB59_1074
	s_branch .LBB59_1075
.LBB59_1073:
                                        ; implicit-def: $vgpr124_vgpr125
.LBB59_1074:
	ds_load_b64 v[124:125], v1
.LBB59_1075:
	s_mov_b32 s2, exec_lo
	v_cmpx_ne_u32_e32 48, v0
	s_cbranch_execz .LBB59_1079
; %bb.1076:
	v_add_nc_u32_e32 v127, 0x1e8, v38
	v_add3_u32 v128, 0, v38, 8
	v_mov_b32_e32 v129, v0
	s_mov_b32 s3, 0
.LBB59_1077:                            ; =>This Inner Loop Header: Depth=1
	scratch_load_b64 v[130:131], v128, off
	ds_load_b64 v[132:133], v127
	s_wait_xcnt 0x0
	v_dual_add_nc_u32 v127, 8, v127 :: v_dual_add_nc_u32 v128, 8, v128
	s_wait_loadcnt_dscnt 0x0
	v_pk_mul_f32 v[134:135], v[132:133], v[130:131] op_sel:[1,1] op_sel_hi:[0,1]
	s_delay_alu instid0(VALU_DEP_1) | instskip(SKIP_2) | instid1(VALU_DEP_3)
	v_pk_fma_f32 v[136:137], v[132:133], v[130:131], v[134:135] op_sel_hi:[1,0,1]
	v_add_nc_u32_e32 v129, 1, v129
	v_pk_fma_f32 v[130:131], v[132:133], v[130:131], v[134:135] neg_lo:[0,0,1] neg_hi:[0,0,1]
	v_mov_b32_e32 v131, v137
	s_delay_alu instid0(VALU_DEP_3) | instskip(NEXT) | instid1(VALU_DEP_2)
	v_cmp_lt_u32_e32 vcc_lo, 47, v129
	v_pk_add_f32 v[124:125], v[124:125], v[130:131]
	s_or_b32 s3, vcc_lo, s3
	s_delay_alu instid0(SALU_CYCLE_1)
	s_and_not1_b32 exec_lo, exec_lo, s3
	s_cbranch_execnz .LBB59_1077
; %bb.1078:
	s_or_b32 exec_lo, exec_lo, s3
.LBB59_1079:
	s_delay_alu instid0(SALU_CYCLE_1) | instskip(SKIP_4) | instid1(VALU_DEP_1)
	s_or_b32 exec_lo, exec_lo, s2
	v_mov_b32_e32 v127, 0
	ds_load_b64 v[128:129], v127 offset:392
	s_wait_dscnt 0x0
	v_pk_mul_f32 v[130:131], v[124:125], v[128:129] op_sel:[1,1] op_sel_hi:[0,1]
	v_pk_fma_f32 v[132:133], v[124:125], v[128:129], v[130:131] op_sel_hi:[1,0,1]
	v_pk_fma_f32 v[124:125], v[124:125], v[128:129], v[130:131] neg_lo:[0,0,1] neg_hi:[0,0,1]
	s_delay_alu instid0(VALU_DEP_2)
	v_mov_b32_e32 v125, v133
	scratch_store_b64 off, v[124:125], off offset:392
.LBB59_1080:
	s_wait_xcnt 0x0
	s_or_b32 exec_lo, exec_lo, s0
	scratch_load_b64 v[124:125], off, off offset:400
	s_mov_b32 s0, exec_lo
	s_wait_loadcnt 0x0
	ds_store_b64 v1, v[124:125]
	s_wait_storecnt_dscnt 0x0
	s_barrier_signal -1
	s_barrier_wait -1
	s_wait_xcnt 0x0
	v_cmpx_gt_u32_e32 50, v0
	s_cbranch_execz .LBB59_1090
; %bb.1081:
	v_cmp_ne_u32_e32 vcc_lo, 1, v126
	s_cbranch_vccnz .LBB59_1083
; %bb.1082:
	scratch_load_b64 v[124:125], v39, off
	ds_load_b64 v[128:129], v1
	s_wait_loadcnt_dscnt 0x0
	v_pk_mul_f32 v[130:131], v[128:129], v[124:125] op_sel:[1,1] op_sel_hi:[0,1]
	s_delay_alu instid0(VALU_DEP_1) | instskip(SKIP_1) | instid1(VALU_DEP_2)
	v_pk_fma_f32 v[132:133], v[128:129], v[124:125], v[130:131] op_sel_hi:[1,0,1]
	v_pk_fma_f32 v[124:125], v[128:129], v[124:125], v[130:131] neg_lo:[0,0,1] neg_hi:[0,0,1]
	v_mov_b32_e32 v125, v133
	s_cbranch_execz .LBB59_1084
	s_branch .LBB59_1085
.LBB59_1083:
                                        ; implicit-def: $vgpr124_vgpr125
.LBB59_1084:
	ds_load_b64 v[124:125], v1
.LBB59_1085:
	s_mov_b32 s2, exec_lo
	v_cmpx_ne_u32_e32 49, v0
	s_cbranch_execz .LBB59_1089
; %bb.1086:
	v_add_nc_u32_e32 v127, 0x1e8, v38
	v_add3_u32 v128, 0, v38, 8
	v_mov_b32_e32 v129, v0
	s_mov_b32 s3, 0
.LBB59_1087:                            ; =>This Inner Loop Header: Depth=1
	scratch_load_b64 v[130:131], v128, off
	ds_load_b64 v[132:133], v127
	s_wait_xcnt 0x0
	v_dual_add_nc_u32 v127, 8, v127 :: v_dual_add_nc_u32 v128, 8, v128
	s_wait_loadcnt_dscnt 0x0
	v_pk_mul_f32 v[134:135], v[132:133], v[130:131] op_sel:[1,1] op_sel_hi:[0,1]
	s_delay_alu instid0(VALU_DEP_1) | instskip(SKIP_2) | instid1(VALU_DEP_3)
	v_pk_fma_f32 v[136:137], v[132:133], v[130:131], v[134:135] op_sel_hi:[1,0,1]
	v_add_nc_u32_e32 v129, 1, v129
	v_pk_fma_f32 v[130:131], v[132:133], v[130:131], v[134:135] neg_lo:[0,0,1] neg_hi:[0,0,1]
	v_mov_b32_e32 v131, v137
	s_delay_alu instid0(VALU_DEP_3) | instskip(NEXT) | instid1(VALU_DEP_2)
	v_cmp_lt_u32_e32 vcc_lo, 48, v129
	v_pk_add_f32 v[124:125], v[124:125], v[130:131]
	s_or_b32 s3, vcc_lo, s3
	s_delay_alu instid0(SALU_CYCLE_1)
	s_and_not1_b32 exec_lo, exec_lo, s3
	s_cbranch_execnz .LBB59_1087
; %bb.1088:
	s_or_b32 exec_lo, exec_lo, s3
.LBB59_1089:
	s_delay_alu instid0(SALU_CYCLE_1) | instskip(SKIP_4) | instid1(VALU_DEP_1)
	s_or_b32 exec_lo, exec_lo, s2
	v_mov_b32_e32 v127, 0
	ds_load_b64 v[128:129], v127 offset:400
	s_wait_dscnt 0x0
	v_pk_mul_f32 v[130:131], v[124:125], v[128:129] op_sel:[1,1] op_sel_hi:[0,1]
	v_pk_fma_f32 v[132:133], v[124:125], v[128:129], v[130:131] op_sel_hi:[1,0,1]
	v_pk_fma_f32 v[124:125], v[124:125], v[128:129], v[130:131] neg_lo:[0,0,1] neg_hi:[0,0,1]
	s_delay_alu instid0(VALU_DEP_2)
	v_mov_b32_e32 v125, v133
	scratch_store_b64 off, v[124:125], off offset:400
.LBB59_1090:
	s_wait_xcnt 0x0
	s_or_b32 exec_lo, exec_lo, s0
	scratch_load_b64 v[124:125], off, off offset:408
	s_mov_b32 s0, exec_lo
	s_wait_loadcnt 0x0
	ds_store_b64 v1, v[124:125]
	s_wait_storecnt_dscnt 0x0
	s_barrier_signal -1
	s_barrier_wait -1
	s_wait_xcnt 0x0
	v_cmpx_gt_u32_e32 51, v0
	s_cbranch_execz .LBB59_1100
; %bb.1091:
	v_cmp_ne_u32_e32 vcc_lo, 1, v126
	s_cbranch_vccnz .LBB59_1093
; %bb.1092:
	scratch_load_b64 v[124:125], v39, off
	ds_load_b64 v[128:129], v1
	s_wait_loadcnt_dscnt 0x0
	v_pk_mul_f32 v[130:131], v[128:129], v[124:125] op_sel:[1,1] op_sel_hi:[0,1]
	s_delay_alu instid0(VALU_DEP_1) | instskip(SKIP_1) | instid1(VALU_DEP_2)
	v_pk_fma_f32 v[132:133], v[128:129], v[124:125], v[130:131] op_sel_hi:[1,0,1]
	v_pk_fma_f32 v[124:125], v[128:129], v[124:125], v[130:131] neg_lo:[0,0,1] neg_hi:[0,0,1]
	v_mov_b32_e32 v125, v133
	s_cbranch_execz .LBB59_1094
	s_branch .LBB59_1095
.LBB59_1093:
                                        ; implicit-def: $vgpr124_vgpr125
.LBB59_1094:
	ds_load_b64 v[124:125], v1
.LBB59_1095:
	s_mov_b32 s2, exec_lo
	v_cmpx_ne_u32_e32 50, v0
	s_cbranch_execz .LBB59_1099
; %bb.1096:
	v_add_nc_u32_e32 v127, 0x1e8, v38
	v_add3_u32 v128, 0, v38, 8
	v_mov_b32_e32 v129, v0
	s_mov_b32 s3, 0
.LBB59_1097:                            ; =>This Inner Loop Header: Depth=1
	scratch_load_b64 v[130:131], v128, off
	ds_load_b64 v[132:133], v127
	s_wait_xcnt 0x0
	v_dual_add_nc_u32 v127, 8, v127 :: v_dual_add_nc_u32 v128, 8, v128
	s_wait_loadcnt_dscnt 0x0
	v_pk_mul_f32 v[134:135], v[132:133], v[130:131] op_sel:[1,1] op_sel_hi:[0,1]
	s_delay_alu instid0(VALU_DEP_1) | instskip(SKIP_2) | instid1(VALU_DEP_3)
	v_pk_fma_f32 v[136:137], v[132:133], v[130:131], v[134:135] op_sel_hi:[1,0,1]
	v_add_nc_u32_e32 v129, 1, v129
	v_pk_fma_f32 v[130:131], v[132:133], v[130:131], v[134:135] neg_lo:[0,0,1] neg_hi:[0,0,1]
	v_mov_b32_e32 v131, v137
	s_delay_alu instid0(VALU_DEP_3) | instskip(NEXT) | instid1(VALU_DEP_2)
	v_cmp_lt_u32_e32 vcc_lo, 49, v129
	v_pk_add_f32 v[124:125], v[124:125], v[130:131]
	s_or_b32 s3, vcc_lo, s3
	s_delay_alu instid0(SALU_CYCLE_1)
	s_and_not1_b32 exec_lo, exec_lo, s3
	s_cbranch_execnz .LBB59_1097
; %bb.1098:
	s_or_b32 exec_lo, exec_lo, s3
.LBB59_1099:
	s_delay_alu instid0(SALU_CYCLE_1) | instskip(SKIP_4) | instid1(VALU_DEP_1)
	s_or_b32 exec_lo, exec_lo, s2
	v_mov_b32_e32 v127, 0
	ds_load_b64 v[128:129], v127 offset:408
	s_wait_dscnt 0x0
	v_pk_mul_f32 v[130:131], v[124:125], v[128:129] op_sel:[1,1] op_sel_hi:[0,1]
	v_pk_fma_f32 v[132:133], v[124:125], v[128:129], v[130:131] op_sel_hi:[1,0,1]
	v_pk_fma_f32 v[124:125], v[124:125], v[128:129], v[130:131] neg_lo:[0,0,1] neg_hi:[0,0,1]
	s_delay_alu instid0(VALU_DEP_2)
	v_mov_b32_e32 v125, v133
	scratch_store_b64 off, v[124:125], off offset:408
.LBB59_1100:
	s_wait_xcnt 0x0
	s_or_b32 exec_lo, exec_lo, s0
	scratch_load_b64 v[124:125], off, off offset:416
	s_mov_b32 s0, exec_lo
	s_wait_loadcnt 0x0
	ds_store_b64 v1, v[124:125]
	s_wait_storecnt_dscnt 0x0
	s_barrier_signal -1
	s_barrier_wait -1
	s_wait_xcnt 0x0
	v_cmpx_gt_u32_e32 52, v0
	s_cbranch_execz .LBB59_1110
; %bb.1101:
	v_cmp_ne_u32_e32 vcc_lo, 1, v126
	s_cbranch_vccnz .LBB59_1103
; %bb.1102:
	scratch_load_b64 v[124:125], v39, off
	ds_load_b64 v[128:129], v1
	s_wait_loadcnt_dscnt 0x0
	v_pk_mul_f32 v[130:131], v[128:129], v[124:125] op_sel:[1,1] op_sel_hi:[0,1]
	s_delay_alu instid0(VALU_DEP_1) | instskip(SKIP_1) | instid1(VALU_DEP_2)
	v_pk_fma_f32 v[132:133], v[128:129], v[124:125], v[130:131] op_sel_hi:[1,0,1]
	v_pk_fma_f32 v[124:125], v[128:129], v[124:125], v[130:131] neg_lo:[0,0,1] neg_hi:[0,0,1]
	v_mov_b32_e32 v125, v133
	s_cbranch_execz .LBB59_1104
	s_branch .LBB59_1105
.LBB59_1103:
                                        ; implicit-def: $vgpr124_vgpr125
.LBB59_1104:
	ds_load_b64 v[124:125], v1
.LBB59_1105:
	s_mov_b32 s2, exec_lo
	v_cmpx_ne_u32_e32 51, v0
	s_cbranch_execz .LBB59_1109
; %bb.1106:
	v_add_nc_u32_e32 v127, 0x1e8, v38
	v_add3_u32 v128, 0, v38, 8
	v_mov_b32_e32 v129, v0
	s_mov_b32 s3, 0
.LBB59_1107:                            ; =>This Inner Loop Header: Depth=1
	scratch_load_b64 v[130:131], v128, off
	ds_load_b64 v[132:133], v127
	s_wait_xcnt 0x0
	v_dual_add_nc_u32 v127, 8, v127 :: v_dual_add_nc_u32 v128, 8, v128
	s_wait_loadcnt_dscnt 0x0
	v_pk_mul_f32 v[134:135], v[132:133], v[130:131] op_sel:[1,1] op_sel_hi:[0,1]
	s_delay_alu instid0(VALU_DEP_1) | instskip(SKIP_2) | instid1(VALU_DEP_3)
	v_pk_fma_f32 v[136:137], v[132:133], v[130:131], v[134:135] op_sel_hi:[1,0,1]
	v_add_nc_u32_e32 v129, 1, v129
	v_pk_fma_f32 v[130:131], v[132:133], v[130:131], v[134:135] neg_lo:[0,0,1] neg_hi:[0,0,1]
	v_mov_b32_e32 v131, v137
	s_delay_alu instid0(VALU_DEP_3) | instskip(NEXT) | instid1(VALU_DEP_2)
	v_cmp_lt_u32_e32 vcc_lo, 50, v129
	v_pk_add_f32 v[124:125], v[124:125], v[130:131]
	s_or_b32 s3, vcc_lo, s3
	s_delay_alu instid0(SALU_CYCLE_1)
	s_and_not1_b32 exec_lo, exec_lo, s3
	s_cbranch_execnz .LBB59_1107
; %bb.1108:
	s_or_b32 exec_lo, exec_lo, s3
.LBB59_1109:
	s_delay_alu instid0(SALU_CYCLE_1) | instskip(SKIP_4) | instid1(VALU_DEP_1)
	s_or_b32 exec_lo, exec_lo, s2
	v_mov_b32_e32 v127, 0
	ds_load_b64 v[128:129], v127 offset:416
	s_wait_dscnt 0x0
	v_pk_mul_f32 v[130:131], v[124:125], v[128:129] op_sel:[1,1] op_sel_hi:[0,1]
	v_pk_fma_f32 v[132:133], v[124:125], v[128:129], v[130:131] op_sel_hi:[1,0,1]
	v_pk_fma_f32 v[124:125], v[124:125], v[128:129], v[130:131] neg_lo:[0,0,1] neg_hi:[0,0,1]
	s_delay_alu instid0(VALU_DEP_2)
	v_mov_b32_e32 v125, v133
	scratch_store_b64 off, v[124:125], off offset:416
.LBB59_1110:
	s_wait_xcnt 0x0
	s_or_b32 exec_lo, exec_lo, s0
	scratch_load_b64 v[124:125], off, off offset:424
	s_mov_b32 s0, exec_lo
	s_wait_loadcnt 0x0
	ds_store_b64 v1, v[124:125]
	s_wait_storecnt_dscnt 0x0
	s_barrier_signal -1
	s_barrier_wait -1
	s_wait_xcnt 0x0
	v_cmpx_gt_u32_e32 53, v0
	s_cbranch_execz .LBB59_1120
; %bb.1111:
	v_cmp_ne_u32_e32 vcc_lo, 1, v126
	s_cbranch_vccnz .LBB59_1113
; %bb.1112:
	scratch_load_b64 v[124:125], v39, off
	ds_load_b64 v[128:129], v1
	s_wait_loadcnt_dscnt 0x0
	v_pk_mul_f32 v[130:131], v[128:129], v[124:125] op_sel:[1,1] op_sel_hi:[0,1]
	s_delay_alu instid0(VALU_DEP_1) | instskip(SKIP_1) | instid1(VALU_DEP_2)
	v_pk_fma_f32 v[132:133], v[128:129], v[124:125], v[130:131] op_sel_hi:[1,0,1]
	v_pk_fma_f32 v[124:125], v[128:129], v[124:125], v[130:131] neg_lo:[0,0,1] neg_hi:[0,0,1]
	v_mov_b32_e32 v125, v133
	s_cbranch_execz .LBB59_1114
	s_branch .LBB59_1115
.LBB59_1113:
                                        ; implicit-def: $vgpr124_vgpr125
.LBB59_1114:
	ds_load_b64 v[124:125], v1
.LBB59_1115:
	s_mov_b32 s2, exec_lo
	v_cmpx_ne_u32_e32 52, v0
	s_cbranch_execz .LBB59_1119
; %bb.1116:
	v_add_nc_u32_e32 v127, 0x1e8, v38
	v_add3_u32 v128, 0, v38, 8
	v_mov_b32_e32 v129, v0
	s_mov_b32 s3, 0
.LBB59_1117:                            ; =>This Inner Loop Header: Depth=1
	scratch_load_b64 v[130:131], v128, off
	ds_load_b64 v[132:133], v127
	s_wait_xcnt 0x0
	v_dual_add_nc_u32 v127, 8, v127 :: v_dual_add_nc_u32 v128, 8, v128
	s_wait_loadcnt_dscnt 0x0
	v_pk_mul_f32 v[134:135], v[132:133], v[130:131] op_sel:[1,1] op_sel_hi:[0,1]
	s_delay_alu instid0(VALU_DEP_1) | instskip(SKIP_2) | instid1(VALU_DEP_3)
	v_pk_fma_f32 v[136:137], v[132:133], v[130:131], v[134:135] op_sel_hi:[1,0,1]
	v_add_nc_u32_e32 v129, 1, v129
	v_pk_fma_f32 v[130:131], v[132:133], v[130:131], v[134:135] neg_lo:[0,0,1] neg_hi:[0,0,1]
	v_mov_b32_e32 v131, v137
	s_delay_alu instid0(VALU_DEP_3) | instskip(NEXT) | instid1(VALU_DEP_2)
	v_cmp_lt_u32_e32 vcc_lo, 51, v129
	v_pk_add_f32 v[124:125], v[124:125], v[130:131]
	s_or_b32 s3, vcc_lo, s3
	s_delay_alu instid0(SALU_CYCLE_1)
	s_and_not1_b32 exec_lo, exec_lo, s3
	s_cbranch_execnz .LBB59_1117
; %bb.1118:
	s_or_b32 exec_lo, exec_lo, s3
.LBB59_1119:
	s_delay_alu instid0(SALU_CYCLE_1) | instskip(SKIP_4) | instid1(VALU_DEP_1)
	s_or_b32 exec_lo, exec_lo, s2
	v_mov_b32_e32 v127, 0
	ds_load_b64 v[128:129], v127 offset:424
	s_wait_dscnt 0x0
	v_pk_mul_f32 v[130:131], v[124:125], v[128:129] op_sel:[1,1] op_sel_hi:[0,1]
	v_pk_fma_f32 v[132:133], v[124:125], v[128:129], v[130:131] op_sel_hi:[1,0,1]
	v_pk_fma_f32 v[124:125], v[124:125], v[128:129], v[130:131] neg_lo:[0,0,1] neg_hi:[0,0,1]
	s_delay_alu instid0(VALU_DEP_2)
	v_mov_b32_e32 v125, v133
	scratch_store_b64 off, v[124:125], off offset:424
.LBB59_1120:
	s_wait_xcnt 0x0
	s_or_b32 exec_lo, exec_lo, s0
	scratch_load_b64 v[124:125], off, off offset:432
	s_mov_b32 s0, exec_lo
	s_wait_loadcnt 0x0
	ds_store_b64 v1, v[124:125]
	s_wait_storecnt_dscnt 0x0
	s_barrier_signal -1
	s_barrier_wait -1
	s_wait_xcnt 0x0
	v_cmpx_gt_u32_e32 54, v0
	s_cbranch_execz .LBB59_1130
; %bb.1121:
	v_cmp_ne_u32_e32 vcc_lo, 1, v126
	s_cbranch_vccnz .LBB59_1123
; %bb.1122:
	scratch_load_b64 v[124:125], v39, off
	ds_load_b64 v[128:129], v1
	s_wait_loadcnt_dscnt 0x0
	v_pk_mul_f32 v[130:131], v[128:129], v[124:125] op_sel:[1,1] op_sel_hi:[0,1]
	s_delay_alu instid0(VALU_DEP_1) | instskip(SKIP_1) | instid1(VALU_DEP_2)
	v_pk_fma_f32 v[132:133], v[128:129], v[124:125], v[130:131] op_sel_hi:[1,0,1]
	v_pk_fma_f32 v[124:125], v[128:129], v[124:125], v[130:131] neg_lo:[0,0,1] neg_hi:[0,0,1]
	v_mov_b32_e32 v125, v133
	s_cbranch_execz .LBB59_1124
	s_branch .LBB59_1125
.LBB59_1123:
                                        ; implicit-def: $vgpr124_vgpr125
.LBB59_1124:
	ds_load_b64 v[124:125], v1
.LBB59_1125:
	s_mov_b32 s2, exec_lo
	v_cmpx_ne_u32_e32 53, v0
	s_cbranch_execz .LBB59_1129
; %bb.1126:
	v_add_nc_u32_e32 v127, 0x1e8, v38
	v_add3_u32 v128, 0, v38, 8
	v_mov_b32_e32 v129, v0
	s_mov_b32 s3, 0
.LBB59_1127:                            ; =>This Inner Loop Header: Depth=1
	scratch_load_b64 v[130:131], v128, off
	ds_load_b64 v[132:133], v127
	s_wait_xcnt 0x0
	v_dual_add_nc_u32 v127, 8, v127 :: v_dual_add_nc_u32 v128, 8, v128
	s_wait_loadcnt_dscnt 0x0
	v_pk_mul_f32 v[134:135], v[132:133], v[130:131] op_sel:[1,1] op_sel_hi:[0,1]
	s_delay_alu instid0(VALU_DEP_1) | instskip(SKIP_2) | instid1(VALU_DEP_3)
	v_pk_fma_f32 v[136:137], v[132:133], v[130:131], v[134:135] op_sel_hi:[1,0,1]
	v_add_nc_u32_e32 v129, 1, v129
	v_pk_fma_f32 v[130:131], v[132:133], v[130:131], v[134:135] neg_lo:[0,0,1] neg_hi:[0,0,1]
	v_mov_b32_e32 v131, v137
	s_delay_alu instid0(VALU_DEP_3) | instskip(NEXT) | instid1(VALU_DEP_2)
	v_cmp_lt_u32_e32 vcc_lo, 52, v129
	v_pk_add_f32 v[124:125], v[124:125], v[130:131]
	s_or_b32 s3, vcc_lo, s3
	s_delay_alu instid0(SALU_CYCLE_1)
	s_and_not1_b32 exec_lo, exec_lo, s3
	s_cbranch_execnz .LBB59_1127
; %bb.1128:
	s_or_b32 exec_lo, exec_lo, s3
.LBB59_1129:
	s_delay_alu instid0(SALU_CYCLE_1) | instskip(SKIP_4) | instid1(VALU_DEP_1)
	s_or_b32 exec_lo, exec_lo, s2
	v_mov_b32_e32 v127, 0
	ds_load_b64 v[128:129], v127 offset:432
	s_wait_dscnt 0x0
	v_pk_mul_f32 v[130:131], v[124:125], v[128:129] op_sel:[1,1] op_sel_hi:[0,1]
	v_pk_fma_f32 v[132:133], v[124:125], v[128:129], v[130:131] op_sel_hi:[1,0,1]
	v_pk_fma_f32 v[124:125], v[124:125], v[128:129], v[130:131] neg_lo:[0,0,1] neg_hi:[0,0,1]
	s_delay_alu instid0(VALU_DEP_2)
	v_mov_b32_e32 v125, v133
	scratch_store_b64 off, v[124:125], off offset:432
.LBB59_1130:
	s_wait_xcnt 0x0
	s_or_b32 exec_lo, exec_lo, s0
	scratch_load_b64 v[124:125], off, off offset:440
	s_mov_b32 s0, exec_lo
	s_wait_loadcnt 0x0
	ds_store_b64 v1, v[124:125]
	s_wait_storecnt_dscnt 0x0
	s_barrier_signal -1
	s_barrier_wait -1
	s_wait_xcnt 0x0
	v_cmpx_gt_u32_e32 55, v0
	s_cbranch_execz .LBB59_1140
; %bb.1131:
	v_cmp_ne_u32_e32 vcc_lo, 1, v126
	s_cbranch_vccnz .LBB59_1133
; %bb.1132:
	scratch_load_b64 v[124:125], v39, off
	ds_load_b64 v[128:129], v1
	s_wait_loadcnt_dscnt 0x0
	v_pk_mul_f32 v[130:131], v[128:129], v[124:125] op_sel:[1,1] op_sel_hi:[0,1]
	s_delay_alu instid0(VALU_DEP_1) | instskip(SKIP_1) | instid1(VALU_DEP_2)
	v_pk_fma_f32 v[132:133], v[128:129], v[124:125], v[130:131] op_sel_hi:[1,0,1]
	v_pk_fma_f32 v[124:125], v[128:129], v[124:125], v[130:131] neg_lo:[0,0,1] neg_hi:[0,0,1]
	v_mov_b32_e32 v125, v133
	s_cbranch_execz .LBB59_1134
	s_branch .LBB59_1135
.LBB59_1133:
                                        ; implicit-def: $vgpr124_vgpr125
.LBB59_1134:
	ds_load_b64 v[124:125], v1
.LBB59_1135:
	s_mov_b32 s2, exec_lo
	v_cmpx_ne_u32_e32 54, v0
	s_cbranch_execz .LBB59_1139
; %bb.1136:
	v_add_nc_u32_e32 v127, 0x1e8, v38
	v_add3_u32 v128, 0, v38, 8
	v_mov_b32_e32 v129, v0
	s_mov_b32 s3, 0
.LBB59_1137:                            ; =>This Inner Loop Header: Depth=1
	scratch_load_b64 v[130:131], v128, off
	ds_load_b64 v[132:133], v127
	s_wait_xcnt 0x0
	v_dual_add_nc_u32 v127, 8, v127 :: v_dual_add_nc_u32 v128, 8, v128
	s_wait_loadcnt_dscnt 0x0
	v_pk_mul_f32 v[134:135], v[132:133], v[130:131] op_sel:[1,1] op_sel_hi:[0,1]
	s_delay_alu instid0(VALU_DEP_1) | instskip(SKIP_2) | instid1(VALU_DEP_3)
	v_pk_fma_f32 v[136:137], v[132:133], v[130:131], v[134:135] op_sel_hi:[1,0,1]
	v_add_nc_u32_e32 v129, 1, v129
	v_pk_fma_f32 v[130:131], v[132:133], v[130:131], v[134:135] neg_lo:[0,0,1] neg_hi:[0,0,1]
	v_mov_b32_e32 v131, v137
	s_delay_alu instid0(VALU_DEP_3) | instskip(NEXT) | instid1(VALU_DEP_2)
	v_cmp_lt_u32_e32 vcc_lo, 53, v129
	v_pk_add_f32 v[124:125], v[124:125], v[130:131]
	s_or_b32 s3, vcc_lo, s3
	s_delay_alu instid0(SALU_CYCLE_1)
	s_and_not1_b32 exec_lo, exec_lo, s3
	s_cbranch_execnz .LBB59_1137
; %bb.1138:
	s_or_b32 exec_lo, exec_lo, s3
.LBB59_1139:
	s_delay_alu instid0(SALU_CYCLE_1) | instskip(SKIP_4) | instid1(VALU_DEP_1)
	s_or_b32 exec_lo, exec_lo, s2
	v_mov_b32_e32 v127, 0
	ds_load_b64 v[128:129], v127 offset:440
	s_wait_dscnt 0x0
	v_pk_mul_f32 v[130:131], v[124:125], v[128:129] op_sel:[1,1] op_sel_hi:[0,1]
	v_pk_fma_f32 v[132:133], v[124:125], v[128:129], v[130:131] op_sel_hi:[1,0,1]
	v_pk_fma_f32 v[124:125], v[124:125], v[128:129], v[130:131] neg_lo:[0,0,1] neg_hi:[0,0,1]
	s_delay_alu instid0(VALU_DEP_2)
	v_mov_b32_e32 v125, v133
	scratch_store_b64 off, v[124:125], off offset:440
.LBB59_1140:
	s_wait_xcnt 0x0
	s_or_b32 exec_lo, exec_lo, s0
	scratch_load_b64 v[124:125], off, off offset:448
	s_mov_b32 s0, exec_lo
	s_wait_loadcnt 0x0
	ds_store_b64 v1, v[124:125]
	s_wait_storecnt_dscnt 0x0
	s_barrier_signal -1
	s_barrier_wait -1
	s_wait_xcnt 0x0
	v_cmpx_gt_u32_e32 56, v0
	s_cbranch_execz .LBB59_1150
; %bb.1141:
	v_cmp_ne_u32_e32 vcc_lo, 1, v126
	s_cbranch_vccnz .LBB59_1143
; %bb.1142:
	scratch_load_b64 v[124:125], v39, off
	ds_load_b64 v[128:129], v1
	s_wait_loadcnt_dscnt 0x0
	v_pk_mul_f32 v[130:131], v[128:129], v[124:125] op_sel:[1,1] op_sel_hi:[0,1]
	s_delay_alu instid0(VALU_DEP_1) | instskip(SKIP_1) | instid1(VALU_DEP_2)
	v_pk_fma_f32 v[132:133], v[128:129], v[124:125], v[130:131] op_sel_hi:[1,0,1]
	v_pk_fma_f32 v[124:125], v[128:129], v[124:125], v[130:131] neg_lo:[0,0,1] neg_hi:[0,0,1]
	v_mov_b32_e32 v125, v133
	s_cbranch_execz .LBB59_1144
	s_branch .LBB59_1145
.LBB59_1143:
                                        ; implicit-def: $vgpr124_vgpr125
.LBB59_1144:
	ds_load_b64 v[124:125], v1
.LBB59_1145:
	s_mov_b32 s2, exec_lo
	v_cmpx_ne_u32_e32 55, v0
	s_cbranch_execz .LBB59_1149
; %bb.1146:
	v_add_nc_u32_e32 v127, 0x1e8, v38
	v_add3_u32 v128, 0, v38, 8
	v_mov_b32_e32 v129, v0
	s_mov_b32 s3, 0
.LBB59_1147:                            ; =>This Inner Loop Header: Depth=1
	scratch_load_b64 v[130:131], v128, off
	ds_load_b64 v[132:133], v127
	s_wait_xcnt 0x0
	v_dual_add_nc_u32 v127, 8, v127 :: v_dual_add_nc_u32 v128, 8, v128
	s_wait_loadcnt_dscnt 0x0
	v_pk_mul_f32 v[134:135], v[132:133], v[130:131] op_sel:[1,1] op_sel_hi:[0,1]
	s_delay_alu instid0(VALU_DEP_1) | instskip(SKIP_2) | instid1(VALU_DEP_3)
	v_pk_fma_f32 v[136:137], v[132:133], v[130:131], v[134:135] op_sel_hi:[1,0,1]
	v_add_nc_u32_e32 v129, 1, v129
	v_pk_fma_f32 v[130:131], v[132:133], v[130:131], v[134:135] neg_lo:[0,0,1] neg_hi:[0,0,1]
	v_mov_b32_e32 v131, v137
	s_delay_alu instid0(VALU_DEP_3) | instskip(NEXT) | instid1(VALU_DEP_2)
	v_cmp_lt_u32_e32 vcc_lo, 54, v129
	v_pk_add_f32 v[124:125], v[124:125], v[130:131]
	s_or_b32 s3, vcc_lo, s3
	s_delay_alu instid0(SALU_CYCLE_1)
	s_and_not1_b32 exec_lo, exec_lo, s3
	s_cbranch_execnz .LBB59_1147
; %bb.1148:
	s_or_b32 exec_lo, exec_lo, s3
.LBB59_1149:
	s_delay_alu instid0(SALU_CYCLE_1) | instskip(SKIP_4) | instid1(VALU_DEP_1)
	s_or_b32 exec_lo, exec_lo, s2
	v_mov_b32_e32 v127, 0
	ds_load_b64 v[128:129], v127 offset:448
	s_wait_dscnt 0x0
	v_pk_mul_f32 v[130:131], v[124:125], v[128:129] op_sel:[1,1] op_sel_hi:[0,1]
	v_pk_fma_f32 v[132:133], v[124:125], v[128:129], v[130:131] op_sel_hi:[1,0,1]
	v_pk_fma_f32 v[124:125], v[124:125], v[128:129], v[130:131] neg_lo:[0,0,1] neg_hi:[0,0,1]
	s_delay_alu instid0(VALU_DEP_2)
	v_mov_b32_e32 v125, v133
	scratch_store_b64 off, v[124:125], off offset:448
.LBB59_1150:
	s_wait_xcnt 0x0
	s_or_b32 exec_lo, exec_lo, s0
	scratch_load_b64 v[124:125], off, off offset:456
	s_mov_b32 s0, exec_lo
	s_wait_loadcnt 0x0
	ds_store_b64 v1, v[124:125]
	s_wait_storecnt_dscnt 0x0
	s_barrier_signal -1
	s_barrier_wait -1
	s_wait_xcnt 0x0
	v_cmpx_gt_u32_e32 57, v0
	s_cbranch_execz .LBB59_1160
; %bb.1151:
	v_cmp_ne_u32_e32 vcc_lo, 1, v126
	s_cbranch_vccnz .LBB59_1153
; %bb.1152:
	scratch_load_b64 v[124:125], v39, off
	ds_load_b64 v[128:129], v1
	s_wait_loadcnt_dscnt 0x0
	v_pk_mul_f32 v[130:131], v[128:129], v[124:125] op_sel:[1,1] op_sel_hi:[0,1]
	s_delay_alu instid0(VALU_DEP_1) | instskip(SKIP_1) | instid1(VALU_DEP_2)
	v_pk_fma_f32 v[132:133], v[128:129], v[124:125], v[130:131] op_sel_hi:[1,0,1]
	v_pk_fma_f32 v[124:125], v[128:129], v[124:125], v[130:131] neg_lo:[0,0,1] neg_hi:[0,0,1]
	v_mov_b32_e32 v125, v133
	s_cbranch_execz .LBB59_1154
	s_branch .LBB59_1155
.LBB59_1153:
                                        ; implicit-def: $vgpr124_vgpr125
.LBB59_1154:
	ds_load_b64 v[124:125], v1
.LBB59_1155:
	s_mov_b32 s2, exec_lo
	v_cmpx_ne_u32_e32 56, v0
	s_cbranch_execz .LBB59_1159
; %bb.1156:
	v_add_nc_u32_e32 v127, 0x1e8, v38
	v_add3_u32 v128, 0, v38, 8
	v_mov_b32_e32 v129, v0
	s_mov_b32 s3, 0
.LBB59_1157:                            ; =>This Inner Loop Header: Depth=1
	scratch_load_b64 v[130:131], v128, off
	ds_load_b64 v[132:133], v127
	s_wait_xcnt 0x0
	v_dual_add_nc_u32 v127, 8, v127 :: v_dual_add_nc_u32 v128, 8, v128
	s_wait_loadcnt_dscnt 0x0
	v_pk_mul_f32 v[134:135], v[132:133], v[130:131] op_sel:[1,1] op_sel_hi:[0,1]
	s_delay_alu instid0(VALU_DEP_1) | instskip(SKIP_2) | instid1(VALU_DEP_3)
	v_pk_fma_f32 v[136:137], v[132:133], v[130:131], v[134:135] op_sel_hi:[1,0,1]
	v_add_nc_u32_e32 v129, 1, v129
	v_pk_fma_f32 v[130:131], v[132:133], v[130:131], v[134:135] neg_lo:[0,0,1] neg_hi:[0,0,1]
	v_mov_b32_e32 v131, v137
	s_delay_alu instid0(VALU_DEP_3) | instskip(NEXT) | instid1(VALU_DEP_2)
	v_cmp_lt_u32_e32 vcc_lo, 55, v129
	v_pk_add_f32 v[124:125], v[124:125], v[130:131]
	s_or_b32 s3, vcc_lo, s3
	s_delay_alu instid0(SALU_CYCLE_1)
	s_and_not1_b32 exec_lo, exec_lo, s3
	s_cbranch_execnz .LBB59_1157
; %bb.1158:
	s_or_b32 exec_lo, exec_lo, s3
.LBB59_1159:
	s_delay_alu instid0(SALU_CYCLE_1) | instskip(SKIP_4) | instid1(VALU_DEP_1)
	s_or_b32 exec_lo, exec_lo, s2
	v_mov_b32_e32 v127, 0
	ds_load_b64 v[128:129], v127 offset:456
	s_wait_dscnt 0x0
	v_pk_mul_f32 v[130:131], v[124:125], v[128:129] op_sel:[1,1] op_sel_hi:[0,1]
	v_pk_fma_f32 v[132:133], v[124:125], v[128:129], v[130:131] op_sel_hi:[1,0,1]
	v_pk_fma_f32 v[124:125], v[124:125], v[128:129], v[130:131] neg_lo:[0,0,1] neg_hi:[0,0,1]
	s_delay_alu instid0(VALU_DEP_2)
	v_mov_b32_e32 v125, v133
	scratch_store_b64 off, v[124:125], off offset:456
.LBB59_1160:
	s_wait_xcnt 0x0
	s_or_b32 exec_lo, exec_lo, s0
	scratch_load_b64 v[124:125], off, off offset:464
	v_cmp_gt_u32_e64 s0, 58, v0
	s_wait_loadcnt 0x0
	ds_store_b64 v1, v[124:125]
	s_wait_storecnt_dscnt 0x0
	s_barrier_signal -1
	s_barrier_wait -1
	s_wait_xcnt 0x0
	s_and_saveexec_b32 s2, s0
	s_cbranch_execz .LBB59_1170
; %bb.1161:
	v_cmp_ne_u32_e32 vcc_lo, 1, v126
	s_cbranch_vccnz .LBB59_1163
; %bb.1162:
	scratch_load_b64 v[124:125], v39, off
	ds_load_b64 v[128:129], v1
	s_wait_loadcnt_dscnt 0x0
	v_pk_mul_f32 v[130:131], v[128:129], v[124:125] op_sel:[1,1] op_sel_hi:[0,1]
	s_delay_alu instid0(VALU_DEP_1) | instskip(SKIP_1) | instid1(VALU_DEP_2)
	v_pk_fma_f32 v[132:133], v[128:129], v[124:125], v[130:131] op_sel_hi:[1,0,1]
	v_pk_fma_f32 v[124:125], v[128:129], v[124:125], v[130:131] neg_lo:[0,0,1] neg_hi:[0,0,1]
	v_mov_b32_e32 v125, v133
	s_cbranch_execz .LBB59_1164
	s_branch .LBB59_1165
.LBB59_1163:
                                        ; implicit-def: $vgpr124_vgpr125
.LBB59_1164:
	ds_load_b64 v[124:125], v1
.LBB59_1165:
	s_mov_b32 s3, exec_lo
	v_cmpx_ne_u32_e32 57, v0
	s_cbranch_execz .LBB59_1169
; %bb.1166:
	v_add_nc_u32_e32 v127, 0x1e8, v38
	v_add3_u32 v128, 0, v38, 8
	v_mov_b32_e32 v129, v0
	s_mov_b32 s4, 0
.LBB59_1167:                            ; =>This Inner Loop Header: Depth=1
	scratch_load_b64 v[130:131], v128, off
	ds_load_b64 v[132:133], v127
	s_wait_xcnt 0x0
	v_dual_add_nc_u32 v127, 8, v127 :: v_dual_add_nc_u32 v128, 8, v128
	s_wait_loadcnt_dscnt 0x0
	v_pk_mul_f32 v[134:135], v[132:133], v[130:131] op_sel:[1,1] op_sel_hi:[0,1]
	s_delay_alu instid0(VALU_DEP_1) | instskip(SKIP_2) | instid1(VALU_DEP_3)
	v_pk_fma_f32 v[136:137], v[132:133], v[130:131], v[134:135] op_sel_hi:[1,0,1]
	v_add_nc_u32_e32 v129, 1, v129
	v_pk_fma_f32 v[130:131], v[132:133], v[130:131], v[134:135] neg_lo:[0,0,1] neg_hi:[0,0,1]
	v_mov_b32_e32 v131, v137
	s_delay_alu instid0(VALU_DEP_3) | instskip(NEXT) | instid1(VALU_DEP_2)
	v_cmp_lt_u32_e32 vcc_lo, 56, v129
	v_pk_add_f32 v[124:125], v[124:125], v[130:131]
	s_or_b32 s4, vcc_lo, s4
	s_delay_alu instid0(SALU_CYCLE_1)
	s_and_not1_b32 exec_lo, exec_lo, s4
	s_cbranch_execnz .LBB59_1167
; %bb.1168:
	s_or_b32 exec_lo, exec_lo, s4
.LBB59_1169:
	s_delay_alu instid0(SALU_CYCLE_1) | instskip(SKIP_4) | instid1(VALU_DEP_1)
	s_or_b32 exec_lo, exec_lo, s3
	v_mov_b32_e32 v127, 0
	ds_load_b64 v[128:129], v127 offset:464
	s_wait_dscnt 0x0
	v_pk_mul_f32 v[130:131], v[124:125], v[128:129] op_sel:[1,1] op_sel_hi:[0,1]
	v_pk_fma_f32 v[132:133], v[124:125], v[128:129], v[130:131] op_sel_hi:[1,0,1]
	v_pk_fma_f32 v[124:125], v[124:125], v[128:129], v[130:131] neg_lo:[0,0,1] neg_hi:[0,0,1]
	s_delay_alu instid0(VALU_DEP_2)
	v_mov_b32_e32 v125, v133
	scratch_store_b64 off, v[124:125], off offset:464
.LBB59_1170:
	s_wait_xcnt 0x0
	s_or_b32 exec_lo, exec_lo, s2
	scratch_load_b64 v[124:125], off, off offset:472
	s_mov_b32 s2, exec_lo
                                        ; implicit-def: $vgpr172
                                        ; implicit-def: $sgpr4
	s_wait_loadcnt 0x0
	ds_store_b64 v1, v[124:125]
	s_wait_storecnt_dscnt 0x0
	s_barrier_signal -1
	s_barrier_wait -1
	s_wait_xcnt 0x0
	v_cmpx_ne_u32_e32 59, v0
	s_cbranch_execz .LBB59_1180
; %bb.1171:
	v_cmp_ne_u32_e32 vcc_lo, 1, v126
	s_cbranch_vccnz .LBB59_1173
; %bb.1172:
	scratch_load_b64 v[126:127], v39, off
	ds_load_b64 v[128:129], v1
	s_wait_loadcnt_dscnt 0x0
	v_dual_mul_f32 v39, v129, v127 :: v_dual_mul_f32 v125, v128, v127
	s_delay_alu instid0(VALU_DEP_1)
	v_dual_fma_f32 v124, v128, v126, -v39 :: v_dual_fmac_f32 v125, v129, v126
	s_cbranch_execz .LBB59_1174
	s_branch .LBB59_1175
.LBB59_1173:
                                        ; implicit-def: $vgpr125
.LBB59_1174:
	ds_load_b64 v[124:125], v1
.LBB59_1175:
	s_and_saveexec_b32 s3, s0
	s_cbranch_execz .LBB59_1179
; %bb.1176:
	v_add_nc_u32_e32 v1, 0x1e8, v38
	v_add3_u32 v38, 0, v38, 8
	s_mov_b32 s0, 0
.LBB59_1177:                            ; =>This Inner Loop Header: Depth=1
	scratch_load_b64 v[126:127], v38, off
	ds_load_b64 v[128:129], v1
	s_wait_loadcnt_dscnt 0x0
	v_dual_add_nc_u32 v1, 8, v1 :: v_dual_mul_f32 v39, v129, v127
	v_dual_mul_f32 v127, v128, v127 :: v_dual_add_nc_u32 v0, 1, v0
	s_delay_alu instid0(VALU_DEP_2) | instskip(NEXT) | instid1(VALU_DEP_2)
	v_fma_f32 v39, v128, v126, -v39
	v_fmac_f32_e32 v127, v129, v126
	s_delay_alu instid0(VALU_DEP_3) | instskip(NEXT) | instid1(VALU_DEP_3)
	v_cmp_lt_u32_e32 vcc_lo, 57, v0
	v_dual_add_nc_u32 v38, 8, v38 :: v_dual_add_f32 v124, v124, v39
	s_delay_alu instid0(VALU_DEP_3) | instskip(SKIP_1) | instid1(SALU_CYCLE_1)
	v_add_f32_e32 v125, v125, v127
	s_or_b32 s0, vcc_lo, s0
	s_and_not1_b32 exec_lo, exec_lo, s0
	s_cbranch_execnz .LBB59_1177
; %bb.1178:
	s_or_b32 exec_lo, exec_lo, s0
.LBB59_1179:
	s_delay_alu instid0(SALU_CYCLE_1)
	s_or_b32 exec_lo, exec_lo, s3
	v_mov_b32_e32 v0, 0
	s_movk_i32 s4, 0x1dc
	s_or_b32 s1, s1, exec_lo
	ds_load_b64 v[0:1], v0 offset:472
	s_wait_dscnt 0x0
	v_dual_mul_f32 v38, v125, v1 :: v_dual_mul_f32 v172, v124, v1
	s_delay_alu instid0(VALU_DEP_1)
	v_dual_fma_f32 v1, v124, v0, -v38 :: v_dual_fmac_f32 v172, v125, v0
	scratch_store_b32 off, v1, off offset:472
.LBB59_1180:
	s_wait_xcnt 0x0
	s_or_b32 exec_lo, exec_lo, s2
.LBB59_1181:
	v_lshl_add_u64 v[168:169], v[6:7], 3, s[6:7]
	v_lshl_add_u64 v[170:171], v[8:9], 3, s[6:7]
	;; [unrolled: 1-line block ×58, first 2 shown]
	s_and_saveexec_b32 s0, s1
	s_cbranch_execz .LBB59_1183
; %bb.1182:
	scratch_store_b32 off, v172, s4
.LBB59_1183:
	s_wait_xcnt 0x0
	s_or_b32 exec_lo, exec_lo, s0
	s_clause 0x4
	scratch_load_b128 v[72:75], off, off
	scratch_load_b128 v[76:79], off, off offset:16
	scratch_load_b128 v[80:83], off, off offset:32
	;; [unrolled: 1-line block ×4, first 2 shown]
	s_wait_loadcnt 0x4
	s_clause 0x1
	global_store_b64 v[2:3], v[72:73], off
	global_store_b64 v[4:5], v[74:75], off
	s_clause 0x1
	scratch_load_b128 v[2:5], off, off offset:80
	scratch_load_b128 v[72:75], off, off offset:96
	s_wait_loadcnt 0x5
	s_clause 0x1
	global_store_b64 v[168:169], v[76:77], off
	global_store_b64 v[170:171], v[78:79], off
	s_clause 0x1
	scratch_load_b128 v[76:79], off, off offset:112
	scratch_load_b128 v[92:95], off, off offset:128
	;; [unrolled: 7-line block ×12, first 2 shown]
	s_wait_loadcnt 0x10
	s_clause 0x1
	global_store_b64 v[124:125], v[100:101], off
	global_store_b64 v[126:127], v[102:103], off
	scratch_load_b128 v[100:103], off, off offset:464
	s_wait_loadcnt 0x10
	s_clause 0x1
	global_store_b64 v[8:9], v[88:89], off
	global_store_b64 v[10:11], v[90:91], off
	s_wait_loadcnt 0xf
	s_clause 0x1
	global_store_b64 v[12:13], v[104:105], off
	global_store_b64 v[14:15], v[106:107], off
	;; [unrolled: 4-line block ×17, first 2 shown]
.LBB59_1184:
	s_sendmsg sendmsg(MSG_DEALLOC_VGPRS)
	s_endpgm
	.section	.rodata,"a",@progbits
	.p2align	6, 0x0
	.amdhsa_kernel _ZN9rocsolver6v33100L18trti2_kernel_smallILi60E19rocblas_complex_numIfEPS3_EEv13rocblas_fill_17rocblas_diagonal_T1_iil
		.amdhsa_group_segment_fixed_size 960
		.amdhsa_private_segment_fixed_size 496
		.amdhsa_kernarg_size 32
		.amdhsa_user_sgpr_count 2
		.amdhsa_user_sgpr_dispatch_ptr 0
		.amdhsa_user_sgpr_queue_ptr 0
		.amdhsa_user_sgpr_kernarg_segment_ptr 1
		.amdhsa_user_sgpr_dispatch_id 0
		.amdhsa_user_sgpr_kernarg_preload_length 0
		.amdhsa_user_sgpr_kernarg_preload_offset 0
		.amdhsa_user_sgpr_private_segment_size 0
		.amdhsa_wavefront_size32 1
		.amdhsa_uses_dynamic_stack 0
		.amdhsa_enable_private_segment 1
		.amdhsa_system_sgpr_workgroup_id_x 1
		.amdhsa_system_sgpr_workgroup_id_y 0
		.amdhsa_system_sgpr_workgroup_id_z 0
		.amdhsa_system_sgpr_workgroup_info 0
		.amdhsa_system_vgpr_workitem_id 0
		.amdhsa_next_free_vgpr 173
		.amdhsa_next_free_sgpr 38
		.amdhsa_named_barrier_count 0
		.amdhsa_reserve_vcc 1
		.amdhsa_float_round_mode_32 0
		.amdhsa_float_round_mode_16_64 0
		.amdhsa_float_denorm_mode_32 3
		.amdhsa_float_denorm_mode_16_64 3
		.amdhsa_fp16_overflow 0
		.amdhsa_memory_ordered 1
		.amdhsa_forward_progress 1
		.amdhsa_inst_pref_size 255
		.amdhsa_round_robin_scheduling 0
		.amdhsa_exception_fp_ieee_invalid_op 0
		.amdhsa_exception_fp_denorm_src 0
		.amdhsa_exception_fp_ieee_div_zero 0
		.amdhsa_exception_fp_ieee_overflow 0
		.amdhsa_exception_fp_ieee_underflow 0
		.amdhsa_exception_fp_ieee_inexact 0
		.amdhsa_exception_int_div_zero 0
	.end_amdhsa_kernel
	.section	.text._ZN9rocsolver6v33100L18trti2_kernel_smallILi60E19rocblas_complex_numIfEPS3_EEv13rocblas_fill_17rocblas_diagonal_T1_iil,"axG",@progbits,_ZN9rocsolver6v33100L18trti2_kernel_smallILi60E19rocblas_complex_numIfEPS3_EEv13rocblas_fill_17rocblas_diagonal_T1_iil,comdat
.Lfunc_end59:
	.size	_ZN9rocsolver6v33100L18trti2_kernel_smallILi60E19rocblas_complex_numIfEPS3_EEv13rocblas_fill_17rocblas_diagonal_T1_iil, .Lfunc_end59-_ZN9rocsolver6v33100L18trti2_kernel_smallILi60E19rocblas_complex_numIfEPS3_EEv13rocblas_fill_17rocblas_diagonal_T1_iil
                                        ; -- End function
	.set _ZN9rocsolver6v33100L18trti2_kernel_smallILi60E19rocblas_complex_numIfEPS3_EEv13rocblas_fill_17rocblas_diagonal_T1_iil.num_vgpr, 173
	.set _ZN9rocsolver6v33100L18trti2_kernel_smallILi60E19rocblas_complex_numIfEPS3_EEv13rocblas_fill_17rocblas_diagonal_T1_iil.num_agpr, 0
	.set _ZN9rocsolver6v33100L18trti2_kernel_smallILi60E19rocblas_complex_numIfEPS3_EEv13rocblas_fill_17rocblas_diagonal_T1_iil.numbered_sgpr, 38
	.set _ZN9rocsolver6v33100L18trti2_kernel_smallILi60E19rocblas_complex_numIfEPS3_EEv13rocblas_fill_17rocblas_diagonal_T1_iil.num_named_barrier, 0
	.set _ZN9rocsolver6v33100L18trti2_kernel_smallILi60E19rocblas_complex_numIfEPS3_EEv13rocblas_fill_17rocblas_diagonal_T1_iil.private_seg_size, 496
	.set _ZN9rocsolver6v33100L18trti2_kernel_smallILi60E19rocblas_complex_numIfEPS3_EEv13rocblas_fill_17rocblas_diagonal_T1_iil.uses_vcc, 1
	.set _ZN9rocsolver6v33100L18trti2_kernel_smallILi60E19rocblas_complex_numIfEPS3_EEv13rocblas_fill_17rocblas_diagonal_T1_iil.uses_flat_scratch, 1
	.set _ZN9rocsolver6v33100L18trti2_kernel_smallILi60E19rocblas_complex_numIfEPS3_EEv13rocblas_fill_17rocblas_diagonal_T1_iil.has_dyn_sized_stack, 0
	.set _ZN9rocsolver6v33100L18trti2_kernel_smallILi60E19rocblas_complex_numIfEPS3_EEv13rocblas_fill_17rocblas_diagonal_T1_iil.has_recursion, 0
	.set _ZN9rocsolver6v33100L18trti2_kernel_smallILi60E19rocblas_complex_numIfEPS3_EEv13rocblas_fill_17rocblas_diagonal_T1_iil.has_indirect_call, 0
	.section	.AMDGPU.csdata,"",@progbits
; Kernel info:
; codeLenInByte = 45552
; TotalNumSgprs: 40
; NumVgprs: 173
; ScratchSize: 496
; MemoryBound: 0
; FloatMode: 240
; IeeeMode: 1
; LDSByteSize: 960 bytes/workgroup (compile time only)
; SGPRBlocks: 0
; VGPRBlocks: 10
; NumSGPRsForWavesPerEU: 40
; NumVGPRsForWavesPerEU: 173
; NamedBarCnt: 0
; Occupancy: 5
; WaveLimiterHint : 0
; COMPUTE_PGM_RSRC2:SCRATCH_EN: 1
; COMPUTE_PGM_RSRC2:USER_SGPR: 2
; COMPUTE_PGM_RSRC2:TRAP_HANDLER: 0
; COMPUTE_PGM_RSRC2:TGID_X_EN: 1
; COMPUTE_PGM_RSRC2:TGID_Y_EN: 0
; COMPUTE_PGM_RSRC2:TGID_Z_EN: 0
; COMPUTE_PGM_RSRC2:TIDIG_COMP_CNT: 0
	.section	.text._ZN9rocsolver6v33100L18trti2_kernel_smallILi61E19rocblas_complex_numIfEPS3_EEv13rocblas_fill_17rocblas_diagonal_T1_iil,"axG",@progbits,_ZN9rocsolver6v33100L18trti2_kernel_smallILi61E19rocblas_complex_numIfEPS3_EEv13rocblas_fill_17rocblas_diagonal_T1_iil,comdat
	.globl	_ZN9rocsolver6v33100L18trti2_kernel_smallILi61E19rocblas_complex_numIfEPS3_EEv13rocblas_fill_17rocblas_diagonal_T1_iil ; -- Begin function _ZN9rocsolver6v33100L18trti2_kernel_smallILi61E19rocblas_complex_numIfEPS3_EEv13rocblas_fill_17rocblas_diagonal_T1_iil
	.p2align	8
	.type	_ZN9rocsolver6v33100L18trti2_kernel_smallILi61E19rocblas_complex_numIfEPS3_EEv13rocblas_fill_17rocblas_diagonal_T1_iil,@function
_ZN9rocsolver6v33100L18trti2_kernel_smallILi61E19rocblas_complex_numIfEPS3_EEv13rocblas_fill_17rocblas_diagonal_T1_iil: ; @_ZN9rocsolver6v33100L18trti2_kernel_smallILi61E19rocblas_complex_numIfEPS3_EEv13rocblas_fill_17rocblas_diagonal_T1_iil
; %bb.0:
	s_mov_b32 s2, exec_lo
	v_cmpx_gt_u32_e32 61, v0
	s_cbranch_execz .LBB60_1204
; %bb.1:
	s_load_b256 s[4:11], s[0:1], 0x0
	s_wait_xcnt 0x0
	s_bfe_u32 s0, ttmp6, 0x4000c
	s_and_b32 s1, ttmp6, 15
	s_add_co_i32 s0, s0, 1
	s_getreg_b32 s2, hwreg(HW_REG_IB_STS2, 6, 4)
	s_mul_i32 s0, ttmp9, s0
	v_lshlrev_b32_e32 v38, 3, v0
	s_add_co_i32 s0, s1, s0
	s_wait_kmcnt 0x0
	v_add3_u32 v6, s9, s9, v0
	s_ashr_i32 s1, s8, 31
	s_cmp_eq_u32 s2, 0
	s_cselect_b32 s2, ttmp9, s0
	s_delay_alu instid0(VALU_DEP_1) | instskip(SKIP_3) | instid1(VALU_DEP_1)
	v_dual_mov_b32 v39, 0 :: v_dual_add_nc_u32 v8, s9, v6
	s_ashr_i32 s3, s2, 31
	s_mov_b32 s0, s8
	s_mul_u64 s[2:3], s[10:11], s[2:3]
	v_add_nc_u32_e32 v10, s9, v8
	s_lshl_b64 s[2:3], s[2:3], 3
	s_lshl_b64 s[0:1], s[0:1], 3
	s_add_nc_u64 s[2:3], s[6:7], s[2:3]
	s_delay_alu instid0(SALU_CYCLE_1)
	s_add_nc_u64 s[6:7], s[2:3], s[0:1]
	v_add_nc_u32_e32 v12, s9, v10
	v_add_nc_u64_e32 v[2:3], s[6:7], v[38:39]
	s_mov_b32 s0, s9
	s_ashr_i32 s1, s9, 31
	s_cmp_lg_u32 s5, 0x84
	v_add_nc_u32_e32 v14, s9, v12
	s_cselect_b32 s3, -1, 0
	s_delay_alu instid0(VALU_DEP_2) | instskip(SKIP_1) | instid1(VALU_DEP_2)
	v_lshl_add_u64 v[4:5], s[0:1], 3, v[2:3]
	s_mov_b32 s0, -1
	v_add_nc_u32_e32 v16, s9, v14
	s_clause 0x3
	global_load_b64 v[80:81], v0, s[6:7] scale_offset
	global_load_b64 v[82:83], v[4:5], off
	global_load_b64 v[84:85], v6, s[6:7] scale_offset
	global_load_b64 v[86:87], v8, s[6:7] scale_offset
	s_and_b32 vcc_lo, exec_lo, s3
	v_add_nc_u32_e32 v18, s9, v16
	s_delay_alu instid0(VALU_DEP_1) | instskip(NEXT) | instid1(VALU_DEP_1)
	v_add_nc_u32_e32 v20, s9, v18
	v_add_nc_u32_e32 v22, s9, v20
	s_clause 0x5
	global_load_b64 v[88:89], v10, s[6:7] scale_offset
	global_load_b64 v[90:91], v12, s[6:7] scale_offset
	;; [unrolled: 1-line block ×6, first 2 shown]
	v_add_nc_u32_e32 v24, s9, v22
	s_delay_alu instid0(VALU_DEP_1) | instskip(NEXT) | instid1(VALU_DEP_1)
	v_add_nc_u32_e32 v26, s9, v24
	v_add_nc_u32_e32 v28, s9, v26
	s_delay_alu instid0(VALU_DEP_1) | instskip(SKIP_4) | instid1(VALU_DEP_1)
	v_add_nc_u32_e32 v30, s9, v28
	s_clause 0x1
	global_load_b64 v[100:101], v22, s[6:7] scale_offset
	global_load_b64 v[102:103], v24, s[6:7] scale_offset
	v_add_nc_u32_e32 v32, s9, v30
	v_add_nc_u32_e32 v34, s9, v32
	s_clause 0x3
	global_load_b64 v[104:105], v26, s[6:7] scale_offset
	global_load_b64 v[106:107], v28, s[6:7] scale_offset
	;; [unrolled: 1-line block ×4, first 2 shown]
	v_add_nc_u32_e32 v36, s9, v34
	s_delay_alu instid0(VALU_DEP_1) | instskip(NEXT) | instid1(VALU_DEP_1)
	v_add_nc_u32_e32 v40, s9, v36
	v_add_nc_u32_e32 v42, s9, v40
	s_clause 0x1
	global_load_b64 v[112:113], v34, s[6:7] scale_offset
	global_load_b64 v[114:115], v36, s[6:7] scale_offset
	v_add_nc_u32_e32 v44, s9, v42
	s_clause 0x1
	global_load_b64 v[116:117], v40, s[6:7] scale_offset
	global_load_b64 v[118:119], v42, s[6:7] scale_offset
	v_add_nc_u32_e32 v46, s9, v44
	s_delay_alu instid0(VALU_DEP_1) | instskip(NEXT) | instid1(VALU_DEP_1)
	v_add_nc_u32_e32 v48, s9, v46
	v_add_nc_u32_e32 v50, s9, v48
	s_delay_alu instid0(VALU_DEP_1) | instskip(NEXT) | instid1(VALU_DEP_1)
	v_add_nc_u32_e32 v52, s9, v50
	v_add_nc_u32_e32 v54, s9, v52
	s_delay_alu instid0(VALU_DEP_1)
	v_add_nc_u32_e32 v56, s9, v54
	s_clause 0x3
	global_load_b64 v[120:121], v44, s[6:7] scale_offset
	global_load_b64 v[122:123], v46, s[6:7] scale_offset
	;; [unrolled: 1-line block ×4, first 2 shown]
	v_add_nc_u32_e32 v58, s9, v56
	s_delay_alu instid0(VALU_DEP_1) | instskip(NEXT) | instid1(VALU_DEP_1)
	v_add_nc_u32_e32 v60, s9, v58
	v_add_nc_u32_e32 v62, s9, v60
	s_delay_alu instid0(VALU_DEP_1)
	v_add_nc_u32_e32 v64, s9, v62
	s_clause 0x3
	global_load_b64 v[128:129], v52, s[6:7] scale_offset
	global_load_b64 v[130:131], v54, s[6:7] scale_offset
	;; [unrolled: 1-line block ×4, first 2 shown]
	v_add_nc_u32_e32 v66, s9, v64
	s_delay_alu instid0(VALU_DEP_1) | instskip(NEXT) | instid1(VALU_DEP_1)
	v_add_nc_u32_e32 v68, s9, v66
	v_add_nc_u32_e32 v70, s9, v68
	s_delay_alu instid0(VALU_DEP_1) | instskip(NEXT) | instid1(VALU_DEP_1)
	v_add_nc_u32_e32 v72, s9, v70
	;; [unrolled: 3-line block ×3, first 2 shown]
	v_add_nc_u32_e32 v78, s9, v76
	s_wait_loadcnt 0x1a
	scratch_store_b128 off, v[80:83], off
	s_wait_xcnt 0x0
	v_add_nc_u32_e32 v80, s9, v78
	s_clause 0x3
	global_load_b64 v[136:137], v60, s[6:7] scale_offset
	global_load_b64 v[138:139], v62, s[6:7] scale_offset
	;; [unrolled: 1-line block ×4, first 2 shown]
	s_wait_loadcnt 0x1c
	scratch_store_b128 off, v[84:87], off offset:16
	s_wait_loadcnt 0x1a
	scratch_store_b128 off, v[88:91], off offset:32
	;; [unrolled: 2-line block ×3, first 2 shown]
	v_add_nc_u32_e32 v82, s9, v80
	s_clause 0x3
	global_load_b64 v[144:145], v68, s[6:7] scale_offset
	global_load_b64 v[146:147], v70, s[6:7] scale_offset
	;; [unrolled: 1-line block ×4, first 2 shown]
	s_wait_loadcnt 0x1a
	scratch_store_b128 off, v[96:99], off offset:64
	s_clause 0x1
	global_load_b64 v[152:153], v76, s[6:7] scale_offset
	global_load_b64 v[154:155], v78, s[6:7] scale_offset
	s_wait_xcnt 0x9
	v_add_nc_u32_e32 v84, s9, v82
	s_delay_alu instid0(VALU_DEP_1) | instskip(SKIP_1) | instid1(VALU_DEP_1)
	v_add_nc_u32_e32 v86, s9, v84
	s_wait_xcnt 0x8
	v_add_nc_u32_e32 v88, s9, v86
	s_wait_loadcnt 0x1a
	scratch_store_b128 off, v[100:103], off offset:80
	s_clause 0x1
	global_load_b64 v[156:157], v80, s[6:7] scale_offset
	global_load_b64 v[158:159], v82, s[6:7] scale_offset
	v_add_nc_u32_e32 v90, s9, v88
	s_wait_xcnt 0xa
	s_delay_alu instid0(VALU_DEP_1)
	v_add_nc_u32_e32 v92, s9, v90
	s_wait_loadcnt 0x1a
	scratch_store_b128 off, v[104:107], off offset:96
	s_wait_loadcnt 0x18
	scratch_store_b128 off, v[108:111], off offset:112
	v_add_nc_u32_e32 v94, s9, v92
	s_wait_xcnt 0x7
	s_delay_alu instid0(VALU_DEP_1) | instskip(NEXT) | instid1(VALU_DEP_1)
	v_add_nc_u32_e32 v96, s9, v94
	v_add_nc_u32_e32 v98, s9, v96
	s_wait_loadcnt 0x16
	scratch_store_b128 off, v[112:115], off offset:128
	s_wait_xcnt 0x5
	v_add_nc_u32_e32 v100, s9, v98
	s_wait_loadcnt 0x14
	scratch_store_b128 off, v[116:119], off offset:144
	v_add_nc_u32_e32 v102, s9, v100
	s_wait_xcnt 0x3
	s_delay_alu instid0(VALU_DEP_1) | instskip(NEXT) | instid1(VALU_DEP_1)
	v_add_nc_u32_e32 v104, s9, v102
	v_add_nc_u32_e32 v106, s9, v104
	s_wait_xcnt 0x2
	s_delay_alu instid0(VALU_DEP_1) | instskip(NEXT) | instid1(VALU_DEP_1)
	v_add_nc_u32_e32 v108, s9, v106
	v_add_nc_u32_e32 v110, s9, v108
	s_wait_loadcnt 0x12
	scratch_store_b128 off, v[120:123], off offset:160
	s_wait_loadcnt 0x10
	scratch_store_b128 off, v[124:127], off offset:176
	s_clause 0x1
	global_load_b64 v[112:113], v84, s[6:7] scale_offset
	global_load_b64 v[114:115], v86, s[6:7] scale_offset
	s_wait_loadcnt 0x10
	scratch_store_b128 off, v[128:131], off offset:192
	s_wait_loadcnt 0xe
	scratch_store_b128 off, v[132:135], off offset:208
	s_clause 0x1
	global_load_b64 v[116:117], v88, s[6:7] scale_offset
	global_load_b64 v[118:119], v90, s[6:7] scale_offset
	;; [unrolled: 7-line block ×3, first 2 shown]
	s_wait_loadcnt 0xc
	scratch_store_b128 off, v[144:147], off offset:256
	s_clause 0x1
	global_load_b64 v[124:125], v96, s[6:7] scale_offset
	global_load_b64 v[126:127], v98, s[6:7] scale_offset
	s_wait_loadcnt 0xc
	scratch_store_b128 off, v[148:151], off offset:272
	s_wait_loadcnt 0xa
	scratch_store_b128 off, v[152:155], off offset:288
	s_clause 0x3
	global_load_b64 v[128:129], v100, s[6:7] scale_offset
	global_load_b64 v[130:131], v102, s[6:7] scale_offset
	;; [unrolled: 1-line block ×4, first 2 shown]
	s_wait_loadcnt 0xc
	scratch_store_b128 off, v[156:159], off offset:304
	s_clause 0x1
	global_load_b64 v[136:137], v108, s[6:7] scale_offset
	global_load_b64 v[138:139], v110, s[6:7] scale_offset
	s_wait_loadcnt 0xc
	scratch_store_b128 off, v[112:115], off offset:320
	s_wait_xcnt 0x0
	v_add_nc_u32_e32 v112, s9, v110
	s_delay_alu instid0(VALU_DEP_1) | instskip(SKIP_4) | instid1(VALU_DEP_1)
	v_add_nc_u32_e32 v114, s9, v112
	s_wait_loadcnt 0xa
	scratch_store_b128 off, v[116:119], off offset:336
	s_wait_xcnt 0x0
	v_add_nc_u32_e32 v116, s9, v114
	v_add_nc_u32_e32 v118, s9, v116
	s_wait_loadcnt 0x8
	scratch_store_b128 off, v[120:123], off offset:352
	s_wait_xcnt 0x0
	v_add_nc_u32_e32 v120, s9, v118
	s_delay_alu instid0(VALU_DEP_1)
	v_add_nc_u32_e32 v122, s9, v120
	s_wait_loadcnt 0x6
	scratch_store_b128 off, v[124:127], off offset:368
	s_clause 0x1
	global_load_b64 v[140:141], v112, s[6:7] scale_offset
	global_load_b64 v[142:143], v114, s[6:7] scale_offset
	s_wait_loadcnt 0x6
	scratch_store_b128 off, v[128:131], off offset:384
	s_wait_xcnt 0x3
	v_add_nc_u32_e32 v124, s9, v122
	s_wait_loadcnt 0x4
	scratch_store_b128 off, v[132:135], off offset:400
	s_wait_loadcnt 0x2
	scratch_store_b128 off, v[136:139], off offset:416
	s_clause 0x4
	global_load_b64 v[126:127], v116, s[6:7] scale_offset
	global_load_b64 v[128:129], v118, s[6:7] scale_offset
	;; [unrolled: 1-line block ×5, first 2 shown]
	s_wait_loadcnt 0x5
	scratch_store_b128 off, v[140:143], off offset:432
	s_wait_loadcnt 0x3
	scratch_store_b128 off, v[126:129], off offset:448
	;; [unrolled: 2-line block ×3, first 2 shown]
	s_wait_loadcnt 0x0
	scratch_store_b64 off, v[134:135], off offset:480
	s_cbranch_vccz .LBB60_7
; %bb.2:
	scratch_load_b64 v[126:127], v0, off scale_offset
                                        ; implicit-def: $vgpr131
                                        ; implicit-def: $vgpr128
	s_wait_loadcnt 0x0
	v_cmp_ngt_f32_e64 s0, |v126|, |v127|
	s_wait_xcnt 0x0
	s_and_saveexec_b32 s1, s0
	s_delay_alu instid0(SALU_CYCLE_1)
	s_xor_b32 s0, exec_lo, s1
	s_cbranch_execz .LBB60_4
; %bb.3:
	v_div_scale_f32 v1, null, v127, v127, v126
	v_div_scale_f32 v11, vcc_lo, v126, v127, v126
	s_delay_alu instid0(VALU_DEP_2) | instskip(SKIP_1) | instid1(TRANS32_DEP_1)
	v_rcp_f32_e32 v7, v1
	v_nop
	v_fma_f32 v9, -v1, v7, 1.0
	s_delay_alu instid0(VALU_DEP_1) | instskip(NEXT) | instid1(VALU_DEP_1)
	v_fmac_f32_e32 v7, v9, v7
	v_mul_f32_e32 v9, v11, v7
	s_delay_alu instid0(VALU_DEP_1) | instskip(NEXT) | instid1(VALU_DEP_1)
	v_fma_f32 v13, -v1, v9, v11
	v_fmac_f32_e32 v9, v13, v7
	s_delay_alu instid0(VALU_DEP_1) | instskip(NEXT) | instid1(VALU_DEP_1)
	v_fma_f32 v1, -v1, v9, v11
	v_div_fmas_f32 v1, v1, v7, v9
	s_delay_alu instid0(VALU_DEP_1) | instskip(NEXT) | instid1(VALU_DEP_1)
	v_div_fixup_f32 v1, v1, v127, v126
	v_fmac_f32_e32 v127, v126, v1
	s_delay_alu instid0(VALU_DEP_1) | instskip(NEXT) | instid1(VALU_DEP_1)
	v_div_scale_f32 v7, null, v127, v127, -1.0
	v_rcp_f32_e32 v9, v7
	v_nop
	s_delay_alu instid0(TRANS32_DEP_1) | instskip(NEXT) | instid1(VALU_DEP_1)
	v_fma_f32 v11, -v7, v9, 1.0
	v_fmac_f32_e32 v9, v11, v9
	v_div_scale_f32 v11, vcc_lo, -1.0, v127, -1.0
	s_delay_alu instid0(VALU_DEP_1) | instskip(NEXT) | instid1(VALU_DEP_1)
	v_mul_f32_e32 v13, v11, v9
	v_fma_f32 v15, -v7, v13, v11
	s_delay_alu instid0(VALU_DEP_1) | instskip(NEXT) | instid1(VALU_DEP_1)
	v_fmac_f32_e32 v13, v15, v9
	v_fma_f32 v7, -v7, v13, v11
	s_delay_alu instid0(VALU_DEP_1) | instskip(NEXT) | instid1(VALU_DEP_1)
	v_div_fmas_f32 v7, v7, v9, v13
	v_div_fixup_f32 v131, v7, v127, -1.0
                                        ; implicit-def: $vgpr126_vgpr127
	s_delay_alu instid0(VALU_DEP_1) | instskip(NEXT) | instid1(VALU_DEP_1)
	v_mul_f32_e32 v128, v1, v131
	v_xor_b32_e32 v130, 0x80000000, v128
.LBB60_4:
	s_or_saveexec_b32 s0, s0
	v_lshl_add_u32 v1, v0, 3, 0
	s_xor_b32 exec_lo, exec_lo, s0
	s_cbranch_execz .LBB60_6
; %bb.5:
	v_div_scale_f32 v7, null, v126, v126, v127
	v_div_scale_f32 v13, vcc_lo, v127, v126, v127
	s_delay_alu instid0(VALU_DEP_2) | instskip(SKIP_1) | instid1(TRANS32_DEP_1)
	v_rcp_f32_e32 v9, v7
	v_nop
	v_fma_f32 v11, -v7, v9, 1.0
	s_delay_alu instid0(VALU_DEP_1) | instskip(NEXT) | instid1(VALU_DEP_1)
	v_fmac_f32_e32 v9, v11, v9
	v_mul_f32_e32 v11, v13, v9
	s_delay_alu instid0(VALU_DEP_1) | instskip(NEXT) | instid1(VALU_DEP_1)
	v_fma_f32 v15, -v7, v11, v13
	v_fmac_f32_e32 v11, v15, v9
	s_delay_alu instid0(VALU_DEP_1) | instskip(NEXT) | instid1(VALU_DEP_1)
	v_fma_f32 v7, -v7, v11, v13
	v_div_fmas_f32 v7, v7, v9, v11
	s_delay_alu instid0(VALU_DEP_1) | instskip(NEXT) | instid1(VALU_DEP_1)
	v_div_fixup_f32 v7, v7, v126, v127
	v_fmac_f32_e32 v126, v127, v7
	s_delay_alu instid0(VALU_DEP_1) | instskip(SKIP_1) | instid1(VALU_DEP_2)
	v_div_scale_f32 v9, null, v126, v126, 1.0
	v_div_scale_f32 v15, vcc_lo, 1.0, v126, 1.0
	v_rcp_f32_e32 v11, v9
	v_nop
	s_delay_alu instid0(TRANS32_DEP_1) | instskip(NEXT) | instid1(VALU_DEP_1)
	v_fma_f32 v13, -v9, v11, 1.0
	v_fmac_f32_e32 v11, v13, v11
	s_delay_alu instid0(VALU_DEP_1) | instskip(NEXT) | instid1(VALU_DEP_1)
	v_mul_f32_e32 v13, v15, v11
	v_fma_f32 v17, -v9, v13, v15
	s_delay_alu instid0(VALU_DEP_1) | instskip(NEXT) | instid1(VALU_DEP_1)
	v_fmac_f32_e32 v13, v17, v11
	v_fma_f32 v9, -v9, v13, v15
	s_delay_alu instid0(VALU_DEP_1) | instskip(NEXT) | instid1(VALU_DEP_1)
	v_div_fmas_f32 v9, v9, v11, v13
	v_div_fixup_f32 v130, v9, v126, 1.0
	s_delay_alu instid0(VALU_DEP_1)
	v_xor_b32_e32 v128, 0x80000000, v130
	v_mul_f32_e64 v131, v7, -v130
.LBB60_6:
	s_or_b32 exec_lo, exec_lo, s0
	s_delay_alu instid0(VALU_DEP_1)
	v_xor_b32_e32 v129, 0x80000000, v131
	s_mov_b32 s0, 0
	scratch_store_b64 v1, v[130:131], off
	ds_store_b64 v38, v[128:129]
.LBB60_7:
	s_and_b32 vcc_lo, exec_lo, s0
	s_cbranch_vccz .LBB60_9
; %bb.8:
	s_mov_b64 s[0:1], 0xbf800000
	s_wait_xcnt 0x2
	v_mov_b64_e32 v[126:127], s[0:1]
	ds_store_b64 v38, v[126:127]
.LBB60_9:
	v_dual_ashrrev_i32 v7, 31, v6 :: v_dual_ashrrev_i32 v9, 31, v8
	v_dual_ashrrev_i32 v11, 31, v10 :: v_dual_ashrrev_i32 v13, 31, v12
	;; [unrolled: 1-line block ×29, first 2 shown]
	v_dual_ashrrev_i32 v125, 31, v124 :: v_dual_mov_b32 v39, v38
	s_wait_xcnt 0x0
	v_add_nc_u32_e32 v1, 0x1f0, v38
	s_cmp_eq_u32 s4, 0x79
	s_cbranch_scc1 .LBB60_13
; %bb.10:
	scratch_load_b64 v[126:127], off, off offset:472
	v_cmp_eq_u32_e64 s0, 60, v0
	s_movk_i32 s1, 0x50
	s_movk_i32 s2, 0x60
	;; [unrolled: 1-line block ×25, first 2 shown]
	s_wait_loadcnt 0x0
	ds_store_b64 v1, v[126:127]
	s_wait_storecnt_dscnt 0x0
	s_barrier_signal -1
	s_barrier_wait -1
	s_wait_xcnt 0x0
	s_and_saveexec_b32 s4, s0
	s_cbranch_execz .LBB60_17
; %bb.11:
	s_and_b32 vcc_lo, exec_lo, s3
	s_cbranch_vccz .LBB60_14
; %bb.12:
	scratch_load_b64 v[126:127], v39, off
	ds_load_b64 v[128:129], v1
	s_wait_loadcnt_dscnt 0x0
	v_pk_mul_f32 v[130:131], v[128:129], v[126:127] op_sel:[1,1] op_sel_hi:[0,1]
	v_pk_mul_f32 v[132:133], v[128:129], v[126:127] op_sel_hi:[1,0]
	s_delay_alu instid0(VALU_DEP_2) | instskip(NEXT) | instid1(VALU_DEP_2)
	v_pk_fma_f32 v[126:127], v[128:129], v[126:127], v[130:131] op_sel_hi:[1,0,1]
	v_sub_f32_e32 v126, v132, v130
	s_cbranch_execz .LBB60_15
	s_branch .LBB60_16
.LBB60_13:
	s_mov_b32 s1, 0
                                        ; implicit-def: $vgpr174
                                        ; implicit-def: $sgpr4
	s_cbranch_execnz .LBB60_606
	s_branch .LBB60_1201
.LBB60_14:
                                        ; implicit-def: $vgpr127
.LBB60_15:
	ds_load_b64 v[126:127], v1
.LBB60_16:
	s_wait_dscnt 0x0
	v_dual_mov_b32 v128, 0 :: v_dual_mov_b32 v130, v127
	v_mov_b32_e32 v131, v126
	ds_load_b64 v[128:129], v128 offset:472
	s_wait_dscnt 0x0
	v_pk_mul_f32 v[130:131], v[130:131], v[128:129] op_sel:[0,1]
	s_delay_alu instid0(VALU_DEP_1) | instskip(SKIP_1) | instid1(VALU_DEP_2)
	v_pk_fma_f32 v[132:133], v[126:127], v[128:129], v[130:131] op_sel_hi:[1,0,1]
	v_pk_fma_f32 v[126:127], v[126:127], v[128:129], v[130:131] neg_lo:[0,0,1] neg_hi:[0,0,1]
	v_mov_b32_e32 v127, v133
	scratch_store_b64 off, v[126:127], off offset:472
.LBB60_17:
	s_wait_xcnt 0x0
	s_or_b32 exec_lo, exec_lo, s4
	scratch_load_b64 v[126:127], off, off offset:464
	s_mov_b32 s11, s2
	v_cmp_lt_u32_e64 s2, 58, v0
	s_mov_b32 s4, 16
	s_mov_b32 s5, 32
	;; [unrolled: 1-line block ×5, first 2 shown]
	s_wait_loadcnt 0x0
	ds_store_b64 v1, v[126:127]
	s_wait_storecnt_dscnt 0x0
	s_barrier_signal -1
	s_barrier_wait -1
	s_wait_xcnt 0x0
	s_and_saveexec_b32 s1, s2
	s_cbranch_execz .LBB60_25
; %bb.18:
	s_and_not1_b32 vcc_lo, exec_lo, s3
	s_cbranch_vccnz .LBB60_20
; %bb.19:
	scratch_load_b64 v[126:127], v39, off
	ds_load_b64 v[128:129], v1
	s_wait_loadcnt_dscnt 0x0
	v_pk_mul_f32 v[130:131], v[128:129], v[126:127] op_sel:[1,1] op_sel_hi:[0,1]
	s_delay_alu instid0(VALU_DEP_1) | instskip(SKIP_1) | instid1(VALU_DEP_2)
	v_pk_fma_f32 v[132:133], v[128:129], v[126:127], v[130:131] op_sel_hi:[1,0,1]
	v_pk_fma_f32 v[126:127], v[128:129], v[126:127], v[130:131] neg_lo:[0,0,1] neg_hi:[0,0,1]
	v_mov_b32_e32 v127, v133
	s_cbranch_execz .LBB60_21
	s_branch .LBB60_22
.LBB60_20:
                                        ; implicit-def: $vgpr126_vgpr127
.LBB60_21:
	ds_load_b64 v[126:127], v1
.LBB60_22:
	s_and_saveexec_b32 s36, s0
	s_cbranch_execz .LBB60_24
; %bb.23:
	scratch_load_b64 v[128:129], off, off offset:472
	v_mov_b32_e32 v130, 0
	ds_load_b64 v[130:131], v130 offset:968
	s_wait_loadcnt_dscnt 0x0
	v_pk_mul_f32 v[132:133], v[130:131], v[128:129] op_sel:[1,1] op_sel_hi:[0,1]
	s_delay_alu instid0(VALU_DEP_1) | instskip(SKIP_1) | instid1(VALU_DEP_2)
	v_pk_fma_f32 v[134:135], v[130:131], v[128:129], v[132:133] op_sel_hi:[1,0,1]
	v_pk_fma_f32 v[128:129], v[130:131], v[128:129], v[132:133] neg_lo:[0,0,1] neg_hi:[0,0,1]
	v_mov_b32_e32 v129, v135
	s_delay_alu instid0(VALU_DEP_1)
	v_pk_add_f32 v[126:127], v[126:127], v[128:129]
.LBB60_24:
	s_or_b32 exec_lo, exec_lo, s36
	v_mov_b32_e32 v128, 0
	ds_load_b64 v[128:129], v128 offset:464
	s_wait_dscnt 0x0
	v_pk_mul_f32 v[130:131], v[126:127], v[128:129] op_sel:[1,1] op_sel_hi:[0,1]
	s_delay_alu instid0(VALU_DEP_1) | instskip(SKIP_1) | instid1(VALU_DEP_2)
	v_pk_fma_f32 v[132:133], v[126:127], v[128:129], v[130:131] op_sel_hi:[1,0,1]
	v_pk_fma_f32 v[126:127], v[126:127], v[128:129], v[130:131] neg_lo:[0,0,1] neg_hi:[0,0,1]
	v_mov_b32_e32 v127, v133
	scratch_store_b64 off, v[126:127], off offset:464
.LBB60_25:
	s_wait_xcnt 0x0
	s_or_b32 exec_lo, exec_lo, s1
	scratch_load_b64 v[126:127], off, off offset:456
	v_cmp_lt_u32_e64 s1, 57, v0
	s_wait_loadcnt 0x0
	ds_store_b64 v1, v[126:127]
	s_wait_storecnt_dscnt 0x0
	s_barrier_signal -1
	s_barrier_wait -1
	s_wait_xcnt 0x0
	s_and_saveexec_b32 s0, s1
	s_cbranch_execz .LBB60_35
; %bb.26:
	s_and_not1_b32 vcc_lo, exec_lo, s3
	s_cbranch_vccnz .LBB60_28
; %bb.27:
	scratch_load_b64 v[126:127], v39, off
	ds_load_b64 v[128:129], v1
	s_wait_loadcnt_dscnt 0x0
	v_pk_mul_f32 v[130:131], v[128:129], v[126:127] op_sel:[1,1] op_sel_hi:[0,1]
	s_delay_alu instid0(VALU_DEP_1) | instskip(SKIP_1) | instid1(VALU_DEP_2)
	v_pk_fma_f32 v[132:133], v[128:129], v[126:127], v[130:131] op_sel_hi:[1,0,1]
	v_pk_fma_f32 v[126:127], v[128:129], v[126:127], v[130:131] neg_lo:[0,0,1] neg_hi:[0,0,1]
	v_mov_b32_e32 v127, v133
	s_cbranch_execz .LBB60_29
	s_branch .LBB60_30
.LBB60_28:
                                        ; implicit-def: $vgpr126_vgpr127
.LBB60_29:
	ds_load_b64 v[126:127], v1
.LBB60_30:
	s_and_saveexec_b32 s36, s2
	s_cbranch_execz .LBB60_34
; %bb.31:
	v_subrev_nc_u32_e32 v128, 58, v0
	s_movk_i32 s37, 0x3c0
	s_mov_b32 s2, 0
.LBB60_32:                              ; =>This Inner Loop Header: Depth=1
	scratch_load_b64 v[130:131], off, s35
	v_dual_mov_b32 v129, s37 :: v_dual_add_nc_u32 v128, -1, v128
	s_add_co_i32 s37, s37, 8
	s_wait_xcnt 0x0
	s_add_co_i32 s35, s35, 8
	ds_load_b64 v[132:133], v129
	v_cmp_eq_u32_e32 vcc_lo, 0, v128
	s_or_b32 s2, vcc_lo, s2
	s_wait_loadcnt_dscnt 0x0
	v_pk_mul_f32 v[134:135], v[132:133], v[130:131] op_sel:[1,1] op_sel_hi:[0,1]
	s_delay_alu instid0(VALU_DEP_1) | instskip(SKIP_1) | instid1(VALU_DEP_2)
	v_pk_fma_f32 v[136:137], v[132:133], v[130:131], v[134:135] op_sel_hi:[1,0,1]
	v_pk_fma_f32 v[130:131], v[132:133], v[130:131], v[134:135] neg_lo:[0,0,1] neg_hi:[0,0,1]
	v_mov_b32_e32 v131, v137
	s_delay_alu instid0(VALU_DEP_1)
	v_pk_add_f32 v[126:127], v[126:127], v[130:131]
	s_and_not1_b32 exec_lo, exec_lo, s2
	s_cbranch_execnz .LBB60_32
; %bb.33:
	s_or_b32 exec_lo, exec_lo, s2
.LBB60_34:
	s_delay_alu instid0(SALU_CYCLE_1) | instskip(SKIP_4) | instid1(VALU_DEP_1)
	s_or_b32 exec_lo, exec_lo, s36
	v_mov_b32_e32 v128, 0
	ds_load_b64 v[128:129], v128 offset:456
	s_wait_dscnt 0x0
	v_pk_mul_f32 v[130:131], v[126:127], v[128:129] op_sel:[1,1] op_sel_hi:[0,1]
	v_pk_fma_f32 v[132:133], v[126:127], v[128:129], v[130:131] op_sel_hi:[1,0,1]
	v_pk_fma_f32 v[126:127], v[126:127], v[128:129], v[130:131] neg_lo:[0,0,1] neg_hi:[0,0,1]
	s_delay_alu instid0(VALU_DEP_2)
	v_mov_b32_e32 v127, v133
	scratch_store_b64 off, v[126:127], off offset:456
.LBB60_35:
	s_wait_xcnt 0x0
	s_or_b32 exec_lo, exec_lo, s0
	scratch_load_b64 v[126:127], off, off offset:448
	v_cmp_lt_u32_e64 s0, 56, v0
	s_wait_loadcnt 0x0
	ds_store_b64 v1, v[126:127]
	s_wait_storecnt_dscnt 0x0
	s_barrier_signal -1
	s_barrier_wait -1
	s_wait_xcnt 0x0
	s_and_saveexec_b32 s2, s0
	s_cbranch_execz .LBB60_45
; %bb.36:
	s_and_not1_b32 vcc_lo, exec_lo, s3
	s_cbranch_vccnz .LBB60_38
; %bb.37:
	scratch_load_b64 v[126:127], v39, off
	ds_load_b64 v[128:129], v1
	s_wait_loadcnt_dscnt 0x0
	v_pk_mul_f32 v[130:131], v[128:129], v[126:127] op_sel:[1,1] op_sel_hi:[0,1]
	s_delay_alu instid0(VALU_DEP_1) | instskip(SKIP_1) | instid1(VALU_DEP_2)
	v_pk_fma_f32 v[132:133], v[128:129], v[126:127], v[130:131] op_sel_hi:[1,0,1]
	v_pk_fma_f32 v[126:127], v[128:129], v[126:127], v[130:131] neg_lo:[0,0,1] neg_hi:[0,0,1]
	v_mov_b32_e32 v127, v133
	s_cbranch_execz .LBB60_39
	s_branch .LBB60_40
.LBB60_38:
                                        ; implicit-def: $vgpr126_vgpr127
.LBB60_39:
	ds_load_b64 v[126:127], v1
.LBB60_40:
	s_and_saveexec_b32 s35, s1
	s_cbranch_execz .LBB60_44
; %bb.41:
	v_subrev_nc_u32_e32 v128, 57, v0
	s_movk_i32 s1, 0x1c8
	s_movk_i32 s37, 0x3b8
	s_mov_b32 s36, 0
.LBB60_42:                              ; =>This Inner Loop Header: Depth=1
	scratch_load_b64 v[130:131], off, s1
	v_dual_mov_b32 v129, s37 :: v_dual_add_nc_u32 v128, -1, v128
	s_add_co_i32 s37, s37, 8
	s_wait_xcnt 0x0
	s_add_co_i32 s1, s1, 8
	ds_load_b64 v[132:133], v129
	v_cmp_eq_u32_e32 vcc_lo, 0, v128
	s_or_b32 s36, vcc_lo, s36
	s_wait_loadcnt_dscnt 0x0
	v_pk_mul_f32 v[134:135], v[132:133], v[130:131] op_sel:[1,1] op_sel_hi:[0,1]
	s_delay_alu instid0(VALU_DEP_1) | instskip(SKIP_1) | instid1(VALU_DEP_2)
	v_pk_fma_f32 v[136:137], v[132:133], v[130:131], v[134:135] op_sel_hi:[1,0,1]
	v_pk_fma_f32 v[130:131], v[132:133], v[130:131], v[134:135] neg_lo:[0,0,1] neg_hi:[0,0,1]
	v_mov_b32_e32 v131, v137
	s_delay_alu instid0(VALU_DEP_1)
	v_pk_add_f32 v[126:127], v[126:127], v[130:131]
	s_and_not1_b32 exec_lo, exec_lo, s36
	s_cbranch_execnz .LBB60_42
; %bb.43:
	s_or_b32 exec_lo, exec_lo, s36
.LBB60_44:
	s_delay_alu instid0(SALU_CYCLE_1) | instskip(SKIP_4) | instid1(VALU_DEP_1)
	s_or_b32 exec_lo, exec_lo, s35
	v_mov_b32_e32 v128, 0
	ds_load_b64 v[128:129], v128 offset:448
	s_wait_dscnt 0x0
	v_pk_mul_f32 v[130:131], v[126:127], v[128:129] op_sel:[1,1] op_sel_hi:[0,1]
	v_pk_fma_f32 v[132:133], v[126:127], v[128:129], v[130:131] op_sel_hi:[1,0,1]
	v_pk_fma_f32 v[126:127], v[126:127], v[128:129], v[130:131] neg_lo:[0,0,1] neg_hi:[0,0,1]
	s_delay_alu instid0(VALU_DEP_2)
	v_mov_b32_e32 v127, v133
	scratch_store_b64 off, v[126:127], off offset:448
.LBB60_45:
	s_wait_xcnt 0x0
	s_or_b32 exec_lo, exec_lo, s2
	scratch_load_b64 v[126:127], off, off offset:440
	v_cmp_lt_u32_e64 s1, 55, v0
	s_wait_loadcnt 0x0
	ds_store_b64 v1, v[126:127]
	s_wait_storecnt_dscnt 0x0
	s_barrier_signal -1
	s_barrier_wait -1
	s_wait_xcnt 0x0
	s_and_saveexec_b32 s2, s1
	s_cbranch_execz .LBB60_55
; %bb.46:
	s_and_not1_b32 vcc_lo, exec_lo, s3
	s_cbranch_vccnz .LBB60_48
; %bb.47:
	scratch_load_b64 v[126:127], v39, off
	ds_load_b64 v[128:129], v1
	s_wait_loadcnt_dscnt 0x0
	v_pk_mul_f32 v[130:131], v[128:129], v[126:127] op_sel:[1,1] op_sel_hi:[0,1]
	s_delay_alu instid0(VALU_DEP_1) | instskip(SKIP_1) | instid1(VALU_DEP_2)
	v_pk_fma_f32 v[132:133], v[128:129], v[126:127], v[130:131] op_sel_hi:[1,0,1]
	v_pk_fma_f32 v[126:127], v[128:129], v[126:127], v[130:131] neg_lo:[0,0,1] neg_hi:[0,0,1]
	v_mov_b32_e32 v127, v133
	s_cbranch_execz .LBB60_49
	s_branch .LBB60_50
.LBB60_48:
                                        ; implicit-def: $vgpr126_vgpr127
.LBB60_49:
	ds_load_b64 v[126:127], v1
.LBB60_50:
	s_and_saveexec_b32 s35, s0
	s_cbranch_execz .LBB60_54
; %bb.51:
	v_subrev_nc_u32_e32 v128, 56, v0
	s_movk_i32 s36, 0x3b0
	s_mov_b32 s0, 0
.LBB60_52:                              ; =>This Inner Loop Header: Depth=1
	scratch_load_b64 v[130:131], off, s34
	v_dual_mov_b32 v129, s36 :: v_dual_add_nc_u32 v128, -1, v128
	s_add_co_i32 s36, s36, 8
	s_wait_xcnt 0x0
	s_add_co_i32 s34, s34, 8
	ds_load_b64 v[132:133], v129
	v_cmp_eq_u32_e32 vcc_lo, 0, v128
	s_or_b32 s0, vcc_lo, s0
	s_wait_loadcnt_dscnt 0x0
	v_pk_mul_f32 v[134:135], v[132:133], v[130:131] op_sel:[1,1] op_sel_hi:[0,1]
	s_delay_alu instid0(VALU_DEP_1) | instskip(SKIP_1) | instid1(VALU_DEP_2)
	v_pk_fma_f32 v[136:137], v[132:133], v[130:131], v[134:135] op_sel_hi:[1,0,1]
	v_pk_fma_f32 v[130:131], v[132:133], v[130:131], v[134:135] neg_lo:[0,0,1] neg_hi:[0,0,1]
	v_mov_b32_e32 v131, v137
	s_delay_alu instid0(VALU_DEP_1)
	v_pk_add_f32 v[126:127], v[126:127], v[130:131]
	s_and_not1_b32 exec_lo, exec_lo, s0
	s_cbranch_execnz .LBB60_52
; %bb.53:
	s_or_b32 exec_lo, exec_lo, s0
.LBB60_54:
	s_delay_alu instid0(SALU_CYCLE_1) | instskip(SKIP_4) | instid1(VALU_DEP_1)
	s_or_b32 exec_lo, exec_lo, s35
	v_mov_b32_e32 v128, 0
	ds_load_b64 v[128:129], v128 offset:440
	s_wait_dscnt 0x0
	v_pk_mul_f32 v[130:131], v[126:127], v[128:129] op_sel:[1,1] op_sel_hi:[0,1]
	v_pk_fma_f32 v[132:133], v[126:127], v[128:129], v[130:131] op_sel_hi:[1,0,1]
	v_pk_fma_f32 v[126:127], v[126:127], v[128:129], v[130:131] neg_lo:[0,0,1] neg_hi:[0,0,1]
	s_delay_alu instid0(VALU_DEP_2)
	v_mov_b32_e32 v127, v133
	scratch_store_b64 off, v[126:127], off offset:440
.LBB60_55:
	s_wait_xcnt 0x0
	s_or_b32 exec_lo, exec_lo, s2
	scratch_load_b64 v[126:127], off, off offset:432
	v_cmp_lt_u32_e64 s0, 54, v0
	s_wait_loadcnt 0x0
	ds_store_b64 v1, v[126:127]
	s_wait_storecnt_dscnt 0x0
	s_barrier_signal -1
	s_barrier_wait -1
	s_wait_xcnt 0x0
	s_and_saveexec_b32 s2, s0
	s_cbranch_execz .LBB60_65
; %bb.56:
	s_and_not1_b32 vcc_lo, exec_lo, s3
	s_cbranch_vccnz .LBB60_58
; %bb.57:
	scratch_load_b64 v[126:127], v39, off
	ds_load_b64 v[128:129], v1
	s_wait_loadcnt_dscnt 0x0
	v_pk_mul_f32 v[130:131], v[128:129], v[126:127] op_sel:[1,1] op_sel_hi:[0,1]
	s_delay_alu instid0(VALU_DEP_1) | instskip(SKIP_1) | instid1(VALU_DEP_2)
	v_pk_fma_f32 v[132:133], v[128:129], v[126:127], v[130:131] op_sel_hi:[1,0,1]
	v_pk_fma_f32 v[126:127], v[128:129], v[126:127], v[130:131] neg_lo:[0,0,1] neg_hi:[0,0,1]
	v_mov_b32_e32 v127, v133
	s_cbranch_execz .LBB60_59
	s_branch .LBB60_60
.LBB60_58:
                                        ; implicit-def: $vgpr126_vgpr127
.LBB60_59:
	ds_load_b64 v[126:127], v1
.LBB60_60:
	s_and_saveexec_b32 s34, s1
	s_cbranch_execz .LBB60_64
; %bb.61:
	v_subrev_nc_u32_e32 v128, 55, v0
	s_movk_i32 s1, 0x1b8
	s_movk_i32 s36, 0x3a8
	s_mov_b32 s35, 0
.LBB60_62:                              ; =>This Inner Loop Header: Depth=1
	scratch_load_b64 v[130:131], off, s1
	v_dual_mov_b32 v129, s36 :: v_dual_add_nc_u32 v128, -1, v128
	s_add_co_i32 s36, s36, 8
	s_wait_xcnt 0x0
	s_add_co_i32 s1, s1, 8
	ds_load_b64 v[132:133], v129
	v_cmp_eq_u32_e32 vcc_lo, 0, v128
	s_or_b32 s35, vcc_lo, s35
	s_wait_loadcnt_dscnt 0x0
	v_pk_mul_f32 v[134:135], v[132:133], v[130:131] op_sel:[1,1] op_sel_hi:[0,1]
	s_delay_alu instid0(VALU_DEP_1) | instskip(SKIP_1) | instid1(VALU_DEP_2)
	v_pk_fma_f32 v[136:137], v[132:133], v[130:131], v[134:135] op_sel_hi:[1,0,1]
	v_pk_fma_f32 v[130:131], v[132:133], v[130:131], v[134:135] neg_lo:[0,0,1] neg_hi:[0,0,1]
	v_mov_b32_e32 v131, v137
	s_delay_alu instid0(VALU_DEP_1)
	v_pk_add_f32 v[126:127], v[126:127], v[130:131]
	s_and_not1_b32 exec_lo, exec_lo, s35
	s_cbranch_execnz .LBB60_62
; %bb.63:
	s_or_b32 exec_lo, exec_lo, s35
.LBB60_64:
	s_delay_alu instid0(SALU_CYCLE_1) | instskip(SKIP_4) | instid1(VALU_DEP_1)
	s_or_b32 exec_lo, exec_lo, s34
	v_mov_b32_e32 v128, 0
	ds_load_b64 v[128:129], v128 offset:432
	s_wait_dscnt 0x0
	v_pk_mul_f32 v[130:131], v[126:127], v[128:129] op_sel:[1,1] op_sel_hi:[0,1]
	v_pk_fma_f32 v[132:133], v[126:127], v[128:129], v[130:131] op_sel_hi:[1,0,1]
	v_pk_fma_f32 v[126:127], v[126:127], v[128:129], v[130:131] neg_lo:[0,0,1] neg_hi:[0,0,1]
	s_delay_alu instid0(VALU_DEP_2)
	v_mov_b32_e32 v127, v133
	scratch_store_b64 off, v[126:127], off offset:432
.LBB60_65:
	s_wait_xcnt 0x0
	s_or_b32 exec_lo, exec_lo, s2
	scratch_load_b64 v[126:127], off, off offset:424
	v_cmp_lt_u32_e64 s1, 53, v0
	s_wait_loadcnt 0x0
	ds_store_b64 v1, v[126:127]
	s_wait_storecnt_dscnt 0x0
	s_barrier_signal -1
	s_barrier_wait -1
	s_wait_xcnt 0x0
	s_and_saveexec_b32 s2, s1
	s_cbranch_execz .LBB60_75
; %bb.66:
	s_and_not1_b32 vcc_lo, exec_lo, s3
	s_cbranch_vccnz .LBB60_68
; %bb.67:
	scratch_load_b64 v[126:127], v39, off
	ds_load_b64 v[128:129], v1
	s_wait_loadcnt_dscnt 0x0
	v_pk_mul_f32 v[130:131], v[128:129], v[126:127] op_sel:[1,1] op_sel_hi:[0,1]
	s_delay_alu instid0(VALU_DEP_1) | instskip(SKIP_1) | instid1(VALU_DEP_2)
	v_pk_fma_f32 v[132:133], v[128:129], v[126:127], v[130:131] op_sel_hi:[1,0,1]
	v_pk_fma_f32 v[126:127], v[128:129], v[126:127], v[130:131] neg_lo:[0,0,1] neg_hi:[0,0,1]
	v_mov_b32_e32 v127, v133
	s_cbranch_execz .LBB60_69
	s_branch .LBB60_70
.LBB60_68:
                                        ; implicit-def: $vgpr126_vgpr127
.LBB60_69:
	ds_load_b64 v[126:127], v1
.LBB60_70:
	s_and_saveexec_b32 s34, s0
	s_cbranch_execz .LBB60_74
; %bb.71:
	v_subrev_nc_u32_e32 v128, 54, v0
	s_movk_i32 s35, 0x3a0
	s_mov_b32 s0, 0
.LBB60_72:                              ; =>This Inner Loop Header: Depth=1
	scratch_load_b64 v[130:131], off, s33
	v_dual_mov_b32 v129, s35 :: v_dual_add_nc_u32 v128, -1, v128
	s_add_co_i32 s35, s35, 8
	s_wait_xcnt 0x0
	s_add_co_i32 s33, s33, 8
	ds_load_b64 v[132:133], v129
	v_cmp_eq_u32_e32 vcc_lo, 0, v128
	s_or_b32 s0, vcc_lo, s0
	s_wait_loadcnt_dscnt 0x0
	v_pk_mul_f32 v[134:135], v[132:133], v[130:131] op_sel:[1,1] op_sel_hi:[0,1]
	s_delay_alu instid0(VALU_DEP_1) | instskip(SKIP_1) | instid1(VALU_DEP_2)
	v_pk_fma_f32 v[136:137], v[132:133], v[130:131], v[134:135] op_sel_hi:[1,0,1]
	v_pk_fma_f32 v[130:131], v[132:133], v[130:131], v[134:135] neg_lo:[0,0,1] neg_hi:[0,0,1]
	v_mov_b32_e32 v131, v137
	s_delay_alu instid0(VALU_DEP_1)
	v_pk_add_f32 v[126:127], v[126:127], v[130:131]
	s_and_not1_b32 exec_lo, exec_lo, s0
	s_cbranch_execnz .LBB60_72
; %bb.73:
	s_or_b32 exec_lo, exec_lo, s0
.LBB60_74:
	s_delay_alu instid0(SALU_CYCLE_1) | instskip(SKIP_4) | instid1(VALU_DEP_1)
	s_or_b32 exec_lo, exec_lo, s34
	v_mov_b32_e32 v128, 0
	ds_load_b64 v[128:129], v128 offset:424
	s_wait_dscnt 0x0
	v_pk_mul_f32 v[130:131], v[126:127], v[128:129] op_sel:[1,1] op_sel_hi:[0,1]
	v_pk_fma_f32 v[132:133], v[126:127], v[128:129], v[130:131] op_sel_hi:[1,0,1]
	v_pk_fma_f32 v[126:127], v[126:127], v[128:129], v[130:131] neg_lo:[0,0,1] neg_hi:[0,0,1]
	s_delay_alu instid0(VALU_DEP_2)
	v_mov_b32_e32 v127, v133
	scratch_store_b64 off, v[126:127], off offset:424
.LBB60_75:
	s_wait_xcnt 0x0
	s_or_b32 exec_lo, exec_lo, s2
	scratch_load_b64 v[126:127], off, off offset:416
	v_cmp_lt_u32_e64 s0, 52, v0
	s_wait_loadcnt 0x0
	ds_store_b64 v1, v[126:127]
	s_wait_storecnt_dscnt 0x0
	s_barrier_signal -1
	s_barrier_wait -1
	s_wait_xcnt 0x0
	s_and_saveexec_b32 s2, s0
	s_cbranch_execz .LBB60_85
; %bb.76:
	s_and_not1_b32 vcc_lo, exec_lo, s3
	s_cbranch_vccnz .LBB60_78
; %bb.77:
	scratch_load_b64 v[126:127], v39, off
	ds_load_b64 v[128:129], v1
	s_wait_loadcnt_dscnt 0x0
	v_pk_mul_f32 v[130:131], v[128:129], v[126:127] op_sel:[1,1] op_sel_hi:[0,1]
	s_delay_alu instid0(VALU_DEP_1) | instskip(SKIP_1) | instid1(VALU_DEP_2)
	v_pk_fma_f32 v[132:133], v[128:129], v[126:127], v[130:131] op_sel_hi:[1,0,1]
	v_pk_fma_f32 v[126:127], v[128:129], v[126:127], v[130:131] neg_lo:[0,0,1] neg_hi:[0,0,1]
	v_mov_b32_e32 v127, v133
	s_cbranch_execz .LBB60_79
	s_branch .LBB60_80
.LBB60_78:
                                        ; implicit-def: $vgpr126_vgpr127
.LBB60_79:
	ds_load_b64 v[126:127], v1
.LBB60_80:
	s_and_saveexec_b32 s33, s1
	s_cbranch_execz .LBB60_84
; %bb.81:
	v_subrev_nc_u32_e32 v128, 53, v0
	s_movk_i32 s1, 0x1a8
	s_movk_i32 s35, 0x398
	s_mov_b32 s34, 0
.LBB60_82:                              ; =>This Inner Loop Header: Depth=1
	scratch_load_b64 v[130:131], off, s1
	v_dual_mov_b32 v129, s35 :: v_dual_add_nc_u32 v128, -1, v128
	s_add_co_i32 s35, s35, 8
	s_wait_xcnt 0x0
	s_add_co_i32 s1, s1, 8
	ds_load_b64 v[132:133], v129
	v_cmp_eq_u32_e32 vcc_lo, 0, v128
	s_or_b32 s34, vcc_lo, s34
	s_wait_loadcnt_dscnt 0x0
	v_pk_mul_f32 v[134:135], v[132:133], v[130:131] op_sel:[1,1] op_sel_hi:[0,1]
	s_delay_alu instid0(VALU_DEP_1) | instskip(SKIP_1) | instid1(VALU_DEP_2)
	v_pk_fma_f32 v[136:137], v[132:133], v[130:131], v[134:135] op_sel_hi:[1,0,1]
	v_pk_fma_f32 v[130:131], v[132:133], v[130:131], v[134:135] neg_lo:[0,0,1] neg_hi:[0,0,1]
	v_mov_b32_e32 v131, v137
	s_delay_alu instid0(VALU_DEP_1)
	v_pk_add_f32 v[126:127], v[126:127], v[130:131]
	s_and_not1_b32 exec_lo, exec_lo, s34
	s_cbranch_execnz .LBB60_82
; %bb.83:
	s_or_b32 exec_lo, exec_lo, s34
.LBB60_84:
	s_delay_alu instid0(SALU_CYCLE_1) | instskip(SKIP_4) | instid1(VALU_DEP_1)
	s_or_b32 exec_lo, exec_lo, s33
	v_mov_b32_e32 v128, 0
	ds_load_b64 v[128:129], v128 offset:416
	s_wait_dscnt 0x0
	v_pk_mul_f32 v[130:131], v[126:127], v[128:129] op_sel:[1,1] op_sel_hi:[0,1]
	v_pk_fma_f32 v[132:133], v[126:127], v[128:129], v[130:131] op_sel_hi:[1,0,1]
	v_pk_fma_f32 v[126:127], v[126:127], v[128:129], v[130:131] neg_lo:[0,0,1] neg_hi:[0,0,1]
	s_delay_alu instid0(VALU_DEP_2)
	v_mov_b32_e32 v127, v133
	scratch_store_b64 off, v[126:127], off offset:416
.LBB60_85:
	s_wait_xcnt 0x0
	s_or_b32 exec_lo, exec_lo, s2
	scratch_load_b64 v[126:127], off, off offset:408
	v_cmp_lt_u32_e64 s1, 51, v0
	s_wait_loadcnt 0x0
	ds_store_b64 v1, v[126:127]
	s_wait_storecnt_dscnt 0x0
	s_barrier_signal -1
	s_barrier_wait -1
	s_wait_xcnt 0x0
	s_and_saveexec_b32 s2, s1
	s_cbranch_execz .LBB60_95
; %bb.86:
	s_and_not1_b32 vcc_lo, exec_lo, s3
	s_cbranch_vccnz .LBB60_88
; %bb.87:
	scratch_load_b64 v[126:127], v39, off
	ds_load_b64 v[128:129], v1
	s_wait_loadcnt_dscnt 0x0
	v_pk_mul_f32 v[130:131], v[128:129], v[126:127] op_sel:[1,1] op_sel_hi:[0,1]
	s_delay_alu instid0(VALU_DEP_1) | instskip(SKIP_1) | instid1(VALU_DEP_2)
	v_pk_fma_f32 v[132:133], v[128:129], v[126:127], v[130:131] op_sel_hi:[1,0,1]
	v_pk_fma_f32 v[126:127], v[128:129], v[126:127], v[130:131] neg_lo:[0,0,1] neg_hi:[0,0,1]
	v_mov_b32_e32 v127, v133
	s_cbranch_execz .LBB60_89
	s_branch .LBB60_90
.LBB60_88:
                                        ; implicit-def: $vgpr126_vgpr127
.LBB60_89:
	ds_load_b64 v[126:127], v1
.LBB60_90:
	s_and_saveexec_b32 s33, s0
	s_cbranch_execz .LBB60_94
; %bb.91:
	v_subrev_nc_u32_e32 v128, 52, v0
	s_movk_i32 s34, 0x390
	s_mov_b32 s0, 0
.LBB60_92:                              ; =>This Inner Loop Header: Depth=1
	scratch_load_b64 v[130:131], off, s31
	v_dual_mov_b32 v129, s34 :: v_dual_add_nc_u32 v128, -1, v128
	s_add_co_i32 s34, s34, 8
	s_wait_xcnt 0x0
	s_add_co_i32 s31, s31, 8
	ds_load_b64 v[132:133], v129
	v_cmp_eq_u32_e32 vcc_lo, 0, v128
	s_or_b32 s0, vcc_lo, s0
	s_wait_loadcnt_dscnt 0x0
	v_pk_mul_f32 v[134:135], v[132:133], v[130:131] op_sel:[1,1] op_sel_hi:[0,1]
	s_delay_alu instid0(VALU_DEP_1) | instskip(SKIP_1) | instid1(VALU_DEP_2)
	v_pk_fma_f32 v[136:137], v[132:133], v[130:131], v[134:135] op_sel_hi:[1,0,1]
	v_pk_fma_f32 v[130:131], v[132:133], v[130:131], v[134:135] neg_lo:[0,0,1] neg_hi:[0,0,1]
	v_mov_b32_e32 v131, v137
	s_delay_alu instid0(VALU_DEP_1)
	v_pk_add_f32 v[126:127], v[126:127], v[130:131]
	s_and_not1_b32 exec_lo, exec_lo, s0
	s_cbranch_execnz .LBB60_92
; %bb.93:
	s_or_b32 exec_lo, exec_lo, s0
.LBB60_94:
	s_delay_alu instid0(SALU_CYCLE_1) | instskip(SKIP_4) | instid1(VALU_DEP_1)
	s_or_b32 exec_lo, exec_lo, s33
	v_mov_b32_e32 v128, 0
	ds_load_b64 v[128:129], v128 offset:408
	s_wait_dscnt 0x0
	v_pk_mul_f32 v[130:131], v[126:127], v[128:129] op_sel:[1,1] op_sel_hi:[0,1]
	v_pk_fma_f32 v[132:133], v[126:127], v[128:129], v[130:131] op_sel_hi:[1,0,1]
	v_pk_fma_f32 v[126:127], v[126:127], v[128:129], v[130:131] neg_lo:[0,0,1] neg_hi:[0,0,1]
	s_delay_alu instid0(VALU_DEP_2)
	v_mov_b32_e32 v127, v133
	scratch_store_b64 off, v[126:127], off offset:408
.LBB60_95:
	s_wait_xcnt 0x0
	s_or_b32 exec_lo, exec_lo, s2
	scratch_load_b64 v[126:127], off, off offset:400
	v_cmp_lt_u32_e64 s0, 50, v0
	s_wait_loadcnt 0x0
	ds_store_b64 v1, v[126:127]
	s_wait_storecnt_dscnt 0x0
	s_barrier_signal -1
	s_barrier_wait -1
	s_wait_xcnt 0x0
	s_and_saveexec_b32 s2, s0
	s_cbranch_execz .LBB60_105
; %bb.96:
	s_and_not1_b32 vcc_lo, exec_lo, s3
	s_cbranch_vccnz .LBB60_98
; %bb.97:
	scratch_load_b64 v[126:127], v39, off
	ds_load_b64 v[128:129], v1
	s_wait_loadcnt_dscnt 0x0
	v_pk_mul_f32 v[130:131], v[128:129], v[126:127] op_sel:[1,1] op_sel_hi:[0,1]
	s_delay_alu instid0(VALU_DEP_1) | instskip(SKIP_1) | instid1(VALU_DEP_2)
	v_pk_fma_f32 v[132:133], v[128:129], v[126:127], v[130:131] op_sel_hi:[1,0,1]
	v_pk_fma_f32 v[126:127], v[128:129], v[126:127], v[130:131] neg_lo:[0,0,1] neg_hi:[0,0,1]
	v_mov_b32_e32 v127, v133
	s_cbranch_execz .LBB60_99
	s_branch .LBB60_100
.LBB60_98:
                                        ; implicit-def: $vgpr126_vgpr127
.LBB60_99:
	ds_load_b64 v[126:127], v1
.LBB60_100:
	s_and_saveexec_b32 s31, s1
	s_cbranch_execz .LBB60_104
; %bb.101:
	v_subrev_nc_u32_e32 v128, 51, v0
	s_movk_i32 s1, 0x198
	s_movk_i32 s34, 0x388
	s_mov_b32 s33, 0
.LBB60_102:                             ; =>This Inner Loop Header: Depth=1
	scratch_load_b64 v[130:131], off, s1
	v_dual_mov_b32 v129, s34 :: v_dual_add_nc_u32 v128, -1, v128
	s_add_co_i32 s34, s34, 8
	s_wait_xcnt 0x0
	s_add_co_i32 s1, s1, 8
	ds_load_b64 v[132:133], v129
	v_cmp_eq_u32_e32 vcc_lo, 0, v128
	s_or_b32 s33, vcc_lo, s33
	s_wait_loadcnt_dscnt 0x0
	v_pk_mul_f32 v[134:135], v[132:133], v[130:131] op_sel:[1,1] op_sel_hi:[0,1]
	s_delay_alu instid0(VALU_DEP_1) | instskip(SKIP_1) | instid1(VALU_DEP_2)
	v_pk_fma_f32 v[136:137], v[132:133], v[130:131], v[134:135] op_sel_hi:[1,0,1]
	v_pk_fma_f32 v[130:131], v[132:133], v[130:131], v[134:135] neg_lo:[0,0,1] neg_hi:[0,0,1]
	v_mov_b32_e32 v131, v137
	s_delay_alu instid0(VALU_DEP_1)
	v_pk_add_f32 v[126:127], v[126:127], v[130:131]
	s_and_not1_b32 exec_lo, exec_lo, s33
	s_cbranch_execnz .LBB60_102
; %bb.103:
	s_or_b32 exec_lo, exec_lo, s33
.LBB60_104:
	s_delay_alu instid0(SALU_CYCLE_1) | instskip(SKIP_4) | instid1(VALU_DEP_1)
	s_or_b32 exec_lo, exec_lo, s31
	v_mov_b32_e32 v128, 0
	ds_load_b64 v[128:129], v128 offset:400
	s_wait_dscnt 0x0
	v_pk_mul_f32 v[130:131], v[126:127], v[128:129] op_sel:[1,1] op_sel_hi:[0,1]
	v_pk_fma_f32 v[132:133], v[126:127], v[128:129], v[130:131] op_sel_hi:[1,0,1]
	v_pk_fma_f32 v[126:127], v[126:127], v[128:129], v[130:131] neg_lo:[0,0,1] neg_hi:[0,0,1]
	s_delay_alu instid0(VALU_DEP_2)
	v_mov_b32_e32 v127, v133
	scratch_store_b64 off, v[126:127], off offset:400
.LBB60_105:
	s_wait_xcnt 0x0
	s_or_b32 exec_lo, exec_lo, s2
	scratch_load_b64 v[126:127], off, off offset:392
	v_cmp_lt_u32_e64 s1, 49, v0
	s_wait_loadcnt 0x0
	ds_store_b64 v1, v[126:127]
	s_wait_storecnt_dscnt 0x0
	s_barrier_signal -1
	s_barrier_wait -1
	s_wait_xcnt 0x0
	s_and_saveexec_b32 s2, s1
	s_cbranch_execz .LBB60_115
; %bb.106:
	s_and_not1_b32 vcc_lo, exec_lo, s3
	s_cbranch_vccnz .LBB60_108
; %bb.107:
	scratch_load_b64 v[126:127], v39, off
	ds_load_b64 v[128:129], v1
	s_wait_loadcnt_dscnt 0x0
	v_pk_mul_f32 v[130:131], v[128:129], v[126:127] op_sel:[1,1] op_sel_hi:[0,1]
	s_delay_alu instid0(VALU_DEP_1) | instskip(SKIP_1) | instid1(VALU_DEP_2)
	v_pk_fma_f32 v[132:133], v[128:129], v[126:127], v[130:131] op_sel_hi:[1,0,1]
	v_pk_fma_f32 v[126:127], v[128:129], v[126:127], v[130:131] neg_lo:[0,0,1] neg_hi:[0,0,1]
	v_mov_b32_e32 v127, v133
	s_cbranch_execz .LBB60_109
	s_branch .LBB60_110
.LBB60_108:
                                        ; implicit-def: $vgpr126_vgpr127
.LBB60_109:
	ds_load_b64 v[126:127], v1
.LBB60_110:
	s_and_saveexec_b32 s31, s0
	s_cbranch_execz .LBB60_114
; %bb.111:
	v_subrev_nc_u32_e32 v128, 50, v0
	s_movk_i32 s33, 0x380
	s_mov_b32 s0, 0
.LBB60_112:                             ; =>This Inner Loop Header: Depth=1
	scratch_load_b64 v[130:131], off, s30
	v_dual_mov_b32 v129, s33 :: v_dual_add_nc_u32 v128, -1, v128
	s_add_co_i32 s33, s33, 8
	s_wait_xcnt 0x0
	s_add_co_i32 s30, s30, 8
	ds_load_b64 v[132:133], v129
	v_cmp_eq_u32_e32 vcc_lo, 0, v128
	s_or_b32 s0, vcc_lo, s0
	s_wait_loadcnt_dscnt 0x0
	v_pk_mul_f32 v[134:135], v[132:133], v[130:131] op_sel:[1,1] op_sel_hi:[0,1]
	s_delay_alu instid0(VALU_DEP_1) | instskip(SKIP_1) | instid1(VALU_DEP_2)
	v_pk_fma_f32 v[136:137], v[132:133], v[130:131], v[134:135] op_sel_hi:[1,0,1]
	v_pk_fma_f32 v[130:131], v[132:133], v[130:131], v[134:135] neg_lo:[0,0,1] neg_hi:[0,0,1]
	v_mov_b32_e32 v131, v137
	s_delay_alu instid0(VALU_DEP_1)
	v_pk_add_f32 v[126:127], v[126:127], v[130:131]
	s_and_not1_b32 exec_lo, exec_lo, s0
	s_cbranch_execnz .LBB60_112
; %bb.113:
	s_or_b32 exec_lo, exec_lo, s0
.LBB60_114:
	s_delay_alu instid0(SALU_CYCLE_1) | instskip(SKIP_4) | instid1(VALU_DEP_1)
	s_or_b32 exec_lo, exec_lo, s31
	v_mov_b32_e32 v128, 0
	ds_load_b64 v[128:129], v128 offset:392
	s_wait_dscnt 0x0
	v_pk_mul_f32 v[130:131], v[126:127], v[128:129] op_sel:[1,1] op_sel_hi:[0,1]
	v_pk_fma_f32 v[132:133], v[126:127], v[128:129], v[130:131] op_sel_hi:[1,0,1]
	v_pk_fma_f32 v[126:127], v[126:127], v[128:129], v[130:131] neg_lo:[0,0,1] neg_hi:[0,0,1]
	s_delay_alu instid0(VALU_DEP_2)
	v_mov_b32_e32 v127, v133
	scratch_store_b64 off, v[126:127], off offset:392
.LBB60_115:
	s_wait_xcnt 0x0
	s_or_b32 exec_lo, exec_lo, s2
	scratch_load_b64 v[126:127], off, off offset:384
	v_cmp_lt_u32_e64 s0, 48, v0
	s_wait_loadcnt 0x0
	ds_store_b64 v1, v[126:127]
	s_wait_storecnt_dscnt 0x0
	s_barrier_signal -1
	s_barrier_wait -1
	s_wait_xcnt 0x0
	s_and_saveexec_b32 s2, s0
	s_cbranch_execz .LBB60_125
; %bb.116:
	s_and_not1_b32 vcc_lo, exec_lo, s3
	s_cbranch_vccnz .LBB60_118
; %bb.117:
	scratch_load_b64 v[126:127], v39, off
	ds_load_b64 v[128:129], v1
	s_wait_loadcnt_dscnt 0x0
	v_pk_mul_f32 v[130:131], v[128:129], v[126:127] op_sel:[1,1] op_sel_hi:[0,1]
	s_delay_alu instid0(VALU_DEP_1) | instskip(SKIP_1) | instid1(VALU_DEP_2)
	v_pk_fma_f32 v[132:133], v[128:129], v[126:127], v[130:131] op_sel_hi:[1,0,1]
	v_pk_fma_f32 v[126:127], v[128:129], v[126:127], v[130:131] neg_lo:[0,0,1] neg_hi:[0,0,1]
	v_mov_b32_e32 v127, v133
	s_cbranch_execz .LBB60_119
	s_branch .LBB60_120
.LBB60_118:
                                        ; implicit-def: $vgpr126_vgpr127
.LBB60_119:
	ds_load_b64 v[126:127], v1
.LBB60_120:
	s_and_saveexec_b32 s30, s1
	s_cbranch_execz .LBB60_124
; %bb.121:
	v_subrev_nc_u32_e32 v128, 49, v0
	s_movk_i32 s1, 0x188
	s_movk_i32 s33, 0x378
	s_mov_b32 s31, 0
.LBB60_122:                             ; =>This Inner Loop Header: Depth=1
	scratch_load_b64 v[130:131], off, s1
	v_dual_mov_b32 v129, s33 :: v_dual_add_nc_u32 v128, -1, v128
	s_add_co_i32 s33, s33, 8
	s_wait_xcnt 0x0
	s_add_co_i32 s1, s1, 8
	ds_load_b64 v[132:133], v129
	v_cmp_eq_u32_e32 vcc_lo, 0, v128
	s_or_b32 s31, vcc_lo, s31
	s_wait_loadcnt_dscnt 0x0
	v_pk_mul_f32 v[134:135], v[132:133], v[130:131] op_sel:[1,1] op_sel_hi:[0,1]
	s_delay_alu instid0(VALU_DEP_1) | instskip(SKIP_1) | instid1(VALU_DEP_2)
	v_pk_fma_f32 v[136:137], v[132:133], v[130:131], v[134:135] op_sel_hi:[1,0,1]
	v_pk_fma_f32 v[130:131], v[132:133], v[130:131], v[134:135] neg_lo:[0,0,1] neg_hi:[0,0,1]
	v_mov_b32_e32 v131, v137
	s_delay_alu instid0(VALU_DEP_1)
	v_pk_add_f32 v[126:127], v[126:127], v[130:131]
	s_and_not1_b32 exec_lo, exec_lo, s31
	s_cbranch_execnz .LBB60_122
; %bb.123:
	s_or_b32 exec_lo, exec_lo, s31
.LBB60_124:
	s_delay_alu instid0(SALU_CYCLE_1) | instskip(SKIP_4) | instid1(VALU_DEP_1)
	s_or_b32 exec_lo, exec_lo, s30
	v_mov_b32_e32 v128, 0
	ds_load_b64 v[128:129], v128 offset:384
	s_wait_dscnt 0x0
	v_pk_mul_f32 v[130:131], v[126:127], v[128:129] op_sel:[1,1] op_sel_hi:[0,1]
	v_pk_fma_f32 v[132:133], v[126:127], v[128:129], v[130:131] op_sel_hi:[1,0,1]
	v_pk_fma_f32 v[126:127], v[126:127], v[128:129], v[130:131] neg_lo:[0,0,1] neg_hi:[0,0,1]
	s_delay_alu instid0(VALU_DEP_2)
	v_mov_b32_e32 v127, v133
	scratch_store_b64 off, v[126:127], off offset:384
.LBB60_125:
	s_wait_xcnt 0x0
	s_or_b32 exec_lo, exec_lo, s2
	scratch_load_b64 v[126:127], off, off offset:376
	v_cmp_lt_u32_e64 s1, 47, v0
	s_wait_loadcnt 0x0
	ds_store_b64 v1, v[126:127]
	s_wait_storecnt_dscnt 0x0
	s_barrier_signal -1
	s_barrier_wait -1
	s_wait_xcnt 0x0
	s_and_saveexec_b32 s2, s1
	s_cbranch_execz .LBB60_135
; %bb.126:
	s_and_not1_b32 vcc_lo, exec_lo, s3
	s_cbranch_vccnz .LBB60_128
; %bb.127:
	scratch_load_b64 v[126:127], v39, off
	ds_load_b64 v[128:129], v1
	s_wait_loadcnt_dscnt 0x0
	v_pk_mul_f32 v[130:131], v[128:129], v[126:127] op_sel:[1,1] op_sel_hi:[0,1]
	s_delay_alu instid0(VALU_DEP_1) | instskip(SKIP_1) | instid1(VALU_DEP_2)
	v_pk_fma_f32 v[132:133], v[128:129], v[126:127], v[130:131] op_sel_hi:[1,0,1]
	v_pk_fma_f32 v[126:127], v[128:129], v[126:127], v[130:131] neg_lo:[0,0,1] neg_hi:[0,0,1]
	v_mov_b32_e32 v127, v133
	s_cbranch_execz .LBB60_129
	s_branch .LBB60_130
.LBB60_128:
                                        ; implicit-def: $vgpr126_vgpr127
.LBB60_129:
	ds_load_b64 v[126:127], v1
.LBB60_130:
	s_and_saveexec_b32 s30, s0
	s_cbranch_execz .LBB60_134
; %bb.131:
	v_subrev_nc_u32_e32 v128, 48, v0
	s_movk_i32 s31, 0x370
	s_mov_b32 s0, 0
.LBB60_132:                             ; =>This Inner Loop Header: Depth=1
	scratch_load_b64 v[130:131], off, s29
	v_dual_mov_b32 v129, s31 :: v_dual_add_nc_u32 v128, -1, v128
	s_add_co_i32 s31, s31, 8
	s_wait_xcnt 0x0
	s_add_co_i32 s29, s29, 8
	ds_load_b64 v[132:133], v129
	v_cmp_eq_u32_e32 vcc_lo, 0, v128
	s_or_b32 s0, vcc_lo, s0
	s_wait_loadcnt_dscnt 0x0
	v_pk_mul_f32 v[134:135], v[132:133], v[130:131] op_sel:[1,1] op_sel_hi:[0,1]
	s_delay_alu instid0(VALU_DEP_1) | instskip(SKIP_1) | instid1(VALU_DEP_2)
	v_pk_fma_f32 v[136:137], v[132:133], v[130:131], v[134:135] op_sel_hi:[1,0,1]
	v_pk_fma_f32 v[130:131], v[132:133], v[130:131], v[134:135] neg_lo:[0,0,1] neg_hi:[0,0,1]
	v_mov_b32_e32 v131, v137
	s_delay_alu instid0(VALU_DEP_1)
	v_pk_add_f32 v[126:127], v[126:127], v[130:131]
	s_and_not1_b32 exec_lo, exec_lo, s0
	s_cbranch_execnz .LBB60_132
; %bb.133:
	s_or_b32 exec_lo, exec_lo, s0
.LBB60_134:
	s_delay_alu instid0(SALU_CYCLE_1) | instskip(SKIP_4) | instid1(VALU_DEP_1)
	s_or_b32 exec_lo, exec_lo, s30
	v_mov_b32_e32 v128, 0
	ds_load_b64 v[128:129], v128 offset:376
	s_wait_dscnt 0x0
	v_pk_mul_f32 v[130:131], v[126:127], v[128:129] op_sel:[1,1] op_sel_hi:[0,1]
	v_pk_fma_f32 v[132:133], v[126:127], v[128:129], v[130:131] op_sel_hi:[1,0,1]
	v_pk_fma_f32 v[126:127], v[126:127], v[128:129], v[130:131] neg_lo:[0,0,1] neg_hi:[0,0,1]
	s_delay_alu instid0(VALU_DEP_2)
	v_mov_b32_e32 v127, v133
	scratch_store_b64 off, v[126:127], off offset:376
.LBB60_135:
	s_wait_xcnt 0x0
	s_or_b32 exec_lo, exec_lo, s2
	scratch_load_b64 v[126:127], off, off offset:368
	v_cmp_lt_u32_e64 s0, 46, v0
	s_wait_loadcnt 0x0
	ds_store_b64 v1, v[126:127]
	s_wait_storecnt_dscnt 0x0
	s_barrier_signal -1
	s_barrier_wait -1
	s_wait_xcnt 0x0
	s_and_saveexec_b32 s2, s0
	s_cbranch_execz .LBB60_145
; %bb.136:
	s_and_not1_b32 vcc_lo, exec_lo, s3
	s_cbranch_vccnz .LBB60_138
; %bb.137:
	scratch_load_b64 v[126:127], v39, off
	ds_load_b64 v[128:129], v1
	s_wait_loadcnt_dscnt 0x0
	v_pk_mul_f32 v[130:131], v[128:129], v[126:127] op_sel:[1,1] op_sel_hi:[0,1]
	s_delay_alu instid0(VALU_DEP_1) | instskip(SKIP_1) | instid1(VALU_DEP_2)
	v_pk_fma_f32 v[132:133], v[128:129], v[126:127], v[130:131] op_sel_hi:[1,0,1]
	v_pk_fma_f32 v[126:127], v[128:129], v[126:127], v[130:131] neg_lo:[0,0,1] neg_hi:[0,0,1]
	v_mov_b32_e32 v127, v133
	s_cbranch_execz .LBB60_139
	s_branch .LBB60_140
.LBB60_138:
                                        ; implicit-def: $vgpr126_vgpr127
.LBB60_139:
	ds_load_b64 v[126:127], v1
.LBB60_140:
	s_and_saveexec_b32 s29, s1
	s_cbranch_execz .LBB60_144
; %bb.141:
	v_subrev_nc_u32_e32 v128, 47, v0
	s_movk_i32 s1, 0x178
	s_movk_i32 s31, 0x368
	s_mov_b32 s30, 0
.LBB60_142:                             ; =>This Inner Loop Header: Depth=1
	scratch_load_b64 v[130:131], off, s1
	v_dual_mov_b32 v129, s31 :: v_dual_add_nc_u32 v128, -1, v128
	s_add_co_i32 s31, s31, 8
	s_wait_xcnt 0x0
	s_add_co_i32 s1, s1, 8
	ds_load_b64 v[132:133], v129
	v_cmp_eq_u32_e32 vcc_lo, 0, v128
	s_or_b32 s30, vcc_lo, s30
	s_wait_loadcnt_dscnt 0x0
	v_pk_mul_f32 v[134:135], v[132:133], v[130:131] op_sel:[1,1] op_sel_hi:[0,1]
	s_delay_alu instid0(VALU_DEP_1) | instskip(SKIP_1) | instid1(VALU_DEP_2)
	v_pk_fma_f32 v[136:137], v[132:133], v[130:131], v[134:135] op_sel_hi:[1,0,1]
	v_pk_fma_f32 v[130:131], v[132:133], v[130:131], v[134:135] neg_lo:[0,0,1] neg_hi:[0,0,1]
	v_mov_b32_e32 v131, v137
	s_delay_alu instid0(VALU_DEP_1)
	v_pk_add_f32 v[126:127], v[126:127], v[130:131]
	s_and_not1_b32 exec_lo, exec_lo, s30
	s_cbranch_execnz .LBB60_142
; %bb.143:
	s_or_b32 exec_lo, exec_lo, s30
.LBB60_144:
	s_delay_alu instid0(SALU_CYCLE_1) | instskip(SKIP_4) | instid1(VALU_DEP_1)
	s_or_b32 exec_lo, exec_lo, s29
	v_mov_b32_e32 v128, 0
	ds_load_b64 v[128:129], v128 offset:368
	s_wait_dscnt 0x0
	v_pk_mul_f32 v[130:131], v[126:127], v[128:129] op_sel:[1,1] op_sel_hi:[0,1]
	v_pk_fma_f32 v[132:133], v[126:127], v[128:129], v[130:131] op_sel_hi:[1,0,1]
	v_pk_fma_f32 v[126:127], v[126:127], v[128:129], v[130:131] neg_lo:[0,0,1] neg_hi:[0,0,1]
	s_delay_alu instid0(VALU_DEP_2)
	v_mov_b32_e32 v127, v133
	scratch_store_b64 off, v[126:127], off offset:368
.LBB60_145:
	s_wait_xcnt 0x0
	s_or_b32 exec_lo, exec_lo, s2
	scratch_load_b64 v[126:127], off, off offset:360
	v_cmp_lt_u32_e64 s1, 45, v0
	s_wait_loadcnt 0x0
	ds_store_b64 v1, v[126:127]
	s_wait_storecnt_dscnt 0x0
	s_barrier_signal -1
	s_barrier_wait -1
	s_wait_xcnt 0x0
	s_and_saveexec_b32 s2, s1
	s_cbranch_execz .LBB60_155
; %bb.146:
	s_and_not1_b32 vcc_lo, exec_lo, s3
	s_cbranch_vccnz .LBB60_148
; %bb.147:
	scratch_load_b64 v[126:127], v39, off
	ds_load_b64 v[128:129], v1
	s_wait_loadcnt_dscnt 0x0
	v_pk_mul_f32 v[130:131], v[128:129], v[126:127] op_sel:[1,1] op_sel_hi:[0,1]
	s_delay_alu instid0(VALU_DEP_1) | instskip(SKIP_1) | instid1(VALU_DEP_2)
	v_pk_fma_f32 v[132:133], v[128:129], v[126:127], v[130:131] op_sel_hi:[1,0,1]
	v_pk_fma_f32 v[126:127], v[128:129], v[126:127], v[130:131] neg_lo:[0,0,1] neg_hi:[0,0,1]
	v_mov_b32_e32 v127, v133
	s_cbranch_execz .LBB60_149
	s_branch .LBB60_150
.LBB60_148:
                                        ; implicit-def: $vgpr126_vgpr127
.LBB60_149:
	ds_load_b64 v[126:127], v1
.LBB60_150:
	s_and_saveexec_b32 s29, s0
	s_cbranch_execz .LBB60_154
; %bb.151:
	v_subrev_nc_u32_e32 v128, 46, v0
	s_movk_i32 s30, 0x360
	s_mov_b32 s0, 0
.LBB60_152:                             ; =>This Inner Loop Header: Depth=1
	scratch_load_b64 v[130:131], off, s28
	v_dual_mov_b32 v129, s30 :: v_dual_add_nc_u32 v128, -1, v128
	s_add_co_i32 s30, s30, 8
	s_wait_xcnt 0x0
	s_add_co_i32 s28, s28, 8
	ds_load_b64 v[132:133], v129
	v_cmp_eq_u32_e32 vcc_lo, 0, v128
	s_or_b32 s0, vcc_lo, s0
	s_wait_loadcnt_dscnt 0x0
	v_pk_mul_f32 v[134:135], v[132:133], v[130:131] op_sel:[1,1] op_sel_hi:[0,1]
	s_delay_alu instid0(VALU_DEP_1) | instskip(SKIP_1) | instid1(VALU_DEP_2)
	v_pk_fma_f32 v[136:137], v[132:133], v[130:131], v[134:135] op_sel_hi:[1,0,1]
	v_pk_fma_f32 v[130:131], v[132:133], v[130:131], v[134:135] neg_lo:[0,0,1] neg_hi:[0,0,1]
	v_mov_b32_e32 v131, v137
	s_delay_alu instid0(VALU_DEP_1)
	v_pk_add_f32 v[126:127], v[126:127], v[130:131]
	s_and_not1_b32 exec_lo, exec_lo, s0
	s_cbranch_execnz .LBB60_152
; %bb.153:
	s_or_b32 exec_lo, exec_lo, s0
.LBB60_154:
	s_delay_alu instid0(SALU_CYCLE_1) | instskip(SKIP_4) | instid1(VALU_DEP_1)
	s_or_b32 exec_lo, exec_lo, s29
	v_mov_b32_e32 v128, 0
	ds_load_b64 v[128:129], v128 offset:360
	s_wait_dscnt 0x0
	v_pk_mul_f32 v[130:131], v[126:127], v[128:129] op_sel:[1,1] op_sel_hi:[0,1]
	v_pk_fma_f32 v[132:133], v[126:127], v[128:129], v[130:131] op_sel_hi:[1,0,1]
	v_pk_fma_f32 v[126:127], v[126:127], v[128:129], v[130:131] neg_lo:[0,0,1] neg_hi:[0,0,1]
	s_delay_alu instid0(VALU_DEP_2)
	v_mov_b32_e32 v127, v133
	scratch_store_b64 off, v[126:127], off offset:360
.LBB60_155:
	s_wait_xcnt 0x0
	s_or_b32 exec_lo, exec_lo, s2
	scratch_load_b64 v[126:127], off, off offset:352
	v_cmp_lt_u32_e64 s0, 44, v0
	s_wait_loadcnt 0x0
	ds_store_b64 v1, v[126:127]
	s_wait_storecnt_dscnt 0x0
	s_barrier_signal -1
	s_barrier_wait -1
	s_wait_xcnt 0x0
	s_and_saveexec_b32 s2, s0
	s_cbranch_execz .LBB60_165
; %bb.156:
	s_and_not1_b32 vcc_lo, exec_lo, s3
	s_cbranch_vccnz .LBB60_158
; %bb.157:
	scratch_load_b64 v[126:127], v39, off
	ds_load_b64 v[128:129], v1
	s_wait_loadcnt_dscnt 0x0
	v_pk_mul_f32 v[130:131], v[128:129], v[126:127] op_sel:[1,1] op_sel_hi:[0,1]
	s_delay_alu instid0(VALU_DEP_1) | instskip(SKIP_1) | instid1(VALU_DEP_2)
	v_pk_fma_f32 v[132:133], v[128:129], v[126:127], v[130:131] op_sel_hi:[1,0,1]
	v_pk_fma_f32 v[126:127], v[128:129], v[126:127], v[130:131] neg_lo:[0,0,1] neg_hi:[0,0,1]
	v_mov_b32_e32 v127, v133
	s_cbranch_execz .LBB60_159
	s_branch .LBB60_160
.LBB60_158:
                                        ; implicit-def: $vgpr126_vgpr127
.LBB60_159:
	ds_load_b64 v[126:127], v1
.LBB60_160:
	s_and_saveexec_b32 s28, s1
	s_cbranch_execz .LBB60_164
; %bb.161:
	v_subrev_nc_u32_e32 v128, 45, v0
	s_movk_i32 s1, 0x168
	s_movk_i32 s30, 0x358
	s_mov_b32 s29, 0
.LBB60_162:                             ; =>This Inner Loop Header: Depth=1
	scratch_load_b64 v[130:131], off, s1
	v_dual_mov_b32 v129, s30 :: v_dual_add_nc_u32 v128, -1, v128
	s_add_co_i32 s30, s30, 8
	s_wait_xcnt 0x0
	s_add_co_i32 s1, s1, 8
	ds_load_b64 v[132:133], v129
	v_cmp_eq_u32_e32 vcc_lo, 0, v128
	s_or_b32 s29, vcc_lo, s29
	s_wait_loadcnt_dscnt 0x0
	v_pk_mul_f32 v[134:135], v[132:133], v[130:131] op_sel:[1,1] op_sel_hi:[0,1]
	s_delay_alu instid0(VALU_DEP_1) | instskip(SKIP_1) | instid1(VALU_DEP_2)
	v_pk_fma_f32 v[136:137], v[132:133], v[130:131], v[134:135] op_sel_hi:[1,0,1]
	v_pk_fma_f32 v[130:131], v[132:133], v[130:131], v[134:135] neg_lo:[0,0,1] neg_hi:[0,0,1]
	v_mov_b32_e32 v131, v137
	s_delay_alu instid0(VALU_DEP_1)
	v_pk_add_f32 v[126:127], v[126:127], v[130:131]
	s_and_not1_b32 exec_lo, exec_lo, s29
	s_cbranch_execnz .LBB60_162
; %bb.163:
	s_or_b32 exec_lo, exec_lo, s29
.LBB60_164:
	s_delay_alu instid0(SALU_CYCLE_1) | instskip(SKIP_4) | instid1(VALU_DEP_1)
	s_or_b32 exec_lo, exec_lo, s28
	v_mov_b32_e32 v128, 0
	ds_load_b64 v[128:129], v128 offset:352
	s_wait_dscnt 0x0
	v_pk_mul_f32 v[130:131], v[126:127], v[128:129] op_sel:[1,1] op_sel_hi:[0,1]
	v_pk_fma_f32 v[132:133], v[126:127], v[128:129], v[130:131] op_sel_hi:[1,0,1]
	v_pk_fma_f32 v[126:127], v[126:127], v[128:129], v[130:131] neg_lo:[0,0,1] neg_hi:[0,0,1]
	s_delay_alu instid0(VALU_DEP_2)
	v_mov_b32_e32 v127, v133
	scratch_store_b64 off, v[126:127], off offset:352
.LBB60_165:
	s_wait_xcnt 0x0
	s_or_b32 exec_lo, exec_lo, s2
	scratch_load_b64 v[126:127], off, off offset:344
	v_cmp_lt_u32_e64 s1, 43, v0
	s_wait_loadcnt 0x0
	ds_store_b64 v1, v[126:127]
	s_wait_storecnt_dscnt 0x0
	s_barrier_signal -1
	s_barrier_wait -1
	s_wait_xcnt 0x0
	s_and_saveexec_b32 s2, s1
	s_cbranch_execz .LBB60_175
; %bb.166:
	s_and_not1_b32 vcc_lo, exec_lo, s3
	s_cbranch_vccnz .LBB60_168
; %bb.167:
	scratch_load_b64 v[126:127], v39, off
	ds_load_b64 v[128:129], v1
	s_wait_loadcnt_dscnt 0x0
	v_pk_mul_f32 v[130:131], v[128:129], v[126:127] op_sel:[1,1] op_sel_hi:[0,1]
	s_delay_alu instid0(VALU_DEP_1) | instskip(SKIP_1) | instid1(VALU_DEP_2)
	v_pk_fma_f32 v[132:133], v[128:129], v[126:127], v[130:131] op_sel_hi:[1,0,1]
	v_pk_fma_f32 v[126:127], v[128:129], v[126:127], v[130:131] neg_lo:[0,0,1] neg_hi:[0,0,1]
	v_mov_b32_e32 v127, v133
	s_cbranch_execz .LBB60_169
	s_branch .LBB60_170
.LBB60_168:
                                        ; implicit-def: $vgpr126_vgpr127
.LBB60_169:
	ds_load_b64 v[126:127], v1
.LBB60_170:
	s_and_saveexec_b32 s28, s0
	s_cbranch_execz .LBB60_174
; %bb.171:
	v_subrev_nc_u32_e32 v128, 44, v0
	s_movk_i32 s29, 0x350
	s_mov_b32 s0, 0
.LBB60_172:                             ; =>This Inner Loop Header: Depth=1
	scratch_load_b64 v[130:131], off, s27
	v_dual_mov_b32 v129, s29 :: v_dual_add_nc_u32 v128, -1, v128
	s_add_co_i32 s29, s29, 8
	s_wait_xcnt 0x0
	s_add_co_i32 s27, s27, 8
	ds_load_b64 v[132:133], v129
	v_cmp_eq_u32_e32 vcc_lo, 0, v128
	s_or_b32 s0, vcc_lo, s0
	s_wait_loadcnt_dscnt 0x0
	v_pk_mul_f32 v[134:135], v[132:133], v[130:131] op_sel:[1,1] op_sel_hi:[0,1]
	s_delay_alu instid0(VALU_DEP_1) | instskip(SKIP_1) | instid1(VALU_DEP_2)
	v_pk_fma_f32 v[136:137], v[132:133], v[130:131], v[134:135] op_sel_hi:[1,0,1]
	v_pk_fma_f32 v[130:131], v[132:133], v[130:131], v[134:135] neg_lo:[0,0,1] neg_hi:[0,0,1]
	v_mov_b32_e32 v131, v137
	s_delay_alu instid0(VALU_DEP_1)
	v_pk_add_f32 v[126:127], v[126:127], v[130:131]
	s_and_not1_b32 exec_lo, exec_lo, s0
	s_cbranch_execnz .LBB60_172
; %bb.173:
	s_or_b32 exec_lo, exec_lo, s0
.LBB60_174:
	s_delay_alu instid0(SALU_CYCLE_1) | instskip(SKIP_4) | instid1(VALU_DEP_1)
	s_or_b32 exec_lo, exec_lo, s28
	v_mov_b32_e32 v128, 0
	ds_load_b64 v[128:129], v128 offset:344
	s_wait_dscnt 0x0
	v_pk_mul_f32 v[130:131], v[126:127], v[128:129] op_sel:[1,1] op_sel_hi:[0,1]
	v_pk_fma_f32 v[132:133], v[126:127], v[128:129], v[130:131] op_sel_hi:[1,0,1]
	v_pk_fma_f32 v[126:127], v[126:127], v[128:129], v[130:131] neg_lo:[0,0,1] neg_hi:[0,0,1]
	s_delay_alu instid0(VALU_DEP_2)
	v_mov_b32_e32 v127, v133
	scratch_store_b64 off, v[126:127], off offset:344
.LBB60_175:
	s_wait_xcnt 0x0
	s_or_b32 exec_lo, exec_lo, s2
	scratch_load_b64 v[126:127], off, off offset:336
	v_cmp_lt_u32_e64 s0, 42, v0
	s_wait_loadcnt 0x0
	ds_store_b64 v1, v[126:127]
	s_wait_storecnt_dscnt 0x0
	s_barrier_signal -1
	s_barrier_wait -1
	s_wait_xcnt 0x0
	s_and_saveexec_b32 s2, s0
	s_cbranch_execz .LBB60_185
; %bb.176:
	s_and_not1_b32 vcc_lo, exec_lo, s3
	s_cbranch_vccnz .LBB60_178
; %bb.177:
	scratch_load_b64 v[126:127], v39, off
	ds_load_b64 v[128:129], v1
	s_wait_loadcnt_dscnt 0x0
	v_pk_mul_f32 v[130:131], v[128:129], v[126:127] op_sel:[1,1] op_sel_hi:[0,1]
	s_delay_alu instid0(VALU_DEP_1) | instskip(SKIP_1) | instid1(VALU_DEP_2)
	v_pk_fma_f32 v[132:133], v[128:129], v[126:127], v[130:131] op_sel_hi:[1,0,1]
	v_pk_fma_f32 v[126:127], v[128:129], v[126:127], v[130:131] neg_lo:[0,0,1] neg_hi:[0,0,1]
	v_mov_b32_e32 v127, v133
	s_cbranch_execz .LBB60_179
	s_branch .LBB60_180
.LBB60_178:
                                        ; implicit-def: $vgpr126_vgpr127
.LBB60_179:
	ds_load_b64 v[126:127], v1
.LBB60_180:
	s_and_saveexec_b32 s27, s1
	s_cbranch_execz .LBB60_184
; %bb.181:
	v_subrev_nc_u32_e32 v128, 43, v0
	s_movk_i32 s1, 0x158
	s_movk_i32 s29, 0x348
	s_mov_b32 s28, 0
.LBB60_182:                             ; =>This Inner Loop Header: Depth=1
	scratch_load_b64 v[130:131], off, s1
	v_dual_mov_b32 v129, s29 :: v_dual_add_nc_u32 v128, -1, v128
	s_add_co_i32 s29, s29, 8
	s_wait_xcnt 0x0
	s_add_co_i32 s1, s1, 8
	ds_load_b64 v[132:133], v129
	v_cmp_eq_u32_e32 vcc_lo, 0, v128
	s_or_b32 s28, vcc_lo, s28
	s_wait_loadcnt_dscnt 0x0
	v_pk_mul_f32 v[134:135], v[132:133], v[130:131] op_sel:[1,1] op_sel_hi:[0,1]
	s_delay_alu instid0(VALU_DEP_1) | instskip(SKIP_1) | instid1(VALU_DEP_2)
	v_pk_fma_f32 v[136:137], v[132:133], v[130:131], v[134:135] op_sel_hi:[1,0,1]
	v_pk_fma_f32 v[130:131], v[132:133], v[130:131], v[134:135] neg_lo:[0,0,1] neg_hi:[0,0,1]
	v_mov_b32_e32 v131, v137
	s_delay_alu instid0(VALU_DEP_1)
	v_pk_add_f32 v[126:127], v[126:127], v[130:131]
	s_and_not1_b32 exec_lo, exec_lo, s28
	s_cbranch_execnz .LBB60_182
; %bb.183:
	s_or_b32 exec_lo, exec_lo, s28
.LBB60_184:
	s_delay_alu instid0(SALU_CYCLE_1) | instskip(SKIP_4) | instid1(VALU_DEP_1)
	s_or_b32 exec_lo, exec_lo, s27
	v_mov_b32_e32 v128, 0
	ds_load_b64 v[128:129], v128 offset:336
	s_wait_dscnt 0x0
	v_pk_mul_f32 v[130:131], v[126:127], v[128:129] op_sel:[1,1] op_sel_hi:[0,1]
	v_pk_fma_f32 v[132:133], v[126:127], v[128:129], v[130:131] op_sel_hi:[1,0,1]
	v_pk_fma_f32 v[126:127], v[126:127], v[128:129], v[130:131] neg_lo:[0,0,1] neg_hi:[0,0,1]
	s_delay_alu instid0(VALU_DEP_2)
	v_mov_b32_e32 v127, v133
	scratch_store_b64 off, v[126:127], off offset:336
.LBB60_185:
	s_wait_xcnt 0x0
	s_or_b32 exec_lo, exec_lo, s2
	scratch_load_b64 v[126:127], off, off offset:328
	v_cmp_lt_u32_e64 s1, 41, v0
	s_wait_loadcnt 0x0
	ds_store_b64 v1, v[126:127]
	s_wait_storecnt_dscnt 0x0
	s_barrier_signal -1
	s_barrier_wait -1
	s_wait_xcnt 0x0
	s_and_saveexec_b32 s2, s1
	s_cbranch_execz .LBB60_195
; %bb.186:
	s_and_not1_b32 vcc_lo, exec_lo, s3
	s_cbranch_vccnz .LBB60_188
; %bb.187:
	scratch_load_b64 v[126:127], v39, off
	ds_load_b64 v[128:129], v1
	s_wait_loadcnt_dscnt 0x0
	v_pk_mul_f32 v[130:131], v[128:129], v[126:127] op_sel:[1,1] op_sel_hi:[0,1]
	s_delay_alu instid0(VALU_DEP_1) | instskip(SKIP_1) | instid1(VALU_DEP_2)
	v_pk_fma_f32 v[132:133], v[128:129], v[126:127], v[130:131] op_sel_hi:[1,0,1]
	v_pk_fma_f32 v[126:127], v[128:129], v[126:127], v[130:131] neg_lo:[0,0,1] neg_hi:[0,0,1]
	v_mov_b32_e32 v127, v133
	s_cbranch_execz .LBB60_189
	s_branch .LBB60_190
.LBB60_188:
                                        ; implicit-def: $vgpr126_vgpr127
.LBB60_189:
	ds_load_b64 v[126:127], v1
.LBB60_190:
	s_and_saveexec_b32 s27, s0
	s_cbranch_execz .LBB60_194
; %bb.191:
	v_subrev_nc_u32_e32 v128, 42, v0
	s_movk_i32 s28, 0x340
	s_mov_b32 s0, 0
.LBB60_192:                             ; =>This Inner Loop Header: Depth=1
	scratch_load_b64 v[130:131], off, s26
	v_dual_mov_b32 v129, s28 :: v_dual_add_nc_u32 v128, -1, v128
	s_add_co_i32 s28, s28, 8
	s_wait_xcnt 0x0
	s_add_co_i32 s26, s26, 8
	ds_load_b64 v[132:133], v129
	v_cmp_eq_u32_e32 vcc_lo, 0, v128
	s_or_b32 s0, vcc_lo, s0
	s_wait_loadcnt_dscnt 0x0
	v_pk_mul_f32 v[134:135], v[132:133], v[130:131] op_sel:[1,1] op_sel_hi:[0,1]
	s_delay_alu instid0(VALU_DEP_1) | instskip(SKIP_1) | instid1(VALU_DEP_2)
	v_pk_fma_f32 v[136:137], v[132:133], v[130:131], v[134:135] op_sel_hi:[1,0,1]
	v_pk_fma_f32 v[130:131], v[132:133], v[130:131], v[134:135] neg_lo:[0,0,1] neg_hi:[0,0,1]
	v_mov_b32_e32 v131, v137
	s_delay_alu instid0(VALU_DEP_1)
	v_pk_add_f32 v[126:127], v[126:127], v[130:131]
	s_and_not1_b32 exec_lo, exec_lo, s0
	s_cbranch_execnz .LBB60_192
; %bb.193:
	s_or_b32 exec_lo, exec_lo, s0
.LBB60_194:
	s_delay_alu instid0(SALU_CYCLE_1) | instskip(SKIP_4) | instid1(VALU_DEP_1)
	s_or_b32 exec_lo, exec_lo, s27
	v_mov_b32_e32 v128, 0
	ds_load_b64 v[128:129], v128 offset:328
	s_wait_dscnt 0x0
	v_pk_mul_f32 v[130:131], v[126:127], v[128:129] op_sel:[1,1] op_sel_hi:[0,1]
	v_pk_fma_f32 v[132:133], v[126:127], v[128:129], v[130:131] op_sel_hi:[1,0,1]
	v_pk_fma_f32 v[126:127], v[126:127], v[128:129], v[130:131] neg_lo:[0,0,1] neg_hi:[0,0,1]
	s_delay_alu instid0(VALU_DEP_2)
	v_mov_b32_e32 v127, v133
	scratch_store_b64 off, v[126:127], off offset:328
.LBB60_195:
	s_wait_xcnt 0x0
	s_or_b32 exec_lo, exec_lo, s2
	scratch_load_b64 v[126:127], off, off offset:320
	v_cmp_lt_u32_e64 s0, 40, v0
	s_wait_loadcnt 0x0
	ds_store_b64 v1, v[126:127]
	s_wait_storecnt_dscnt 0x0
	s_barrier_signal -1
	s_barrier_wait -1
	s_wait_xcnt 0x0
	s_and_saveexec_b32 s2, s0
	s_cbranch_execz .LBB60_205
; %bb.196:
	s_and_not1_b32 vcc_lo, exec_lo, s3
	s_cbranch_vccnz .LBB60_198
; %bb.197:
	scratch_load_b64 v[126:127], v39, off
	ds_load_b64 v[128:129], v1
	s_wait_loadcnt_dscnt 0x0
	v_pk_mul_f32 v[130:131], v[128:129], v[126:127] op_sel:[1,1] op_sel_hi:[0,1]
	s_delay_alu instid0(VALU_DEP_1) | instskip(SKIP_1) | instid1(VALU_DEP_2)
	v_pk_fma_f32 v[132:133], v[128:129], v[126:127], v[130:131] op_sel_hi:[1,0,1]
	v_pk_fma_f32 v[126:127], v[128:129], v[126:127], v[130:131] neg_lo:[0,0,1] neg_hi:[0,0,1]
	v_mov_b32_e32 v127, v133
	s_cbranch_execz .LBB60_199
	s_branch .LBB60_200
.LBB60_198:
                                        ; implicit-def: $vgpr126_vgpr127
.LBB60_199:
	ds_load_b64 v[126:127], v1
.LBB60_200:
	s_and_saveexec_b32 s26, s1
	s_cbranch_execz .LBB60_204
; %bb.201:
	v_subrev_nc_u32_e32 v128, 41, v0
	s_movk_i32 s1, 0x148
	s_movk_i32 s28, 0x338
	s_mov_b32 s27, 0
.LBB60_202:                             ; =>This Inner Loop Header: Depth=1
	scratch_load_b64 v[130:131], off, s1
	v_dual_mov_b32 v129, s28 :: v_dual_add_nc_u32 v128, -1, v128
	s_add_co_i32 s28, s28, 8
	s_wait_xcnt 0x0
	s_add_co_i32 s1, s1, 8
	ds_load_b64 v[132:133], v129
	v_cmp_eq_u32_e32 vcc_lo, 0, v128
	s_or_b32 s27, vcc_lo, s27
	s_wait_loadcnt_dscnt 0x0
	v_pk_mul_f32 v[134:135], v[132:133], v[130:131] op_sel:[1,1] op_sel_hi:[0,1]
	s_delay_alu instid0(VALU_DEP_1) | instskip(SKIP_1) | instid1(VALU_DEP_2)
	v_pk_fma_f32 v[136:137], v[132:133], v[130:131], v[134:135] op_sel_hi:[1,0,1]
	v_pk_fma_f32 v[130:131], v[132:133], v[130:131], v[134:135] neg_lo:[0,0,1] neg_hi:[0,0,1]
	v_mov_b32_e32 v131, v137
	s_delay_alu instid0(VALU_DEP_1)
	v_pk_add_f32 v[126:127], v[126:127], v[130:131]
	s_and_not1_b32 exec_lo, exec_lo, s27
	s_cbranch_execnz .LBB60_202
; %bb.203:
	s_or_b32 exec_lo, exec_lo, s27
.LBB60_204:
	s_delay_alu instid0(SALU_CYCLE_1) | instskip(SKIP_4) | instid1(VALU_DEP_1)
	s_or_b32 exec_lo, exec_lo, s26
	v_mov_b32_e32 v128, 0
	ds_load_b64 v[128:129], v128 offset:320
	s_wait_dscnt 0x0
	v_pk_mul_f32 v[130:131], v[126:127], v[128:129] op_sel:[1,1] op_sel_hi:[0,1]
	v_pk_fma_f32 v[132:133], v[126:127], v[128:129], v[130:131] op_sel_hi:[1,0,1]
	v_pk_fma_f32 v[126:127], v[126:127], v[128:129], v[130:131] neg_lo:[0,0,1] neg_hi:[0,0,1]
	s_delay_alu instid0(VALU_DEP_2)
	v_mov_b32_e32 v127, v133
	scratch_store_b64 off, v[126:127], off offset:320
.LBB60_205:
	s_wait_xcnt 0x0
	s_or_b32 exec_lo, exec_lo, s2
	scratch_load_b64 v[126:127], off, off offset:312
	v_cmp_lt_u32_e64 s1, 39, v0
	s_wait_loadcnt 0x0
	ds_store_b64 v1, v[126:127]
	s_wait_storecnt_dscnt 0x0
	s_barrier_signal -1
	s_barrier_wait -1
	s_wait_xcnt 0x0
	s_and_saveexec_b32 s2, s1
	s_cbranch_execz .LBB60_215
; %bb.206:
	s_and_not1_b32 vcc_lo, exec_lo, s3
	s_cbranch_vccnz .LBB60_208
; %bb.207:
	scratch_load_b64 v[126:127], v39, off
	ds_load_b64 v[128:129], v1
	s_wait_loadcnt_dscnt 0x0
	v_pk_mul_f32 v[130:131], v[128:129], v[126:127] op_sel:[1,1] op_sel_hi:[0,1]
	s_delay_alu instid0(VALU_DEP_1) | instskip(SKIP_1) | instid1(VALU_DEP_2)
	v_pk_fma_f32 v[132:133], v[128:129], v[126:127], v[130:131] op_sel_hi:[1,0,1]
	v_pk_fma_f32 v[126:127], v[128:129], v[126:127], v[130:131] neg_lo:[0,0,1] neg_hi:[0,0,1]
	v_mov_b32_e32 v127, v133
	s_cbranch_execz .LBB60_209
	s_branch .LBB60_210
.LBB60_208:
                                        ; implicit-def: $vgpr126_vgpr127
.LBB60_209:
	ds_load_b64 v[126:127], v1
.LBB60_210:
	s_and_saveexec_b32 s26, s0
	s_cbranch_execz .LBB60_214
; %bb.211:
	v_subrev_nc_u32_e32 v128, 40, v0
	s_movk_i32 s27, 0x330
	s_mov_b32 s0, 0
.LBB60_212:                             ; =>This Inner Loop Header: Depth=1
	scratch_load_b64 v[130:131], off, s25
	v_dual_mov_b32 v129, s27 :: v_dual_add_nc_u32 v128, -1, v128
	s_add_co_i32 s27, s27, 8
	s_wait_xcnt 0x0
	s_add_co_i32 s25, s25, 8
	ds_load_b64 v[132:133], v129
	v_cmp_eq_u32_e32 vcc_lo, 0, v128
	s_or_b32 s0, vcc_lo, s0
	s_wait_loadcnt_dscnt 0x0
	v_pk_mul_f32 v[134:135], v[132:133], v[130:131] op_sel:[1,1] op_sel_hi:[0,1]
	s_delay_alu instid0(VALU_DEP_1) | instskip(SKIP_1) | instid1(VALU_DEP_2)
	v_pk_fma_f32 v[136:137], v[132:133], v[130:131], v[134:135] op_sel_hi:[1,0,1]
	v_pk_fma_f32 v[130:131], v[132:133], v[130:131], v[134:135] neg_lo:[0,0,1] neg_hi:[0,0,1]
	v_mov_b32_e32 v131, v137
	s_delay_alu instid0(VALU_DEP_1)
	v_pk_add_f32 v[126:127], v[126:127], v[130:131]
	s_and_not1_b32 exec_lo, exec_lo, s0
	s_cbranch_execnz .LBB60_212
; %bb.213:
	s_or_b32 exec_lo, exec_lo, s0
.LBB60_214:
	s_delay_alu instid0(SALU_CYCLE_1) | instskip(SKIP_4) | instid1(VALU_DEP_1)
	s_or_b32 exec_lo, exec_lo, s26
	v_mov_b32_e32 v128, 0
	ds_load_b64 v[128:129], v128 offset:312
	s_wait_dscnt 0x0
	v_pk_mul_f32 v[130:131], v[126:127], v[128:129] op_sel:[1,1] op_sel_hi:[0,1]
	v_pk_fma_f32 v[132:133], v[126:127], v[128:129], v[130:131] op_sel_hi:[1,0,1]
	v_pk_fma_f32 v[126:127], v[126:127], v[128:129], v[130:131] neg_lo:[0,0,1] neg_hi:[0,0,1]
	s_delay_alu instid0(VALU_DEP_2)
	v_mov_b32_e32 v127, v133
	scratch_store_b64 off, v[126:127], off offset:312
.LBB60_215:
	s_wait_xcnt 0x0
	s_or_b32 exec_lo, exec_lo, s2
	scratch_load_b64 v[126:127], off, off offset:304
	v_cmp_lt_u32_e64 s0, 38, v0
	s_wait_loadcnt 0x0
	ds_store_b64 v1, v[126:127]
	s_wait_storecnt_dscnt 0x0
	s_barrier_signal -1
	s_barrier_wait -1
	s_wait_xcnt 0x0
	s_and_saveexec_b32 s2, s0
	s_cbranch_execz .LBB60_225
; %bb.216:
	s_and_not1_b32 vcc_lo, exec_lo, s3
	s_cbranch_vccnz .LBB60_218
; %bb.217:
	scratch_load_b64 v[126:127], v39, off
	ds_load_b64 v[128:129], v1
	s_wait_loadcnt_dscnt 0x0
	v_pk_mul_f32 v[130:131], v[128:129], v[126:127] op_sel:[1,1] op_sel_hi:[0,1]
	s_delay_alu instid0(VALU_DEP_1) | instskip(SKIP_1) | instid1(VALU_DEP_2)
	v_pk_fma_f32 v[132:133], v[128:129], v[126:127], v[130:131] op_sel_hi:[1,0,1]
	v_pk_fma_f32 v[126:127], v[128:129], v[126:127], v[130:131] neg_lo:[0,0,1] neg_hi:[0,0,1]
	v_mov_b32_e32 v127, v133
	s_cbranch_execz .LBB60_219
	s_branch .LBB60_220
.LBB60_218:
                                        ; implicit-def: $vgpr126_vgpr127
.LBB60_219:
	ds_load_b64 v[126:127], v1
.LBB60_220:
	s_and_saveexec_b32 s25, s1
	s_cbranch_execz .LBB60_224
; %bb.221:
	v_subrev_nc_u32_e32 v128, 39, v0
	s_movk_i32 s1, 0x138
	s_movk_i32 s27, 0x328
	s_mov_b32 s26, 0
.LBB60_222:                             ; =>This Inner Loop Header: Depth=1
	scratch_load_b64 v[130:131], off, s1
	v_dual_mov_b32 v129, s27 :: v_dual_add_nc_u32 v128, -1, v128
	s_add_co_i32 s27, s27, 8
	s_wait_xcnt 0x0
	s_add_co_i32 s1, s1, 8
	ds_load_b64 v[132:133], v129
	v_cmp_eq_u32_e32 vcc_lo, 0, v128
	s_or_b32 s26, vcc_lo, s26
	s_wait_loadcnt_dscnt 0x0
	v_pk_mul_f32 v[134:135], v[132:133], v[130:131] op_sel:[1,1] op_sel_hi:[0,1]
	s_delay_alu instid0(VALU_DEP_1) | instskip(SKIP_1) | instid1(VALU_DEP_2)
	v_pk_fma_f32 v[136:137], v[132:133], v[130:131], v[134:135] op_sel_hi:[1,0,1]
	v_pk_fma_f32 v[130:131], v[132:133], v[130:131], v[134:135] neg_lo:[0,0,1] neg_hi:[0,0,1]
	v_mov_b32_e32 v131, v137
	s_delay_alu instid0(VALU_DEP_1)
	v_pk_add_f32 v[126:127], v[126:127], v[130:131]
	s_and_not1_b32 exec_lo, exec_lo, s26
	s_cbranch_execnz .LBB60_222
; %bb.223:
	s_or_b32 exec_lo, exec_lo, s26
.LBB60_224:
	s_delay_alu instid0(SALU_CYCLE_1) | instskip(SKIP_4) | instid1(VALU_DEP_1)
	s_or_b32 exec_lo, exec_lo, s25
	v_mov_b32_e32 v128, 0
	ds_load_b64 v[128:129], v128 offset:304
	s_wait_dscnt 0x0
	v_pk_mul_f32 v[130:131], v[126:127], v[128:129] op_sel:[1,1] op_sel_hi:[0,1]
	v_pk_fma_f32 v[132:133], v[126:127], v[128:129], v[130:131] op_sel_hi:[1,0,1]
	v_pk_fma_f32 v[126:127], v[126:127], v[128:129], v[130:131] neg_lo:[0,0,1] neg_hi:[0,0,1]
	s_delay_alu instid0(VALU_DEP_2)
	v_mov_b32_e32 v127, v133
	scratch_store_b64 off, v[126:127], off offset:304
.LBB60_225:
	s_wait_xcnt 0x0
	s_or_b32 exec_lo, exec_lo, s2
	scratch_load_b64 v[126:127], off, off offset:296
	v_cmp_lt_u32_e64 s1, 37, v0
	s_wait_loadcnt 0x0
	ds_store_b64 v1, v[126:127]
	s_wait_storecnt_dscnt 0x0
	s_barrier_signal -1
	s_barrier_wait -1
	s_wait_xcnt 0x0
	s_and_saveexec_b32 s2, s1
	s_cbranch_execz .LBB60_235
; %bb.226:
	s_and_not1_b32 vcc_lo, exec_lo, s3
	s_cbranch_vccnz .LBB60_228
; %bb.227:
	scratch_load_b64 v[126:127], v39, off
	ds_load_b64 v[128:129], v1
	s_wait_loadcnt_dscnt 0x0
	v_pk_mul_f32 v[130:131], v[128:129], v[126:127] op_sel:[1,1] op_sel_hi:[0,1]
	s_delay_alu instid0(VALU_DEP_1) | instskip(SKIP_1) | instid1(VALU_DEP_2)
	v_pk_fma_f32 v[132:133], v[128:129], v[126:127], v[130:131] op_sel_hi:[1,0,1]
	v_pk_fma_f32 v[126:127], v[128:129], v[126:127], v[130:131] neg_lo:[0,0,1] neg_hi:[0,0,1]
	v_mov_b32_e32 v127, v133
	s_cbranch_execz .LBB60_229
	s_branch .LBB60_230
.LBB60_228:
                                        ; implicit-def: $vgpr126_vgpr127
.LBB60_229:
	ds_load_b64 v[126:127], v1
.LBB60_230:
	s_and_saveexec_b32 s25, s0
	s_cbranch_execz .LBB60_234
; %bb.231:
	v_subrev_nc_u32_e32 v128, 38, v0
	s_movk_i32 s26, 0x320
	s_mov_b32 s0, 0
.LBB60_232:                             ; =>This Inner Loop Header: Depth=1
	scratch_load_b64 v[130:131], off, s24
	v_dual_mov_b32 v129, s26 :: v_dual_add_nc_u32 v128, -1, v128
	s_add_co_i32 s26, s26, 8
	s_wait_xcnt 0x0
	s_add_co_i32 s24, s24, 8
	ds_load_b64 v[132:133], v129
	v_cmp_eq_u32_e32 vcc_lo, 0, v128
	s_or_b32 s0, vcc_lo, s0
	s_wait_loadcnt_dscnt 0x0
	v_pk_mul_f32 v[134:135], v[132:133], v[130:131] op_sel:[1,1] op_sel_hi:[0,1]
	s_delay_alu instid0(VALU_DEP_1) | instskip(SKIP_1) | instid1(VALU_DEP_2)
	v_pk_fma_f32 v[136:137], v[132:133], v[130:131], v[134:135] op_sel_hi:[1,0,1]
	v_pk_fma_f32 v[130:131], v[132:133], v[130:131], v[134:135] neg_lo:[0,0,1] neg_hi:[0,0,1]
	v_mov_b32_e32 v131, v137
	s_delay_alu instid0(VALU_DEP_1)
	v_pk_add_f32 v[126:127], v[126:127], v[130:131]
	s_and_not1_b32 exec_lo, exec_lo, s0
	s_cbranch_execnz .LBB60_232
; %bb.233:
	s_or_b32 exec_lo, exec_lo, s0
.LBB60_234:
	s_delay_alu instid0(SALU_CYCLE_1) | instskip(SKIP_4) | instid1(VALU_DEP_1)
	s_or_b32 exec_lo, exec_lo, s25
	v_mov_b32_e32 v128, 0
	ds_load_b64 v[128:129], v128 offset:296
	s_wait_dscnt 0x0
	v_pk_mul_f32 v[130:131], v[126:127], v[128:129] op_sel:[1,1] op_sel_hi:[0,1]
	v_pk_fma_f32 v[132:133], v[126:127], v[128:129], v[130:131] op_sel_hi:[1,0,1]
	v_pk_fma_f32 v[126:127], v[126:127], v[128:129], v[130:131] neg_lo:[0,0,1] neg_hi:[0,0,1]
	s_delay_alu instid0(VALU_DEP_2)
	v_mov_b32_e32 v127, v133
	scratch_store_b64 off, v[126:127], off offset:296
.LBB60_235:
	s_wait_xcnt 0x0
	s_or_b32 exec_lo, exec_lo, s2
	scratch_load_b64 v[126:127], off, off offset:288
	v_cmp_lt_u32_e64 s0, 36, v0
	s_wait_loadcnt 0x0
	ds_store_b64 v1, v[126:127]
	s_wait_storecnt_dscnt 0x0
	s_barrier_signal -1
	s_barrier_wait -1
	s_wait_xcnt 0x0
	s_and_saveexec_b32 s2, s0
	s_cbranch_execz .LBB60_245
; %bb.236:
	s_and_not1_b32 vcc_lo, exec_lo, s3
	s_cbranch_vccnz .LBB60_238
; %bb.237:
	scratch_load_b64 v[126:127], v39, off
	ds_load_b64 v[128:129], v1
	s_wait_loadcnt_dscnt 0x0
	v_pk_mul_f32 v[130:131], v[128:129], v[126:127] op_sel:[1,1] op_sel_hi:[0,1]
	s_delay_alu instid0(VALU_DEP_1) | instskip(SKIP_1) | instid1(VALU_DEP_2)
	v_pk_fma_f32 v[132:133], v[128:129], v[126:127], v[130:131] op_sel_hi:[1,0,1]
	v_pk_fma_f32 v[126:127], v[128:129], v[126:127], v[130:131] neg_lo:[0,0,1] neg_hi:[0,0,1]
	v_mov_b32_e32 v127, v133
	s_cbranch_execz .LBB60_239
	s_branch .LBB60_240
.LBB60_238:
                                        ; implicit-def: $vgpr126_vgpr127
.LBB60_239:
	ds_load_b64 v[126:127], v1
.LBB60_240:
	s_and_saveexec_b32 s24, s1
	s_cbranch_execz .LBB60_244
; %bb.241:
	v_subrev_nc_u32_e32 v128, 37, v0
	s_movk_i32 s1, 0x128
	s_movk_i32 s26, 0x318
	s_mov_b32 s25, 0
.LBB60_242:                             ; =>This Inner Loop Header: Depth=1
	scratch_load_b64 v[130:131], off, s1
	v_dual_mov_b32 v129, s26 :: v_dual_add_nc_u32 v128, -1, v128
	s_add_co_i32 s26, s26, 8
	s_wait_xcnt 0x0
	s_add_co_i32 s1, s1, 8
	ds_load_b64 v[132:133], v129
	v_cmp_eq_u32_e32 vcc_lo, 0, v128
	s_or_b32 s25, vcc_lo, s25
	s_wait_loadcnt_dscnt 0x0
	v_pk_mul_f32 v[134:135], v[132:133], v[130:131] op_sel:[1,1] op_sel_hi:[0,1]
	s_delay_alu instid0(VALU_DEP_1) | instskip(SKIP_1) | instid1(VALU_DEP_2)
	v_pk_fma_f32 v[136:137], v[132:133], v[130:131], v[134:135] op_sel_hi:[1,0,1]
	v_pk_fma_f32 v[130:131], v[132:133], v[130:131], v[134:135] neg_lo:[0,0,1] neg_hi:[0,0,1]
	v_mov_b32_e32 v131, v137
	s_delay_alu instid0(VALU_DEP_1)
	v_pk_add_f32 v[126:127], v[126:127], v[130:131]
	s_and_not1_b32 exec_lo, exec_lo, s25
	s_cbranch_execnz .LBB60_242
; %bb.243:
	s_or_b32 exec_lo, exec_lo, s25
.LBB60_244:
	s_delay_alu instid0(SALU_CYCLE_1) | instskip(SKIP_4) | instid1(VALU_DEP_1)
	s_or_b32 exec_lo, exec_lo, s24
	v_mov_b32_e32 v128, 0
	ds_load_b64 v[128:129], v128 offset:288
	s_wait_dscnt 0x0
	v_pk_mul_f32 v[130:131], v[126:127], v[128:129] op_sel:[1,1] op_sel_hi:[0,1]
	v_pk_fma_f32 v[132:133], v[126:127], v[128:129], v[130:131] op_sel_hi:[1,0,1]
	v_pk_fma_f32 v[126:127], v[126:127], v[128:129], v[130:131] neg_lo:[0,0,1] neg_hi:[0,0,1]
	s_delay_alu instid0(VALU_DEP_2)
	v_mov_b32_e32 v127, v133
	scratch_store_b64 off, v[126:127], off offset:288
.LBB60_245:
	s_wait_xcnt 0x0
	s_or_b32 exec_lo, exec_lo, s2
	scratch_load_b64 v[126:127], off, off offset:280
	v_cmp_lt_u32_e64 s1, 35, v0
	s_wait_loadcnt 0x0
	ds_store_b64 v1, v[126:127]
	s_wait_storecnt_dscnt 0x0
	s_barrier_signal -1
	s_barrier_wait -1
	s_wait_xcnt 0x0
	s_and_saveexec_b32 s2, s1
	s_cbranch_execz .LBB60_255
; %bb.246:
	s_and_not1_b32 vcc_lo, exec_lo, s3
	s_cbranch_vccnz .LBB60_248
; %bb.247:
	scratch_load_b64 v[126:127], v39, off
	ds_load_b64 v[128:129], v1
	s_wait_loadcnt_dscnt 0x0
	v_pk_mul_f32 v[130:131], v[128:129], v[126:127] op_sel:[1,1] op_sel_hi:[0,1]
	s_delay_alu instid0(VALU_DEP_1) | instskip(SKIP_1) | instid1(VALU_DEP_2)
	v_pk_fma_f32 v[132:133], v[128:129], v[126:127], v[130:131] op_sel_hi:[1,0,1]
	v_pk_fma_f32 v[126:127], v[128:129], v[126:127], v[130:131] neg_lo:[0,0,1] neg_hi:[0,0,1]
	v_mov_b32_e32 v127, v133
	s_cbranch_execz .LBB60_249
	s_branch .LBB60_250
.LBB60_248:
                                        ; implicit-def: $vgpr126_vgpr127
.LBB60_249:
	ds_load_b64 v[126:127], v1
.LBB60_250:
	s_and_saveexec_b32 s24, s0
	s_cbranch_execz .LBB60_254
; %bb.251:
	v_subrev_nc_u32_e32 v128, 36, v0
	s_movk_i32 s25, 0x310
	s_mov_b32 s0, 0
.LBB60_252:                             ; =>This Inner Loop Header: Depth=1
	scratch_load_b64 v[130:131], off, s23
	v_dual_mov_b32 v129, s25 :: v_dual_add_nc_u32 v128, -1, v128
	s_add_co_i32 s25, s25, 8
	s_wait_xcnt 0x0
	s_add_co_i32 s23, s23, 8
	ds_load_b64 v[132:133], v129
	v_cmp_eq_u32_e32 vcc_lo, 0, v128
	s_or_b32 s0, vcc_lo, s0
	s_wait_loadcnt_dscnt 0x0
	v_pk_mul_f32 v[134:135], v[132:133], v[130:131] op_sel:[1,1] op_sel_hi:[0,1]
	s_delay_alu instid0(VALU_DEP_1) | instskip(SKIP_1) | instid1(VALU_DEP_2)
	v_pk_fma_f32 v[136:137], v[132:133], v[130:131], v[134:135] op_sel_hi:[1,0,1]
	v_pk_fma_f32 v[130:131], v[132:133], v[130:131], v[134:135] neg_lo:[0,0,1] neg_hi:[0,0,1]
	v_mov_b32_e32 v131, v137
	s_delay_alu instid0(VALU_DEP_1)
	v_pk_add_f32 v[126:127], v[126:127], v[130:131]
	s_and_not1_b32 exec_lo, exec_lo, s0
	s_cbranch_execnz .LBB60_252
; %bb.253:
	s_or_b32 exec_lo, exec_lo, s0
.LBB60_254:
	s_delay_alu instid0(SALU_CYCLE_1) | instskip(SKIP_4) | instid1(VALU_DEP_1)
	s_or_b32 exec_lo, exec_lo, s24
	v_mov_b32_e32 v128, 0
	ds_load_b64 v[128:129], v128 offset:280
	s_wait_dscnt 0x0
	v_pk_mul_f32 v[130:131], v[126:127], v[128:129] op_sel:[1,1] op_sel_hi:[0,1]
	v_pk_fma_f32 v[132:133], v[126:127], v[128:129], v[130:131] op_sel_hi:[1,0,1]
	v_pk_fma_f32 v[126:127], v[126:127], v[128:129], v[130:131] neg_lo:[0,0,1] neg_hi:[0,0,1]
	s_delay_alu instid0(VALU_DEP_2)
	v_mov_b32_e32 v127, v133
	scratch_store_b64 off, v[126:127], off offset:280
.LBB60_255:
	s_wait_xcnt 0x0
	s_or_b32 exec_lo, exec_lo, s2
	scratch_load_b64 v[126:127], off, off offset:272
	v_cmp_lt_u32_e64 s0, 34, v0
	s_wait_loadcnt 0x0
	ds_store_b64 v1, v[126:127]
	s_wait_storecnt_dscnt 0x0
	s_barrier_signal -1
	s_barrier_wait -1
	s_wait_xcnt 0x0
	s_and_saveexec_b32 s2, s0
	s_cbranch_execz .LBB60_265
; %bb.256:
	s_and_not1_b32 vcc_lo, exec_lo, s3
	s_cbranch_vccnz .LBB60_258
; %bb.257:
	scratch_load_b64 v[126:127], v39, off
	ds_load_b64 v[128:129], v1
	s_wait_loadcnt_dscnt 0x0
	v_pk_mul_f32 v[130:131], v[128:129], v[126:127] op_sel:[1,1] op_sel_hi:[0,1]
	s_delay_alu instid0(VALU_DEP_1) | instskip(SKIP_1) | instid1(VALU_DEP_2)
	v_pk_fma_f32 v[132:133], v[128:129], v[126:127], v[130:131] op_sel_hi:[1,0,1]
	v_pk_fma_f32 v[126:127], v[128:129], v[126:127], v[130:131] neg_lo:[0,0,1] neg_hi:[0,0,1]
	v_mov_b32_e32 v127, v133
	s_cbranch_execz .LBB60_259
	s_branch .LBB60_260
.LBB60_258:
                                        ; implicit-def: $vgpr126_vgpr127
.LBB60_259:
	ds_load_b64 v[126:127], v1
.LBB60_260:
	s_and_saveexec_b32 s23, s1
	s_cbranch_execz .LBB60_264
; %bb.261:
	v_subrev_nc_u32_e32 v128, 35, v0
	s_movk_i32 s1, 0x118
	s_movk_i32 s25, 0x308
	s_mov_b32 s24, 0
.LBB60_262:                             ; =>This Inner Loop Header: Depth=1
	scratch_load_b64 v[130:131], off, s1
	v_dual_mov_b32 v129, s25 :: v_dual_add_nc_u32 v128, -1, v128
	s_add_co_i32 s25, s25, 8
	s_wait_xcnt 0x0
	s_add_co_i32 s1, s1, 8
	ds_load_b64 v[132:133], v129
	v_cmp_eq_u32_e32 vcc_lo, 0, v128
	s_or_b32 s24, vcc_lo, s24
	s_wait_loadcnt_dscnt 0x0
	v_pk_mul_f32 v[134:135], v[132:133], v[130:131] op_sel:[1,1] op_sel_hi:[0,1]
	s_delay_alu instid0(VALU_DEP_1) | instskip(SKIP_1) | instid1(VALU_DEP_2)
	v_pk_fma_f32 v[136:137], v[132:133], v[130:131], v[134:135] op_sel_hi:[1,0,1]
	v_pk_fma_f32 v[130:131], v[132:133], v[130:131], v[134:135] neg_lo:[0,0,1] neg_hi:[0,0,1]
	v_mov_b32_e32 v131, v137
	s_delay_alu instid0(VALU_DEP_1)
	v_pk_add_f32 v[126:127], v[126:127], v[130:131]
	s_and_not1_b32 exec_lo, exec_lo, s24
	s_cbranch_execnz .LBB60_262
; %bb.263:
	s_or_b32 exec_lo, exec_lo, s24
.LBB60_264:
	s_delay_alu instid0(SALU_CYCLE_1) | instskip(SKIP_4) | instid1(VALU_DEP_1)
	s_or_b32 exec_lo, exec_lo, s23
	v_mov_b32_e32 v128, 0
	ds_load_b64 v[128:129], v128 offset:272
	s_wait_dscnt 0x0
	v_pk_mul_f32 v[130:131], v[126:127], v[128:129] op_sel:[1,1] op_sel_hi:[0,1]
	v_pk_fma_f32 v[132:133], v[126:127], v[128:129], v[130:131] op_sel_hi:[1,0,1]
	v_pk_fma_f32 v[126:127], v[126:127], v[128:129], v[130:131] neg_lo:[0,0,1] neg_hi:[0,0,1]
	s_delay_alu instid0(VALU_DEP_2)
	v_mov_b32_e32 v127, v133
	scratch_store_b64 off, v[126:127], off offset:272
.LBB60_265:
	s_wait_xcnt 0x0
	s_or_b32 exec_lo, exec_lo, s2
	scratch_load_b64 v[126:127], off, off offset:264
	v_cmp_lt_u32_e64 s1, 33, v0
	s_wait_loadcnt 0x0
	ds_store_b64 v1, v[126:127]
	s_wait_storecnt_dscnt 0x0
	s_barrier_signal -1
	s_barrier_wait -1
	s_wait_xcnt 0x0
	s_and_saveexec_b32 s2, s1
	s_cbranch_execz .LBB60_275
; %bb.266:
	s_and_not1_b32 vcc_lo, exec_lo, s3
	s_cbranch_vccnz .LBB60_268
; %bb.267:
	scratch_load_b64 v[126:127], v39, off
	ds_load_b64 v[128:129], v1
	s_wait_loadcnt_dscnt 0x0
	v_pk_mul_f32 v[130:131], v[128:129], v[126:127] op_sel:[1,1] op_sel_hi:[0,1]
	s_delay_alu instid0(VALU_DEP_1) | instskip(SKIP_1) | instid1(VALU_DEP_2)
	v_pk_fma_f32 v[132:133], v[128:129], v[126:127], v[130:131] op_sel_hi:[1,0,1]
	v_pk_fma_f32 v[126:127], v[128:129], v[126:127], v[130:131] neg_lo:[0,0,1] neg_hi:[0,0,1]
	v_mov_b32_e32 v127, v133
	s_cbranch_execz .LBB60_269
	s_branch .LBB60_270
.LBB60_268:
                                        ; implicit-def: $vgpr126_vgpr127
.LBB60_269:
	ds_load_b64 v[126:127], v1
.LBB60_270:
	s_and_saveexec_b32 s23, s0
	s_cbranch_execz .LBB60_274
; %bb.271:
	v_subrev_nc_u32_e32 v128, 34, v0
	s_movk_i32 s24, 0x300
	s_mov_b32 s0, 0
.LBB60_272:                             ; =>This Inner Loop Header: Depth=1
	scratch_load_b64 v[130:131], off, s22
	v_dual_mov_b32 v129, s24 :: v_dual_add_nc_u32 v128, -1, v128
	s_add_co_i32 s24, s24, 8
	s_wait_xcnt 0x0
	s_add_co_i32 s22, s22, 8
	ds_load_b64 v[132:133], v129
	v_cmp_eq_u32_e32 vcc_lo, 0, v128
	s_or_b32 s0, vcc_lo, s0
	s_wait_loadcnt_dscnt 0x0
	v_pk_mul_f32 v[134:135], v[132:133], v[130:131] op_sel:[1,1] op_sel_hi:[0,1]
	s_delay_alu instid0(VALU_DEP_1) | instskip(SKIP_1) | instid1(VALU_DEP_2)
	v_pk_fma_f32 v[136:137], v[132:133], v[130:131], v[134:135] op_sel_hi:[1,0,1]
	v_pk_fma_f32 v[130:131], v[132:133], v[130:131], v[134:135] neg_lo:[0,0,1] neg_hi:[0,0,1]
	v_mov_b32_e32 v131, v137
	s_delay_alu instid0(VALU_DEP_1)
	v_pk_add_f32 v[126:127], v[126:127], v[130:131]
	s_and_not1_b32 exec_lo, exec_lo, s0
	s_cbranch_execnz .LBB60_272
; %bb.273:
	s_or_b32 exec_lo, exec_lo, s0
.LBB60_274:
	s_delay_alu instid0(SALU_CYCLE_1) | instskip(SKIP_4) | instid1(VALU_DEP_1)
	s_or_b32 exec_lo, exec_lo, s23
	v_mov_b32_e32 v128, 0
	ds_load_b64 v[128:129], v128 offset:264
	s_wait_dscnt 0x0
	v_pk_mul_f32 v[130:131], v[126:127], v[128:129] op_sel:[1,1] op_sel_hi:[0,1]
	v_pk_fma_f32 v[132:133], v[126:127], v[128:129], v[130:131] op_sel_hi:[1,0,1]
	v_pk_fma_f32 v[126:127], v[126:127], v[128:129], v[130:131] neg_lo:[0,0,1] neg_hi:[0,0,1]
	s_delay_alu instid0(VALU_DEP_2)
	v_mov_b32_e32 v127, v133
	scratch_store_b64 off, v[126:127], off offset:264
.LBB60_275:
	s_wait_xcnt 0x0
	s_or_b32 exec_lo, exec_lo, s2
	scratch_load_b64 v[126:127], off, off offset:256
	v_cmp_lt_u32_e64 s0, 32, v0
	s_wait_loadcnt 0x0
	ds_store_b64 v1, v[126:127]
	s_wait_storecnt_dscnt 0x0
	s_barrier_signal -1
	s_barrier_wait -1
	s_wait_xcnt 0x0
	s_and_saveexec_b32 s2, s0
	s_cbranch_execz .LBB60_285
; %bb.276:
	s_and_not1_b32 vcc_lo, exec_lo, s3
	s_cbranch_vccnz .LBB60_278
; %bb.277:
	scratch_load_b64 v[126:127], v39, off
	ds_load_b64 v[128:129], v1
	s_wait_loadcnt_dscnt 0x0
	v_pk_mul_f32 v[130:131], v[128:129], v[126:127] op_sel:[1,1] op_sel_hi:[0,1]
	s_delay_alu instid0(VALU_DEP_1) | instskip(SKIP_1) | instid1(VALU_DEP_2)
	v_pk_fma_f32 v[132:133], v[128:129], v[126:127], v[130:131] op_sel_hi:[1,0,1]
	v_pk_fma_f32 v[126:127], v[128:129], v[126:127], v[130:131] neg_lo:[0,0,1] neg_hi:[0,0,1]
	v_mov_b32_e32 v127, v133
	s_cbranch_execz .LBB60_279
	s_branch .LBB60_280
.LBB60_278:
                                        ; implicit-def: $vgpr126_vgpr127
.LBB60_279:
	ds_load_b64 v[126:127], v1
.LBB60_280:
	s_and_saveexec_b32 s22, s1
	s_cbranch_execz .LBB60_284
; %bb.281:
	v_subrev_nc_u32_e32 v128, 33, v0
	s_movk_i32 s1, 0x108
	s_movk_i32 s24, 0x2f8
	s_mov_b32 s23, 0
.LBB60_282:                             ; =>This Inner Loop Header: Depth=1
	scratch_load_b64 v[130:131], off, s1
	v_dual_mov_b32 v129, s24 :: v_dual_add_nc_u32 v128, -1, v128
	s_add_co_i32 s24, s24, 8
	s_wait_xcnt 0x0
	s_add_co_i32 s1, s1, 8
	ds_load_b64 v[132:133], v129
	v_cmp_eq_u32_e32 vcc_lo, 0, v128
	s_or_b32 s23, vcc_lo, s23
	s_wait_loadcnt_dscnt 0x0
	v_pk_mul_f32 v[134:135], v[132:133], v[130:131] op_sel:[1,1] op_sel_hi:[0,1]
	s_delay_alu instid0(VALU_DEP_1) | instskip(SKIP_1) | instid1(VALU_DEP_2)
	v_pk_fma_f32 v[136:137], v[132:133], v[130:131], v[134:135] op_sel_hi:[1,0,1]
	v_pk_fma_f32 v[130:131], v[132:133], v[130:131], v[134:135] neg_lo:[0,0,1] neg_hi:[0,0,1]
	v_mov_b32_e32 v131, v137
	s_delay_alu instid0(VALU_DEP_1)
	v_pk_add_f32 v[126:127], v[126:127], v[130:131]
	s_and_not1_b32 exec_lo, exec_lo, s23
	s_cbranch_execnz .LBB60_282
; %bb.283:
	s_or_b32 exec_lo, exec_lo, s23
.LBB60_284:
	s_delay_alu instid0(SALU_CYCLE_1) | instskip(SKIP_4) | instid1(VALU_DEP_1)
	s_or_b32 exec_lo, exec_lo, s22
	v_mov_b32_e32 v128, 0
	ds_load_b64 v[128:129], v128 offset:256
	s_wait_dscnt 0x0
	v_pk_mul_f32 v[130:131], v[126:127], v[128:129] op_sel:[1,1] op_sel_hi:[0,1]
	v_pk_fma_f32 v[132:133], v[126:127], v[128:129], v[130:131] op_sel_hi:[1,0,1]
	v_pk_fma_f32 v[126:127], v[126:127], v[128:129], v[130:131] neg_lo:[0,0,1] neg_hi:[0,0,1]
	s_delay_alu instid0(VALU_DEP_2)
	v_mov_b32_e32 v127, v133
	scratch_store_b64 off, v[126:127], off offset:256
.LBB60_285:
	s_wait_xcnt 0x0
	s_or_b32 exec_lo, exec_lo, s2
	scratch_load_b64 v[126:127], off, off offset:248
	v_cmp_lt_u32_e64 s1, 31, v0
	s_wait_loadcnt 0x0
	ds_store_b64 v1, v[126:127]
	s_wait_storecnt_dscnt 0x0
	s_barrier_signal -1
	s_barrier_wait -1
	s_wait_xcnt 0x0
	s_and_saveexec_b32 s2, s1
	s_cbranch_execz .LBB60_295
; %bb.286:
	s_and_not1_b32 vcc_lo, exec_lo, s3
	s_cbranch_vccnz .LBB60_288
; %bb.287:
	scratch_load_b64 v[126:127], v39, off
	ds_load_b64 v[128:129], v1
	s_wait_loadcnt_dscnt 0x0
	v_pk_mul_f32 v[130:131], v[128:129], v[126:127] op_sel:[1,1] op_sel_hi:[0,1]
	s_delay_alu instid0(VALU_DEP_1) | instskip(SKIP_1) | instid1(VALU_DEP_2)
	v_pk_fma_f32 v[132:133], v[128:129], v[126:127], v[130:131] op_sel_hi:[1,0,1]
	v_pk_fma_f32 v[126:127], v[128:129], v[126:127], v[130:131] neg_lo:[0,0,1] neg_hi:[0,0,1]
	v_mov_b32_e32 v127, v133
	s_cbranch_execz .LBB60_289
	s_branch .LBB60_290
.LBB60_288:
                                        ; implicit-def: $vgpr126_vgpr127
.LBB60_289:
	ds_load_b64 v[126:127], v1
.LBB60_290:
	s_and_saveexec_b32 s22, s0
	s_cbranch_execz .LBB60_294
; %bb.291:
	v_subrev_nc_u32_e32 v128, 32, v0
	s_movk_i32 s23, 0x2f0
	s_mov_b32 s0, 0
.LBB60_292:                             ; =>This Inner Loop Header: Depth=1
	scratch_load_b64 v[130:131], off, s21
	v_dual_mov_b32 v129, s23 :: v_dual_add_nc_u32 v128, -1, v128
	s_add_co_i32 s23, s23, 8
	s_wait_xcnt 0x0
	s_add_co_i32 s21, s21, 8
	ds_load_b64 v[132:133], v129
	v_cmp_eq_u32_e32 vcc_lo, 0, v128
	s_or_b32 s0, vcc_lo, s0
	s_wait_loadcnt_dscnt 0x0
	v_pk_mul_f32 v[134:135], v[132:133], v[130:131] op_sel:[1,1] op_sel_hi:[0,1]
	s_delay_alu instid0(VALU_DEP_1) | instskip(SKIP_1) | instid1(VALU_DEP_2)
	v_pk_fma_f32 v[136:137], v[132:133], v[130:131], v[134:135] op_sel_hi:[1,0,1]
	v_pk_fma_f32 v[130:131], v[132:133], v[130:131], v[134:135] neg_lo:[0,0,1] neg_hi:[0,0,1]
	v_mov_b32_e32 v131, v137
	s_delay_alu instid0(VALU_DEP_1)
	v_pk_add_f32 v[126:127], v[126:127], v[130:131]
	s_and_not1_b32 exec_lo, exec_lo, s0
	s_cbranch_execnz .LBB60_292
; %bb.293:
	s_or_b32 exec_lo, exec_lo, s0
.LBB60_294:
	s_delay_alu instid0(SALU_CYCLE_1) | instskip(SKIP_4) | instid1(VALU_DEP_1)
	s_or_b32 exec_lo, exec_lo, s22
	v_mov_b32_e32 v128, 0
	ds_load_b64 v[128:129], v128 offset:248
	s_wait_dscnt 0x0
	v_pk_mul_f32 v[130:131], v[126:127], v[128:129] op_sel:[1,1] op_sel_hi:[0,1]
	v_pk_fma_f32 v[132:133], v[126:127], v[128:129], v[130:131] op_sel_hi:[1,0,1]
	v_pk_fma_f32 v[126:127], v[126:127], v[128:129], v[130:131] neg_lo:[0,0,1] neg_hi:[0,0,1]
	s_delay_alu instid0(VALU_DEP_2)
	v_mov_b32_e32 v127, v133
	scratch_store_b64 off, v[126:127], off offset:248
.LBB60_295:
	s_wait_xcnt 0x0
	s_or_b32 exec_lo, exec_lo, s2
	scratch_load_b64 v[126:127], off, off offset:240
	v_cmp_lt_u32_e64 s0, 30, v0
	s_wait_loadcnt 0x0
	ds_store_b64 v1, v[126:127]
	s_wait_storecnt_dscnt 0x0
	s_barrier_signal -1
	s_barrier_wait -1
	s_wait_xcnt 0x0
	s_and_saveexec_b32 s2, s0
	s_cbranch_execz .LBB60_305
; %bb.296:
	s_and_not1_b32 vcc_lo, exec_lo, s3
	s_cbranch_vccnz .LBB60_298
; %bb.297:
	scratch_load_b64 v[126:127], v39, off
	ds_load_b64 v[128:129], v1
	s_wait_loadcnt_dscnt 0x0
	v_pk_mul_f32 v[130:131], v[128:129], v[126:127] op_sel:[1,1] op_sel_hi:[0,1]
	s_delay_alu instid0(VALU_DEP_1) | instskip(SKIP_1) | instid1(VALU_DEP_2)
	v_pk_fma_f32 v[132:133], v[128:129], v[126:127], v[130:131] op_sel_hi:[1,0,1]
	v_pk_fma_f32 v[126:127], v[128:129], v[126:127], v[130:131] neg_lo:[0,0,1] neg_hi:[0,0,1]
	v_mov_b32_e32 v127, v133
	s_cbranch_execz .LBB60_299
	s_branch .LBB60_300
.LBB60_298:
                                        ; implicit-def: $vgpr126_vgpr127
.LBB60_299:
	ds_load_b64 v[126:127], v1
.LBB60_300:
	s_and_saveexec_b32 s21, s1
	s_cbranch_execz .LBB60_304
; %bb.301:
	v_subrev_nc_u32_e32 v128, 31, v0
	s_movk_i32 s1, 0xf8
	s_movk_i32 s23, 0x2e8
	s_mov_b32 s22, 0
.LBB60_302:                             ; =>This Inner Loop Header: Depth=1
	scratch_load_b64 v[130:131], off, s1
	v_dual_mov_b32 v129, s23 :: v_dual_add_nc_u32 v128, -1, v128
	s_add_co_i32 s23, s23, 8
	s_wait_xcnt 0x0
	s_add_co_i32 s1, s1, 8
	ds_load_b64 v[132:133], v129
	v_cmp_eq_u32_e32 vcc_lo, 0, v128
	s_or_b32 s22, vcc_lo, s22
	s_wait_loadcnt_dscnt 0x0
	v_pk_mul_f32 v[134:135], v[132:133], v[130:131] op_sel:[1,1] op_sel_hi:[0,1]
	s_delay_alu instid0(VALU_DEP_1) | instskip(SKIP_1) | instid1(VALU_DEP_2)
	v_pk_fma_f32 v[136:137], v[132:133], v[130:131], v[134:135] op_sel_hi:[1,0,1]
	v_pk_fma_f32 v[130:131], v[132:133], v[130:131], v[134:135] neg_lo:[0,0,1] neg_hi:[0,0,1]
	v_mov_b32_e32 v131, v137
	s_delay_alu instid0(VALU_DEP_1)
	v_pk_add_f32 v[126:127], v[126:127], v[130:131]
	s_and_not1_b32 exec_lo, exec_lo, s22
	s_cbranch_execnz .LBB60_302
; %bb.303:
	s_or_b32 exec_lo, exec_lo, s22
.LBB60_304:
	s_delay_alu instid0(SALU_CYCLE_1) | instskip(SKIP_4) | instid1(VALU_DEP_1)
	s_or_b32 exec_lo, exec_lo, s21
	v_mov_b32_e32 v128, 0
	ds_load_b64 v[128:129], v128 offset:240
	s_wait_dscnt 0x0
	v_pk_mul_f32 v[130:131], v[126:127], v[128:129] op_sel:[1,1] op_sel_hi:[0,1]
	v_pk_fma_f32 v[132:133], v[126:127], v[128:129], v[130:131] op_sel_hi:[1,0,1]
	v_pk_fma_f32 v[126:127], v[126:127], v[128:129], v[130:131] neg_lo:[0,0,1] neg_hi:[0,0,1]
	s_delay_alu instid0(VALU_DEP_2)
	v_mov_b32_e32 v127, v133
	scratch_store_b64 off, v[126:127], off offset:240
.LBB60_305:
	s_wait_xcnt 0x0
	s_or_b32 exec_lo, exec_lo, s2
	scratch_load_b64 v[126:127], off, off offset:232
	v_cmp_lt_u32_e64 s1, 29, v0
	s_wait_loadcnt 0x0
	ds_store_b64 v1, v[126:127]
	s_wait_storecnt_dscnt 0x0
	s_barrier_signal -1
	s_barrier_wait -1
	s_wait_xcnt 0x0
	s_and_saveexec_b32 s2, s1
	s_cbranch_execz .LBB60_315
; %bb.306:
	s_and_not1_b32 vcc_lo, exec_lo, s3
	s_cbranch_vccnz .LBB60_308
; %bb.307:
	scratch_load_b64 v[126:127], v39, off
	ds_load_b64 v[128:129], v1
	s_wait_loadcnt_dscnt 0x0
	v_pk_mul_f32 v[130:131], v[128:129], v[126:127] op_sel:[1,1] op_sel_hi:[0,1]
	s_delay_alu instid0(VALU_DEP_1) | instskip(SKIP_1) | instid1(VALU_DEP_2)
	v_pk_fma_f32 v[132:133], v[128:129], v[126:127], v[130:131] op_sel_hi:[1,0,1]
	v_pk_fma_f32 v[126:127], v[128:129], v[126:127], v[130:131] neg_lo:[0,0,1] neg_hi:[0,0,1]
	v_mov_b32_e32 v127, v133
	s_cbranch_execz .LBB60_309
	s_branch .LBB60_310
.LBB60_308:
                                        ; implicit-def: $vgpr126_vgpr127
.LBB60_309:
	ds_load_b64 v[126:127], v1
.LBB60_310:
	s_and_saveexec_b32 s21, s0
	s_cbranch_execz .LBB60_314
; %bb.311:
	v_subrev_nc_u32_e32 v128, 30, v0
	s_movk_i32 s22, 0x2e0
	s_mov_b32 s0, 0
.LBB60_312:                             ; =>This Inner Loop Header: Depth=1
	scratch_load_b64 v[130:131], off, s20
	v_dual_mov_b32 v129, s22 :: v_dual_add_nc_u32 v128, -1, v128
	s_add_co_i32 s22, s22, 8
	s_wait_xcnt 0x0
	s_add_co_i32 s20, s20, 8
	ds_load_b64 v[132:133], v129
	v_cmp_eq_u32_e32 vcc_lo, 0, v128
	s_or_b32 s0, vcc_lo, s0
	s_wait_loadcnt_dscnt 0x0
	v_pk_mul_f32 v[134:135], v[132:133], v[130:131] op_sel:[1,1] op_sel_hi:[0,1]
	s_delay_alu instid0(VALU_DEP_1) | instskip(SKIP_1) | instid1(VALU_DEP_2)
	v_pk_fma_f32 v[136:137], v[132:133], v[130:131], v[134:135] op_sel_hi:[1,0,1]
	v_pk_fma_f32 v[130:131], v[132:133], v[130:131], v[134:135] neg_lo:[0,0,1] neg_hi:[0,0,1]
	v_mov_b32_e32 v131, v137
	s_delay_alu instid0(VALU_DEP_1)
	v_pk_add_f32 v[126:127], v[126:127], v[130:131]
	s_and_not1_b32 exec_lo, exec_lo, s0
	s_cbranch_execnz .LBB60_312
; %bb.313:
	s_or_b32 exec_lo, exec_lo, s0
.LBB60_314:
	s_delay_alu instid0(SALU_CYCLE_1) | instskip(SKIP_4) | instid1(VALU_DEP_1)
	s_or_b32 exec_lo, exec_lo, s21
	v_mov_b32_e32 v128, 0
	ds_load_b64 v[128:129], v128 offset:232
	s_wait_dscnt 0x0
	v_pk_mul_f32 v[130:131], v[126:127], v[128:129] op_sel:[1,1] op_sel_hi:[0,1]
	v_pk_fma_f32 v[132:133], v[126:127], v[128:129], v[130:131] op_sel_hi:[1,0,1]
	v_pk_fma_f32 v[126:127], v[126:127], v[128:129], v[130:131] neg_lo:[0,0,1] neg_hi:[0,0,1]
	s_delay_alu instid0(VALU_DEP_2)
	v_mov_b32_e32 v127, v133
	scratch_store_b64 off, v[126:127], off offset:232
.LBB60_315:
	s_wait_xcnt 0x0
	s_or_b32 exec_lo, exec_lo, s2
	scratch_load_b64 v[126:127], off, off offset:224
	v_cmp_lt_u32_e64 s0, 28, v0
	s_wait_loadcnt 0x0
	ds_store_b64 v1, v[126:127]
	s_wait_storecnt_dscnt 0x0
	s_barrier_signal -1
	s_barrier_wait -1
	s_wait_xcnt 0x0
	s_and_saveexec_b32 s2, s0
	s_cbranch_execz .LBB60_325
; %bb.316:
	s_and_not1_b32 vcc_lo, exec_lo, s3
	s_cbranch_vccnz .LBB60_318
; %bb.317:
	scratch_load_b64 v[126:127], v39, off
	ds_load_b64 v[128:129], v1
	s_wait_loadcnt_dscnt 0x0
	v_pk_mul_f32 v[130:131], v[128:129], v[126:127] op_sel:[1,1] op_sel_hi:[0,1]
	s_delay_alu instid0(VALU_DEP_1) | instskip(SKIP_1) | instid1(VALU_DEP_2)
	v_pk_fma_f32 v[132:133], v[128:129], v[126:127], v[130:131] op_sel_hi:[1,0,1]
	v_pk_fma_f32 v[126:127], v[128:129], v[126:127], v[130:131] neg_lo:[0,0,1] neg_hi:[0,0,1]
	v_mov_b32_e32 v127, v133
	s_cbranch_execz .LBB60_319
	s_branch .LBB60_320
.LBB60_318:
                                        ; implicit-def: $vgpr126_vgpr127
.LBB60_319:
	ds_load_b64 v[126:127], v1
.LBB60_320:
	s_and_saveexec_b32 s20, s1
	s_cbranch_execz .LBB60_324
; %bb.321:
	v_subrev_nc_u32_e32 v128, 29, v0
	s_movk_i32 s1, 0xe8
	s_movk_i32 s22, 0x2d8
	s_mov_b32 s21, 0
.LBB60_322:                             ; =>This Inner Loop Header: Depth=1
	scratch_load_b64 v[130:131], off, s1
	v_dual_mov_b32 v129, s22 :: v_dual_add_nc_u32 v128, -1, v128
	s_add_co_i32 s22, s22, 8
	s_wait_xcnt 0x0
	s_add_co_i32 s1, s1, 8
	ds_load_b64 v[132:133], v129
	v_cmp_eq_u32_e32 vcc_lo, 0, v128
	s_or_b32 s21, vcc_lo, s21
	s_wait_loadcnt_dscnt 0x0
	v_pk_mul_f32 v[134:135], v[132:133], v[130:131] op_sel:[1,1] op_sel_hi:[0,1]
	s_delay_alu instid0(VALU_DEP_1) | instskip(SKIP_1) | instid1(VALU_DEP_2)
	v_pk_fma_f32 v[136:137], v[132:133], v[130:131], v[134:135] op_sel_hi:[1,0,1]
	v_pk_fma_f32 v[130:131], v[132:133], v[130:131], v[134:135] neg_lo:[0,0,1] neg_hi:[0,0,1]
	v_mov_b32_e32 v131, v137
	s_delay_alu instid0(VALU_DEP_1)
	v_pk_add_f32 v[126:127], v[126:127], v[130:131]
	s_and_not1_b32 exec_lo, exec_lo, s21
	s_cbranch_execnz .LBB60_322
; %bb.323:
	s_or_b32 exec_lo, exec_lo, s21
.LBB60_324:
	s_delay_alu instid0(SALU_CYCLE_1) | instskip(SKIP_4) | instid1(VALU_DEP_1)
	s_or_b32 exec_lo, exec_lo, s20
	v_mov_b32_e32 v128, 0
	ds_load_b64 v[128:129], v128 offset:224
	s_wait_dscnt 0x0
	v_pk_mul_f32 v[130:131], v[126:127], v[128:129] op_sel:[1,1] op_sel_hi:[0,1]
	v_pk_fma_f32 v[132:133], v[126:127], v[128:129], v[130:131] op_sel_hi:[1,0,1]
	v_pk_fma_f32 v[126:127], v[126:127], v[128:129], v[130:131] neg_lo:[0,0,1] neg_hi:[0,0,1]
	s_delay_alu instid0(VALU_DEP_2)
	v_mov_b32_e32 v127, v133
	scratch_store_b64 off, v[126:127], off offset:224
.LBB60_325:
	s_wait_xcnt 0x0
	s_or_b32 exec_lo, exec_lo, s2
	scratch_load_b64 v[126:127], off, off offset:216
	v_cmp_lt_u32_e64 s1, 27, v0
	s_wait_loadcnt 0x0
	ds_store_b64 v1, v[126:127]
	s_wait_storecnt_dscnt 0x0
	s_barrier_signal -1
	s_barrier_wait -1
	s_wait_xcnt 0x0
	s_and_saveexec_b32 s2, s1
	s_cbranch_execz .LBB60_335
; %bb.326:
	s_and_not1_b32 vcc_lo, exec_lo, s3
	s_cbranch_vccnz .LBB60_328
; %bb.327:
	scratch_load_b64 v[126:127], v39, off
	ds_load_b64 v[128:129], v1
	s_wait_loadcnt_dscnt 0x0
	v_pk_mul_f32 v[130:131], v[128:129], v[126:127] op_sel:[1,1] op_sel_hi:[0,1]
	s_delay_alu instid0(VALU_DEP_1) | instskip(SKIP_1) | instid1(VALU_DEP_2)
	v_pk_fma_f32 v[132:133], v[128:129], v[126:127], v[130:131] op_sel_hi:[1,0,1]
	v_pk_fma_f32 v[126:127], v[128:129], v[126:127], v[130:131] neg_lo:[0,0,1] neg_hi:[0,0,1]
	v_mov_b32_e32 v127, v133
	s_cbranch_execz .LBB60_329
	s_branch .LBB60_330
.LBB60_328:
                                        ; implicit-def: $vgpr126_vgpr127
.LBB60_329:
	ds_load_b64 v[126:127], v1
.LBB60_330:
	s_and_saveexec_b32 s20, s0
	s_cbranch_execz .LBB60_334
; %bb.331:
	v_subrev_nc_u32_e32 v128, 28, v0
	s_movk_i32 s21, 0x2d0
	s_mov_b32 s0, 0
.LBB60_332:                             ; =>This Inner Loop Header: Depth=1
	scratch_load_b64 v[130:131], off, s19
	v_dual_mov_b32 v129, s21 :: v_dual_add_nc_u32 v128, -1, v128
	s_add_co_i32 s21, s21, 8
	s_wait_xcnt 0x0
	s_add_co_i32 s19, s19, 8
	ds_load_b64 v[132:133], v129
	v_cmp_eq_u32_e32 vcc_lo, 0, v128
	s_or_b32 s0, vcc_lo, s0
	s_wait_loadcnt_dscnt 0x0
	v_pk_mul_f32 v[134:135], v[132:133], v[130:131] op_sel:[1,1] op_sel_hi:[0,1]
	s_delay_alu instid0(VALU_DEP_1) | instskip(SKIP_1) | instid1(VALU_DEP_2)
	v_pk_fma_f32 v[136:137], v[132:133], v[130:131], v[134:135] op_sel_hi:[1,0,1]
	v_pk_fma_f32 v[130:131], v[132:133], v[130:131], v[134:135] neg_lo:[0,0,1] neg_hi:[0,0,1]
	v_mov_b32_e32 v131, v137
	s_delay_alu instid0(VALU_DEP_1)
	v_pk_add_f32 v[126:127], v[126:127], v[130:131]
	s_and_not1_b32 exec_lo, exec_lo, s0
	s_cbranch_execnz .LBB60_332
; %bb.333:
	s_or_b32 exec_lo, exec_lo, s0
.LBB60_334:
	s_delay_alu instid0(SALU_CYCLE_1) | instskip(SKIP_4) | instid1(VALU_DEP_1)
	s_or_b32 exec_lo, exec_lo, s20
	v_mov_b32_e32 v128, 0
	ds_load_b64 v[128:129], v128 offset:216
	s_wait_dscnt 0x0
	v_pk_mul_f32 v[130:131], v[126:127], v[128:129] op_sel:[1,1] op_sel_hi:[0,1]
	v_pk_fma_f32 v[132:133], v[126:127], v[128:129], v[130:131] op_sel_hi:[1,0,1]
	v_pk_fma_f32 v[126:127], v[126:127], v[128:129], v[130:131] neg_lo:[0,0,1] neg_hi:[0,0,1]
	s_delay_alu instid0(VALU_DEP_2)
	v_mov_b32_e32 v127, v133
	scratch_store_b64 off, v[126:127], off offset:216
.LBB60_335:
	s_wait_xcnt 0x0
	s_or_b32 exec_lo, exec_lo, s2
	scratch_load_b64 v[126:127], off, off offset:208
	v_cmp_lt_u32_e64 s0, 26, v0
	s_wait_loadcnt 0x0
	ds_store_b64 v1, v[126:127]
	s_wait_storecnt_dscnt 0x0
	s_barrier_signal -1
	s_barrier_wait -1
	s_wait_xcnt 0x0
	s_and_saveexec_b32 s2, s0
	s_cbranch_execz .LBB60_345
; %bb.336:
	s_and_not1_b32 vcc_lo, exec_lo, s3
	s_cbranch_vccnz .LBB60_338
; %bb.337:
	scratch_load_b64 v[126:127], v39, off
	ds_load_b64 v[128:129], v1
	s_wait_loadcnt_dscnt 0x0
	v_pk_mul_f32 v[130:131], v[128:129], v[126:127] op_sel:[1,1] op_sel_hi:[0,1]
	s_delay_alu instid0(VALU_DEP_1) | instskip(SKIP_1) | instid1(VALU_DEP_2)
	v_pk_fma_f32 v[132:133], v[128:129], v[126:127], v[130:131] op_sel_hi:[1,0,1]
	v_pk_fma_f32 v[126:127], v[128:129], v[126:127], v[130:131] neg_lo:[0,0,1] neg_hi:[0,0,1]
	v_mov_b32_e32 v127, v133
	s_cbranch_execz .LBB60_339
	s_branch .LBB60_340
.LBB60_338:
                                        ; implicit-def: $vgpr126_vgpr127
.LBB60_339:
	ds_load_b64 v[126:127], v1
.LBB60_340:
	s_and_saveexec_b32 s19, s1
	s_cbranch_execz .LBB60_344
; %bb.341:
	v_subrev_nc_u32_e32 v128, 27, v0
	s_movk_i32 s1, 0xd8
	s_movk_i32 s21, 0x2c8
	s_mov_b32 s20, 0
.LBB60_342:                             ; =>This Inner Loop Header: Depth=1
	scratch_load_b64 v[130:131], off, s1
	v_dual_mov_b32 v129, s21 :: v_dual_add_nc_u32 v128, -1, v128
	s_add_co_i32 s21, s21, 8
	s_wait_xcnt 0x0
	s_add_co_i32 s1, s1, 8
	ds_load_b64 v[132:133], v129
	v_cmp_eq_u32_e32 vcc_lo, 0, v128
	s_or_b32 s20, vcc_lo, s20
	s_wait_loadcnt_dscnt 0x0
	v_pk_mul_f32 v[134:135], v[132:133], v[130:131] op_sel:[1,1] op_sel_hi:[0,1]
	s_delay_alu instid0(VALU_DEP_1) | instskip(SKIP_1) | instid1(VALU_DEP_2)
	v_pk_fma_f32 v[136:137], v[132:133], v[130:131], v[134:135] op_sel_hi:[1,0,1]
	v_pk_fma_f32 v[130:131], v[132:133], v[130:131], v[134:135] neg_lo:[0,0,1] neg_hi:[0,0,1]
	v_mov_b32_e32 v131, v137
	s_delay_alu instid0(VALU_DEP_1)
	v_pk_add_f32 v[126:127], v[126:127], v[130:131]
	s_and_not1_b32 exec_lo, exec_lo, s20
	s_cbranch_execnz .LBB60_342
; %bb.343:
	s_or_b32 exec_lo, exec_lo, s20
.LBB60_344:
	s_delay_alu instid0(SALU_CYCLE_1) | instskip(SKIP_4) | instid1(VALU_DEP_1)
	s_or_b32 exec_lo, exec_lo, s19
	v_mov_b32_e32 v128, 0
	ds_load_b64 v[128:129], v128 offset:208
	s_wait_dscnt 0x0
	v_pk_mul_f32 v[130:131], v[126:127], v[128:129] op_sel:[1,1] op_sel_hi:[0,1]
	v_pk_fma_f32 v[132:133], v[126:127], v[128:129], v[130:131] op_sel_hi:[1,0,1]
	v_pk_fma_f32 v[126:127], v[126:127], v[128:129], v[130:131] neg_lo:[0,0,1] neg_hi:[0,0,1]
	s_delay_alu instid0(VALU_DEP_2)
	v_mov_b32_e32 v127, v133
	scratch_store_b64 off, v[126:127], off offset:208
.LBB60_345:
	s_wait_xcnt 0x0
	s_or_b32 exec_lo, exec_lo, s2
	scratch_load_b64 v[126:127], off, off offset:200
	v_cmp_lt_u32_e64 s1, 25, v0
	s_wait_loadcnt 0x0
	ds_store_b64 v1, v[126:127]
	s_wait_storecnt_dscnt 0x0
	s_barrier_signal -1
	s_barrier_wait -1
	s_wait_xcnt 0x0
	s_and_saveexec_b32 s2, s1
	s_cbranch_execz .LBB60_355
; %bb.346:
	s_and_not1_b32 vcc_lo, exec_lo, s3
	s_cbranch_vccnz .LBB60_348
; %bb.347:
	scratch_load_b64 v[126:127], v39, off
	ds_load_b64 v[128:129], v1
	s_wait_loadcnt_dscnt 0x0
	v_pk_mul_f32 v[130:131], v[128:129], v[126:127] op_sel:[1,1] op_sel_hi:[0,1]
	s_delay_alu instid0(VALU_DEP_1) | instskip(SKIP_1) | instid1(VALU_DEP_2)
	v_pk_fma_f32 v[132:133], v[128:129], v[126:127], v[130:131] op_sel_hi:[1,0,1]
	v_pk_fma_f32 v[126:127], v[128:129], v[126:127], v[130:131] neg_lo:[0,0,1] neg_hi:[0,0,1]
	v_mov_b32_e32 v127, v133
	s_cbranch_execz .LBB60_349
	s_branch .LBB60_350
.LBB60_348:
                                        ; implicit-def: $vgpr126_vgpr127
.LBB60_349:
	ds_load_b64 v[126:127], v1
.LBB60_350:
	s_and_saveexec_b32 s19, s0
	s_cbranch_execz .LBB60_354
; %bb.351:
	v_subrev_nc_u32_e32 v128, 26, v0
	s_movk_i32 s20, 0x2c0
	s_mov_b32 s0, 0
.LBB60_352:                             ; =>This Inner Loop Header: Depth=1
	scratch_load_b64 v[130:131], off, s18
	v_dual_mov_b32 v129, s20 :: v_dual_add_nc_u32 v128, -1, v128
	s_add_co_i32 s20, s20, 8
	s_wait_xcnt 0x0
	s_add_co_i32 s18, s18, 8
	ds_load_b64 v[132:133], v129
	v_cmp_eq_u32_e32 vcc_lo, 0, v128
	s_or_b32 s0, vcc_lo, s0
	s_wait_loadcnt_dscnt 0x0
	v_pk_mul_f32 v[134:135], v[132:133], v[130:131] op_sel:[1,1] op_sel_hi:[0,1]
	s_delay_alu instid0(VALU_DEP_1) | instskip(SKIP_1) | instid1(VALU_DEP_2)
	v_pk_fma_f32 v[136:137], v[132:133], v[130:131], v[134:135] op_sel_hi:[1,0,1]
	v_pk_fma_f32 v[130:131], v[132:133], v[130:131], v[134:135] neg_lo:[0,0,1] neg_hi:[0,0,1]
	v_mov_b32_e32 v131, v137
	s_delay_alu instid0(VALU_DEP_1)
	v_pk_add_f32 v[126:127], v[126:127], v[130:131]
	s_and_not1_b32 exec_lo, exec_lo, s0
	s_cbranch_execnz .LBB60_352
; %bb.353:
	s_or_b32 exec_lo, exec_lo, s0
.LBB60_354:
	s_delay_alu instid0(SALU_CYCLE_1) | instskip(SKIP_4) | instid1(VALU_DEP_1)
	s_or_b32 exec_lo, exec_lo, s19
	v_mov_b32_e32 v128, 0
	ds_load_b64 v[128:129], v128 offset:200
	s_wait_dscnt 0x0
	v_pk_mul_f32 v[130:131], v[126:127], v[128:129] op_sel:[1,1] op_sel_hi:[0,1]
	v_pk_fma_f32 v[132:133], v[126:127], v[128:129], v[130:131] op_sel_hi:[1,0,1]
	v_pk_fma_f32 v[126:127], v[126:127], v[128:129], v[130:131] neg_lo:[0,0,1] neg_hi:[0,0,1]
	s_delay_alu instid0(VALU_DEP_2)
	v_mov_b32_e32 v127, v133
	scratch_store_b64 off, v[126:127], off offset:200
.LBB60_355:
	s_wait_xcnt 0x0
	s_or_b32 exec_lo, exec_lo, s2
	scratch_load_b64 v[126:127], off, off offset:192
	v_cmp_lt_u32_e64 s0, 24, v0
	s_wait_loadcnt 0x0
	ds_store_b64 v1, v[126:127]
	s_wait_storecnt_dscnt 0x0
	s_barrier_signal -1
	s_barrier_wait -1
	s_wait_xcnt 0x0
	s_and_saveexec_b32 s2, s0
	s_cbranch_execz .LBB60_365
; %bb.356:
	s_and_not1_b32 vcc_lo, exec_lo, s3
	s_cbranch_vccnz .LBB60_358
; %bb.357:
	scratch_load_b64 v[126:127], v39, off
	ds_load_b64 v[128:129], v1
	s_wait_loadcnt_dscnt 0x0
	v_pk_mul_f32 v[130:131], v[128:129], v[126:127] op_sel:[1,1] op_sel_hi:[0,1]
	s_delay_alu instid0(VALU_DEP_1) | instskip(SKIP_1) | instid1(VALU_DEP_2)
	v_pk_fma_f32 v[132:133], v[128:129], v[126:127], v[130:131] op_sel_hi:[1,0,1]
	v_pk_fma_f32 v[126:127], v[128:129], v[126:127], v[130:131] neg_lo:[0,0,1] neg_hi:[0,0,1]
	v_mov_b32_e32 v127, v133
	s_cbranch_execz .LBB60_359
	s_branch .LBB60_360
.LBB60_358:
                                        ; implicit-def: $vgpr126_vgpr127
.LBB60_359:
	ds_load_b64 v[126:127], v1
.LBB60_360:
	s_and_saveexec_b32 s18, s1
	s_cbranch_execz .LBB60_364
; %bb.361:
	v_subrev_nc_u32_e32 v128, 25, v0
	s_movk_i32 s1, 0xc8
	s_movk_i32 s20, 0x2b8
	s_mov_b32 s19, 0
.LBB60_362:                             ; =>This Inner Loop Header: Depth=1
	scratch_load_b64 v[130:131], off, s1
	v_dual_mov_b32 v129, s20 :: v_dual_add_nc_u32 v128, -1, v128
	s_add_co_i32 s20, s20, 8
	s_wait_xcnt 0x0
	s_add_co_i32 s1, s1, 8
	ds_load_b64 v[132:133], v129
	v_cmp_eq_u32_e32 vcc_lo, 0, v128
	s_or_b32 s19, vcc_lo, s19
	s_wait_loadcnt_dscnt 0x0
	v_pk_mul_f32 v[134:135], v[132:133], v[130:131] op_sel:[1,1] op_sel_hi:[0,1]
	s_delay_alu instid0(VALU_DEP_1) | instskip(SKIP_1) | instid1(VALU_DEP_2)
	v_pk_fma_f32 v[136:137], v[132:133], v[130:131], v[134:135] op_sel_hi:[1,0,1]
	v_pk_fma_f32 v[130:131], v[132:133], v[130:131], v[134:135] neg_lo:[0,0,1] neg_hi:[0,0,1]
	v_mov_b32_e32 v131, v137
	s_delay_alu instid0(VALU_DEP_1)
	v_pk_add_f32 v[126:127], v[126:127], v[130:131]
	s_and_not1_b32 exec_lo, exec_lo, s19
	s_cbranch_execnz .LBB60_362
; %bb.363:
	s_or_b32 exec_lo, exec_lo, s19
.LBB60_364:
	s_delay_alu instid0(SALU_CYCLE_1) | instskip(SKIP_4) | instid1(VALU_DEP_1)
	s_or_b32 exec_lo, exec_lo, s18
	v_mov_b32_e32 v128, 0
	ds_load_b64 v[128:129], v128 offset:192
	s_wait_dscnt 0x0
	v_pk_mul_f32 v[130:131], v[126:127], v[128:129] op_sel:[1,1] op_sel_hi:[0,1]
	v_pk_fma_f32 v[132:133], v[126:127], v[128:129], v[130:131] op_sel_hi:[1,0,1]
	v_pk_fma_f32 v[126:127], v[126:127], v[128:129], v[130:131] neg_lo:[0,0,1] neg_hi:[0,0,1]
	s_delay_alu instid0(VALU_DEP_2)
	v_mov_b32_e32 v127, v133
	scratch_store_b64 off, v[126:127], off offset:192
.LBB60_365:
	s_wait_xcnt 0x0
	s_or_b32 exec_lo, exec_lo, s2
	scratch_load_b64 v[126:127], off, off offset:184
	v_cmp_lt_u32_e64 s1, 23, v0
	s_wait_loadcnt 0x0
	ds_store_b64 v1, v[126:127]
	s_wait_storecnt_dscnt 0x0
	s_barrier_signal -1
	s_barrier_wait -1
	s_wait_xcnt 0x0
	s_and_saveexec_b32 s2, s1
	s_cbranch_execz .LBB60_375
; %bb.366:
	s_and_not1_b32 vcc_lo, exec_lo, s3
	s_cbranch_vccnz .LBB60_368
; %bb.367:
	scratch_load_b64 v[126:127], v39, off
	ds_load_b64 v[128:129], v1
	s_wait_loadcnt_dscnt 0x0
	v_pk_mul_f32 v[130:131], v[128:129], v[126:127] op_sel:[1,1] op_sel_hi:[0,1]
	s_delay_alu instid0(VALU_DEP_1) | instskip(SKIP_1) | instid1(VALU_DEP_2)
	v_pk_fma_f32 v[132:133], v[128:129], v[126:127], v[130:131] op_sel_hi:[1,0,1]
	v_pk_fma_f32 v[126:127], v[128:129], v[126:127], v[130:131] neg_lo:[0,0,1] neg_hi:[0,0,1]
	v_mov_b32_e32 v127, v133
	s_cbranch_execz .LBB60_369
	s_branch .LBB60_370
.LBB60_368:
                                        ; implicit-def: $vgpr126_vgpr127
.LBB60_369:
	ds_load_b64 v[126:127], v1
.LBB60_370:
	s_and_saveexec_b32 s18, s0
	s_cbranch_execz .LBB60_374
; %bb.371:
	v_subrev_nc_u32_e32 v128, 24, v0
	s_movk_i32 s19, 0x2b0
	s_mov_b32 s0, 0
.LBB60_372:                             ; =>This Inner Loop Header: Depth=1
	scratch_load_b64 v[130:131], off, s17
	v_dual_mov_b32 v129, s19 :: v_dual_add_nc_u32 v128, -1, v128
	s_add_co_i32 s19, s19, 8
	s_wait_xcnt 0x0
	s_add_co_i32 s17, s17, 8
	ds_load_b64 v[132:133], v129
	v_cmp_eq_u32_e32 vcc_lo, 0, v128
	s_or_b32 s0, vcc_lo, s0
	s_wait_loadcnt_dscnt 0x0
	v_pk_mul_f32 v[134:135], v[132:133], v[130:131] op_sel:[1,1] op_sel_hi:[0,1]
	s_delay_alu instid0(VALU_DEP_1) | instskip(SKIP_1) | instid1(VALU_DEP_2)
	v_pk_fma_f32 v[136:137], v[132:133], v[130:131], v[134:135] op_sel_hi:[1,0,1]
	v_pk_fma_f32 v[130:131], v[132:133], v[130:131], v[134:135] neg_lo:[0,0,1] neg_hi:[0,0,1]
	v_mov_b32_e32 v131, v137
	s_delay_alu instid0(VALU_DEP_1)
	v_pk_add_f32 v[126:127], v[126:127], v[130:131]
	s_and_not1_b32 exec_lo, exec_lo, s0
	s_cbranch_execnz .LBB60_372
; %bb.373:
	s_or_b32 exec_lo, exec_lo, s0
.LBB60_374:
	s_delay_alu instid0(SALU_CYCLE_1) | instskip(SKIP_4) | instid1(VALU_DEP_1)
	s_or_b32 exec_lo, exec_lo, s18
	v_mov_b32_e32 v128, 0
	ds_load_b64 v[128:129], v128 offset:184
	s_wait_dscnt 0x0
	v_pk_mul_f32 v[130:131], v[126:127], v[128:129] op_sel:[1,1] op_sel_hi:[0,1]
	v_pk_fma_f32 v[132:133], v[126:127], v[128:129], v[130:131] op_sel_hi:[1,0,1]
	v_pk_fma_f32 v[126:127], v[126:127], v[128:129], v[130:131] neg_lo:[0,0,1] neg_hi:[0,0,1]
	s_delay_alu instid0(VALU_DEP_2)
	v_mov_b32_e32 v127, v133
	scratch_store_b64 off, v[126:127], off offset:184
.LBB60_375:
	s_wait_xcnt 0x0
	s_or_b32 exec_lo, exec_lo, s2
	scratch_load_b64 v[126:127], off, off offset:176
	v_cmp_lt_u32_e64 s0, 22, v0
	s_wait_loadcnt 0x0
	ds_store_b64 v1, v[126:127]
	s_wait_storecnt_dscnt 0x0
	s_barrier_signal -1
	s_barrier_wait -1
	s_wait_xcnt 0x0
	s_and_saveexec_b32 s2, s0
	s_cbranch_execz .LBB60_385
; %bb.376:
	s_and_not1_b32 vcc_lo, exec_lo, s3
	s_cbranch_vccnz .LBB60_378
; %bb.377:
	scratch_load_b64 v[126:127], v39, off
	ds_load_b64 v[128:129], v1
	s_wait_loadcnt_dscnt 0x0
	v_pk_mul_f32 v[130:131], v[128:129], v[126:127] op_sel:[1,1] op_sel_hi:[0,1]
	s_delay_alu instid0(VALU_DEP_1) | instskip(SKIP_1) | instid1(VALU_DEP_2)
	v_pk_fma_f32 v[132:133], v[128:129], v[126:127], v[130:131] op_sel_hi:[1,0,1]
	v_pk_fma_f32 v[126:127], v[128:129], v[126:127], v[130:131] neg_lo:[0,0,1] neg_hi:[0,0,1]
	v_mov_b32_e32 v127, v133
	s_cbranch_execz .LBB60_379
	s_branch .LBB60_380
.LBB60_378:
                                        ; implicit-def: $vgpr126_vgpr127
.LBB60_379:
	ds_load_b64 v[126:127], v1
.LBB60_380:
	s_and_saveexec_b32 s17, s1
	s_cbranch_execz .LBB60_384
; %bb.381:
	v_subrev_nc_u32_e32 v128, 23, v0
	s_movk_i32 s1, 0xb8
	s_movk_i32 s19, 0x2a8
	s_mov_b32 s18, 0
.LBB60_382:                             ; =>This Inner Loop Header: Depth=1
	scratch_load_b64 v[130:131], off, s1
	v_dual_mov_b32 v129, s19 :: v_dual_add_nc_u32 v128, -1, v128
	s_add_co_i32 s19, s19, 8
	s_wait_xcnt 0x0
	s_add_co_i32 s1, s1, 8
	ds_load_b64 v[132:133], v129
	v_cmp_eq_u32_e32 vcc_lo, 0, v128
	s_or_b32 s18, vcc_lo, s18
	s_wait_loadcnt_dscnt 0x0
	v_pk_mul_f32 v[134:135], v[132:133], v[130:131] op_sel:[1,1] op_sel_hi:[0,1]
	s_delay_alu instid0(VALU_DEP_1) | instskip(SKIP_1) | instid1(VALU_DEP_2)
	v_pk_fma_f32 v[136:137], v[132:133], v[130:131], v[134:135] op_sel_hi:[1,0,1]
	v_pk_fma_f32 v[130:131], v[132:133], v[130:131], v[134:135] neg_lo:[0,0,1] neg_hi:[0,0,1]
	v_mov_b32_e32 v131, v137
	s_delay_alu instid0(VALU_DEP_1)
	v_pk_add_f32 v[126:127], v[126:127], v[130:131]
	s_and_not1_b32 exec_lo, exec_lo, s18
	s_cbranch_execnz .LBB60_382
; %bb.383:
	s_or_b32 exec_lo, exec_lo, s18
.LBB60_384:
	s_delay_alu instid0(SALU_CYCLE_1) | instskip(SKIP_4) | instid1(VALU_DEP_1)
	s_or_b32 exec_lo, exec_lo, s17
	v_mov_b32_e32 v128, 0
	ds_load_b64 v[128:129], v128 offset:176
	s_wait_dscnt 0x0
	v_pk_mul_f32 v[130:131], v[126:127], v[128:129] op_sel:[1,1] op_sel_hi:[0,1]
	v_pk_fma_f32 v[132:133], v[126:127], v[128:129], v[130:131] op_sel_hi:[1,0,1]
	v_pk_fma_f32 v[126:127], v[126:127], v[128:129], v[130:131] neg_lo:[0,0,1] neg_hi:[0,0,1]
	s_delay_alu instid0(VALU_DEP_2)
	v_mov_b32_e32 v127, v133
	scratch_store_b64 off, v[126:127], off offset:176
.LBB60_385:
	s_wait_xcnt 0x0
	s_or_b32 exec_lo, exec_lo, s2
	scratch_load_b64 v[126:127], off, off offset:168
	v_cmp_lt_u32_e64 s1, 21, v0
	s_wait_loadcnt 0x0
	ds_store_b64 v1, v[126:127]
	s_wait_storecnt_dscnt 0x0
	s_barrier_signal -1
	s_barrier_wait -1
	s_wait_xcnt 0x0
	s_and_saveexec_b32 s2, s1
	s_cbranch_execz .LBB60_395
; %bb.386:
	s_and_not1_b32 vcc_lo, exec_lo, s3
	s_cbranch_vccnz .LBB60_388
; %bb.387:
	scratch_load_b64 v[126:127], v39, off
	ds_load_b64 v[128:129], v1
	s_wait_loadcnt_dscnt 0x0
	v_pk_mul_f32 v[130:131], v[128:129], v[126:127] op_sel:[1,1] op_sel_hi:[0,1]
	s_delay_alu instid0(VALU_DEP_1) | instskip(SKIP_1) | instid1(VALU_DEP_2)
	v_pk_fma_f32 v[132:133], v[128:129], v[126:127], v[130:131] op_sel_hi:[1,0,1]
	v_pk_fma_f32 v[126:127], v[128:129], v[126:127], v[130:131] neg_lo:[0,0,1] neg_hi:[0,0,1]
	v_mov_b32_e32 v127, v133
	s_cbranch_execz .LBB60_389
	s_branch .LBB60_390
.LBB60_388:
                                        ; implicit-def: $vgpr126_vgpr127
.LBB60_389:
	ds_load_b64 v[126:127], v1
.LBB60_390:
	s_and_saveexec_b32 s17, s0
	s_cbranch_execz .LBB60_394
; %bb.391:
	v_subrev_nc_u32_e32 v128, 22, v0
	s_movk_i32 s18, 0x2a0
	s_mov_b32 s0, 0
.LBB60_392:                             ; =>This Inner Loop Header: Depth=1
	scratch_load_b64 v[130:131], off, s16
	v_dual_mov_b32 v129, s18 :: v_dual_add_nc_u32 v128, -1, v128
	s_add_co_i32 s18, s18, 8
	s_wait_xcnt 0x0
	s_add_co_i32 s16, s16, 8
	ds_load_b64 v[132:133], v129
	v_cmp_eq_u32_e32 vcc_lo, 0, v128
	s_or_b32 s0, vcc_lo, s0
	s_wait_loadcnt_dscnt 0x0
	v_pk_mul_f32 v[134:135], v[132:133], v[130:131] op_sel:[1,1] op_sel_hi:[0,1]
	s_delay_alu instid0(VALU_DEP_1) | instskip(SKIP_1) | instid1(VALU_DEP_2)
	v_pk_fma_f32 v[136:137], v[132:133], v[130:131], v[134:135] op_sel_hi:[1,0,1]
	v_pk_fma_f32 v[130:131], v[132:133], v[130:131], v[134:135] neg_lo:[0,0,1] neg_hi:[0,0,1]
	v_mov_b32_e32 v131, v137
	s_delay_alu instid0(VALU_DEP_1)
	v_pk_add_f32 v[126:127], v[126:127], v[130:131]
	s_and_not1_b32 exec_lo, exec_lo, s0
	s_cbranch_execnz .LBB60_392
; %bb.393:
	s_or_b32 exec_lo, exec_lo, s0
.LBB60_394:
	s_delay_alu instid0(SALU_CYCLE_1) | instskip(SKIP_4) | instid1(VALU_DEP_1)
	s_or_b32 exec_lo, exec_lo, s17
	v_mov_b32_e32 v128, 0
	ds_load_b64 v[128:129], v128 offset:168
	s_wait_dscnt 0x0
	v_pk_mul_f32 v[130:131], v[126:127], v[128:129] op_sel:[1,1] op_sel_hi:[0,1]
	v_pk_fma_f32 v[132:133], v[126:127], v[128:129], v[130:131] op_sel_hi:[1,0,1]
	v_pk_fma_f32 v[126:127], v[126:127], v[128:129], v[130:131] neg_lo:[0,0,1] neg_hi:[0,0,1]
	s_delay_alu instid0(VALU_DEP_2)
	v_mov_b32_e32 v127, v133
	scratch_store_b64 off, v[126:127], off offset:168
.LBB60_395:
	s_wait_xcnt 0x0
	s_or_b32 exec_lo, exec_lo, s2
	scratch_load_b64 v[126:127], off, off offset:160
	v_cmp_lt_u32_e64 s0, 20, v0
	s_wait_loadcnt 0x0
	ds_store_b64 v1, v[126:127]
	s_wait_storecnt_dscnt 0x0
	s_barrier_signal -1
	s_barrier_wait -1
	s_wait_xcnt 0x0
	s_and_saveexec_b32 s2, s0
	s_cbranch_execz .LBB60_405
; %bb.396:
	s_and_not1_b32 vcc_lo, exec_lo, s3
	s_cbranch_vccnz .LBB60_398
; %bb.397:
	scratch_load_b64 v[126:127], v39, off
	ds_load_b64 v[128:129], v1
	s_wait_loadcnt_dscnt 0x0
	v_pk_mul_f32 v[130:131], v[128:129], v[126:127] op_sel:[1,1] op_sel_hi:[0,1]
	s_delay_alu instid0(VALU_DEP_1) | instskip(SKIP_1) | instid1(VALU_DEP_2)
	v_pk_fma_f32 v[132:133], v[128:129], v[126:127], v[130:131] op_sel_hi:[1,0,1]
	v_pk_fma_f32 v[126:127], v[128:129], v[126:127], v[130:131] neg_lo:[0,0,1] neg_hi:[0,0,1]
	v_mov_b32_e32 v127, v133
	s_cbranch_execz .LBB60_399
	s_branch .LBB60_400
.LBB60_398:
                                        ; implicit-def: $vgpr126_vgpr127
.LBB60_399:
	ds_load_b64 v[126:127], v1
.LBB60_400:
	s_and_saveexec_b32 s16, s1
	s_cbranch_execz .LBB60_404
; %bb.401:
	v_subrev_nc_u32_e32 v128, 21, v0
	s_movk_i32 s1, 0xa8
	s_movk_i32 s18, 0x298
	s_mov_b32 s17, 0
.LBB60_402:                             ; =>This Inner Loop Header: Depth=1
	scratch_load_b64 v[130:131], off, s1
	v_dual_mov_b32 v129, s18 :: v_dual_add_nc_u32 v128, -1, v128
	s_add_co_i32 s18, s18, 8
	s_wait_xcnt 0x0
	s_add_co_i32 s1, s1, 8
	ds_load_b64 v[132:133], v129
	v_cmp_eq_u32_e32 vcc_lo, 0, v128
	s_or_b32 s17, vcc_lo, s17
	s_wait_loadcnt_dscnt 0x0
	v_pk_mul_f32 v[134:135], v[132:133], v[130:131] op_sel:[1,1] op_sel_hi:[0,1]
	s_delay_alu instid0(VALU_DEP_1) | instskip(SKIP_1) | instid1(VALU_DEP_2)
	v_pk_fma_f32 v[136:137], v[132:133], v[130:131], v[134:135] op_sel_hi:[1,0,1]
	v_pk_fma_f32 v[130:131], v[132:133], v[130:131], v[134:135] neg_lo:[0,0,1] neg_hi:[0,0,1]
	v_mov_b32_e32 v131, v137
	s_delay_alu instid0(VALU_DEP_1)
	v_pk_add_f32 v[126:127], v[126:127], v[130:131]
	s_and_not1_b32 exec_lo, exec_lo, s17
	s_cbranch_execnz .LBB60_402
; %bb.403:
	s_or_b32 exec_lo, exec_lo, s17
.LBB60_404:
	s_delay_alu instid0(SALU_CYCLE_1) | instskip(SKIP_4) | instid1(VALU_DEP_1)
	s_or_b32 exec_lo, exec_lo, s16
	v_mov_b32_e32 v128, 0
	ds_load_b64 v[128:129], v128 offset:160
	s_wait_dscnt 0x0
	v_pk_mul_f32 v[130:131], v[126:127], v[128:129] op_sel:[1,1] op_sel_hi:[0,1]
	v_pk_fma_f32 v[132:133], v[126:127], v[128:129], v[130:131] op_sel_hi:[1,0,1]
	v_pk_fma_f32 v[126:127], v[126:127], v[128:129], v[130:131] neg_lo:[0,0,1] neg_hi:[0,0,1]
	s_delay_alu instid0(VALU_DEP_2)
	v_mov_b32_e32 v127, v133
	scratch_store_b64 off, v[126:127], off offset:160
.LBB60_405:
	s_wait_xcnt 0x0
	s_or_b32 exec_lo, exec_lo, s2
	scratch_load_b64 v[126:127], off, off offset:152
	v_cmp_lt_u32_e64 s1, 19, v0
	s_wait_loadcnt 0x0
	ds_store_b64 v1, v[126:127]
	s_wait_storecnt_dscnt 0x0
	s_barrier_signal -1
	s_barrier_wait -1
	s_wait_xcnt 0x0
	s_and_saveexec_b32 s2, s1
	s_cbranch_execz .LBB60_415
; %bb.406:
	s_and_not1_b32 vcc_lo, exec_lo, s3
	s_cbranch_vccnz .LBB60_408
; %bb.407:
	scratch_load_b64 v[126:127], v39, off
	ds_load_b64 v[128:129], v1
	s_wait_loadcnt_dscnt 0x0
	v_pk_mul_f32 v[130:131], v[128:129], v[126:127] op_sel:[1,1] op_sel_hi:[0,1]
	s_delay_alu instid0(VALU_DEP_1) | instskip(SKIP_1) | instid1(VALU_DEP_2)
	v_pk_fma_f32 v[132:133], v[128:129], v[126:127], v[130:131] op_sel_hi:[1,0,1]
	v_pk_fma_f32 v[126:127], v[128:129], v[126:127], v[130:131] neg_lo:[0,0,1] neg_hi:[0,0,1]
	v_mov_b32_e32 v127, v133
	s_cbranch_execz .LBB60_409
	s_branch .LBB60_410
.LBB60_408:
                                        ; implicit-def: $vgpr126_vgpr127
.LBB60_409:
	ds_load_b64 v[126:127], v1
.LBB60_410:
	s_and_saveexec_b32 s16, s0
	s_cbranch_execz .LBB60_414
; %bb.411:
	v_subrev_nc_u32_e32 v128, 20, v0
	s_movk_i32 s17, 0x290
	s_mov_b32 s0, 0
.LBB60_412:                             ; =>This Inner Loop Header: Depth=1
	scratch_load_b64 v[130:131], off, s15
	v_dual_mov_b32 v129, s17 :: v_dual_add_nc_u32 v128, -1, v128
	s_add_co_i32 s17, s17, 8
	s_wait_xcnt 0x0
	s_add_co_i32 s15, s15, 8
	ds_load_b64 v[132:133], v129
	v_cmp_eq_u32_e32 vcc_lo, 0, v128
	s_or_b32 s0, vcc_lo, s0
	s_wait_loadcnt_dscnt 0x0
	v_pk_mul_f32 v[134:135], v[132:133], v[130:131] op_sel:[1,1] op_sel_hi:[0,1]
	s_delay_alu instid0(VALU_DEP_1) | instskip(SKIP_1) | instid1(VALU_DEP_2)
	v_pk_fma_f32 v[136:137], v[132:133], v[130:131], v[134:135] op_sel_hi:[1,0,1]
	v_pk_fma_f32 v[130:131], v[132:133], v[130:131], v[134:135] neg_lo:[0,0,1] neg_hi:[0,0,1]
	v_mov_b32_e32 v131, v137
	s_delay_alu instid0(VALU_DEP_1)
	v_pk_add_f32 v[126:127], v[126:127], v[130:131]
	s_and_not1_b32 exec_lo, exec_lo, s0
	s_cbranch_execnz .LBB60_412
; %bb.413:
	s_or_b32 exec_lo, exec_lo, s0
.LBB60_414:
	s_delay_alu instid0(SALU_CYCLE_1) | instskip(SKIP_4) | instid1(VALU_DEP_1)
	s_or_b32 exec_lo, exec_lo, s16
	v_mov_b32_e32 v128, 0
	ds_load_b64 v[128:129], v128 offset:152
	s_wait_dscnt 0x0
	v_pk_mul_f32 v[130:131], v[126:127], v[128:129] op_sel:[1,1] op_sel_hi:[0,1]
	v_pk_fma_f32 v[132:133], v[126:127], v[128:129], v[130:131] op_sel_hi:[1,0,1]
	v_pk_fma_f32 v[126:127], v[126:127], v[128:129], v[130:131] neg_lo:[0,0,1] neg_hi:[0,0,1]
	s_delay_alu instid0(VALU_DEP_2)
	v_mov_b32_e32 v127, v133
	scratch_store_b64 off, v[126:127], off offset:152
.LBB60_415:
	s_wait_xcnt 0x0
	s_or_b32 exec_lo, exec_lo, s2
	scratch_load_b64 v[126:127], off, off offset:144
	v_cmp_lt_u32_e64 s0, 18, v0
	s_wait_loadcnt 0x0
	ds_store_b64 v1, v[126:127]
	s_wait_storecnt_dscnt 0x0
	s_barrier_signal -1
	s_barrier_wait -1
	s_wait_xcnt 0x0
	s_and_saveexec_b32 s2, s0
	s_cbranch_execz .LBB60_425
; %bb.416:
	s_and_not1_b32 vcc_lo, exec_lo, s3
	s_cbranch_vccnz .LBB60_418
; %bb.417:
	scratch_load_b64 v[126:127], v39, off
	ds_load_b64 v[128:129], v1
	s_wait_loadcnt_dscnt 0x0
	v_pk_mul_f32 v[130:131], v[128:129], v[126:127] op_sel:[1,1] op_sel_hi:[0,1]
	s_delay_alu instid0(VALU_DEP_1) | instskip(SKIP_1) | instid1(VALU_DEP_2)
	v_pk_fma_f32 v[132:133], v[128:129], v[126:127], v[130:131] op_sel_hi:[1,0,1]
	v_pk_fma_f32 v[126:127], v[128:129], v[126:127], v[130:131] neg_lo:[0,0,1] neg_hi:[0,0,1]
	v_mov_b32_e32 v127, v133
	s_cbranch_execz .LBB60_419
	s_branch .LBB60_420
.LBB60_418:
                                        ; implicit-def: $vgpr126_vgpr127
.LBB60_419:
	ds_load_b64 v[126:127], v1
.LBB60_420:
	s_and_saveexec_b32 s15, s1
	s_cbranch_execz .LBB60_424
; %bb.421:
	v_subrev_nc_u32_e32 v128, 19, v0
	s_movk_i32 s1, 0x98
	s_movk_i32 s17, 0x288
	s_mov_b32 s16, 0
.LBB60_422:                             ; =>This Inner Loop Header: Depth=1
	scratch_load_b64 v[130:131], off, s1
	v_dual_mov_b32 v129, s17 :: v_dual_add_nc_u32 v128, -1, v128
	s_add_co_i32 s17, s17, 8
	s_wait_xcnt 0x0
	s_add_co_i32 s1, s1, 8
	ds_load_b64 v[132:133], v129
	v_cmp_eq_u32_e32 vcc_lo, 0, v128
	s_or_b32 s16, vcc_lo, s16
	s_wait_loadcnt_dscnt 0x0
	v_pk_mul_f32 v[134:135], v[132:133], v[130:131] op_sel:[1,1] op_sel_hi:[0,1]
	s_delay_alu instid0(VALU_DEP_1) | instskip(SKIP_1) | instid1(VALU_DEP_2)
	v_pk_fma_f32 v[136:137], v[132:133], v[130:131], v[134:135] op_sel_hi:[1,0,1]
	v_pk_fma_f32 v[130:131], v[132:133], v[130:131], v[134:135] neg_lo:[0,0,1] neg_hi:[0,0,1]
	v_mov_b32_e32 v131, v137
	s_delay_alu instid0(VALU_DEP_1)
	v_pk_add_f32 v[126:127], v[126:127], v[130:131]
	s_and_not1_b32 exec_lo, exec_lo, s16
	s_cbranch_execnz .LBB60_422
; %bb.423:
	s_or_b32 exec_lo, exec_lo, s16
.LBB60_424:
	s_delay_alu instid0(SALU_CYCLE_1) | instskip(SKIP_4) | instid1(VALU_DEP_1)
	s_or_b32 exec_lo, exec_lo, s15
	v_mov_b32_e32 v128, 0
	ds_load_b64 v[128:129], v128 offset:144
	s_wait_dscnt 0x0
	v_pk_mul_f32 v[130:131], v[126:127], v[128:129] op_sel:[1,1] op_sel_hi:[0,1]
	v_pk_fma_f32 v[132:133], v[126:127], v[128:129], v[130:131] op_sel_hi:[1,0,1]
	v_pk_fma_f32 v[126:127], v[126:127], v[128:129], v[130:131] neg_lo:[0,0,1] neg_hi:[0,0,1]
	s_delay_alu instid0(VALU_DEP_2)
	v_mov_b32_e32 v127, v133
	scratch_store_b64 off, v[126:127], off offset:144
.LBB60_425:
	s_wait_xcnt 0x0
	s_or_b32 exec_lo, exec_lo, s2
	scratch_load_b64 v[126:127], off, off offset:136
	v_cmp_lt_u32_e64 s1, 17, v0
	s_wait_loadcnt 0x0
	ds_store_b64 v1, v[126:127]
	s_wait_storecnt_dscnt 0x0
	s_barrier_signal -1
	s_barrier_wait -1
	s_wait_xcnt 0x0
	s_and_saveexec_b32 s2, s1
	s_cbranch_execz .LBB60_435
; %bb.426:
	s_and_not1_b32 vcc_lo, exec_lo, s3
	s_cbranch_vccnz .LBB60_428
; %bb.427:
	scratch_load_b64 v[126:127], v39, off
	ds_load_b64 v[128:129], v1
	s_wait_loadcnt_dscnt 0x0
	v_pk_mul_f32 v[130:131], v[128:129], v[126:127] op_sel:[1,1] op_sel_hi:[0,1]
	s_delay_alu instid0(VALU_DEP_1) | instskip(SKIP_1) | instid1(VALU_DEP_2)
	v_pk_fma_f32 v[132:133], v[128:129], v[126:127], v[130:131] op_sel_hi:[1,0,1]
	v_pk_fma_f32 v[126:127], v[128:129], v[126:127], v[130:131] neg_lo:[0,0,1] neg_hi:[0,0,1]
	v_mov_b32_e32 v127, v133
	s_cbranch_execz .LBB60_429
	s_branch .LBB60_430
.LBB60_428:
                                        ; implicit-def: $vgpr126_vgpr127
.LBB60_429:
	ds_load_b64 v[126:127], v1
.LBB60_430:
	s_and_saveexec_b32 s15, s0
	s_cbranch_execz .LBB60_434
; %bb.431:
	v_subrev_nc_u32_e32 v128, 18, v0
	s_movk_i32 s16, 0x280
	s_mov_b32 s0, 0
.LBB60_432:                             ; =>This Inner Loop Header: Depth=1
	scratch_load_b64 v[130:131], off, s14
	v_dual_mov_b32 v129, s16 :: v_dual_add_nc_u32 v128, -1, v128
	s_add_co_i32 s16, s16, 8
	s_wait_xcnt 0x0
	s_add_co_i32 s14, s14, 8
	ds_load_b64 v[132:133], v129
	v_cmp_eq_u32_e32 vcc_lo, 0, v128
	s_or_b32 s0, vcc_lo, s0
	s_wait_loadcnt_dscnt 0x0
	v_pk_mul_f32 v[134:135], v[132:133], v[130:131] op_sel:[1,1] op_sel_hi:[0,1]
	s_delay_alu instid0(VALU_DEP_1) | instskip(SKIP_1) | instid1(VALU_DEP_2)
	v_pk_fma_f32 v[136:137], v[132:133], v[130:131], v[134:135] op_sel_hi:[1,0,1]
	v_pk_fma_f32 v[130:131], v[132:133], v[130:131], v[134:135] neg_lo:[0,0,1] neg_hi:[0,0,1]
	v_mov_b32_e32 v131, v137
	s_delay_alu instid0(VALU_DEP_1)
	v_pk_add_f32 v[126:127], v[126:127], v[130:131]
	s_and_not1_b32 exec_lo, exec_lo, s0
	s_cbranch_execnz .LBB60_432
; %bb.433:
	s_or_b32 exec_lo, exec_lo, s0
.LBB60_434:
	s_delay_alu instid0(SALU_CYCLE_1) | instskip(SKIP_4) | instid1(VALU_DEP_1)
	s_or_b32 exec_lo, exec_lo, s15
	v_mov_b32_e32 v128, 0
	ds_load_b64 v[128:129], v128 offset:136
	s_wait_dscnt 0x0
	v_pk_mul_f32 v[130:131], v[126:127], v[128:129] op_sel:[1,1] op_sel_hi:[0,1]
	v_pk_fma_f32 v[132:133], v[126:127], v[128:129], v[130:131] op_sel_hi:[1,0,1]
	v_pk_fma_f32 v[126:127], v[126:127], v[128:129], v[130:131] neg_lo:[0,0,1] neg_hi:[0,0,1]
	s_delay_alu instid0(VALU_DEP_2)
	v_mov_b32_e32 v127, v133
	scratch_store_b64 off, v[126:127], off offset:136
.LBB60_435:
	s_wait_xcnt 0x0
	s_or_b32 exec_lo, exec_lo, s2
	scratch_load_b64 v[126:127], off, off offset:128
	v_cmp_lt_u32_e64 s0, 16, v0
	s_wait_loadcnt 0x0
	ds_store_b64 v1, v[126:127]
	s_wait_storecnt_dscnt 0x0
	s_barrier_signal -1
	s_barrier_wait -1
	s_wait_xcnt 0x0
	s_and_saveexec_b32 s2, s0
	s_cbranch_execz .LBB60_445
; %bb.436:
	s_and_not1_b32 vcc_lo, exec_lo, s3
	s_cbranch_vccnz .LBB60_438
; %bb.437:
	scratch_load_b64 v[126:127], v39, off
	ds_load_b64 v[128:129], v1
	s_wait_loadcnt_dscnt 0x0
	v_pk_mul_f32 v[130:131], v[128:129], v[126:127] op_sel:[1,1] op_sel_hi:[0,1]
	s_delay_alu instid0(VALU_DEP_1) | instskip(SKIP_1) | instid1(VALU_DEP_2)
	v_pk_fma_f32 v[132:133], v[128:129], v[126:127], v[130:131] op_sel_hi:[1,0,1]
	v_pk_fma_f32 v[126:127], v[128:129], v[126:127], v[130:131] neg_lo:[0,0,1] neg_hi:[0,0,1]
	v_mov_b32_e32 v127, v133
	s_cbranch_execz .LBB60_439
	s_branch .LBB60_440
.LBB60_438:
                                        ; implicit-def: $vgpr126_vgpr127
.LBB60_439:
	ds_load_b64 v[126:127], v1
.LBB60_440:
	s_and_saveexec_b32 s14, s1
	s_cbranch_execz .LBB60_444
; %bb.441:
	v_subrev_nc_u32_e32 v128, 17, v0
	s_movk_i32 s1, 0x88
	s_movk_i32 s16, 0x278
	s_mov_b32 s15, 0
.LBB60_442:                             ; =>This Inner Loop Header: Depth=1
	scratch_load_b64 v[130:131], off, s1
	v_dual_mov_b32 v129, s16 :: v_dual_add_nc_u32 v128, -1, v128
	s_add_co_i32 s16, s16, 8
	s_wait_xcnt 0x0
	s_add_co_i32 s1, s1, 8
	ds_load_b64 v[132:133], v129
	v_cmp_eq_u32_e32 vcc_lo, 0, v128
	s_or_b32 s15, vcc_lo, s15
	s_wait_loadcnt_dscnt 0x0
	v_pk_mul_f32 v[134:135], v[132:133], v[130:131] op_sel:[1,1] op_sel_hi:[0,1]
	s_delay_alu instid0(VALU_DEP_1) | instskip(SKIP_1) | instid1(VALU_DEP_2)
	v_pk_fma_f32 v[136:137], v[132:133], v[130:131], v[134:135] op_sel_hi:[1,0,1]
	v_pk_fma_f32 v[130:131], v[132:133], v[130:131], v[134:135] neg_lo:[0,0,1] neg_hi:[0,0,1]
	v_mov_b32_e32 v131, v137
	s_delay_alu instid0(VALU_DEP_1)
	v_pk_add_f32 v[126:127], v[126:127], v[130:131]
	s_and_not1_b32 exec_lo, exec_lo, s15
	s_cbranch_execnz .LBB60_442
; %bb.443:
	s_or_b32 exec_lo, exec_lo, s15
.LBB60_444:
	s_delay_alu instid0(SALU_CYCLE_1) | instskip(SKIP_4) | instid1(VALU_DEP_1)
	s_or_b32 exec_lo, exec_lo, s14
	v_mov_b32_e32 v128, 0
	ds_load_b64 v[128:129], v128 offset:128
	s_wait_dscnt 0x0
	v_pk_mul_f32 v[130:131], v[126:127], v[128:129] op_sel:[1,1] op_sel_hi:[0,1]
	v_pk_fma_f32 v[132:133], v[126:127], v[128:129], v[130:131] op_sel_hi:[1,0,1]
	v_pk_fma_f32 v[126:127], v[126:127], v[128:129], v[130:131] neg_lo:[0,0,1] neg_hi:[0,0,1]
	s_delay_alu instid0(VALU_DEP_2)
	v_mov_b32_e32 v127, v133
	scratch_store_b64 off, v[126:127], off offset:128
.LBB60_445:
	s_wait_xcnt 0x0
	s_or_b32 exec_lo, exec_lo, s2
	scratch_load_b64 v[126:127], off, off offset:120
	v_cmp_lt_u32_e64 s1, 15, v0
	s_wait_loadcnt 0x0
	ds_store_b64 v1, v[126:127]
	s_wait_storecnt_dscnt 0x0
	s_barrier_signal -1
	s_barrier_wait -1
	s_wait_xcnt 0x0
	s_and_saveexec_b32 s2, s1
	s_cbranch_execz .LBB60_455
; %bb.446:
	s_and_not1_b32 vcc_lo, exec_lo, s3
	s_cbranch_vccnz .LBB60_448
; %bb.447:
	scratch_load_b64 v[126:127], v39, off
	ds_load_b64 v[128:129], v1
	s_wait_loadcnt_dscnt 0x0
	v_pk_mul_f32 v[130:131], v[128:129], v[126:127] op_sel:[1,1] op_sel_hi:[0,1]
	s_delay_alu instid0(VALU_DEP_1) | instskip(SKIP_1) | instid1(VALU_DEP_2)
	v_pk_fma_f32 v[132:133], v[128:129], v[126:127], v[130:131] op_sel_hi:[1,0,1]
	v_pk_fma_f32 v[126:127], v[128:129], v[126:127], v[130:131] neg_lo:[0,0,1] neg_hi:[0,0,1]
	v_mov_b32_e32 v127, v133
	s_cbranch_execz .LBB60_449
	s_branch .LBB60_450
.LBB60_448:
                                        ; implicit-def: $vgpr126_vgpr127
.LBB60_449:
	ds_load_b64 v[126:127], v1
.LBB60_450:
	s_and_saveexec_b32 s14, s0
	s_cbranch_execz .LBB60_454
; %bb.451:
	v_add_nc_u32_e32 v128, -16, v0
	s_movk_i32 s15, 0x270
	s_mov_b32 s0, 0
.LBB60_452:                             ; =>This Inner Loop Header: Depth=1
	scratch_load_b64 v[130:131], off, s13
	v_dual_mov_b32 v129, s15 :: v_dual_add_nc_u32 v128, -1, v128
	s_add_co_i32 s15, s15, 8
	s_wait_xcnt 0x0
	s_add_co_i32 s13, s13, 8
	ds_load_b64 v[132:133], v129
	v_cmp_eq_u32_e32 vcc_lo, 0, v128
	s_or_b32 s0, vcc_lo, s0
	s_wait_loadcnt_dscnt 0x0
	v_pk_mul_f32 v[134:135], v[132:133], v[130:131] op_sel:[1,1] op_sel_hi:[0,1]
	s_delay_alu instid0(VALU_DEP_1) | instskip(SKIP_1) | instid1(VALU_DEP_2)
	v_pk_fma_f32 v[136:137], v[132:133], v[130:131], v[134:135] op_sel_hi:[1,0,1]
	v_pk_fma_f32 v[130:131], v[132:133], v[130:131], v[134:135] neg_lo:[0,0,1] neg_hi:[0,0,1]
	v_mov_b32_e32 v131, v137
	s_delay_alu instid0(VALU_DEP_1)
	v_pk_add_f32 v[126:127], v[126:127], v[130:131]
	s_and_not1_b32 exec_lo, exec_lo, s0
	s_cbranch_execnz .LBB60_452
; %bb.453:
	s_or_b32 exec_lo, exec_lo, s0
.LBB60_454:
	s_delay_alu instid0(SALU_CYCLE_1) | instskip(SKIP_4) | instid1(VALU_DEP_1)
	s_or_b32 exec_lo, exec_lo, s14
	v_mov_b32_e32 v128, 0
	ds_load_b64 v[128:129], v128 offset:120
	s_wait_dscnt 0x0
	v_pk_mul_f32 v[130:131], v[126:127], v[128:129] op_sel:[1,1] op_sel_hi:[0,1]
	v_pk_fma_f32 v[132:133], v[126:127], v[128:129], v[130:131] op_sel_hi:[1,0,1]
	v_pk_fma_f32 v[126:127], v[126:127], v[128:129], v[130:131] neg_lo:[0,0,1] neg_hi:[0,0,1]
	s_delay_alu instid0(VALU_DEP_2)
	v_mov_b32_e32 v127, v133
	scratch_store_b64 off, v[126:127], off offset:120
.LBB60_455:
	s_wait_xcnt 0x0
	s_or_b32 exec_lo, exec_lo, s2
	scratch_load_b64 v[126:127], off, off offset:112
	v_cmp_lt_u32_e64 s0, 14, v0
	s_wait_loadcnt 0x0
	ds_store_b64 v1, v[126:127]
	s_wait_storecnt_dscnt 0x0
	s_barrier_signal -1
	s_barrier_wait -1
	s_wait_xcnt 0x0
	s_and_saveexec_b32 s2, s0
	s_cbranch_execz .LBB60_465
; %bb.456:
	s_and_not1_b32 vcc_lo, exec_lo, s3
	s_cbranch_vccnz .LBB60_458
; %bb.457:
	scratch_load_b64 v[126:127], v39, off
	ds_load_b64 v[128:129], v1
	s_wait_loadcnt_dscnt 0x0
	v_pk_mul_f32 v[130:131], v[128:129], v[126:127] op_sel:[1,1] op_sel_hi:[0,1]
	s_delay_alu instid0(VALU_DEP_1) | instskip(SKIP_1) | instid1(VALU_DEP_2)
	v_pk_fma_f32 v[132:133], v[128:129], v[126:127], v[130:131] op_sel_hi:[1,0,1]
	v_pk_fma_f32 v[126:127], v[128:129], v[126:127], v[130:131] neg_lo:[0,0,1] neg_hi:[0,0,1]
	v_mov_b32_e32 v127, v133
	s_cbranch_execz .LBB60_459
	s_branch .LBB60_460
.LBB60_458:
                                        ; implicit-def: $vgpr126_vgpr127
.LBB60_459:
	ds_load_b64 v[126:127], v1
.LBB60_460:
	s_and_saveexec_b32 s13, s1
	s_cbranch_execz .LBB60_464
; %bb.461:
	v_add_nc_u32_e32 v128, -15, v0
	s_movk_i32 s1, 0x78
	s_movk_i32 s15, 0x268
	s_mov_b32 s14, 0
.LBB60_462:                             ; =>This Inner Loop Header: Depth=1
	scratch_load_b64 v[130:131], off, s1
	v_dual_mov_b32 v129, s15 :: v_dual_add_nc_u32 v128, -1, v128
	s_add_co_i32 s15, s15, 8
	s_wait_xcnt 0x0
	s_add_co_i32 s1, s1, 8
	ds_load_b64 v[132:133], v129
	v_cmp_eq_u32_e32 vcc_lo, 0, v128
	s_or_b32 s14, vcc_lo, s14
	s_wait_loadcnt_dscnt 0x0
	v_pk_mul_f32 v[134:135], v[132:133], v[130:131] op_sel:[1,1] op_sel_hi:[0,1]
	s_delay_alu instid0(VALU_DEP_1) | instskip(SKIP_1) | instid1(VALU_DEP_2)
	v_pk_fma_f32 v[136:137], v[132:133], v[130:131], v[134:135] op_sel_hi:[1,0,1]
	v_pk_fma_f32 v[130:131], v[132:133], v[130:131], v[134:135] neg_lo:[0,0,1] neg_hi:[0,0,1]
	v_mov_b32_e32 v131, v137
	s_delay_alu instid0(VALU_DEP_1)
	v_pk_add_f32 v[126:127], v[126:127], v[130:131]
	s_and_not1_b32 exec_lo, exec_lo, s14
	s_cbranch_execnz .LBB60_462
; %bb.463:
	s_or_b32 exec_lo, exec_lo, s14
.LBB60_464:
	s_delay_alu instid0(SALU_CYCLE_1) | instskip(SKIP_4) | instid1(VALU_DEP_1)
	s_or_b32 exec_lo, exec_lo, s13
	v_mov_b32_e32 v128, 0
	ds_load_b64 v[128:129], v128 offset:112
	s_wait_dscnt 0x0
	v_pk_mul_f32 v[130:131], v[126:127], v[128:129] op_sel:[1,1] op_sel_hi:[0,1]
	v_pk_fma_f32 v[132:133], v[126:127], v[128:129], v[130:131] op_sel_hi:[1,0,1]
	v_pk_fma_f32 v[126:127], v[126:127], v[128:129], v[130:131] neg_lo:[0,0,1] neg_hi:[0,0,1]
	s_delay_alu instid0(VALU_DEP_2)
	v_mov_b32_e32 v127, v133
	scratch_store_b64 off, v[126:127], off offset:112
.LBB60_465:
	s_wait_xcnt 0x0
	s_or_b32 exec_lo, exec_lo, s2
	scratch_load_b64 v[126:127], off, off offset:104
	v_cmp_lt_u32_e64 s1, 13, v0
	s_wait_loadcnt 0x0
	ds_store_b64 v1, v[126:127]
	s_wait_storecnt_dscnt 0x0
	s_barrier_signal -1
	s_barrier_wait -1
	s_wait_xcnt 0x0
	s_and_saveexec_b32 s2, s1
	s_cbranch_execz .LBB60_475
; %bb.466:
	s_and_not1_b32 vcc_lo, exec_lo, s3
	s_cbranch_vccnz .LBB60_468
; %bb.467:
	scratch_load_b64 v[126:127], v39, off
	ds_load_b64 v[128:129], v1
	s_wait_loadcnt_dscnt 0x0
	v_pk_mul_f32 v[130:131], v[128:129], v[126:127] op_sel:[1,1] op_sel_hi:[0,1]
	s_delay_alu instid0(VALU_DEP_1) | instskip(SKIP_1) | instid1(VALU_DEP_2)
	v_pk_fma_f32 v[132:133], v[128:129], v[126:127], v[130:131] op_sel_hi:[1,0,1]
	v_pk_fma_f32 v[126:127], v[128:129], v[126:127], v[130:131] neg_lo:[0,0,1] neg_hi:[0,0,1]
	v_mov_b32_e32 v127, v133
	s_cbranch_execz .LBB60_469
	s_branch .LBB60_470
.LBB60_468:
                                        ; implicit-def: $vgpr126_vgpr127
.LBB60_469:
	ds_load_b64 v[126:127], v1
.LBB60_470:
	s_and_saveexec_b32 s13, s0
	s_cbranch_execz .LBB60_474
; %bb.471:
	v_add_nc_u32_e32 v128, -14, v0
	s_movk_i32 s14, 0x260
	s_mov_b32 s0, 0
.LBB60_472:                             ; =>This Inner Loop Header: Depth=1
	scratch_load_b64 v[130:131], off, s12
	v_dual_mov_b32 v129, s14 :: v_dual_add_nc_u32 v128, -1, v128
	s_add_co_i32 s14, s14, 8
	s_wait_xcnt 0x0
	s_add_co_i32 s12, s12, 8
	ds_load_b64 v[132:133], v129
	v_cmp_eq_u32_e32 vcc_lo, 0, v128
	s_or_b32 s0, vcc_lo, s0
	s_wait_loadcnt_dscnt 0x0
	v_pk_mul_f32 v[134:135], v[132:133], v[130:131] op_sel:[1,1] op_sel_hi:[0,1]
	s_delay_alu instid0(VALU_DEP_1) | instskip(SKIP_1) | instid1(VALU_DEP_2)
	v_pk_fma_f32 v[136:137], v[132:133], v[130:131], v[134:135] op_sel_hi:[1,0,1]
	v_pk_fma_f32 v[130:131], v[132:133], v[130:131], v[134:135] neg_lo:[0,0,1] neg_hi:[0,0,1]
	v_mov_b32_e32 v131, v137
	s_delay_alu instid0(VALU_DEP_1)
	v_pk_add_f32 v[126:127], v[126:127], v[130:131]
	s_and_not1_b32 exec_lo, exec_lo, s0
	s_cbranch_execnz .LBB60_472
; %bb.473:
	s_or_b32 exec_lo, exec_lo, s0
.LBB60_474:
	s_delay_alu instid0(SALU_CYCLE_1) | instskip(SKIP_4) | instid1(VALU_DEP_1)
	s_or_b32 exec_lo, exec_lo, s13
	v_mov_b32_e32 v128, 0
	ds_load_b64 v[128:129], v128 offset:104
	s_wait_dscnt 0x0
	v_pk_mul_f32 v[130:131], v[126:127], v[128:129] op_sel:[1,1] op_sel_hi:[0,1]
	v_pk_fma_f32 v[132:133], v[126:127], v[128:129], v[130:131] op_sel_hi:[1,0,1]
	v_pk_fma_f32 v[126:127], v[126:127], v[128:129], v[130:131] neg_lo:[0,0,1] neg_hi:[0,0,1]
	s_delay_alu instid0(VALU_DEP_2)
	v_mov_b32_e32 v127, v133
	scratch_store_b64 off, v[126:127], off offset:104
.LBB60_475:
	s_wait_xcnt 0x0
	s_or_b32 exec_lo, exec_lo, s2
	scratch_load_b64 v[126:127], off, off offset:96
	v_cmp_lt_u32_e64 s0, 12, v0
	s_wait_loadcnt 0x0
	ds_store_b64 v1, v[126:127]
	s_wait_storecnt_dscnt 0x0
	s_barrier_signal -1
	s_barrier_wait -1
	s_wait_xcnt 0x0
	s_and_saveexec_b32 s2, s0
	s_cbranch_execz .LBB60_485
; %bb.476:
	s_and_not1_b32 vcc_lo, exec_lo, s3
	s_cbranch_vccnz .LBB60_478
; %bb.477:
	scratch_load_b64 v[126:127], v39, off
	ds_load_b64 v[128:129], v1
	s_wait_loadcnt_dscnt 0x0
	v_pk_mul_f32 v[130:131], v[128:129], v[126:127] op_sel:[1,1] op_sel_hi:[0,1]
	s_delay_alu instid0(VALU_DEP_1) | instskip(SKIP_1) | instid1(VALU_DEP_2)
	v_pk_fma_f32 v[132:133], v[128:129], v[126:127], v[130:131] op_sel_hi:[1,0,1]
	v_pk_fma_f32 v[126:127], v[128:129], v[126:127], v[130:131] neg_lo:[0,0,1] neg_hi:[0,0,1]
	v_mov_b32_e32 v127, v133
	s_cbranch_execz .LBB60_479
	s_branch .LBB60_480
.LBB60_478:
                                        ; implicit-def: $vgpr126_vgpr127
.LBB60_479:
	ds_load_b64 v[126:127], v1
.LBB60_480:
	s_and_saveexec_b32 s12, s1
	s_cbranch_execz .LBB60_484
; %bb.481:
	v_add_nc_u32_e32 v128, -13, v0
	s_movk_i32 s1, 0x68
	s_movk_i32 s14, 0x258
	s_mov_b32 s13, 0
.LBB60_482:                             ; =>This Inner Loop Header: Depth=1
	scratch_load_b64 v[130:131], off, s1
	v_dual_mov_b32 v129, s14 :: v_dual_add_nc_u32 v128, -1, v128
	s_add_co_i32 s14, s14, 8
	s_wait_xcnt 0x0
	s_add_co_i32 s1, s1, 8
	ds_load_b64 v[132:133], v129
	v_cmp_eq_u32_e32 vcc_lo, 0, v128
	s_or_b32 s13, vcc_lo, s13
	s_wait_loadcnt_dscnt 0x0
	v_pk_mul_f32 v[134:135], v[132:133], v[130:131] op_sel:[1,1] op_sel_hi:[0,1]
	s_delay_alu instid0(VALU_DEP_1) | instskip(SKIP_1) | instid1(VALU_DEP_2)
	v_pk_fma_f32 v[136:137], v[132:133], v[130:131], v[134:135] op_sel_hi:[1,0,1]
	v_pk_fma_f32 v[130:131], v[132:133], v[130:131], v[134:135] neg_lo:[0,0,1] neg_hi:[0,0,1]
	v_mov_b32_e32 v131, v137
	s_delay_alu instid0(VALU_DEP_1)
	v_pk_add_f32 v[126:127], v[126:127], v[130:131]
	s_and_not1_b32 exec_lo, exec_lo, s13
	s_cbranch_execnz .LBB60_482
; %bb.483:
	s_or_b32 exec_lo, exec_lo, s13
.LBB60_484:
	s_delay_alu instid0(SALU_CYCLE_1) | instskip(SKIP_4) | instid1(VALU_DEP_1)
	s_or_b32 exec_lo, exec_lo, s12
	v_mov_b32_e32 v128, 0
	ds_load_b64 v[128:129], v128 offset:96
	s_wait_dscnt 0x0
	v_pk_mul_f32 v[130:131], v[126:127], v[128:129] op_sel:[1,1] op_sel_hi:[0,1]
	v_pk_fma_f32 v[132:133], v[126:127], v[128:129], v[130:131] op_sel_hi:[1,0,1]
	v_pk_fma_f32 v[126:127], v[126:127], v[128:129], v[130:131] neg_lo:[0,0,1] neg_hi:[0,0,1]
	s_delay_alu instid0(VALU_DEP_2)
	v_mov_b32_e32 v127, v133
	scratch_store_b64 off, v[126:127], off offset:96
.LBB60_485:
	s_wait_xcnt 0x0
	s_or_b32 exec_lo, exec_lo, s2
	scratch_load_b64 v[126:127], off, off offset:88
	v_cmp_lt_u32_e64 s1, 11, v0
	s_wait_loadcnt 0x0
	ds_store_b64 v1, v[126:127]
	s_wait_storecnt_dscnt 0x0
	s_barrier_signal -1
	s_barrier_wait -1
	s_wait_xcnt 0x0
	s_and_saveexec_b32 s2, s1
	s_cbranch_execz .LBB60_495
; %bb.486:
	s_and_not1_b32 vcc_lo, exec_lo, s3
	s_cbranch_vccnz .LBB60_488
; %bb.487:
	scratch_load_b64 v[126:127], v39, off
	ds_load_b64 v[128:129], v1
	s_wait_loadcnt_dscnt 0x0
	v_pk_mul_f32 v[130:131], v[128:129], v[126:127] op_sel:[1,1] op_sel_hi:[0,1]
	s_delay_alu instid0(VALU_DEP_1) | instskip(SKIP_1) | instid1(VALU_DEP_2)
	v_pk_fma_f32 v[132:133], v[128:129], v[126:127], v[130:131] op_sel_hi:[1,0,1]
	v_pk_fma_f32 v[126:127], v[128:129], v[126:127], v[130:131] neg_lo:[0,0,1] neg_hi:[0,0,1]
	v_mov_b32_e32 v127, v133
	s_cbranch_execz .LBB60_489
	s_branch .LBB60_490
.LBB60_488:
                                        ; implicit-def: $vgpr126_vgpr127
.LBB60_489:
	ds_load_b64 v[126:127], v1
.LBB60_490:
	s_and_saveexec_b32 s12, s0
	s_cbranch_execz .LBB60_494
; %bb.491:
	v_add_nc_u32_e32 v128, -12, v0
	s_movk_i32 s13, 0x250
	s_mov_b32 s0, 0
.LBB60_492:                             ; =>This Inner Loop Header: Depth=1
	scratch_load_b64 v[130:131], off, s11
	v_dual_mov_b32 v129, s13 :: v_dual_add_nc_u32 v128, -1, v128
	s_add_co_i32 s13, s13, 8
	s_wait_xcnt 0x0
	s_add_co_i32 s11, s11, 8
	ds_load_b64 v[132:133], v129
	v_cmp_eq_u32_e32 vcc_lo, 0, v128
	s_or_b32 s0, vcc_lo, s0
	s_wait_loadcnt_dscnt 0x0
	v_pk_mul_f32 v[134:135], v[132:133], v[130:131] op_sel:[1,1] op_sel_hi:[0,1]
	s_delay_alu instid0(VALU_DEP_1) | instskip(SKIP_1) | instid1(VALU_DEP_2)
	v_pk_fma_f32 v[136:137], v[132:133], v[130:131], v[134:135] op_sel_hi:[1,0,1]
	v_pk_fma_f32 v[130:131], v[132:133], v[130:131], v[134:135] neg_lo:[0,0,1] neg_hi:[0,0,1]
	v_mov_b32_e32 v131, v137
	s_delay_alu instid0(VALU_DEP_1)
	v_pk_add_f32 v[126:127], v[126:127], v[130:131]
	s_and_not1_b32 exec_lo, exec_lo, s0
	s_cbranch_execnz .LBB60_492
; %bb.493:
	s_or_b32 exec_lo, exec_lo, s0
.LBB60_494:
	s_delay_alu instid0(SALU_CYCLE_1) | instskip(SKIP_4) | instid1(VALU_DEP_1)
	s_or_b32 exec_lo, exec_lo, s12
	v_mov_b32_e32 v128, 0
	ds_load_b64 v[128:129], v128 offset:88
	s_wait_dscnt 0x0
	v_pk_mul_f32 v[130:131], v[126:127], v[128:129] op_sel:[1,1] op_sel_hi:[0,1]
	v_pk_fma_f32 v[132:133], v[126:127], v[128:129], v[130:131] op_sel_hi:[1,0,1]
	v_pk_fma_f32 v[126:127], v[126:127], v[128:129], v[130:131] neg_lo:[0,0,1] neg_hi:[0,0,1]
	s_delay_alu instid0(VALU_DEP_2)
	v_mov_b32_e32 v127, v133
	scratch_store_b64 off, v[126:127], off offset:88
.LBB60_495:
	s_wait_xcnt 0x0
	s_or_b32 exec_lo, exec_lo, s2
	scratch_load_b64 v[126:127], off, off offset:80
	v_cmp_lt_u32_e64 s0, 10, v0
	s_wait_loadcnt 0x0
	ds_store_b64 v1, v[126:127]
	s_wait_storecnt_dscnt 0x0
	s_barrier_signal -1
	s_barrier_wait -1
	s_wait_xcnt 0x0
	s_and_saveexec_b32 s2, s0
	s_cbranch_execz .LBB60_505
; %bb.496:
	s_and_not1_b32 vcc_lo, exec_lo, s3
	s_cbranch_vccnz .LBB60_498
; %bb.497:
	scratch_load_b64 v[126:127], v39, off
	ds_load_b64 v[128:129], v1
	s_wait_loadcnt_dscnt 0x0
	v_pk_mul_f32 v[130:131], v[128:129], v[126:127] op_sel:[1,1] op_sel_hi:[0,1]
	s_delay_alu instid0(VALU_DEP_1) | instskip(SKIP_1) | instid1(VALU_DEP_2)
	v_pk_fma_f32 v[132:133], v[128:129], v[126:127], v[130:131] op_sel_hi:[1,0,1]
	v_pk_fma_f32 v[126:127], v[128:129], v[126:127], v[130:131] neg_lo:[0,0,1] neg_hi:[0,0,1]
	v_mov_b32_e32 v127, v133
	s_cbranch_execz .LBB60_499
	s_branch .LBB60_500
.LBB60_498:
                                        ; implicit-def: $vgpr126_vgpr127
.LBB60_499:
	ds_load_b64 v[126:127], v1
.LBB60_500:
	s_and_saveexec_b32 s11, s1
	s_cbranch_execz .LBB60_504
; %bb.501:
	v_add_nc_u32_e32 v128, -11, v0
	s_movk_i32 s1, 0x58
	s_movk_i32 s13, 0x248
	s_mov_b32 s12, 0
.LBB60_502:                             ; =>This Inner Loop Header: Depth=1
	scratch_load_b64 v[130:131], off, s1
	v_dual_mov_b32 v129, s13 :: v_dual_add_nc_u32 v128, -1, v128
	s_add_co_i32 s13, s13, 8
	s_wait_xcnt 0x0
	s_add_co_i32 s1, s1, 8
	ds_load_b64 v[132:133], v129
	v_cmp_eq_u32_e32 vcc_lo, 0, v128
	s_or_b32 s12, vcc_lo, s12
	s_wait_loadcnt_dscnt 0x0
	v_pk_mul_f32 v[134:135], v[132:133], v[130:131] op_sel:[1,1] op_sel_hi:[0,1]
	s_delay_alu instid0(VALU_DEP_1) | instskip(SKIP_1) | instid1(VALU_DEP_2)
	v_pk_fma_f32 v[136:137], v[132:133], v[130:131], v[134:135] op_sel_hi:[1,0,1]
	v_pk_fma_f32 v[130:131], v[132:133], v[130:131], v[134:135] neg_lo:[0,0,1] neg_hi:[0,0,1]
	v_mov_b32_e32 v131, v137
	s_delay_alu instid0(VALU_DEP_1)
	v_pk_add_f32 v[126:127], v[126:127], v[130:131]
	s_and_not1_b32 exec_lo, exec_lo, s12
	s_cbranch_execnz .LBB60_502
; %bb.503:
	s_or_b32 exec_lo, exec_lo, s12
.LBB60_504:
	s_delay_alu instid0(SALU_CYCLE_1) | instskip(SKIP_4) | instid1(VALU_DEP_1)
	s_or_b32 exec_lo, exec_lo, s11
	v_mov_b32_e32 v128, 0
	ds_load_b64 v[128:129], v128 offset:80
	s_wait_dscnt 0x0
	v_pk_mul_f32 v[130:131], v[126:127], v[128:129] op_sel:[1,1] op_sel_hi:[0,1]
	v_pk_fma_f32 v[132:133], v[126:127], v[128:129], v[130:131] op_sel_hi:[1,0,1]
	v_pk_fma_f32 v[126:127], v[126:127], v[128:129], v[130:131] neg_lo:[0,0,1] neg_hi:[0,0,1]
	s_delay_alu instid0(VALU_DEP_2)
	v_mov_b32_e32 v127, v133
	scratch_store_b64 off, v[126:127], off offset:80
.LBB60_505:
	s_wait_xcnt 0x0
	s_or_b32 exec_lo, exec_lo, s2
	scratch_load_b64 v[126:127], off, off offset:72
	v_cmp_lt_u32_e64 s1, 9, v0
	s_wait_loadcnt 0x0
	ds_store_b64 v1, v[126:127]
	s_wait_storecnt_dscnt 0x0
	s_barrier_signal -1
	s_barrier_wait -1
	s_wait_xcnt 0x0
	s_and_saveexec_b32 s2, s1
	s_cbranch_execz .LBB60_515
; %bb.506:
	s_and_not1_b32 vcc_lo, exec_lo, s3
	s_cbranch_vccnz .LBB60_508
; %bb.507:
	scratch_load_b64 v[126:127], v39, off
	ds_load_b64 v[128:129], v1
	s_wait_loadcnt_dscnt 0x0
	v_pk_mul_f32 v[130:131], v[128:129], v[126:127] op_sel:[1,1] op_sel_hi:[0,1]
	s_delay_alu instid0(VALU_DEP_1) | instskip(SKIP_1) | instid1(VALU_DEP_2)
	v_pk_fma_f32 v[132:133], v[128:129], v[126:127], v[130:131] op_sel_hi:[1,0,1]
	v_pk_fma_f32 v[126:127], v[128:129], v[126:127], v[130:131] neg_lo:[0,0,1] neg_hi:[0,0,1]
	v_mov_b32_e32 v127, v133
	s_cbranch_execz .LBB60_509
	s_branch .LBB60_510
.LBB60_508:
                                        ; implicit-def: $vgpr126_vgpr127
.LBB60_509:
	ds_load_b64 v[126:127], v1
.LBB60_510:
	s_and_saveexec_b32 s11, s0
	s_cbranch_execz .LBB60_514
; %bb.511:
	v_add_nc_u32_e32 v128, -10, v0
	s_movk_i32 s12, 0x240
	s_mov_b32 s0, 0
.LBB60_512:                             ; =>This Inner Loop Header: Depth=1
	scratch_load_b64 v[130:131], off, s10
	v_dual_mov_b32 v129, s12 :: v_dual_add_nc_u32 v128, -1, v128
	s_add_co_i32 s12, s12, 8
	s_wait_xcnt 0x0
	s_add_co_i32 s10, s10, 8
	ds_load_b64 v[132:133], v129
	v_cmp_eq_u32_e32 vcc_lo, 0, v128
	s_or_b32 s0, vcc_lo, s0
	s_wait_loadcnt_dscnt 0x0
	v_pk_mul_f32 v[134:135], v[132:133], v[130:131] op_sel:[1,1] op_sel_hi:[0,1]
	s_delay_alu instid0(VALU_DEP_1) | instskip(SKIP_1) | instid1(VALU_DEP_2)
	v_pk_fma_f32 v[136:137], v[132:133], v[130:131], v[134:135] op_sel_hi:[1,0,1]
	v_pk_fma_f32 v[130:131], v[132:133], v[130:131], v[134:135] neg_lo:[0,0,1] neg_hi:[0,0,1]
	v_mov_b32_e32 v131, v137
	s_delay_alu instid0(VALU_DEP_1)
	v_pk_add_f32 v[126:127], v[126:127], v[130:131]
	s_and_not1_b32 exec_lo, exec_lo, s0
	s_cbranch_execnz .LBB60_512
; %bb.513:
	s_or_b32 exec_lo, exec_lo, s0
.LBB60_514:
	s_delay_alu instid0(SALU_CYCLE_1) | instskip(SKIP_4) | instid1(VALU_DEP_1)
	s_or_b32 exec_lo, exec_lo, s11
	v_mov_b32_e32 v128, 0
	ds_load_b64 v[128:129], v128 offset:72
	s_wait_dscnt 0x0
	v_pk_mul_f32 v[130:131], v[126:127], v[128:129] op_sel:[1,1] op_sel_hi:[0,1]
	v_pk_fma_f32 v[132:133], v[126:127], v[128:129], v[130:131] op_sel_hi:[1,0,1]
	v_pk_fma_f32 v[126:127], v[126:127], v[128:129], v[130:131] neg_lo:[0,0,1] neg_hi:[0,0,1]
	s_delay_alu instid0(VALU_DEP_2)
	v_mov_b32_e32 v127, v133
	scratch_store_b64 off, v[126:127], off offset:72
.LBB60_515:
	s_wait_xcnt 0x0
	s_or_b32 exec_lo, exec_lo, s2
	scratch_load_b64 v[126:127], off, off offset:64
	v_cmp_lt_u32_e64 s0, 8, v0
	s_wait_loadcnt 0x0
	ds_store_b64 v1, v[126:127]
	s_wait_storecnt_dscnt 0x0
	s_barrier_signal -1
	s_barrier_wait -1
	s_wait_xcnt 0x0
	s_and_saveexec_b32 s2, s0
	s_cbranch_execz .LBB60_525
; %bb.516:
	s_and_not1_b32 vcc_lo, exec_lo, s3
	s_cbranch_vccnz .LBB60_518
; %bb.517:
	scratch_load_b64 v[126:127], v39, off
	ds_load_b64 v[128:129], v1
	s_wait_loadcnt_dscnt 0x0
	v_pk_mul_f32 v[130:131], v[128:129], v[126:127] op_sel:[1,1] op_sel_hi:[0,1]
	s_delay_alu instid0(VALU_DEP_1) | instskip(SKIP_1) | instid1(VALU_DEP_2)
	v_pk_fma_f32 v[132:133], v[128:129], v[126:127], v[130:131] op_sel_hi:[1,0,1]
	v_pk_fma_f32 v[126:127], v[128:129], v[126:127], v[130:131] neg_lo:[0,0,1] neg_hi:[0,0,1]
	v_mov_b32_e32 v127, v133
	s_cbranch_execz .LBB60_519
	s_branch .LBB60_520
.LBB60_518:
                                        ; implicit-def: $vgpr126_vgpr127
.LBB60_519:
	ds_load_b64 v[126:127], v1
.LBB60_520:
	s_and_saveexec_b32 s10, s1
	s_cbranch_execz .LBB60_524
; %bb.521:
	v_add_nc_u32_e32 v128, -9, v0
	s_movk_i32 s1, 0x48
	s_movk_i32 s12, 0x238
	s_mov_b32 s11, 0
.LBB60_522:                             ; =>This Inner Loop Header: Depth=1
	scratch_load_b64 v[130:131], off, s1
	v_dual_mov_b32 v129, s12 :: v_dual_add_nc_u32 v128, -1, v128
	s_add_co_i32 s12, s12, 8
	s_wait_xcnt 0x0
	s_add_co_i32 s1, s1, 8
	ds_load_b64 v[132:133], v129
	v_cmp_eq_u32_e32 vcc_lo, 0, v128
	s_or_b32 s11, vcc_lo, s11
	s_wait_loadcnt_dscnt 0x0
	v_pk_mul_f32 v[134:135], v[132:133], v[130:131] op_sel:[1,1] op_sel_hi:[0,1]
	s_delay_alu instid0(VALU_DEP_1) | instskip(SKIP_1) | instid1(VALU_DEP_2)
	v_pk_fma_f32 v[136:137], v[132:133], v[130:131], v[134:135] op_sel_hi:[1,0,1]
	v_pk_fma_f32 v[130:131], v[132:133], v[130:131], v[134:135] neg_lo:[0,0,1] neg_hi:[0,0,1]
	v_mov_b32_e32 v131, v137
	s_delay_alu instid0(VALU_DEP_1)
	v_pk_add_f32 v[126:127], v[126:127], v[130:131]
	s_and_not1_b32 exec_lo, exec_lo, s11
	s_cbranch_execnz .LBB60_522
; %bb.523:
	s_or_b32 exec_lo, exec_lo, s11
.LBB60_524:
	s_delay_alu instid0(SALU_CYCLE_1) | instskip(SKIP_4) | instid1(VALU_DEP_1)
	s_or_b32 exec_lo, exec_lo, s10
	v_mov_b32_e32 v128, 0
	ds_load_b64 v[128:129], v128 offset:64
	s_wait_dscnt 0x0
	v_pk_mul_f32 v[130:131], v[126:127], v[128:129] op_sel:[1,1] op_sel_hi:[0,1]
	v_pk_fma_f32 v[132:133], v[126:127], v[128:129], v[130:131] op_sel_hi:[1,0,1]
	v_pk_fma_f32 v[126:127], v[126:127], v[128:129], v[130:131] neg_lo:[0,0,1] neg_hi:[0,0,1]
	s_delay_alu instid0(VALU_DEP_2)
	v_mov_b32_e32 v127, v133
	scratch_store_b64 off, v[126:127], off offset:64
.LBB60_525:
	s_wait_xcnt 0x0
	s_or_b32 exec_lo, exec_lo, s2
	scratch_load_b64 v[126:127], off, off offset:56
	v_cmp_lt_u32_e64 s1, 7, v0
	s_wait_loadcnt 0x0
	ds_store_b64 v1, v[126:127]
	s_wait_storecnt_dscnt 0x0
	s_barrier_signal -1
	s_barrier_wait -1
	s_wait_xcnt 0x0
	s_and_saveexec_b32 s2, s1
	s_cbranch_execz .LBB60_535
; %bb.526:
	s_and_not1_b32 vcc_lo, exec_lo, s3
	s_cbranch_vccnz .LBB60_528
; %bb.527:
	scratch_load_b64 v[126:127], v39, off
	ds_load_b64 v[128:129], v1
	s_wait_loadcnt_dscnt 0x0
	v_pk_mul_f32 v[130:131], v[128:129], v[126:127] op_sel:[1,1] op_sel_hi:[0,1]
	s_delay_alu instid0(VALU_DEP_1) | instskip(SKIP_1) | instid1(VALU_DEP_2)
	v_pk_fma_f32 v[132:133], v[128:129], v[126:127], v[130:131] op_sel_hi:[1,0,1]
	v_pk_fma_f32 v[126:127], v[128:129], v[126:127], v[130:131] neg_lo:[0,0,1] neg_hi:[0,0,1]
	v_mov_b32_e32 v127, v133
	s_cbranch_execz .LBB60_529
	s_branch .LBB60_530
.LBB60_528:
                                        ; implicit-def: $vgpr126_vgpr127
.LBB60_529:
	ds_load_b64 v[126:127], v1
.LBB60_530:
	s_and_saveexec_b32 s10, s0
	s_cbranch_execz .LBB60_534
; %bb.531:
	v_add_nc_u32_e32 v128, -8, v0
	s_movk_i32 s11, 0x230
	s_mov_b32 s0, 0
.LBB60_532:                             ; =>This Inner Loop Header: Depth=1
	scratch_load_b64 v[130:131], off, s9
	v_dual_mov_b32 v129, s11 :: v_dual_add_nc_u32 v128, -1, v128
	s_add_co_i32 s11, s11, 8
	s_wait_xcnt 0x0
	s_add_co_i32 s9, s9, 8
	ds_load_b64 v[132:133], v129
	v_cmp_eq_u32_e32 vcc_lo, 0, v128
	s_or_b32 s0, vcc_lo, s0
	s_wait_loadcnt_dscnt 0x0
	v_pk_mul_f32 v[134:135], v[132:133], v[130:131] op_sel:[1,1] op_sel_hi:[0,1]
	s_delay_alu instid0(VALU_DEP_1) | instskip(SKIP_1) | instid1(VALU_DEP_2)
	v_pk_fma_f32 v[136:137], v[132:133], v[130:131], v[134:135] op_sel_hi:[1,0,1]
	v_pk_fma_f32 v[130:131], v[132:133], v[130:131], v[134:135] neg_lo:[0,0,1] neg_hi:[0,0,1]
	v_mov_b32_e32 v131, v137
	s_delay_alu instid0(VALU_DEP_1)
	v_pk_add_f32 v[126:127], v[126:127], v[130:131]
	s_and_not1_b32 exec_lo, exec_lo, s0
	s_cbranch_execnz .LBB60_532
; %bb.533:
	s_or_b32 exec_lo, exec_lo, s0
.LBB60_534:
	s_delay_alu instid0(SALU_CYCLE_1) | instskip(SKIP_4) | instid1(VALU_DEP_1)
	s_or_b32 exec_lo, exec_lo, s10
	v_mov_b32_e32 v128, 0
	ds_load_b64 v[128:129], v128 offset:56
	s_wait_dscnt 0x0
	v_pk_mul_f32 v[130:131], v[126:127], v[128:129] op_sel:[1,1] op_sel_hi:[0,1]
	v_pk_fma_f32 v[132:133], v[126:127], v[128:129], v[130:131] op_sel_hi:[1,0,1]
	v_pk_fma_f32 v[126:127], v[126:127], v[128:129], v[130:131] neg_lo:[0,0,1] neg_hi:[0,0,1]
	s_delay_alu instid0(VALU_DEP_2)
	v_mov_b32_e32 v127, v133
	scratch_store_b64 off, v[126:127], off offset:56
.LBB60_535:
	s_wait_xcnt 0x0
	s_or_b32 exec_lo, exec_lo, s2
	scratch_load_b64 v[126:127], off, off offset:48
	v_cmp_lt_u32_e64 s0, 6, v0
	s_wait_loadcnt 0x0
	ds_store_b64 v1, v[126:127]
	s_wait_storecnt_dscnt 0x0
	s_barrier_signal -1
	s_barrier_wait -1
	s_wait_xcnt 0x0
	s_and_saveexec_b32 s2, s0
	s_cbranch_execz .LBB60_545
; %bb.536:
	s_and_not1_b32 vcc_lo, exec_lo, s3
	s_cbranch_vccnz .LBB60_538
; %bb.537:
	scratch_load_b64 v[126:127], v39, off
	ds_load_b64 v[128:129], v1
	s_wait_loadcnt_dscnt 0x0
	v_pk_mul_f32 v[130:131], v[128:129], v[126:127] op_sel:[1,1] op_sel_hi:[0,1]
	s_delay_alu instid0(VALU_DEP_1) | instskip(SKIP_1) | instid1(VALU_DEP_2)
	v_pk_fma_f32 v[132:133], v[128:129], v[126:127], v[130:131] op_sel_hi:[1,0,1]
	v_pk_fma_f32 v[126:127], v[128:129], v[126:127], v[130:131] neg_lo:[0,0,1] neg_hi:[0,0,1]
	v_mov_b32_e32 v127, v133
	s_cbranch_execz .LBB60_539
	s_branch .LBB60_540
.LBB60_538:
                                        ; implicit-def: $vgpr126_vgpr127
.LBB60_539:
	ds_load_b64 v[126:127], v1
.LBB60_540:
	s_and_saveexec_b32 s9, s1
	s_cbranch_execz .LBB60_544
; %bb.541:
	v_add_nc_u32_e32 v128, -7, v0
	s_mov_b32 s1, 56
	s_movk_i32 s11, 0x228
	s_mov_b32 s10, 0
.LBB60_542:                             ; =>This Inner Loop Header: Depth=1
	scratch_load_b64 v[130:131], off, s1
	v_dual_mov_b32 v129, s11 :: v_dual_add_nc_u32 v128, -1, v128
	s_add_co_i32 s11, s11, 8
	s_wait_xcnt 0x0
	s_add_co_i32 s1, s1, 8
	ds_load_b64 v[132:133], v129
	v_cmp_eq_u32_e32 vcc_lo, 0, v128
	s_or_b32 s10, vcc_lo, s10
	s_wait_loadcnt_dscnt 0x0
	v_pk_mul_f32 v[134:135], v[132:133], v[130:131] op_sel:[1,1] op_sel_hi:[0,1]
	s_delay_alu instid0(VALU_DEP_1) | instskip(SKIP_1) | instid1(VALU_DEP_2)
	v_pk_fma_f32 v[136:137], v[132:133], v[130:131], v[134:135] op_sel_hi:[1,0,1]
	v_pk_fma_f32 v[130:131], v[132:133], v[130:131], v[134:135] neg_lo:[0,0,1] neg_hi:[0,0,1]
	v_mov_b32_e32 v131, v137
	s_delay_alu instid0(VALU_DEP_1)
	v_pk_add_f32 v[126:127], v[126:127], v[130:131]
	s_and_not1_b32 exec_lo, exec_lo, s10
	s_cbranch_execnz .LBB60_542
; %bb.543:
	s_or_b32 exec_lo, exec_lo, s10
.LBB60_544:
	s_delay_alu instid0(SALU_CYCLE_1) | instskip(SKIP_4) | instid1(VALU_DEP_1)
	s_or_b32 exec_lo, exec_lo, s9
	v_mov_b32_e32 v128, 0
	ds_load_b64 v[128:129], v128 offset:48
	s_wait_dscnt 0x0
	v_pk_mul_f32 v[130:131], v[126:127], v[128:129] op_sel:[1,1] op_sel_hi:[0,1]
	v_pk_fma_f32 v[132:133], v[126:127], v[128:129], v[130:131] op_sel_hi:[1,0,1]
	v_pk_fma_f32 v[126:127], v[126:127], v[128:129], v[130:131] neg_lo:[0,0,1] neg_hi:[0,0,1]
	s_delay_alu instid0(VALU_DEP_2)
	v_mov_b32_e32 v127, v133
	scratch_store_b64 off, v[126:127], off offset:48
.LBB60_545:
	s_wait_xcnt 0x0
	s_or_b32 exec_lo, exec_lo, s2
	scratch_load_b64 v[126:127], off, off offset:40
	v_cmp_lt_u32_e64 s1, 5, v0
	s_wait_loadcnt 0x0
	ds_store_b64 v1, v[126:127]
	s_wait_storecnt_dscnt 0x0
	s_barrier_signal -1
	s_barrier_wait -1
	s_wait_xcnt 0x0
	s_and_saveexec_b32 s2, s1
	s_cbranch_execz .LBB60_555
; %bb.546:
	s_and_not1_b32 vcc_lo, exec_lo, s3
	s_cbranch_vccnz .LBB60_548
; %bb.547:
	scratch_load_b64 v[126:127], v39, off
	ds_load_b64 v[128:129], v1
	s_wait_loadcnt_dscnt 0x0
	v_pk_mul_f32 v[130:131], v[128:129], v[126:127] op_sel:[1,1] op_sel_hi:[0,1]
	s_delay_alu instid0(VALU_DEP_1) | instskip(SKIP_1) | instid1(VALU_DEP_2)
	v_pk_fma_f32 v[132:133], v[128:129], v[126:127], v[130:131] op_sel_hi:[1,0,1]
	v_pk_fma_f32 v[126:127], v[128:129], v[126:127], v[130:131] neg_lo:[0,0,1] neg_hi:[0,0,1]
	v_mov_b32_e32 v127, v133
	s_cbranch_execz .LBB60_549
	s_branch .LBB60_550
.LBB60_548:
                                        ; implicit-def: $vgpr126_vgpr127
.LBB60_549:
	ds_load_b64 v[126:127], v1
.LBB60_550:
	s_and_saveexec_b32 s9, s0
	s_cbranch_execz .LBB60_554
; %bb.551:
	v_add_nc_u32_e32 v128, -6, v0
	s_movk_i32 s10, 0x220
	s_mov_b32 s0, 0
.LBB60_552:                             ; =>This Inner Loop Header: Depth=1
	scratch_load_b64 v[130:131], off, s8
	v_dual_mov_b32 v129, s10 :: v_dual_add_nc_u32 v128, -1, v128
	s_add_co_i32 s10, s10, 8
	s_wait_xcnt 0x0
	s_add_co_i32 s8, s8, 8
	ds_load_b64 v[132:133], v129
	v_cmp_eq_u32_e32 vcc_lo, 0, v128
	s_or_b32 s0, vcc_lo, s0
	s_wait_loadcnt_dscnt 0x0
	v_pk_mul_f32 v[134:135], v[132:133], v[130:131] op_sel:[1,1] op_sel_hi:[0,1]
	s_delay_alu instid0(VALU_DEP_1) | instskip(SKIP_1) | instid1(VALU_DEP_2)
	v_pk_fma_f32 v[136:137], v[132:133], v[130:131], v[134:135] op_sel_hi:[1,0,1]
	v_pk_fma_f32 v[130:131], v[132:133], v[130:131], v[134:135] neg_lo:[0,0,1] neg_hi:[0,0,1]
	v_mov_b32_e32 v131, v137
	s_delay_alu instid0(VALU_DEP_1)
	v_pk_add_f32 v[126:127], v[126:127], v[130:131]
	s_and_not1_b32 exec_lo, exec_lo, s0
	s_cbranch_execnz .LBB60_552
; %bb.553:
	s_or_b32 exec_lo, exec_lo, s0
.LBB60_554:
	s_delay_alu instid0(SALU_CYCLE_1) | instskip(SKIP_4) | instid1(VALU_DEP_1)
	s_or_b32 exec_lo, exec_lo, s9
	v_mov_b32_e32 v128, 0
	ds_load_b64 v[128:129], v128 offset:40
	s_wait_dscnt 0x0
	v_pk_mul_f32 v[130:131], v[126:127], v[128:129] op_sel:[1,1] op_sel_hi:[0,1]
	v_pk_fma_f32 v[132:133], v[126:127], v[128:129], v[130:131] op_sel_hi:[1,0,1]
	v_pk_fma_f32 v[126:127], v[126:127], v[128:129], v[130:131] neg_lo:[0,0,1] neg_hi:[0,0,1]
	s_delay_alu instid0(VALU_DEP_2)
	v_mov_b32_e32 v127, v133
	scratch_store_b64 off, v[126:127], off offset:40
.LBB60_555:
	s_wait_xcnt 0x0
	s_or_b32 exec_lo, exec_lo, s2
	scratch_load_b64 v[126:127], off, off offset:32
	v_cmp_lt_u32_e64 s0, 4, v0
	s_wait_loadcnt 0x0
	ds_store_b64 v1, v[126:127]
	s_wait_storecnt_dscnt 0x0
	s_barrier_signal -1
	s_barrier_wait -1
	s_wait_xcnt 0x0
	s_and_saveexec_b32 s2, s0
	s_cbranch_execz .LBB60_565
; %bb.556:
	s_and_not1_b32 vcc_lo, exec_lo, s3
	s_cbranch_vccnz .LBB60_558
; %bb.557:
	scratch_load_b64 v[126:127], v39, off
	ds_load_b64 v[128:129], v1
	s_wait_loadcnt_dscnt 0x0
	v_pk_mul_f32 v[130:131], v[128:129], v[126:127] op_sel:[1,1] op_sel_hi:[0,1]
	s_delay_alu instid0(VALU_DEP_1) | instskip(SKIP_1) | instid1(VALU_DEP_2)
	v_pk_fma_f32 v[132:133], v[128:129], v[126:127], v[130:131] op_sel_hi:[1,0,1]
	v_pk_fma_f32 v[126:127], v[128:129], v[126:127], v[130:131] neg_lo:[0,0,1] neg_hi:[0,0,1]
	v_mov_b32_e32 v127, v133
	s_cbranch_execz .LBB60_559
	s_branch .LBB60_560
.LBB60_558:
                                        ; implicit-def: $vgpr126_vgpr127
.LBB60_559:
	ds_load_b64 v[126:127], v1
.LBB60_560:
	s_and_saveexec_b32 s8, s1
	s_cbranch_execz .LBB60_564
; %bb.561:
	v_add_nc_u32_e32 v128, -5, v0
	s_mov_b32 s1, 40
	s_movk_i32 s10, 0x218
	s_mov_b32 s9, 0
.LBB60_562:                             ; =>This Inner Loop Header: Depth=1
	scratch_load_b64 v[130:131], off, s1
	v_dual_mov_b32 v129, s10 :: v_dual_add_nc_u32 v128, -1, v128
	s_add_co_i32 s10, s10, 8
	s_wait_xcnt 0x0
	s_add_co_i32 s1, s1, 8
	ds_load_b64 v[132:133], v129
	v_cmp_eq_u32_e32 vcc_lo, 0, v128
	s_or_b32 s9, vcc_lo, s9
	s_wait_loadcnt_dscnt 0x0
	v_pk_mul_f32 v[134:135], v[132:133], v[130:131] op_sel:[1,1] op_sel_hi:[0,1]
	s_delay_alu instid0(VALU_DEP_1) | instskip(SKIP_1) | instid1(VALU_DEP_2)
	v_pk_fma_f32 v[136:137], v[132:133], v[130:131], v[134:135] op_sel_hi:[1,0,1]
	v_pk_fma_f32 v[130:131], v[132:133], v[130:131], v[134:135] neg_lo:[0,0,1] neg_hi:[0,0,1]
	v_mov_b32_e32 v131, v137
	s_delay_alu instid0(VALU_DEP_1)
	v_pk_add_f32 v[126:127], v[126:127], v[130:131]
	s_and_not1_b32 exec_lo, exec_lo, s9
	s_cbranch_execnz .LBB60_562
; %bb.563:
	s_or_b32 exec_lo, exec_lo, s9
.LBB60_564:
	s_delay_alu instid0(SALU_CYCLE_1) | instskip(SKIP_4) | instid1(VALU_DEP_1)
	s_or_b32 exec_lo, exec_lo, s8
	v_mov_b32_e32 v128, 0
	ds_load_b64 v[128:129], v128 offset:32
	s_wait_dscnt 0x0
	v_pk_mul_f32 v[130:131], v[126:127], v[128:129] op_sel:[1,1] op_sel_hi:[0,1]
	v_pk_fma_f32 v[132:133], v[126:127], v[128:129], v[130:131] op_sel_hi:[1,0,1]
	v_pk_fma_f32 v[126:127], v[126:127], v[128:129], v[130:131] neg_lo:[0,0,1] neg_hi:[0,0,1]
	s_delay_alu instid0(VALU_DEP_2)
	v_mov_b32_e32 v127, v133
	scratch_store_b64 off, v[126:127], off offset:32
.LBB60_565:
	s_wait_xcnt 0x0
	s_or_b32 exec_lo, exec_lo, s2
	scratch_load_b64 v[126:127], off, off offset:24
	v_cmp_lt_u32_e64 s2, 3, v0
	s_wait_loadcnt 0x0
	ds_store_b64 v1, v[126:127]
	s_wait_storecnt_dscnt 0x0
	s_barrier_signal -1
	s_barrier_wait -1
	s_wait_xcnt 0x0
	s_and_saveexec_b32 s1, s2
	s_cbranch_execz .LBB60_575
; %bb.566:
	s_and_not1_b32 vcc_lo, exec_lo, s3
	s_cbranch_vccnz .LBB60_568
; %bb.567:
	scratch_load_b64 v[126:127], v39, off
	ds_load_b64 v[128:129], v1
	s_wait_loadcnt_dscnt 0x0
	v_pk_mul_f32 v[130:131], v[128:129], v[126:127] op_sel:[1,1] op_sel_hi:[0,1]
	s_delay_alu instid0(VALU_DEP_1) | instskip(SKIP_1) | instid1(VALU_DEP_2)
	v_pk_fma_f32 v[132:133], v[128:129], v[126:127], v[130:131] op_sel_hi:[1,0,1]
	v_pk_fma_f32 v[126:127], v[128:129], v[126:127], v[130:131] neg_lo:[0,0,1] neg_hi:[0,0,1]
	v_mov_b32_e32 v127, v133
	s_cbranch_execz .LBB60_569
	s_branch .LBB60_570
.LBB60_568:
                                        ; implicit-def: $vgpr126_vgpr127
.LBB60_569:
	ds_load_b64 v[126:127], v1
.LBB60_570:
	s_and_saveexec_b32 s8, s0
	s_cbranch_execz .LBB60_574
; %bb.571:
	v_add_nc_u32_e32 v128, -4, v0
	s_movk_i32 s9, 0x210
	s_mov_b32 s0, 0
.LBB60_572:                             ; =>This Inner Loop Header: Depth=1
	scratch_load_b64 v[130:131], off, s5
	v_dual_mov_b32 v129, s9 :: v_dual_add_nc_u32 v128, -1, v128
	s_add_co_i32 s9, s9, 8
	s_wait_xcnt 0x0
	s_add_co_i32 s5, s5, 8
	ds_load_b64 v[132:133], v129
	v_cmp_eq_u32_e32 vcc_lo, 0, v128
	s_or_b32 s0, vcc_lo, s0
	s_wait_loadcnt_dscnt 0x0
	v_pk_mul_f32 v[134:135], v[132:133], v[130:131] op_sel:[1,1] op_sel_hi:[0,1]
	s_delay_alu instid0(VALU_DEP_1) | instskip(SKIP_1) | instid1(VALU_DEP_2)
	v_pk_fma_f32 v[136:137], v[132:133], v[130:131], v[134:135] op_sel_hi:[1,0,1]
	v_pk_fma_f32 v[130:131], v[132:133], v[130:131], v[134:135] neg_lo:[0,0,1] neg_hi:[0,0,1]
	v_mov_b32_e32 v131, v137
	s_delay_alu instid0(VALU_DEP_1)
	v_pk_add_f32 v[126:127], v[126:127], v[130:131]
	s_and_not1_b32 exec_lo, exec_lo, s0
	s_cbranch_execnz .LBB60_572
; %bb.573:
	s_or_b32 exec_lo, exec_lo, s0
.LBB60_574:
	s_delay_alu instid0(SALU_CYCLE_1) | instskip(SKIP_4) | instid1(VALU_DEP_1)
	s_or_b32 exec_lo, exec_lo, s8
	v_mov_b32_e32 v128, 0
	ds_load_b64 v[128:129], v128 offset:24
	s_wait_dscnt 0x0
	v_pk_mul_f32 v[130:131], v[126:127], v[128:129] op_sel:[1,1] op_sel_hi:[0,1]
	v_pk_fma_f32 v[132:133], v[126:127], v[128:129], v[130:131] op_sel_hi:[1,0,1]
	v_pk_fma_f32 v[126:127], v[126:127], v[128:129], v[130:131] neg_lo:[0,0,1] neg_hi:[0,0,1]
	s_delay_alu instid0(VALU_DEP_2)
	v_mov_b32_e32 v127, v133
	scratch_store_b64 off, v[126:127], off offset:24
.LBB60_575:
	s_wait_xcnt 0x0
	s_or_b32 exec_lo, exec_lo, s1
	scratch_load_b64 v[126:127], off, off offset:16
	v_cmp_lt_u32_e64 s1, 2, v0
	s_wait_loadcnt 0x0
	ds_store_b64 v1, v[126:127]
	s_wait_storecnt_dscnt 0x0
	s_barrier_signal -1
	s_barrier_wait -1
	s_wait_xcnt 0x0
	s_and_saveexec_b32 s0, s1
	s_cbranch_execz .LBB60_585
; %bb.576:
	s_and_not1_b32 vcc_lo, exec_lo, s3
	s_cbranch_vccnz .LBB60_578
; %bb.577:
	scratch_load_b64 v[126:127], v39, off
	ds_load_b64 v[128:129], v1
	s_wait_loadcnt_dscnt 0x0
	v_pk_mul_f32 v[130:131], v[128:129], v[126:127] op_sel:[1,1] op_sel_hi:[0,1]
	s_delay_alu instid0(VALU_DEP_1) | instskip(SKIP_1) | instid1(VALU_DEP_2)
	v_pk_fma_f32 v[132:133], v[128:129], v[126:127], v[130:131] op_sel_hi:[1,0,1]
	v_pk_fma_f32 v[126:127], v[128:129], v[126:127], v[130:131] neg_lo:[0,0,1] neg_hi:[0,0,1]
	v_mov_b32_e32 v127, v133
	s_cbranch_execz .LBB60_579
	s_branch .LBB60_580
.LBB60_578:
                                        ; implicit-def: $vgpr126_vgpr127
.LBB60_579:
	ds_load_b64 v[126:127], v1
.LBB60_580:
	s_and_saveexec_b32 s5, s2
	s_cbranch_execz .LBB60_584
; %bb.581:
	v_add_nc_u32_e32 v128, -3, v0
	s_mov_b32 s2, 24
	s_movk_i32 s9, 0x208
	s_mov_b32 s8, 0
.LBB60_582:                             ; =>This Inner Loop Header: Depth=1
	scratch_load_b64 v[130:131], off, s2
	v_dual_mov_b32 v129, s9 :: v_dual_add_nc_u32 v128, -1, v128
	s_add_co_i32 s9, s9, 8
	s_wait_xcnt 0x0
	s_add_co_i32 s2, s2, 8
	ds_load_b64 v[132:133], v129
	v_cmp_eq_u32_e32 vcc_lo, 0, v128
	s_or_b32 s8, vcc_lo, s8
	s_wait_loadcnt_dscnt 0x0
	v_pk_mul_f32 v[134:135], v[132:133], v[130:131] op_sel:[1,1] op_sel_hi:[0,1]
	s_delay_alu instid0(VALU_DEP_1) | instskip(SKIP_1) | instid1(VALU_DEP_2)
	v_pk_fma_f32 v[136:137], v[132:133], v[130:131], v[134:135] op_sel_hi:[1,0,1]
	v_pk_fma_f32 v[130:131], v[132:133], v[130:131], v[134:135] neg_lo:[0,0,1] neg_hi:[0,0,1]
	v_mov_b32_e32 v131, v137
	s_delay_alu instid0(VALU_DEP_1)
	v_pk_add_f32 v[126:127], v[126:127], v[130:131]
	s_and_not1_b32 exec_lo, exec_lo, s8
	s_cbranch_execnz .LBB60_582
; %bb.583:
	s_or_b32 exec_lo, exec_lo, s8
.LBB60_584:
	s_delay_alu instid0(SALU_CYCLE_1) | instskip(SKIP_4) | instid1(VALU_DEP_1)
	s_or_b32 exec_lo, exec_lo, s5
	v_mov_b32_e32 v128, 0
	ds_load_b64 v[128:129], v128 offset:16
	s_wait_dscnt 0x0
	v_pk_mul_f32 v[130:131], v[126:127], v[128:129] op_sel:[1,1] op_sel_hi:[0,1]
	v_pk_fma_f32 v[132:133], v[126:127], v[128:129], v[130:131] op_sel_hi:[1,0,1]
	v_pk_fma_f32 v[126:127], v[126:127], v[128:129], v[130:131] neg_lo:[0,0,1] neg_hi:[0,0,1]
	s_delay_alu instid0(VALU_DEP_2)
	v_mov_b32_e32 v127, v133
	scratch_store_b64 off, v[126:127], off offset:16
.LBB60_585:
	s_wait_xcnt 0x0
	s_or_b32 exec_lo, exec_lo, s0
	scratch_load_b64 v[126:127], off, off offset:8
	v_cmp_lt_u32_e64 s0, 1, v0
	s_wait_loadcnt 0x0
	ds_store_b64 v1, v[126:127]
	s_wait_storecnt_dscnt 0x0
	s_barrier_signal -1
	s_barrier_wait -1
	s_wait_xcnt 0x0
	s_and_saveexec_b32 s2, s0
	s_cbranch_execz .LBB60_595
; %bb.586:
	s_and_not1_b32 vcc_lo, exec_lo, s3
	s_cbranch_vccnz .LBB60_588
; %bb.587:
	scratch_load_b64 v[126:127], v39, off
	ds_load_b64 v[128:129], v1
	s_wait_loadcnt_dscnt 0x0
	v_pk_mul_f32 v[130:131], v[128:129], v[126:127] op_sel:[1,1] op_sel_hi:[0,1]
	s_delay_alu instid0(VALU_DEP_1) | instskip(SKIP_1) | instid1(VALU_DEP_2)
	v_pk_fma_f32 v[132:133], v[128:129], v[126:127], v[130:131] op_sel_hi:[1,0,1]
	v_pk_fma_f32 v[126:127], v[128:129], v[126:127], v[130:131] neg_lo:[0,0,1] neg_hi:[0,0,1]
	v_mov_b32_e32 v127, v133
	s_cbranch_execz .LBB60_589
	s_branch .LBB60_590
.LBB60_588:
                                        ; implicit-def: $vgpr126_vgpr127
.LBB60_589:
	ds_load_b64 v[126:127], v1
.LBB60_590:
	s_and_saveexec_b32 s5, s1
	s_cbranch_execz .LBB60_594
; %bb.591:
	v_add_nc_u32_e32 v128, -2, v0
	s_movk_i32 s8, 0x200
	s_mov_b32 s1, 0
.LBB60_592:                             ; =>This Inner Loop Header: Depth=1
	scratch_load_b64 v[130:131], off, s4
	v_dual_mov_b32 v129, s8 :: v_dual_add_nc_u32 v128, -1, v128
	s_add_co_i32 s8, s8, 8
	s_wait_xcnt 0x0
	s_add_co_i32 s4, s4, 8
	ds_load_b64 v[132:133], v129
	v_cmp_eq_u32_e32 vcc_lo, 0, v128
	s_or_b32 s1, vcc_lo, s1
	s_wait_loadcnt_dscnt 0x0
	v_pk_mul_f32 v[134:135], v[132:133], v[130:131] op_sel:[1,1] op_sel_hi:[0,1]
	s_delay_alu instid0(VALU_DEP_1) | instskip(SKIP_1) | instid1(VALU_DEP_2)
	v_pk_fma_f32 v[136:137], v[132:133], v[130:131], v[134:135] op_sel_hi:[1,0,1]
	v_pk_fma_f32 v[130:131], v[132:133], v[130:131], v[134:135] neg_lo:[0,0,1] neg_hi:[0,0,1]
	v_mov_b32_e32 v131, v137
	s_delay_alu instid0(VALU_DEP_1)
	v_pk_add_f32 v[126:127], v[126:127], v[130:131]
	s_and_not1_b32 exec_lo, exec_lo, s1
	s_cbranch_execnz .LBB60_592
; %bb.593:
	s_or_b32 exec_lo, exec_lo, s1
.LBB60_594:
	s_delay_alu instid0(SALU_CYCLE_1) | instskip(SKIP_4) | instid1(VALU_DEP_1)
	s_or_b32 exec_lo, exec_lo, s5
	v_mov_b32_e32 v128, 0
	ds_load_b64 v[128:129], v128 offset:8
	s_wait_dscnt 0x0
	v_pk_mul_f32 v[130:131], v[126:127], v[128:129] op_sel:[1,1] op_sel_hi:[0,1]
	v_pk_fma_f32 v[132:133], v[126:127], v[128:129], v[130:131] op_sel_hi:[1,0,1]
	v_pk_fma_f32 v[126:127], v[126:127], v[128:129], v[130:131] neg_lo:[0,0,1] neg_hi:[0,0,1]
	s_delay_alu instid0(VALU_DEP_2)
	v_mov_b32_e32 v127, v133
	scratch_store_b64 off, v[126:127], off offset:8
.LBB60_595:
	s_wait_xcnt 0x0
	s_or_b32 exec_lo, exec_lo, s2
	scratch_load_b64 v[126:127], off, off
	s_mov_b32 s2, 0
	s_mov_b32 s1, 0
	s_mov_b32 s5, exec_lo
                                        ; implicit-def: $vgpr174
                                        ; implicit-def: $sgpr4
	s_wait_loadcnt 0x0
	ds_store_b64 v1, v[126:127]
	s_wait_storecnt_dscnt 0x0
	s_barrier_signal -1
	s_barrier_wait -1
	s_wait_xcnt 0x0
	v_cmpx_ne_u32_e32 0, v0
	s_cbranch_execz .LBB60_605
; %bb.596:
	s_and_not1_b32 vcc_lo, exec_lo, s3
	s_cbranch_vccnz .LBB60_598
; %bb.597:
	scratch_load_b64 v[128:129], v39, off
	ds_load_b64 v[130:131], v1
	s_wait_loadcnt_dscnt 0x0
	v_dual_mul_f32 v126, v131, v129 :: v_dual_mul_f32 v127, v130, v129
	s_delay_alu instid0(VALU_DEP_1)
	v_dual_fma_f32 v126, v130, v128, -v126 :: v_dual_fmac_f32 v127, v131, v128
	s_and_not1_b32 vcc_lo, exec_lo, s1
	s_cbranch_vccz .LBB60_599
	s_branch .LBB60_600
.LBB60_598:
                                        ; implicit-def: $vgpr126
.LBB60_599:
	ds_load_b64 v[126:127], v1
.LBB60_600:
	s_and_saveexec_b32 s1, s0
	s_cbranch_execz .LBB60_604
; %bb.601:
	v_add_nc_u32_e32 v128, -1, v0
	s_or_b32 s0, 0, 8
	s_movk_i32 s8, 0x1f8
	s_mov_b32 s4, 0
.LBB60_602:                             ; =>This Inner Loop Header: Depth=1
	scratch_load_b64 v[130:131], off, s0
	v_mov_b32_e32 v129, s8
	s_add_co_i32 s8, s8, 8
	s_wait_xcnt 0x0
	s_add_co_i32 s0, s0, 8
	v_add_nc_u32_e32 v128, -1, v128
	ds_load_b64 v[132:133], v129
	v_cmp_eq_u32_e32 vcc_lo, 0, v128
	s_or_b32 s4, vcc_lo, s4
	s_wait_loadcnt_dscnt 0x0
	v_dual_mul_f32 v129, v133, v131 :: v_dual_mul_f32 v131, v132, v131
	s_delay_alu instid0(VALU_DEP_1) | instskip(NEXT) | instid1(VALU_DEP_1)
	v_dual_fma_f32 v129, v132, v130, -v129 :: v_dual_fmac_f32 v131, v133, v130
	v_dual_add_f32 v126, v126, v129 :: v_dual_add_f32 v127, v127, v131
	s_and_not1_b32 exec_lo, exec_lo, s4
	s_cbranch_execnz .LBB60_602
; %bb.603:
	s_or_b32 exec_lo, exec_lo, s4
.LBB60_604:
	s_delay_alu instid0(SALU_CYCLE_1)
	s_or_b32 exec_lo, exec_lo, s1
	v_mov_b32_e32 v128, 0
	s_mov_b32 s1, exec_lo
	s_or_b32 s4, 0, 4
	ds_load_b64 v[128:129], v128
	s_wait_dscnt 0x0
	v_dual_mul_f32 v130, v127, v129 :: v_dual_mul_f32 v174, v126, v129
	s_delay_alu instid0(VALU_DEP_1) | instskip(NEXT) | instid1(VALU_DEP_2)
	v_fma_f32 v126, v126, v128, -v130
	v_fmac_f32_e32 v174, v127, v128
	scratch_store_b32 off, v126, off
.LBB60_605:
	s_wait_xcnt 0x0
	s_or_b32 exec_lo, exec_lo, s5
	s_delay_alu instid0(SALU_CYCLE_1)
	s_and_b32 vcc_lo, exec_lo, s2
	s_cbranch_vccz .LBB60_1201
.LBB60_606:
	scratch_load_b64 v[126:127], off, off offset:8
	v_cmp_eq_u32_e64 s0, 0, v0
	s_wait_loadcnt 0x0
	ds_store_b64 v1, v[126:127]
	s_wait_storecnt_dscnt 0x0
	s_barrier_signal -1
	s_barrier_wait -1
	s_wait_xcnt 0x0
	s_and_saveexec_b32 s2, s0
	s_cbranch_execz .LBB60_612
; %bb.607:
	s_and_b32 vcc_lo, exec_lo, s3
	s_cbranch_vccz .LBB60_609
; %bb.608:
	scratch_load_b64 v[126:127], v39, off
	ds_load_b64 v[128:129], v1
	s_wait_loadcnt_dscnt 0x0
	v_pk_mul_f32 v[130:131], v[128:129], v[126:127] op_sel:[1,1] op_sel_hi:[0,1]
	v_pk_mul_f32 v[132:133], v[128:129], v[126:127] op_sel_hi:[1,0]
	s_delay_alu instid0(VALU_DEP_2) | instskip(NEXT) | instid1(VALU_DEP_2)
	v_pk_fma_f32 v[126:127], v[128:129], v[126:127], v[130:131] op_sel_hi:[1,0,1]
	v_sub_f32_e32 v126, v132, v130
	s_cbranch_execz .LBB60_610
	s_branch .LBB60_611
.LBB60_609:
                                        ; implicit-def: $vgpr127
.LBB60_610:
	ds_load_b64 v[126:127], v1
.LBB60_611:
	s_wait_dscnt 0x0
	v_dual_mov_b32 v128, 0 :: v_dual_mov_b32 v130, v127
	v_mov_b32_e32 v131, v126
	ds_load_b64 v[128:129], v128 offset:8
	s_wait_dscnt 0x0
	v_pk_mul_f32 v[130:131], v[130:131], v[128:129] op_sel:[0,1]
	s_delay_alu instid0(VALU_DEP_1) | instskip(SKIP_1) | instid1(VALU_DEP_2)
	v_pk_fma_f32 v[132:133], v[126:127], v[128:129], v[130:131] op_sel_hi:[1,0,1]
	v_pk_fma_f32 v[126:127], v[126:127], v[128:129], v[130:131] neg_lo:[0,0,1] neg_hi:[0,0,1]
	v_mov_b32_e32 v127, v133
	scratch_store_b64 off, v[126:127], off offset:8
.LBB60_612:
	s_wait_xcnt 0x0
	s_or_b32 exec_lo, exec_lo, s2
	scratch_load_b64 v[126:127], off, off offset:16
	v_cndmask_b32_e64 v128, 0, 1, s3
	s_mov_b32 s2, exec_lo
	s_wait_loadcnt 0x0
	ds_store_b64 v1, v[126:127]
	s_wait_storecnt_dscnt 0x0
	s_barrier_signal -1
	s_barrier_wait -1
	s_wait_xcnt 0x0
	v_cmpx_gt_u32_e32 2, v0
	s_cbranch_execz .LBB60_620
; %bb.613:
	s_and_not1_b32 vcc_lo, exec_lo, s3
	s_cbranch_vccnz .LBB60_615
; %bb.614:
	scratch_load_b64 v[126:127], v39, off
	ds_load_b64 v[130:131], v1
	s_wait_loadcnt_dscnt 0x0
	v_pk_mul_f32 v[132:133], v[130:131], v[126:127] op_sel:[1,1] op_sel_hi:[0,1]
	s_delay_alu instid0(VALU_DEP_1) | instskip(SKIP_1) | instid1(VALU_DEP_2)
	v_pk_fma_f32 v[134:135], v[130:131], v[126:127], v[132:133] op_sel_hi:[1,0,1]
	v_pk_fma_f32 v[126:127], v[130:131], v[126:127], v[132:133] neg_lo:[0,0,1] neg_hi:[0,0,1]
	v_mov_b32_e32 v127, v135
	s_cbranch_execz .LBB60_616
	s_branch .LBB60_617
.LBB60_615:
                                        ; implicit-def: $vgpr126_vgpr127
.LBB60_616:
	ds_load_b64 v[126:127], v1
.LBB60_617:
	s_and_saveexec_b32 s3, s0
	s_cbranch_execz .LBB60_619
; %bb.618:
	scratch_load_b64 v[130:131], off, off offset:8
	v_mov_b32_e32 v129, 0
	ds_load_b64 v[132:133], v129 offset:504
	s_wait_loadcnt_dscnt 0x0
	v_pk_mul_f32 v[134:135], v[132:133], v[130:131] op_sel:[1,1] op_sel_hi:[0,1]
	s_delay_alu instid0(VALU_DEP_1) | instskip(SKIP_1) | instid1(VALU_DEP_2)
	v_pk_fma_f32 v[136:137], v[132:133], v[130:131], v[134:135] op_sel_hi:[1,0,1]
	v_pk_fma_f32 v[130:131], v[132:133], v[130:131], v[134:135] neg_lo:[0,0,1] neg_hi:[0,0,1]
	v_mov_b32_e32 v131, v137
	s_delay_alu instid0(VALU_DEP_1)
	v_pk_add_f32 v[126:127], v[126:127], v[130:131]
.LBB60_619:
	s_or_b32 exec_lo, exec_lo, s3
	v_mov_b32_e32 v129, 0
	ds_load_b64 v[130:131], v129 offset:16
	s_wait_dscnt 0x0
	v_pk_mul_f32 v[132:133], v[126:127], v[130:131] op_sel:[1,1] op_sel_hi:[0,1]
	s_delay_alu instid0(VALU_DEP_1) | instskip(SKIP_1) | instid1(VALU_DEP_2)
	v_pk_fma_f32 v[134:135], v[126:127], v[130:131], v[132:133] op_sel_hi:[1,0,1]
	v_pk_fma_f32 v[126:127], v[126:127], v[130:131], v[132:133] neg_lo:[0,0,1] neg_hi:[0,0,1]
	v_mov_b32_e32 v127, v135
	scratch_store_b64 off, v[126:127], off offset:16
.LBB60_620:
	s_wait_xcnt 0x0
	s_or_b32 exec_lo, exec_lo, s2
	scratch_load_b64 v[126:127], off, off offset:24
	s_mov_b32 s2, exec_lo
	s_wait_loadcnt 0x0
	ds_store_b64 v1, v[126:127]
	s_wait_storecnt_dscnt 0x0
	s_barrier_signal -1
	s_barrier_wait -1
	s_wait_xcnt 0x0
	v_cmpx_gt_u32_e32 3, v0
	s_cbranch_execz .LBB60_630
; %bb.621:
	v_cmp_ne_u32_e32 vcc_lo, 1, v128
	s_cbranch_vccnz .LBB60_623
; %bb.622:
	scratch_load_b64 v[126:127], v39, off
	ds_load_b64 v[130:131], v1
	s_wait_loadcnt_dscnt 0x0
	v_pk_mul_f32 v[132:133], v[130:131], v[126:127] op_sel:[1,1] op_sel_hi:[0,1]
	s_delay_alu instid0(VALU_DEP_1) | instskip(SKIP_1) | instid1(VALU_DEP_2)
	v_pk_fma_f32 v[134:135], v[130:131], v[126:127], v[132:133] op_sel_hi:[1,0,1]
	v_pk_fma_f32 v[126:127], v[130:131], v[126:127], v[132:133] neg_lo:[0,0,1] neg_hi:[0,0,1]
	v_mov_b32_e32 v127, v135
	s_cbranch_execz .LBB60_624
	s_branch .LBB60_625
.LBB60_623:
                                        ; implicit-def: $vgpr126_vgpr127
.LBB60_624:
	ds_load_b64 v[126:127], v1
.LBB60_625:
	s_mov_b32 s3, exec_lo
	v_cmpx_ne_u32_e32 2, v0
	s_cbranch_execz .LBB60_629
; %bb.626:
	scratch_load_b64 v[130:131], v39, off offset:8
	ds_load_b64 v[132:133], v1 offset:8
	s_wait_loadcnt_dscnt 0x0
	v_pk_mul_f32 v[134:135], v[132:133], v[130:131] op_sel:[1,1] op_sel_hi:[0,1]
	s_delay_alu instid0(VALU_DEP_1) | instskip(SKIP_1) | instid1(VALU_DEP_2)
	v_pk_fma_f32 v[136:137], v[132:133], v[130:131], v[134:135] op_sel_hi:[1,0,1]
	v_pk_fma_f32 v[130:131], v[132:133], v[130:131], v[134:135] neg_lo:[0,0,1] neg_hi:[0,0,1]
	v_mov_b32_e32 v131, v137
	s_delay_alu instid0(VALU_DEP_1)
	v_pk_add_f32 v[126:127], v[126:127], v[130:131]
	s_and_saveexec_b32 s4, s0
	s_cbranch_execz .LBB60_628
; %bb.627:
	scratch_load_b64 v[130:131], off, off offset:16
	v_mov_b32_e32 v129, 0
	ds_load_b64 v[132:133], v129 offset:512
	s_wait_loadcnt_dscnt 0x0
	v_pk_mul_f32 v[134:135], v[132:133], v[130:131] op_sel:[1,1] op_sel_hi:[0,1]
	s_delay_alu instid0(VALU_DEP_1) | instskip(SKIP_1) | instid1(VALU_DEP_2)
	v_pk_fma_f32 v[136:137], v[132:133], v[130:131], v[134:135] op_sel_hi:[1,0,1]
	v_pk_fma_f32 v[130:131], v[132:133], v[130:131], v[134:135] neg_lo:[0,0,1] neg_hi:[0,0,1]
	v_mov_b32_e32 v131, v137
	s_delay_alu instid0(VALU_DEP_1)
	v_pk_add_f32 v[126:127], v[126:127], v[130:131]
.LBB60_628:
	s_or_b32 exec_lo, exec_lo, s4
.LBB60_629:
	s_delay_alu instid0(SALU_CYCLE_1) | instskip(SKIP_4) | instid1(VALU_DEP_1)
	s_or_b32 exec_lo, exec_lo, s3
	v_mov_b32_e32 v129, 0
	ds_load_b64 v[130:131], v129 offset:24
	s_wait_dscnt 0x0
	v_pk_mul_f32 v[132:133], v[126:127], v[130:131] op_sel:[1,1] op_sel_hi:[0,1]
	v_pk_fma_f32 v[134:135], v[126:127], v[130:131], v[132:133] op_sel_hi:[1,0,1]
	v_pk_fma_f32 v[126:127], v[126:127], v[130:131], v[132:133] neg_lo:[0,0,1] neg_hi:[0,0,1]
	s_delay_alu instid0(VALU_DEP_2)
	v_mov_b32_e32 v127, v135
	scratch_store_b64 off, v[126:127], off offset:24
.LBB60_630:
	s_wait_xcnt 0x0
	s_or_b32 exec_lo, exec_lo, s2
	scratch_load_b64 v[126:127], off, off offset:32
	s_mov_b32 s0, exec_lo
	s_wait_loadcnt 0x0
	ds_store_b64 v1, v[126:127]
	s_wait_storecnt_dscnt 0x0
	s_barrier_signal -1
	s_barrier_wait -1
	s_wait_xcnt 0x0
	v_cmpx_gt_u32_e32 4, v0
	s_cbranch_execz .LBB60_640
; %bb.631:
	v_cmp_ne_u32_e32 vcc_lo, 1, v128
	s_cbranch_vccnz .LBB60_633
; %bb.632:
	scratch_load_b64 v[126:127], v39, off
	ds_load_b64 v[130:131], v1
	s_wait_loadcnt_dscnt 0x0
	v_pk_mul_f32 v[132:133], v[130:131], v[126:127] op_sel:[1,1] op_sel_hi:[0,1]
	s_delay_alu instid0(VALU_DEP_1) | instskip(SKIP_1) | instid1(VALU_DEP_2)
	v_pk_fma_f32 v[134:135], v[130:131], v[126:127], v[132:133] op_sel_hi:[1,0,1]
	v_pk_fma_f32 v[126:127], v[130:131], v[126:127], v[132:133] neg_lo:[0,0,1] neg_hi:[0,0,1]
	v_mov_b32_e32 v127, v135
	s_cbranch_execz .LBB60_634
	s_branch .LBB60_635
.LBB60_633:
                                        ; implicit-def: $vgpr126_vgpr127
.LBB60_634:
	ds_load_b64 v[126:127], v1
.LBB60_635:
	s_mov_b32 s2, exec_lo
	v_cmpx_ne_u32_e32 3, v0
	s_cbranch_execz .LBB60_639
; %bb.636:
	v_add_nc_u32_e32 v129, 0x1f8, v38
	v_add3_u32 v130, 0, v38, 8
	v_mov_b32_e32 v131, v0
	s_mov_b32 s3, 0
.LBB60_637:                             ; =>This Inner Loop Header: Depth=1
	scratch_load_b64 v[132:133], v130, off
	ds_load_b64 v[134:135], v129
	s_wait_xcnt 0x0
	v_dual_add_nc_u32 v129, 8, v129 :: v_dual_add_nc_u32 v130, 8, v130
	s_wait_loadcnt_dscnt 0x0
	v_pk_mul_f32 v[136:137], v[134:135], v[132:133] op_sel:[1,1] op_sel_hi:[0,1]
	s_delay_alu instid0(VALU_DEP_1) | instskip(SKIP_2) | instid1(VALU_DEP_3)
	v_pk_fma_f32 v[138:139], v[134:135], v[132:133], v[136:137] op_sel_hi:[1,0,1]
	v_add_nc_u32_e32 v131, 1, v131
	v_pk_fma_f32 v[132:133], v[134:135], v[132:133], v[136:137] neg_lo:[0,0,1] neg_hi:[0,0,1]
	v_mov_b32_e32 v133, v139
	s_delay_alu instid0(VALU_DEP_3) | instskip(NEXT) | instid1(VALU_DEP_2)
	v_cmp_lt_u32_e32 vcc_lo, 2, v131
	v_pk_add_f32 v[126:127], v[126:127], v[132:133]
	s_or_b32 s3, vcc_lo, s3
	s_delay_alu instid0(SALU_CYCLE_1)
	s_and_not1_b32 exec_lo, exec_lo, s3
	s_cbranch_execnz .LBB60_637
; %bb.638:
	s_or_b32 exec_lo, exec_lo, s3
.LBB60_639:
	s_delay_alu instid0(SALU_CYCLE_1) | instskip(SKIP_4) | instid1(VALU_DEP_1)
	s_or_b32 exec_lo, exec_lo, s2
	v_mov_b32_e32 v129, 0
	ds_load_b64 v[130:131], v129 offset:32
	s_wait_dscnt 0x0
	v_pk_mul_f32 v[132:133], v[126:127], v[130:131] op_sel:[1,1] op_sel_hi:[0,1]
	v_pk_fma_f32 v[134:135], v[126:127], v[130:131], v[132:133] op_sel_hi:[1,0,1]
	v_pk_fma_f32 v[126:127], v[126:127], v[130:131], v[132:133] neg_lo:[0,0,1] neg_hi:[0,0,1]
	s_delay_alu instid0(VALU_DEP_2)
	v_mov_b32_e32 v127, v135
	scratch_store_b64 off, v[126:127], off offset:32
.LBB60_640:
	s_wait_xcnt 0x0
	s_or_b32 exec_lo, exec_lo, s0
	scratch_load_b64 v[126:127], off, off offset:40
	s_mov_b32 s0, exec_lo
	s_wait_loadcnt 0x0
	ds_store_b64 v1, v[126:127]
	s_wait_storecnt_dscnt 0x0
	s_barrier_signal -1
	s_barrier_wait -1
	s_wait_xcnt 0x0
	v_cmpx_gt_u32_e32 5, v0
	s_cbranch_execz .LBB60_650
; %bb.641:
	v_cmp_ne_u32_e32 vcc_lo, 1, v128
	s_cbranch_vccnz .LBB60_643
; %bb.642:
	scratch_load_b64 v[126:127], v39, off
	ds_load_b64 v[130:131], v1
	s_wait_loadcnt_dscnt 0x0
	v_pk_mul_f32 v[132:133], v[130:131], v[126:127] op_sel:[1,1] op_sel_hi:[0,1]
	s_delay_alu instid0(VALU_DEP_1) | instskip(SKIP_1) | instid1(VALU_DEP_2)
	v_pk_fma_f32 v[134:135], v[130:131], v[126:127], v[132:133] op_sel_hi:[1,0,1]
	v_pk_fma_f32 v[126:127], v[130:131], v[126:127], v[132:133] neg_lo:[0,0,1] neg_hi:[0,0,1]
	v_mov_b32_e32 v127, v135
	s_cbranch_execz .LBB60_644
	s_branch .LBB60_645
.LBB60_643:
                                        ; implicit-def: $vgpr126_vgpr127
.LBB60_644:
	ds_load_b64 v[126:127], v1
.LBB60_645:
	s_mov_b32 s2, exec_lo
	v_cmpx_ne_u32_e32 4, v0
	s_cbranch_execz .LBB60_649
; %bb.646:
	v_add_nc_u32_e32 v129, 0x1f8, v38
	v_add3_u32 v130, 0, v38, 8
	v_mov_b32_e32 v131, v0
	s_mov_b32 s3, 0
.LBB60_647:                             ; =>This Inner Loop Header: Depth=1
	scratch_load_b64 v[132:133], v130, off
	ds_load_b64 v[134:135], v129
	s_wait_xcnt 0x0
	v_dual_add_nc_u32 v129, 8, v129 :: v_dual_add_nc_u32 v130, 8, v130
	s_wait_loadcnt_dscnt 0x0
	v_pk_mul_f32 v[136:137], v[134:135], v[132:133] op_sel:[1,1] op_sel_hi:[0,1]
	s_delay_alu instid0(VALU_DEP_1) | instskip(SKIP_2) | instid1(VALU_DEP_3)
	v_pk_fma_f32 v[138:139], v[134:135], v[132:133], v[136:137] op_sel_hi:[1,0,1]
	v_add_nc_u32_e32 v131, 1, v131
	v_pk_fma_f32 v[132:133], v[134:135], v[132:133], v[136:137] neg_lo:[0,0,1] neg_hi:[0,0,1]
	v_mov_b32_e32 v133, v139
	s_delay_alu instid0(VALU_DEP_3) | instskip(NEXT) | instid1(VALU_DEP_2)
	v_cmp_lt_u32_e32 vcc_lo, 3, v131
	v_pk_add_f32 v[126:127], v[126:127], v[132:133]
	s_or_b32 s3, vcc_lo, s3
	s_delay_alu instid0(SALU_CYCLE_1)
	s_and_not1_b32 exec_lo, exec_lo, s3
	s_cbranch_execnz .LBB60_647
; %bb.648:
	s_or_b32 exec_lo, exec_lo, s3
.LBB60_649:
	s_delay_alu instid0(SALU_CYCLE_1) | instskip(SKIP_4) | instid1(VALU_DEP_1)
	s_or_b32 exec_lo, exec_lo, s2
	v_mov_b32_e32 v129, 0
	ds_load_b64 v[130:131], v129 offset:40
	s_wait_dscnt 0x0
	v_pk_mul_f32 v[132:133], v[126:127], v[130:131] op_sel:[1,1] op_sel_hi:[0,1]
	v_pk_fma_f32 v[134:135], v[126:127], v[130:131], v[132:133] op_sel_hi:[1,0,1]
	v_pk_fma_f32 v[126:127], v[126:127], v[130:131], v[132:133] neg_lo:[0,0,1] neg_hi:[0,0,1]
	s_delay_alu instid0(VALU_DEP_2)
	v_mov_b32_e32 v127, v135
	scratch_store_b64 off, v[126:127], off offset:40
.LBB60_650:
	s_wait_xcnt 0x0
	s_or_b32 exec_lo, exec_lo, s0
	scratch_load_b64 v[126:127], off, off offset:48
	s_mov_b32 s0, exec_lo
	s_wait_loadcnt 0x0
	ds_store_b64 v1, v[126:127]
	s_wait_storecnt_dscnt 0x0
	s_barrier_signal -1
	s_barrier_wait -1
	s_wait_xcnt 0x0
	v_cmpx_gt_u32_e32 6, v0
	s_cbranch_execz .LBB60_660
; %bb.651:
	v_cmp_ne_u32_e32 vcc_lo, 1, v128
	s_cbranch_vccnz .LBB60_653
; %bb.652:
	scratch_load_b64 v[126:127], v39, off
	ds_load_b64 v[130:131], v1
	s_wait_loadcnt_dscnt 0x0
	v_pk_mul_f32 v[132:133], v[130:131], v[126:127] op_sel:[1,1] op_sel_hi:[0,1]
	s_delay_alu instid0(VALU_DEP_1) | instskip(SKIP_1) | instid1(VALU_DEP_2)
	v_pk_fma_f32 v[134:135], v[130:131], v[126:127], v[132:133] op_sel_hi:[1,0,1]
	v_pk_fma_f32 v[126:127], v[130:131], v[126:127], v[132:133] neg_lo:[0,0,1] neg_hi:[0,0,1]
	v_mov_b32_e32 v127, v135
	s_cbranch_execz .LBB60_654
	s_branch .LBB60_655
.LBB60_653:
                                        ; implicit-def: $vgpr126_vgpr127
.LBB60_654:
	ds_load_b64 v[126:127], v1
.LBB60_655:
	s_mov_b32 s2, exec_lo
	v_cmpx_ne_u32_e32 5, v0
	s_cbranch_execz .LBB60_659
; %bb.656:
	v_add_nc_u32_e32 v129, 0x1f8, v38
	v_add3_u32 v130, 0, v38, 8
	v_mov_b32_e32 v131, v0
	s_mov_b32 s3, 0
.LBB60_657:                             ; =>This Inner Loop Header: Depth=1
	scratch_load_b64 v[132:133], v130, off
	ds_load_b64 v[134:135], v129
	s_wait_xcnt 0x0
	v_dual_add_nc_u32 v129, 8, v129 :: v_dual_add_nc_u32 v130, 8, v130
	s_wait_loadcnt_dscnt 0x0
	v_pk_mul_f32 v[136:137], v[134:135], v[132:133] op_sel:[1,1] op_sel_hi:[0,1]
	s_delay_alu instid0(VALU_DEP_1) | instskip(SKIP_2) | instid1(VALU_DEP_3)
	v_pk_fma_f32 v[138:139], v[134:135], v[132:133], v[136:137] op_sel_hi:[1,0,1]
	v_add_nc_u32_e32 v131, 1, v131
	v_pk_fma_f32 v[132:133], v[134:135], v[132:133], v[136:137] neg_lo:[0,0,1] neg_hi:[0,0,1]
	v_mov_b32_e32 v133, v139
	s_delay_alu instid0(VALU_DEP_3) | instskip(NEXT) | instid1(VALU_DEP_2)
	v_cmp_lt_u32_e32 vcc_lo, 4, v131
	v_pk_add_f32 v[126:127], v[126:127], v[132:133]
	s_or_b32 s3, vcc_lo, s3
	s_delay_alu instid0(SALU_CYCLE_1)
	s_and_not1_b32 exec_lo, exec_lo, s3
	s_cbranch_execnz .LBB60_657
; %bb.658:
	s_or_b32 exec_lo, exec_lo, s3
.LBB60_659:
	s_delay_alu instid0(SALU_CYCLE_1) | instskip(SKIP_4) | instid1(VALU_DEP_1)
	s_or_b32 exec_lo, exec_lo, s2
	v_mov_b32_e32 v129, 0
	ds_load_b64 v[130:131], v129 offset:48
	s_wait_dscnt 0x0
	v_pk_mul_f32 v[132:133], v[126:127], v[130:131] op_sel:[1,1] op_sel_hi:[0,1]
	v_pk_fma_f32 v[134:135], v[126:127], v[130:131], v[132:133] op_sel_hi:[1,0,1]
	v_pk_fma_f32 v[126:127], v[126:127], v[130:131], v[132:133] neg_lo:[0,0,1] neg_hi:[0,0,1]
	s_delay_alu instid0(VALU_DEP_2)
	v_mov_b32_e32 v127, v135
	scratch_store_b64 off, v[126:127], off offset:48
.LBB60_660:
	s_wait_xcnt 0x0
	s_or_b32 exec_lo, exec_lo, s0
	scratch_load_b64 v[126:127], off, off offset:56
	s_mov_b32 s0, exec_lo
	s_wait_loadcnt 0x0
	ds_store_b64 v1, v[126:127]
	s_wait_storecnt_dscnt 0x0
	s_barrier_signal -1
	s_barrier_wait -1
	s_wait_xcnt 0x0
	v_cmpx_gt_u32_e32 7, v0
	s_cbranch_execz .LBB60_670
; %bb.661:
	v_cmp_ne_u32_e32 vcc_lo, 1, v128
	s_cbranch_vccnz .LBB60_663
; %bb.662:
	scratch_load_b64 v[126:127], v39, off
	ds_load_b64 v[130:131], v1
	s_wait_loadcnt_dscnt 0x0
	v_pk_mul_f32 v[132:133], v[130:131], v[126:127] op_sel:[1,1] op_sel_hi:[0,1]
	s_delay_alu instid0(VALU_DEP_1) | instskip(SKIP_1) | instid1(VALU_DEP_2)
	v_pk_fma_f32 v[134:135], v[130:131], v[126:127], v[132:133] op_sel_hi:[1,0,1]
	v_pk_fma_f32 v[126:127], v[130:131], v[126:127], v[132:133] neg_lo:[0,0,1] neg_hi:[0,0,1]
	v_mov_b32_e32 v127, v135
	s_cbranch_execz .LBB60_664
	s_branch .LBB60_665
.LBB60_663:
                                        ; implicit-def: $vgpr126_vgpr127
.LBB60_664:
	ds_load_b64 v[126:127], v1
.LBB60_665:
	s_mov_b32 s2, exec_lo
	v_cmpx_ne_u32_e32 6, v0
	s_cbranch_execz .LBB60_669
; %bb.666:
	v_add_nc_u32_e32 v129, 0x1f8, v38
	v_add3_u32 v130, 0, v38, 8
	v_mov_b32_e32 v131, v0
	s_mov_b32 s3, 0
.LBB60_667:                             ; =>This Inner Loop Header: Depth=1
	scratch_load_b64 v[132:133], v130, off
	ds_load_b64 v[134:135], v129
	s_wait_xcnt 0x0
	v_dual_add_nc_u32 v129, 8, v129 :: v_dual_add_nc_u32 v130, 8, v130
	s_wait_loadcnt_dscnt 0x0
	v_pk_mul_f32 v[136:137], v[134:135], v[132:133] op_sel:[1,1] op_sel_hi:[0,1]
	s_delay_alu instid0(VALU_DEP_1) | instskip(SKIP_2) | instid1(VALU_DEP_3)
	v_pk_fma_f32 v[138:139], v[134:135], v[132:133], v[136:137] op_sel_hi:[1,0,1]
	v_add_nc_u32_e32 v131, 1, v131
	v_pk_fma_f32 v[132:133], v[134:135], v[132:133], v[136:137] neg_lo:[0,0,1] neg_hi:[0,0,1]
	v_mov_b32_e32 v133, v139
	s_delay_alu instid0(VALU_DEP_3) | instskip(NEXT) | instid1(VALU_DEP_2)
	v_cmp_lt_u32_e32 vcc_lo, 5, v131
	v_pk_add_f32 v[126:127], v[126:127], v[132:133]
	s_or_b32 s3, vcc_lo, s3
	s_delay_alu instid0(SALU_CYCLE_1)
	s_and_not1_b32 exec_lo, exec_lo, s3
	s_cbranch_execnz .LBB60_667
; %bb.668:
	s_or_b32 exec_lo, exec_lo, s3
.LBB60_669:
	s_delay_alu instid0(SALU_CYCLE_1) | instskip(SKIP_4) | instid1(VALU_DEP_1)
	s_or_b32 exec_lo, exec_lo, s2
	v_mov_b32_e32 v129, 0
	ds_load_b64 v[130:131], v129 offset:56
	s_wait_dscnt 0x0
	v_pk_mul_f32 v[132:133], v[126:127], v[130:131] op_sel:[1,1] op_sel_hi:[0,1]
	v_pk_fma_f32 v[134:135], v[126:127], v[130:131], v[132:133] op_sel_hi:[1,0,1]
	v_pk_fma_f32 v[126:127], v[126:127], v[130:131], v[132:133] neg_lo:[0,0,1] neg_hi:[0,0,1]
	s_delay_alu instid0(VALU_DEP_2)
	v_mov_b32_e32 v127, v135
	scratch_store_b64 off, v[126:127], off offset:56
.LBB60_670:
	s_wait_xcnt 0x0
	s_or_b32 exec_lo, exec_lo, s0
	scratch_load_b64 v[126:127], off, off offset:64
	s_mov_b32 s0, exec_lo
	s_wait_loadcnt 0x0
	ds_store_b64 v1, v[126:127]
	s_wait_storecnt_dscnt 0x0
	s_barrier_signal -1
	s_barrier_wait -1
	s_wait_xcnt 0x0
	v_cmpx_gt_u32_e32 8, v0
	s_cbranch_execz .LBB60_680
; %bb.671:
	v_cmp_ne_u32_e32 vcc_lo, 1, v128
	s_cbranch_vccnz .LBB60_673
; %bb.672:
	scratch_load_b64 v[126:127], v39, off
	ds_load_b64 v[130:131], v1
	s_wait_loadcnt_dscnt 0x0
	v_pk_mul_f32 v[132:133], v[130:131], v[126:127] op_sel:[1,1] op_sel_hi:[0,1]
	s_delay_alu instid0(VALU_DEP_1) | instskip(SKIP_1) | instid1(VALU_DEP_2)
	v_pk_fma_f32 v[134:135], v[130:131], v[126:127], v[132:133] op_sel_hi:[1,0,1]
	v_pk_fma_f32 v[126:127], v[130:131], v[126:127], v[132:133] neg_lo:[0,0,1] neg_hi:[0,0,1]
	v_mov_b32_e32 v127, v135
	s_cbranch_execz .LBB60_674
	s_branch .LBB60_675
.LBB60_673:
                                        ; implicit-def: $vgpr126_vgpr127
.LBB60_674:
	ds_load_b64 v[126:127], v1
.LBB60_675:
	s_mov_b32 s2, exec_lo
	v_cmpx_ne_u32_e32 7, v0
	s_cbranch_execz .LBB60_679
; %bb.676:
	v_add_nc_u32_e32 v129, 0x1f8, v38
	v_add3_u32 v130, 0, v38, 8
	v_mov_b32_e32 v131, v0
	s_mov_b32 s3, 0
.LBB60_677:                             ; =>This Inner Loop Header: Depth=1
	scratch_load_b64 v[132:133], v130, off
	ds_load_b64 v[134:135], v129
	s_wait_xcnt 0x0
	v_dual_add_nc_u32 v129, 8, v129 :: v_dual_add_nc_u32 v130, 8, v130
	s_wait_loadcnt_dscnt 0x0
	v_pk_mul_f32 v[136:137], v[134:135], v[132:133] op_sel:[1,1] op_sel_hi:[0,1]
	s_delay_alu instid0(VALU_DEP_1) | instskip(SKIP_2) | instid1(VALU_DEP_3)
	v_pk_fma_f32 v[138:139], v[134:135], v[132:133], v[136:137] op_sel_hi:[1,0,1]
	v_add_nc_u32_e32 v131, 1, v131
	v_pk_fma_f32 v[132:133], v[134:135], v[132:133], v[136:137] neg_lo:[0,0,1] neg_hi:[0,0,1]
	v_mov_b32_e32 v133, v139
	s_delay_alu instid0(VALU_DEP_3) | instskip(NEXT) | instid1(VALU_DEP_2)
	v_cmp_lt_u32_e32 vcc_lo, 6, v131
	v_pk_add_f32 v[126:127], v[126:127], v[132:133]
	s_or_b32 s3, vcc_lo, s3
	s_delay_alu instid0(SALU_CYCLE_1)
	s_and_not1_b32 exec_lo, exec_lo, s3
	s_cbranch_execnz .LBB60_677
; %bb.678:
	s_or_b32 exec_lo, exec_lo, s3
.LBB60_679:
	s_delay_alu instid0(SALU_CYCLE_1) | instskip(SKIP_4) | instid1(VALU_DEP_1)
	s_or_b32 exec_lo, exec_lo, s2
	v_mov_b32_e32 v129, 0
	ds_load_b64 v[130:131], v129 offset:64
	s_wait_dscnt 0x0
	v_pk_mul_f32 v[132:133], v[126:127], v[130:131] op_sel:[1,1] op_sel_hi:[0,1]
	v_pk_fma_f32 v[134:135], v[126:127], v[130:131], v[132:133] op_sel_hi:[1,0,1]
	v_pk_fma_f32 v[126:127], v[126:127], v[130:131], v[132:133] neg_lo:[0,0,1] neg_hi:[0,0,1]
	s_delay_alu instid0(VALU_DEP_2)
	v_mov_b32_e32 v127, v135
	scratch_store_b64 off, v[126:127], off offset:64
.LBB60_680:
	s_wait_xcnt 0x0
	s_or_b32 exec_lo, exec_lo, s0
	scratch_load_b64 v[126:127], off, off offset:72
	s_mov_b32 s0, exec_lo
	s_wait_loadcnt 0x0
	ds_store_b64 v1, v[126:127]
	s_wait_storecnt_dscnt 0x0
	s_barrier_signal -1
	s_barrier_wait -1
	s_wait_xcnt 0x0
	v_cmpx_gt_u32_e32 9, v0
	s_cbranch_execz .LBB60_690
; %bb.681:
	v_cmp_ne_u32_e32 vcc_lo, 1, v128
	s_cbranch_vccnz .LBB60_683
; %bb.682:
	scratch_load_b64 v[126:127], v39, off
	ds_load_b64 v[130:131], v1
	s_wait_loadcnt_dscnt 0x0
	v_pk_mul_f32 v[132:133], v[130:131], v[126:127] op_sel:[1,1] op_sel_hi:[0,1]
	s_delay_alu instid0(VALU_DEP_1) | instskip(SKIP_1) | instid1(VALU_DEP_2)
	v_pk_fma_f32 v[134:135], v[130:131], v[126:127], v[132:133] op_sel_hi:[1,0,1]
	v_pk_fma_f32 v[126:127], v[130:131], v[126:127], v[132:133] neg_lo:[0,0,1] neg_hi:[0,0,1]
	v_mov_b32_e32 v127, v135
	s_cbranch_execz .LBB60_684
	s_branch .LBB60_685
.LBB60_683:
                                        ; implicit-def: $vgpr126_vgpr127
.LBB60_684:
	ds_load_b64 v[126:127], v1
.LBB60_685:
	s_mov_b32 s2, exec_lo
	v_cmpx_ne_u32_e32 8, v0
	s_cbranch_execz .LBB60_689
; %bb.686:
	v_add_nc_u32_e32 v129, 0x1f8, v38
	v_add3_u32 v130, 0, v38, 8
	v_mov_b32_e32 v131, v0
	s_mov_b32 s3, 0
.LBB60_687:                             ; =>This Inner Loop Header: Depth=1
	scratch_load_b64 v[132:133], v130, off
	ds_load_b64 v[134:135], v129
	s_wait_xcnt 0x0
	v_dual_add_nc_u32 v129, 8, v129 :: v_dual_add_nc_u32 v130, 8, v130
	s_wait_loadcnt_dscnt 0x0
	v_pk_mul_f32 v[136:137], v[134:135], v[132:133] op_sel:[1,1] op_sel_hi:[0,1]
	s_delay_alu instid0(VALU_DEP_1) | instskip(SKIP_2) | instid1(VALU_DEP_3)
	v_pk_fma_f32 v[138:139], v[134:135], v[132:133], v[136:137] op_sel_hi:[1,0,1]
	v_add_nc_u32_e32 v131, 1, v131
	v_pk_fma_f32 v[132:133], v[134:135], v[132:133], v[136:137] neg_lo:[0,0,1] neg_hi:[0,0,1]
	v_mov_b32_e32 v133, v139
	s_delay_alu instid0(VALU_DEP_3) | instskip(NEXT) | instid1(VALU_DEP_2)
	v_cmp_lt_u32_e32 vcc_lo, 7, v131
	v_pk_add_f32 v[126:127], v[126:127], v[132:133]
	s_or_b32 s3, vcc_lo, s3
	s_delay_alu instid0(SALU_CYCLE_1)
	s_and_not1_b32 exec_lo, exec_lo, s3
	s_cbranch_execnz .LBB60_687
; %bb.688:
	s_or_b32 exec_lo, exec_lo, s3
.LBB60_689:
	s_delay_alu instid0(SALU_CYCLE_1) | instskip(SKIP_4) | instid1(VALU_DEP_1)
	s_or_b32 exec_lo, exec_lo, s2
	v_mov_b32_e32 v129, 0
	ds_load_b64 v[130:131], v129 offset:72
	s_wait_dscnt 0x0
	v_pk_mul_f32 v[132:133], v[126:127], v[130:131] op_sel:[1,1] op_sel_hi:[0,1]
	v_pk_fma_f32 v[134:135], v[126:127], v[130:131], v[132:133] op_sel_hi:[1,0,1]
	v_pk_fma_f32 v[126:127], v[126:127], v[130:131], v[132:133] neg_lo:[0,0,1] neg_hi:[0,0,1]
	s_delay_alu instid0(VALU_DEP_2)
	v_mov_b32_e32 v127, v135
	scratch_store_b64 off, v[126:127], off offset:72
.LBB60_690:
	s_wait_xcnt 0x0
	s_or_b32 exec_lo, exec_lo, s0
	scratch_load_b64 v[126:127], off, off offset:80
	s_mov_b32 s0, exec_lo
	s_wait_loadcnt 0x0
	ds_store_b64 v1, v[126:127]
	s_wait_storecnt_dscnt 0x0
	s_barrier_signal -1
	s_barrier_wait -1
	s_wait_xcnt 0x0
	v_cmpx_gt_u32_e32 10, v0
	s_cbranch_execz .LBB60_700
; %bb.691:
	v_cmp_ne_u32_e32 vcc_lo, 1, v128
	s_cbranch_vccnz .LBB60_693
; %bb.692:
	scratch_load_b64 v[126:127], v39, off
	ds_load_b64 v[130:131], v1
	s_wait_loadcnt_dscnt 0x0
	v_pk_mul_f32 v[132:133], v[130:131], v[126:127] op_sel:[1,1] op_sel_hi:[0,1]
	s_delay_alu instid0(VALU_DEP_1) | instskip(SKIP_1) | instid1(VALU_DEP_2)
	v_pk_fma_f32 v[134:135], v[130:131], v[126:127], v[132:133] op_sel_hi:[1,0,1]
	v_pk_fma_f32 v[126:127], v[130:131], v[126:127], v[132:133] neg_lo:[0,0,1] neg_hi:[0,0,1]
	v_mov_b32_e32 v127, v135
	s_cbranch_execz .LBB60_694
	s_branch .LBB60_695
.LBB60_693:
                                        ; implicit-def: $vgpr126_vgpr127
.LBB60_694:
	ds_load_b64 v[126:127], v1
.LBB60_695:
	s_mov_b32 s2, exec_lo
	v_cmpx_ne_u32_e32 9, v0
	s_cbranch_execz .LBB60_699
; %bb.696:
	v_add_nc_u32_e32 v129, 0x1f8, v38
	v_add3_u32 v130, 0, v38, 8
	v_mov_b32_e32 v131, v0
	s_mov_b32 s3, 0
.LBB60_697:                             ; =>This Inner Loop Header: Depth=1
	scratch_load_b64 v[132:133], v130, off
	ds_load_b64 v[134:135], v129
	s_wait_xcnt 0x0
	v_dual_add_nc_u32 v129, 8, v129 :: v_dual_add_nc_u32 v130, 8, v130
	s_wait_loadcnt_dscnt 0x0
	v_pk_mul_f32 v[136:137], v[134:135], v[132:133] op_sel:[1,1] op_sel_hi:[0,1]
	s_delay_alu instid0(VALU_DEP_1) | instskip(SKIP_2) | instid1(VALU_DEP_3)
	v_pk_fma_f32 v[138:139], v[134:135], v[132:133], v[136:137] op_sel_hi:[1,0,1]
	v_add_nc_u32_e32 v131, 1, v131
	v_pk_fma_f32 v[132:133], v[134:135], v[132:133], v[136:137] neg_lo:[0,0,1] neg_hi:[0,0,1]
	v_mov_b32_e32 v133, v139
	s_delay_alu instid0(VALU_DEP_3) | instskip(NEXT) | instid1(VALU_DEP_2)
	v_cmp_lt_u32_e32 vcc_lo, 8, v131
	v_pk_add_f32 v[126:127], v[126:127], v[132:133]
	s_or_b32 s3, vcc_lo, s3
	s_delay_alu instid0(SALU_CYCLE_1)
	s_and_not1_b32 exec_lo, exec_lo, s3
	s_cbranch_execnz .LBB60_697
; %bb.698:
	s_or_b32 exec_lo, exec_lo, s3
.LBB60_699:
	s_delay_alu instid0(SALU_CYCLE_1) | instskip(SKIP_4) | instid1(VALU_DEP_1)
	s_or_b32 exec_lo, exec_lo, s2
	v_mov_b32_e32 v129, 0
	ds_load_b64 v[130:131], v129 offset:80
	s_wait_dscnt 0x0
	v_pk_mul_f32 v[132:133], v[126:127], v[130:131] op_sel:[1,1] op_sel_hi:[0,1]
	v_pk_fma_f32 v[134:135], v[126:127], v[130:131], v[132:133] op_sel_hi:[1,0,1]
	v_pk_fma_f32 v[126:127], v[126:127], v[130:131], v[132:133] neg_lo:[0,0,1] neg_hi:[0,0,1]
	s_delay_alu instid0(VALU_DEP_2)
	v_mov_b32_e32 v127, v135
	scratch_store_b64 off, v[126:127], off offset:80
.LBB60_700:
	s_wait_xcnt 0x0
	s_or_b32 exec_lo, exec_lo, s0
	scratch_load_b64 v[126:127], off, off offset:88
	s_mov_b32 s0, exec_lo
	s_wait_loadcnt 0x0
	ds_store_b64 v1, v[126:127]
	s_wait_storecnt_dscnt 0x0
	s_barrier_signal -1
	s_barrier_wait -1
	s_wait_xcnt 0x0
	v_cmpx_gt_u32_e32 11, v0
	s_cbranch_execz .LBB60_710
; %bb.701:
	v_cmp_ne_u32_e32 vcc_lo, 1, v128
	s_cbranch_vccnz .LBB60_703
; %bb.702:
	scratch_load_b64 v[126:127], v39, off
	ds_load_b64 v[130:131], v1
	s_wait_loadcnt_dscnt 0x0
	v_pk_mul_f32 v[132:133], v[130:131], v[126:127] op_sel:[1,1] op_sel_hi:[0,1]
	s_delay_alu instid0(VALU_DEP_1) | instskip(SKIP_1) | instid1(VALU_DEP_2)
	v_pk_fma_f32 v[134:135], v[130:131], v[126:127], v[132:133] op_sel_hi:[1,0,1]
	v_pk_fma_f32 v[126:127], v[130:131], v[126:127], v[132:133] neg_lo:[0,0,1] neg_hi:[0,0,1]
	v_mov_b32_e32 v127, v135
	s_cbranch_execz .LBB60_704
	s_branch .LBB60_705
.LBB60_703:
                                        ; implicit-def: $vgpr126_vgpr127
.LBB60_704:
	ds_load_b64 v[126:127], v1
.LBB60_705:
	s_mov_b32 s2, exec_lo
	v_cmpx_ne_u32_e32 10, v0
	s_cbranch_execz .LBB60_709
; %bb.706:
	v_add_nc_u32_e32 v129, 0x1f8, v38
	v_add3_u32 v130, 0, v38, 8
	v_mov_b32_e32 v131, v0
	s_mov_b32 s3, 0
.LBB60_707:                             ; =>This Inner Loop Header: Depth=1
	scratch_load_b64 v[132:133], v130, off
	ds_load_b64 v[134:135], v129
	s_wait_xcnt 0x0
	v_dual_add_nc_u32 v129, 8, v129 :: v_dual_add_nc_u32 v130, 8, v130
	s_wait_loadcnt_dscnt 0x0
	v_pk_mul_f32 v[136:137], v[134:135], v[132:133] op_sel:[1,1] op_sel_hi:[0,1]
	s_delay_alu instid0(VALU_DEP_1) | instskip(SKIP_2) | instid1(VALU_DEP_3)
	v_pk_fma_f32 v[138:139], v[134:135], v[132:133], v[136:137] op_sel_hi:[1,0,1]
	v_add_nc_u32_e32 v131, 1, v131
	v_pk_fma_f32 v[132:133], v[134:135], v[132:133], v[136:137] neg_lo:[0,0,1] neg_hi:[0,0,1]
	v_mov_b32_e32 v133, v139
	s_delay_alu instid0(VALU_DEP_3) | instskip(NEXT) | instid1(VALU_DEP_2)
	v_cmp_lt_u32_e32 vcc_lo, 9, v131
	v_pk_add_f32 v[126:127], v[126:127], v[132:133]
	s_or_b32 s3, vcc_lo, s3
	s_delay_alu instid0(SALU_CYCLE_1)
	s_and_not1_b32 exec_lo, exec_lo, s3
	s_cbranch_execnz .LBB60_707
; %bb.708:
	s_or_b32 exec_lo, exec_lo, s3
.LBB60_709:
	s_delay_alu instid0(SALU_CYCLE_1) | instskip(SKIP_4) | instid1(VALU_DEP_1)
	s_or_b32 exec_lo, exec_lo, s2
	v_mov_b32_e32 v129, 0
	ds_load_b64 v[130:131], v129 offset:88
	s_wait_dscnt 0x0
	v_pk_mul_f32 v[132:133], v[126:127], v[130:131] op_sel:[1,1] op_sel_hi:[0,1]
	v_pk_fma_f32 v[134:135], v[126:127], v[130:131], v[132:133] op_sel_hi:[1,0,1]
	v_pk_fma_f32 v[126:127], v[126:127], v[130:131], v[132:133] neg_lo:[0,0,1] neg_hi:[0,0,1]
	s_delay_alu instid0(VALU_DEP_2)
	v_mov_b32_e32 v127, v135
	scratch_store_b64 off, v[126:127], off offset:88
.LBB60_710:
	s_wait_xcnt 0x0
	s_or_b32 exec_lo, exec_lo, s0
	scratch_load_b64 v[126:127], off, off offset:96
	s_mov_b32 s0, exec_lo
	s_wait_loadcnt 0x0
	ds_store_b64 v1, v[126:127]
	s_wait_storecnt_dscnt 0x0
	s_barrier_signal -1
	s_barrier_wait -1
	s_wait_xcnt 0x0
	v_cmpx_gt_u32_e32 12, v0
	s_cbranch_execz .LBB60_720
; %bb.711:
	v_cmp_ne_u32_e32 vcc_lo, 1, v128
	s_cbranch_vccnz .LBB60_713
; %bb.712:
	scratch_load_b64 v[126:127], v39, off
	ds_load_b64 v[130:131], v1
	s_wait_loadcnt_dscnt 0x0
	v_pk_mul_f32 v[132:133], v[130:131], v[126:127] op_sel:[1,1] op_sel_hi:[0,1]
	s_delay_alu instid0(VALU_DEP_1) | instskip(SKIP_1) | instid1(VALU_DEP_2)
	v_pk_fma_f32 v[134:135], v[130:131], v[126:127], v[132:133] op_sel_hi:[1,0,1]
	v_pk_fma_f32 v[126:127], v[130:131], v[126:127], v[132:133] neg_lo:[0,0,1] neg_hi:[0,0,1]
	v_mov_b32_e32 v127, v135
	s_cbranch_execz .LBB60_714
	s_branch .LBB60_715
.LBB60_713:
                                        ; implicit-def: $vgpr126_vgpr127
.LBB60_714:
	ds_load_b64 v[126:127], v1
.LBB60_715:
	s_mov_b32 s2, exec_lo
	v_cmpx_ne_u32_e32 11, v0
	s_cbranch_execz .LBB60_719
; %bb.716:
	v_add_nc_u32_e32 v129, 0x1f8, v38
	v_add3_u32 v130, 0, v38, 8
	v_mov_b32_e32 v131, v0
	s_mov_b32 s3, 0
.LBB60_717:                             ; =>This Inner Loop Header: Depth=1
	scratch_load_b64 v[132:133], v130, off
	ds_load_b64 v[134:135], v129
	s_wait_xcnt 0x0
	v_dual_add_nc_u32 v129, 8, v129 :: v_dual_add_nc_u32 v130, 8, v130
	s_wait_loadcnt_dscnt 0x0
	v_pk_mul_f32 v[136:137], v[134:135], v[132:133] op_sel:[1,1] op_sel_hi:[0,1]
	s_delay_alu instid0(VALU_DEP_1) | instskip(SKIP_2) | instid1(VALU_DEP_3)
	v_pk_fma_f32 v[138:139], v[134:135], v[132:133], v[136:137] op_sel_hi:[1,0,1]
	v_add_nc_u32_e32 v131, 1, v131
	v_pk_fma_f32 v[132:133], v[134:135], v[132:133], v[136:137] neg_lo:[0,0,1] neg_hi:[0,0,1]
	v_mov_b32_e32 v133, v139
	s_delay_alu instid0(VALU_DEP_3) | instskip(NEXT) | instid1(VALU_DEP_2)
	v_cmp_lt_u32_e32 vcc_lo, 10, v131
	v_pk_add_f32 v[126:127], v[126:127], v[132:133]
	s_or_b32 s3, vcc_lo, s3
	s_delay_alu instid0(SALU_CYCLE_1)
	s_and_not1_b32 exec_lo, exec_lo, s3
	s_cbranch_execnz .LBB60_717
; %bb.718:
	s_or_b32 exec_lo, exec_lo, s3
.LBB60_719:
	s_delay_alu instid0(SALU_CYCLE_1) | instskip(SKIP_4) | instid1(VALU_DEP_1)
	s_or_b32 exec_lo, exec_lo, s2
	v_mov_b32_e32 v129, 0
	ds_load_b64 v[130:131], v129 offset:96
	s_wait_dscnt 0x0
	v_pk_mul_f32 v[132:133], v[126:127], v[130:131] op_sel:[1,1] op_sel_hi:[0,1]
	v_pk_fma_f32 v[134:135], v[126:127], v[130:131], v[132:133] op_sel_hi:[1,0,1]
	v_pk_fma_f32 v[126:127], v[126:127], v[130:131], v[132:133] neg_lo:[0,0,1] neg_hi:[0,0,1]
	s_delay_alu instid0(VALU_DEP_2)
	v_mov_b32_e32 v127, v135
	scratch_store_b64 off, v[126:127], off offset:96
.LBB60_720:
	s_wait_xcnt 0x0
	s_or_b32 exec_lo, exec_lo, s0
	scratch_load_b64 v[126:127], off, off offset:104
	s_mov_b32 s0, exec_lo
	s_wait_loadcnt 0x0
	ds_store_b64 v1, v[126:127]
	s_wait_storecnt_dscnt 0x0
	s_barrier_signal -1
	s_barrier_wait -1
	s_wait_xcnt 0x0
	v_cmpx_gt_u32_e32 13, v0
	s_cbranch_execz .LBB60_730
; %bb.721:
	v_cmp_ne_u32_e32 vcc_lo, 1, v128
	s_cbranch_vccnz .LBB60_723
; %bb.722:
	scratch_load_b64 v[126:127], v39, off
	ds_load_b64 v[130:131], v1
	s_wait_loadcnt_dscnt 0x0
	v_pk_mul_f32 v[132:133], v[130:131], v[126:127] op_sel:[1,1] op_sel_hi:[0,1]
	s_delay_alu instid0(VALU_DEP_1) | instskip(SKIP_1) | instid1(VALU_DEP_2)
	v_pk_fma_f32 v[134:135], v[130:131], v[126:127], v[132:133] op_sel_hi:[1,0,1]
	v_pk_fma_f32 v[126:127], v[130:131], v[126:127], v[132:133] neg_lo:[0,0,1] neg_hi:[0,0,1]
	v_mov_b32_e32 v127, v135
	s_cbranch_execz .LBB60_724
	s_branch .LBB60_725
.LBB60_723:
                                        ; implicit-def: $vgpr126_vgpr127
.LBB60_724:
	ds_load_b64 v[126:127], v1
.LBB60_725:
	s_mov_b32 s2, exec_lo
	v_cmpx_ne_u32_e32 12, v0
	s_cbranch_execz .LBB60_729
; %bb.726:
	v_add_nc_u32_e32 v129, 0x1f8, v38
	v_add3_u32 v130, 0, v38, 8
	v_mov_b32_e32 v131, v0
	s_mov_b32 s3, 0
.LBB60_727:                             ; =>This Inner Loop Header: Depth=1
	scratch_load_b64 v[132:133], v130, off
	ds_load_b64 v[134:135], v129
	s_wait_xcnt 0x0
	v_dual_add_nc_u32 v129, 8, v129 :: v_dual_add_nc_u32 v130, 8, v130
	s_wait_loadcnt_dscnt 0x0
	v_pk_mul_f32 v[136:137], v[134:135], v[132:133] op_sel:[1,1] op_sel_hi:[0,1]
	s_delay_alu instid0(VALU_DEP_1) | instskip(SKIP_2) | instid1(VALU_DEP_3)
	v_pk_fma_f32 v[138:139], v[134:135], v[132:133], v[136:137] op_sel_hi:[1,0,1]
	v_add_nc_u32_e32 v131, 1, v131
	v_pk_fma_f32 v[132:133], v[134:135], v[132:133], v[136:137] neg_lo:[0,0,1] neg_hi:[0,0,1]
	v_mov_b32_e32 v133, v139
	s_delay_alu instid0(VALU_DEP_3) | instskip(NEXT) | instid1(VALU_DEP_2)
	v_cmp_lt_u32_e32 vcc_lo, 11, v131
	v_pk_add_f32 v[126:127], v[126:127], v[132:133]
	s_or_b32 s3, vcc_lo, s3
	s_delay_alu instid0(SALU_CYCLE_1)
	s_and_not1_b32 exec_lo, exec_lo, s3
	s_cbranch_execnz .LBB60_727
; %bb.728:
	s_or_b32 exec_lo, exec_lo, s3
.LBB60_729:
	s_delay_alu instid0(SALU_CYCLE_1) | instskip(SKIP_4) | instid1(VALU_DEP_1)
	s_or_b32 exec_lo, exec_lo, s2
	v_mov_b32_e32 v129, 0
	ds_load_b64 v[130:131], v129 offset:104
	s_wait_dscnt 0x0
	v_pk_mul_f32 v[132:133], v[126:127], v[130:131] op_sel:[1,1] op_sel_hi:[0,1]
	v_pk_fma_f32 v[134:135], v[126:127], v[130:131], v[132:133] op_sel_hi:[1,0,1]
	v_pk_fma_f32 v[126:127], v[126:127], v[130:131], v[132:133] neg_lo:[0,0,1] neg_hi:[0,0,1]
	s_delay_alu instid0(VALU_DEP_2)
	v_mov_b32_e32 v127, v135
	scratch_store_b64 off, v[126:127], off offset:104
.LBB60_730:
	s_wait_xcnt 0x0
	s_or_b32 exec_lo, exec_lo, s0
	scratch_load_b64 v[126:127], off, off offset:112
	s_mov_b32 s0, exec_lo
	s_wait_loadcnt 0x0
	ds_store_b64 v1, v[126:127]
	s_wait_storecnt_dscnt 0x0
	s_barrier_signal -1
	s_barrier_wait -1
	s_wait_xcnt 0x0
	v_cmpx_gt_u32_e32 14, v0
	s_cbranch_execz .LBB60_740
; %bb.731:
	v_cmp_ne_u32_e32 vcc_lo, 1, v128
	s_cbranch_vccnz .LBB60_733
; %bb.732:
	scratch_load_b64 v[126:127], v39, off
	ds_load_b64 v[130:131], v1
	s_wait_loadcnt_dscnt 0x0
	v_pk_mul_f32 v[132:133], v[130:131], v[126:127] op_sel:[1,1] op_sel_hi:[0,1]
	s_delay_alu instid0(VALU_DEP_1) | instskip(SKIP_1) | instid1(VALU_DEP_2)
	v_pk_fma_f32 v[134:135], v[130:131], v[126:127], v[132:133] op_sel_hi:[1,0,1]
	v_pk_fma_f32 v[126:127], v[130:131], v[126:127], v[132:133] neg_lo:[0,0,1] neg_hi:[0,0,1]
	v_mov_b32_e32 v127, v135
	s_cbranch_execz .LBB60_734
	s_branch .LBB60_735
.LBB60_733:
                                        ; implicit-def: $vgpr126_vgpr127
.LBB60_734:
	ds_load_b64 v[126:127], v1
.LBB60_735:
	s_mov_b32 s2, exec_lo
	v_cmpx_ne_u32_e32 13, v0
	s_cbranch_execz .LBB60_739
; %bb.736:
	v_add_nc_u32_e32 v129, 0x1f8, v38
	v_add3_u32 v130, 0, v38, 8
	v_mov_b32_e32 v131, v0
	s_mov_b32 s3, 0
.LBB60_737:                             ; =>This Inner Loop Header: Depth=1
	scratch_load_b64 v[132:133], v130, off
	ds_load_b64 v[134:135], v129
	s_wait_xcnt 0x0
	v_dual_add_nc_u32 v129, 8, v129 :: v_dual_add_nc_u32 v130, 8, v130
	s_wait_loadcnt_dscnt 0x0
	v_pk_mul_f32 v[136:137], v[134:135], v[132:133] op_sel:[1,1] op_sel_hi:[0,1]
	s_delay_alu instid0(VALU_DEP_1) | instskip(SKIP_2) | instid1(VALU_DEP_3)
	v_pk_fma_f32 v[138:139], v[134:135], v[132:133], v[136:137] op_sel_hi:[1,0,1]
	v_add_nc_u32_e32 v131, 1, v131
	v_pk_fma_f32 v[132:133], v[134:135], v[132:133], v[136:137] neg_lo:[0,0,1] neg_hi:[0,0,1]
	v_mov_b32_e32 v133, v139
	s_delay_alu instid0(VALU_DEP_3) | instskip(NEXT) | instid1(VALU_DEP_2)
	v_cmp_lt_u32_e32 vcc_lo, 12, v131
	v_pk_add_f32 v[126:127], v[126:127], v[132:133]
	s_or_b32 s3, vcc_lo, s3
	s_delay_alu instid0(SALU_CYCLE_1)
	s_and_not1_b32 exec_lo, exec_lo, s3
	s_cbranch_execnz .LBB60_737
; %bb.738:
	s_or_b32 exec_lo, exec_lo, s3
.LBB60_739:
	s_delay_alu instid0(SALU_CYCLE_1) | instskip(SKIP_4) | instid1(VALU_DEP_1)
	s_or_b32 exec_lo, exec_lo, s2
	v_mov_b32_e32 v129, 0
	ds_load_b64 v[130:131], v129 offset:112
	s_wait_dscnt 0x0
	v_pk_mul_f32 v[132:133], v[126:127], v[130:131] op_sel:[1,1] op_sel_hi:[0,1]
	v_pk_fma_f32 v[134:135], v[126:127], v[130:131], v[132:133] op_sel_hi:[1,0,1]
	v_pk_fma_f32 v[126:127], v[126:127], v[130:131], v[132:133] neg_lo:[0,0,1] neg_hi:[0,0,1]
	s_delay_alu instid0(VALU_DEP_2)
	v_mov_b32_e32 v127, v135
	scratch_store_b64 off, v[126:127], off offset:112
.LBB60_740:
	s_wait_xcnt 0x0
	s_or_b32 exec_lo, exec_lo, s0
	scratch_load_b64 v[126:127], off, off offset:120
	s_mov_b32 s0, exec_lo
	s_wait_loadcnt 0x0
	ds_store_b64 v1, v[126:127]
	s_wait_storecnt_dscnt 0x0
	s_barrier_signal -1
	s_barrier_wait -1
	s_wait_xcnt 0x0
	v_cmpx_gt_u32_e32 15, v0
	s_cbranch_execz .LBB60_750
; %bb.741:
	v_cmp_ne_u32_e32 vcc_lo, 1, v128
	s_cbranch_vccnz .LBB60_743
; %bb.742:
	scratch_load_b64 v[126:127], v39, off
	ds_load_b64 v[130:131], v1
	s_wait_loadcnt_dscnt 0x0
	v_pk_mul_f32 v[132:133], v[130:131], v[126:127] op_sel:[1,1] op_sel_hi:[0,1]
	s_delay_alu instid0(VALU_DEP_1) | instskip(SKIP_1) | instid1(VALU_DEP_2)
	v_pk_fma_f32 v[134:135], v[130:131], v[126:127], v[132:133] op_sel_hi:[1,0,1]
	v_pk_fma_f32 v[126:127], v[130:131], v[126:127], v[132:133] neg_lo:[0,0,1] neg_hi:[0,0,1]
	v_mov_b32_e32 v127, v135
	s_cbranch_execz .LBB60_744
	s_branch .LBB60_745
.LBB60_743:
                                        ; implicit-def: $vgpr126_vgpr127
.LBB60_744:
	ds_load_b64 v[126:127], v1
.LBB60_745:
	s_mov_b32 s2, exec_lo
	v_cmpx_ne_u32_e32 14, v0
	s_cbranch_execz .LBB60_749
; %bb.746:
	v_add_nc_u32_e32 v129, 0x1f8, v38
	v_add3_u32 v130, 0, v38, 8
	v_mov_b32_e32 v131, v0
	s_mov_b32 s3, 0
.LBB60_747:                             ; =>This Inner Loop Header: Depth=1
	scratch_load_b64 v[132:133], v130, off
	ds_load_b64 v[134:135], v129
	s_wait_xcnt 0x0
	v_dual_add_nc_u32 v129, 8, v129 :: v_dual_add_nc_u32 v130, 8, v130
	s_wait_loadcnt_dscnt 0x0
	v_pk_mul_f32 v[136:137], v[134:135], v[132:133] op_sel:[1,1] op_sel_hi:[0,1]
	s_delay_alu instid0(VALU_DEP_1) | instskip(SKIP_2) | instid1(VALU_DEP_3)
	v_pk_fma_f32 v[138:139], v[134:135], v[132:133], v[136:137] op_sel_hi:[1,0,1]
	v_add_nc_u32_e32 v131, 1, v131
	v_pk_fma_f32 v[132:133], v[134:135], v[132:133], v[136:137] neg_lo:[0,0,1] neg_hi:[0,0,1]
	v_mov_b32_e32 v133, v139
	s_delay_alu instid0(VALU_DEP_3) | instskip(NEXT) | instid1(VALU_DEP_2)
	v_cmp_lt_u32_e32 vcc_lo, 13, v131
	v_pk_add_f32 v[126:127], v[126:127], v[132:133]
	s_or_b32 s3, vcc_lo, s3
	s_delay_alu instid0(SALU_CYCLE_1)
	s_and_not1_b32 exec_lo, exec_lo, s3
	s_cbranch_execnz .LBB60_747
; %bb.748:
	s_or_b32 exec_lo, exec_lo, s3
.LBB60_749:
	s_delay_alu instid0(SALU_CYCLE_1) | instskip(SKIP_4) | instid1(VALU_DEP_1)
	s_or_b32 exec_lo, exec_lo, s2
	v_mov_b32_e32 v129, 0
	ds_load_b64 v[130:131], v129 offset:120
	s_wait_dscnt 0x0
	v_pk_mul_f32 v[132:133], v[126:127], v[130:131] op_sel:[1,1] op_sel_hi:[0,1]
	v_pk_fma_f32 v[134:135], v[126:127], v[130:131], v[132:133] op_sel_hi:[1,0,1]
	v_pk_fma_f32 v[126:127], v[126:127], v[130:131], v[132:133] neg_lo:[0,0,1] neg_hi:[0,0,1]
	s_delay_alu instid0(VALU_DEP_2)
	v_mov_b32_e32 v127, v135
	scratch_store_b64 off, v[126:127], off offset:120
.LBB60_750:
	s_wait_xcnt 0x0
	s_or_b32 exec_lo, exec_lo, s0
	scratch_load_b64 v[126:127], off, off offset:128
	s_mov_b32 s0, exec_lo
	s_wait_loadcnt 0x0
	ds_store_b64 v1, v[126:127]
	s_wait_storecnt_dscnt 0x0
	s_barrier_signal -1
	s_barrier_wait -1
	s_wait_xcnt 0x0
	v_cmpx_gt_u32_e32 16, v0
	s_cbranch_execz .LBB60_760
; %bb.751:
	v_cmp_ne_u32_e32 vcc_lo, 1, v128
	s_cbranch_vccnz .LBB60_753
; %bb.752:
	scratch_load_b64 v[126:127], v39, off
	ds_load_b64 v[130:131], v1
	s_wait_loadcnt_dscnt 0x0
	v_pk_mul_f32 v[132:133], v[130:131], v[126:127] op_sel:[1,1] op_sel_hi:[0,1]
	s_delay_alu instid0(VALU_DEP_1) | instskip(SKIP_1) | instid1(VALU_DEP_2)
	v_pk_fma_f32 v[134:135], v[130:131], v[126:127], v[132:133] op_sel_hi:[1,0,1]
	v_pk_fma_f32 v[126:127], v[130:131], v[126:127], v[132:133] neg_lo:[0,0,1] neg_hi:[0,0,1]
	v_mov_b32_e32 v127, v135
	s_cbranch_execz .LBB60_754
	s_branch .LBB60_755
.LBB60_753:
                                        ; implicit-def: $vgpr126_vgpr127
.LBB60_754:
	ds_load_b64 v[126:127], v1
.LBB60_755:
	s_mov_b32 s2, exec_lo
	v_cmpx_ne_u32_e32 15, v0
	s_cbranch_execz .LBB60_759
; %bb.756:
	v_add_nc_u32_e32 v129, 0x1f8, v38
	v_add3_u32 v130, 0, v38, 8
	v_mov_b32_e32 v131, v0
	s_mov_b32 s3, 0
.LBB60_757:                             ; =>This Inner Loop Header: Depth=1
	scratch_load_b64 v[132:133], v130, off
	ds_load_b64 v[134:135], v129
	s_wait_xcnt 0x0
	v_dual_add_nc_u32 v129, 8, v129 :: v_dual_add_nc_u32 v130, 8, v130
	s_wait_loadcnt_dscnt 0x0
	v_pk_mul_f32 v[136:137], v[134:135], v[132:133] op_sel:[1,1] op_sel_hi:[0,1]
	s_delay_alu instid0(VALU_DEP_1) | instskip(SKIP_2) | instid1(VALU_DEP_3)
	v_pk_fma_f32 v[138:139], v[134:135], v[132:133], v[136:137] op_sel_hi:[1,0,1]
	v_add_nc_u32_e32 v131, 1, v131
	v_pk_fma_f32 v[132:133], v[134:135], v[132:133], v[136:137] neg_lo:[0,0,1] neg_hi:[0,0,1]
	v_mov_b32_e32 v133, v139
	s_delay_alu instid0(VALU_DEP_3) | instskip(NEXT) | instid1(VALU_DEP_2)
	v_cmp_lt_u32_e32 vcc_lo, 14, v131
	v_pk_add_f32 v[126:127], v[126:127], v[132:133]
	s_or_b32 s3, vcc_lo, s3
	s_delay_alu instid0(SALU_CYCLE_1)
	s_and_not1_b32 exec_lo, exec_lo, s3
	s_cbranch_execnz .LBB60_757
; %bb.758:
	s_or_b32 exec_lo, exec_lo, s3
.LBB60_759:
	s_delay_alu instid0(SALU_CYCLE_1) | instskip(SKIP_4) | instid1(VALU_DEP_1)
	s_or_b32 exec_lo, exec_lo, s2
	v_mov_b32_e32 v129, 0
	ds_load_b64 v[130:131], v129 offset:128
	s_wait_dscnt 0x0
	v_pk_mul_f32 v[132:133], v[126:127], v[130:131] op_sel:[1,1] op_sel_hi:[0,1]
	v_pk_fma_f32 v[134:135], v[126:127], v[130:131], v[132:133] op_sel_hi:[1,0,1]
	v_pk_fma_f32 v[126:127], v[126:127], v[130:131], v[132:133] neg_lo:[0,0,1] neg_hi:[0,0,1]
	s_delay_alu instid0(VALU_DEP_2)
	v_mov_b32_e32 v127, v135
	scratch_store_b64 off, v[126:127], off offset:128
.LBB60_760:
	s_wait_xcnt 0x0
	s_or_b32 exec_lo, exec_lo, s0
	scratch_load_b64 v[126:127], off, off offset:136
	s_mov_b32 s0, exec_lo
	s_wait_loadcnt 0x0
	ds_store_b64 v1, v[126:127]
	s_wait_storecnt_dscnt 0x0
	s_barrier_signal -1
	s_barrier_wait -1
	s_wait_xcnt 0x0
	v_cmpx_gt_u32_e32 17, v0
	s_cbranch_execz .LBB60_770
; %bb.761:
	v_cmp_ne_u32_e32 vcc_lo, 1, v128
	s_cbranch_vccnz .LBB60_763
; %bb.762:
	scratch_load_b64 v[126:127], v39, off
	ds_load_b64 v[130:131], v1
	s_wait_loadcnt_dscnt 0x0
	v_pk_mul_f32 v[132:133], v[130:131], v[126:127] op_sel:[1,1] op_sel_hi:[0,1]
	s_delay_alu instid0(VALU_DEP_1) | instskip(SKIP_1) | instid1(VALU_DEP_2)
	v_pk_fma_f32 v[134:135], v[130:131], v[126:127], v[132:133] op_sel_hi:[1,0,1]
	v_pk_fma_f32 v[126:127], v[130:131], v[126:127], v[132:133] neg_lo:[0,0,1] neg_hi:[0,0,1]
	v_mov_b32_e32 v127, v135
	s_cbranch_execz .LBB60_764
	s_branch .LBB60_765
.LBB60_763:
                                        ; implicit-def: $vgpr126_vgpr127
.LBB60_764:
	ds_load_b64 v[126:127], v1
.LBB60_765:
	s_mov_b32 s2, exec_lo
	v_cmpx_ne_u32_e32 16, v0
	s_cbranch_execz .LBB60_769
; %bb.766:
	v_add_nc_u32_e32 v129, 0x1f8, v38
	v_add3_u32 v130, 0, v38, 8
	v_mov_b32_e32 v131, v0
	s_mov_b32 s3, 0
.LBB60_767:                             ; =>This Inner Loop Header: Depth=1
	scratch_load_b64 v[132:133], v130, off
	ds_load_b64 v[134:135], v129
	s_wait_xcnt 0x0
	v_dual_add_nc_u32 v129, 8, v129 :: v_dual_add_nc_u32 v130, 8, v130
	s_wait_loadcnt_dscnt 0x0
	v_pk_mul_f32 v[136:137], v[134:135], v[132:133] op_sel:[1,1] op_sel_hi:[0,1]
	s_delay_alu instid0(VALU_DEP_1) | instskip(SKIP_2) | instid1(VALU_DEP_3)
	v_pk_fma_f32 v[138:139], v[134:135], v[132:133], v[136:137] op_sel_hi:[1,0,1]
	v_add_nc_u32_e32 v131, 1, v131
	v_pk_fma_f32 v[132:133], v[134:135], v[132:133], v[136:137] neg_lo:[0,0,1] neg_hi:[0,0,1]
	v_mov_b32_e32 v133, v139
	s_delay_alu instid0(VALU_DEP_3) | instskip(NEXT) | instid1(VALU_DEP_2)
	v_cmp_lt_u32_e32 vcc_lo, 15, v131
	v_pk_add_f32 v[126:127], v[126:127], v[132:133]
	s_or_b32 s3, vcc_lo, s3
	s_delay_alu instid0(SALU_CYCLE_1)
	s_and_not1_b32 exec_lo, exec_lo, s3
	s_cbranch_execnz .LBB60_767
; %bb.768:
	s_or_b32 exec_lo, exec_lo, s3
.LBB60_769:
	s_delay_alu instid0(SALU_CYCLE_1) | instskip(SKIP_4) | instid1(VALU_DEP_1)
	s_or_b32 exec_lo, exec_lo, s2
	v_mov_b32_e32 v129, 0
	ds_load_b64 v[130:131], v129 offset:136
	s_wait_dscnt 0x0
	v_pk_mul_f32 v[132:133], v[126:127], v[130:131] op_sel:[1,1] op_sel_hi:[0,1]
	v_pk_fma_f32 v[134:135], v[126:127], v[130:131], v[132:133] op_sel_hi:[1,0,1]
	v_pk_fma_f32 v[126:127], v[126:127], v[130:131], v[132:133] neg_lo:[0,0,1] neg_hi:[0,0,1]
	s_delay_alu instid0(VALU_DEP_2)
	v_mov_b32_e32 v127, v135
	scratch_store_b64 off, v[126:127], off offset:136
.LBB60_770:
	s_wait_xcnt 0x0
	s_or_b32 exec_lo, exec_lo, s0
	scratch_load_b64 v[126:127], off, off offset:144
	s_mov_b32 s0, exec_lo
	s_wait_loadcnt 0x0
	ds_store_b64 v1, v[126:127]
	s_wait_storecnt_dscnt 0x0
	s_barrier_signal -1
	s_barrier_wait -1
	s_wait_xcnt 0x0
	v_cmpx_gt_u32_e32 18, v0
	s_cbranch_execz .LBB60_780
; %bb.771:
	v_cmp_ne_u32_e32 vcc_lo, 1, v128
	s_cbranch_vccnz .LBB60_773
; %bb.772:
	scratch_load_b64 v[126:127], v39, off
	ds_load_b64 v[130:131], v1
	s_wait_loadcnt_dscnt 0x0
	v_pk_mul_f32 v[132:133], v[130:131], v[126:127] op_sel:[1,1] op_sel_hi:[0,1]
	s_delay_alu instid0(VALU_DEP_1) | instskip(SKIP_1) | instid1(VALU_DEP_2)
	v_pk_fma_f32 v[134:135], v[130:131], v[126:127], v[132:133] op_sel_hi:[1,0,1]
	v_pk_fma_f32 v[126:127], v[130:131], v[126:127], v[132:133] neg_lo:[0,0,1] neg_hi:[0,0,1]
	v_mov_b32_e32 v127, v135
	s_cbranch_execz .LBB60_774
	s_branch .LBB60_775
.LBB60_773:
                                        ; implicit-def: $vgpr126_vgpr127
.LBB60_774:
	ds_load_b64 v[126:127], v1
.LBB60_775:
	s_mov_b32 s2, exec_lo
	v_cmpx_ne_u32_e32 17, v0
	s_cbranch_execz .LBB60_779
; %bb.776:
	v_add_nc_u32_e32 v129, 0x1f8, v38
	v_add3_u32 v130, 0, v38, 8
	v_mov_b32_e32 v131, v0
	s_mov_b32 s3, 0
.LBB60_777:                             ; =>This Inner Loop Header: Depth=1
	scratch_load_b64 v[132:133], v130, off
	ds_load_b64 v[134:135], v129
	s_wait_xcnt 0x0
	v_dual_add_nc_u32 v129, 8, v129 :: v_dual_add_nc_u32 v130, 8, v130
	s_wait_loadcnt_dscnt 0x0
	v_pk_mul_f32 v[136:137], v[134:135], v[132:133] op_sel:[1,1] op_sel_hi:[0,1]
	s_delay_alu instid0(VALU_DEP_1) | instskip(SKIP_2) | instid1(VALU_DEP_3)
	v_pk_fma_f32 v[138:139], v[134:135], v[132:133], v[136:137] op_sel_hi:[1,0,1]
	v_add_nc_u32_e32 v131, 1, v131
	v_pk_fma_f32 v[132:133], v[134:135], v[132:133], v[136:137] neg_lo:[0,0,1] neg_hi:[0,0,1]
	v_mov_b32_e32 v133, v139
	s_delay_alu instid0(VALU_DEP_3) | instskip(NEXT) | instid1(VALU_DEP_2)
	v_cmp_lt_u32_e32 vcc_lo, 16, v131
	v_pk_add_f32 v[126:127], v[126:127], v[132:133]
	s_or_b32 s3, vcc_lo, s3
	s_delay_alu instid0(SALU_CYCLE_1)
	s_and_not1_b32 exec_lo, exec_lo, s3
	s_cbranch_execnz .LBB60_777
; %bb.778:
	s_or_b32 exec_lo, exec_lo, s3
.LBB60_779:
	s_delay_alu instid0(SALU_CYCLE_1) | instskip(SKIP_4) | instid1(VALU_DEP_1)
	s_or_b32 exec_lo, exec_lo, s2
	v_mov_b32_e32 v129, 0
	ds_load_b64 v[130:131], v129 offset:144
	s_wait_dscnt 0x0
	v_pk_mul_f32 v[132:133], v[126:127], v[130:131] op_sel:[1,1] op_sel_hi:[0,1]
	v_pk_fma_f32 v[134:135], v[126:127], v[130:131], v[132:133] op_sel_hi:[1,0,1]
	v_pk_fma_f32 v[126:127], v[126:127], v[130:131], v[132:133] neg_lo:[0,0,1] neg_hi:[0,0,1]
	s_delay_alu instid0(VALU_DEP_2)
	v_mov_b32_e32 v127, v135
	scratch_store_b64 off, v[126:127], off offset:144
.LBB60_780:
	s_wait_xcnt 0x0
	s_or_b32 exec_lo, exec_lo, s0
	scratch_load_b64 v[126:127], off, off offset:152
	s_mov_b32 s0, exec_lo
	s_wait_loadcnt 0x0
	ds_store_b64 v1, v[126:127]
	s_wait_storecnt_dscnt 0x0
	s_barrier_signal -1
	s_barrier_wait -1
	s_wait_xcnt 0x0
	v_cmpx_gt_u32_e32 19, v0
	s_cbranch_execz .LBB60_790
; %bb.781:
	v_cmp_ne_u32_e32 vcc_lo, 1, v128
	s_cbranch_vccnz .LBB60_783
; %bb.782:
	scratch_load_b64 v[126:127], v39, off
	ds_load_b64 v[130:131], v1
	s_wait_loadcnt_dscnt 0x0
	v_pk_mul_f32 v[132:133], v[130:131], v[126:127] op_sel:[1,1] op_sel_hi:[0,1]
	s_delay_alu instid0(VALU_DEP_1) | instskip(SKIP_1) | instid1(VALU_DEP_2)
	v_pk_fma_f32 v[134:135], v[130:131], v[126:127], v[132:133] op_sel_hi:[1,0,1]
	v_pk_fma_f32 v[126:127], v[130:131], v[126:127], v[132:133] neg_lo:[0,0,1] neg_hi:[0,0,1]
	v_mov_b32_e32 v127, v135
	s_cbranch_execz .LBB60_784
	s_branch .LBB60_785
.LBB60_783:
                                        ; implicit-def: $vgpr126_vgpr127
.LBB60_784:
	ds_load_b64 v[126:127], v1
.LBB60_785:
	s_mov_b32 s2, exec_lo
	v_cmpx_ne_u32_e32 18, v0
	s_cbranch_execz .LBB60_789
; %bb.786:
	v_add_nc_u32_e32 v129, 0x1f8, v38
	v_add3_u32 v130, 0, v38, 8
	v_mov_b32_e32 v131, v0
	s_mov_b32 s3, 0
.LBB60_787:                             ; =>This Inner Loop Header: Depth=1
	scratch_load_b64 v[132:133], v130, off
	ds_load_b64 v[134:135], v129
	s_wait_xcnt 0x0
	v_dual_add_nc_u32 v129, 8, v129 :: v_dual_add_nc_u32 v130, 8, v130
	s_wait_loadcnt_dscnt 0x0
	v_pk_mul_f32 v[136:137], v[134:135], v[132:133] op_sel:[1,1] op_sel_hi:[0,1]
	s_delay_alu instid0(VALU_DEP_1) | instskip(SKIP_2) | instid1(VALU_DEP_3)
	v_pk_fma_f32 v[138:139], v[134:135], v[132:133], v[136:137] op_sel_hi:[1,0,1]
	v_add_nc_u32_e32 v131, 1, v131
	v_pk_fma_f32 v[132:133], v[134:135], v[132:133], v[136:137] neg_lo:[0,0,1] neg_hi:[0,0,1]
	v_mov_b32_e32 v133, v139
	s_delay_alu instid0(VALU_DEP_3) | instskip(NEXT) | instid1(VALU_DEP_2)
	v_cmp_lt_u32_e32 vcc_lo, 17, v131
	v_pk_add_f32 v[126:127], v[126:127], v[132:133]
	s_or_b32 s3, vcc_lo, s3
	s_delay_alu instid0(SALU_CYCLE_1)
	s_and_not1_b32 exec_lo, exec_lo, s3
	s_cbranch_execnz .LBB60_787
; %bb.788:
	s_or_b32 exec_lo, exec_lo, s3
.LBB60_789:
	s_delay_alu instid0(SALU_CYCLE_1) | instskip(SKIP_4) | instid1(VALU_DEP_1)
	s_or_b32 exec_lo, exec_lo, s2
	v_mov_b32_e32 v129, 0
	ds_load_b64 v[130:131], v129 offset:152
	s_wait_dscnt 0x0
	v_pk_mul_f32 v[132:133], v[126:127], v[130:131] op_sel:[1,1] op_sel_hi:[0,1]
	v_pk_fma_f32 v[134:135], v[126:127], v[130:131], v[132:133] op_sel_hi:[1,0,1]
	v_pk_fma_f32 v[126:127], v[126:127], v[130:131], v[132:133] neg_lo:[0,0,1] neg_hi:[0,0,1]
	s_delay_alu instid0(VALU_DEP_2)
	v_mov_b32_e32 v127, v135
	scratch_store_b64 off, v[126:127], off offset:152
.LBB60_790:
	s_wait_xcnt 0x0
	s_or_b32 exec_lo, exec_lo, s0
	scratch_load_b64 v[126:127], off, off offset:160
	s_mov_b32 s0, exec_lo
	s_wait_loadcnt 0x0
	ds_store_b64 v1, v[126:127]
	s_wait_storecnt_dscnt 0x0
	s_barrier_signal -1
	s_barrier_wait -1
	s_wait_xcnt 0x0
	v_cmpx_gt_u32_e32 20, v0
	s_cbranch_execz .LBB60_800
; %bb.791:
	v_cmp_ne_u32_e32 vcc_lo, 1, v128
	s_cbranch_vccnz .LBB60_793
; %bb.792:
	scratch_load_b64 v[126:127], v39, off
	ds_load_b64 v[130:131], v1
	s_wait_loadcnt_dscnt 0x0
	v_pk_mul_f32 v[132:133], v[130:131], v[126:127] op_sel:[1,1] op_sel_hi:[0,1]
	s_delay_alu instid0(VALU_DEP_1) | instskip(SKIP_1) | instid1(VALU_DEP_2)
	v_pk_fma_f32 v[134:135], v[130:131], v[126:127], v[132:133] op_sel_hi:[1,0,1]
	v_pk_fma_f32 v[126:127], v[130:131], v[126:127], v[132:133] neg_lo:[0,0,1] neg_hi:[0,0,1]
	v_mov_b32_e32 v127, v135
	s_cbranch_execz .LBB60_794
	s_branch .LBB60_795
.LBB60_793:
                                        ; implicit-def: $vgpr126_vgpr127
.LBB60_794:
	ds_load_b64 v[126:127], v1
.LBB60_795:
	s_mov_b32 s2, exec_lo
	v_cmpx_ne_u32_e32 19, v0
	s_cbranch_execz .LBB60_799
; %bb.796:
	v_add_nc_u32_e32 v129, 0x1f8, v38
	v_add3_u32 v130, 0, v38, 8
	v_mov_b32_e32 v131, v0
	s_mov_b32 s3, 0
.LBB60_797:                             ; =>This Inner Loop Header: Depth=1
	scratch_load_b64 v[132:133], v130, off
	ds_load_b64 v[134:135], v129
	s_wait_xcnt 0x0
	v_dual_add_nc_u32 v129, 8, v129 :: v_dual_add_nc_u32 v130, 8, v130
	s_wait_loadcnt_dscnt 0x0
	v_pk_mul_f32 v[136:137], v[134:135], v[132:133] op_sel:[1,1] op_sel_hi:[0,1]
	s_delay_alu instid0(VALU_DEP_1) | instskip(SKIP_2) | instid1(VALU_DEP_3)
	v_pk_fma_f32 v[138:139], v[134:135], v[132:133], v[136:137] op_sel_hi:[1,0,1]
	v_add_nc_u32_e32 v131, 1, v131
	v_pk_fma_f32 v[132:133], v[134:135], v[132:133], v[136:137] neg_lo:[0,0,1] neg_hi:[0,0,1]
	v_mov_b32_e32 v133, v139
	s_delay_alu instid0(VALU_DEP_3) | instskip(NEXT) | instid1(VALU_DEP_2)
	v_cmp_lt_u32_e32 vcc_lo, 18, v131
	v_pk_add_f32 v[126:127], v[126:127], v[132:133]
	s_or_b32 s3, vcc_lo, s3
	s_delay_alu instid0(SALU_CYCLE_1)
	s_and_not1_b32 exec_lo, exec_lo, s3
	s_cbranch_execnz .LBB60_797
; %bb.798:
	s_or_b32 exec_lo, exec_lo, s3
.LBB60_799:
	s_delay_alu instid0(SALU_CYCLE_1) | instskip(SKIP_4) | instid1(VALU_DEP_1)
	s_or_b32 exec_lo, exec_lo, s2
	v_mov_b32_e32 v129, 0
	ds_load_b64 v[130:131], v129 offset:160
	s_wait_dscnt 0x0
	v_pk_mul_f32 v[132:133], v[126:127], v[130:131] op_sel:[1,1] op_sel_hi:[0,1]
	v_pk_fma_f32 v[134:135], v[126:127], v[130:131], v[132:133] op_sel_hi:[1,0,1]
	v_pk_fma_f32 v[126:127], v[126:127], v[130:131], v[132:133] neg_lo:[0,0,1] neg_hi:[0,0,1]
	s_delay_alu instid0(VALU_DEP_2)
	v_mov_b32_e32 v127, v135
	scratch_store_b64 off, v[126:127], off offset:160
.LBB60_800:
	s_wait_xcnt 0x0
	s_or_b32 exec_lo, exec_lo, s0
	scratch_load_b64 v[126:127], off, off offset:168
	s_mov_b32 s0, exec_lo
	s_wait_loadcnt 0x0
	ds_store_b64 v1, v[126:127]
	s_wait_storecnt_dscnt 0x0
	s_barrier_signal -1
	s_barrier_wait -1
	s_wait_xcnt 0x0
	v_cmpx_gt_u32_e32 21, v0
	s_cbranch_execz .LBB60_810
; %bb.801:
	v_cmp_ne_u32_e32 vcc_lo, 1, v128
	s_cbranch_vccnz .LBB60_803
; %bb.802:
	scratch_load_b64 v[126:127], v39, off
	ds_load_b64 v[130:131], v1
	s_wait_loadcnt_dscnt 0x0
	v_pk_mul_f32 v[132:133], v[130:131], v[126:127] op_sel:[1,1] op_sel_hi:[0,1]
	s_delay_alu instid0(VALU_DEP_1) | instskip(SKIP_1) | instid1(VALU_DEP_2)
	v_pk_fma_f32 v[134:135], v[130:131], v[126:127], v[132:133] op_sel_hi:[1,0,1]
	v_pk_fma_f32 v[126:127], v[130:131], v[126:127], v[132:133] neg_lo:[0,0,1] neg_hi:[0,0,1]
	v_mov_b32_e32 v127, v135
	s_cbranch_execz .LBB60_804
	s_branch .LBB60_805
.LBB60_803:
                                        ; implicit-def: $vgpr126_vgpr127
.LBB60_804:
	ds_load_b64 v[126:127], v1
.LBB60_805:
	s_mov_b32 s2, exec_lo
	v_cmpx_ne_u32_e32 20, v0
	s_cbranch_execz .LBB60_809
; %bb.806:
	v_add_nc_u32_e32 v129, 0x1f8, v38
	v_add3_u32 v130, 0, v38, 8
	v_mov_b32_e32 v131, v0
	s_mov_b32 s3, 0
.LBB60_807:                             ; =>This Inner Loop Header: Depth=1
	scratch_load_b64 v[132:133], v130, off
	ds_load_b64 v[134:135], v129
	s_wait_xcnt 0x0
	v_dual_add_nc_u32 v129, 8, v129 :: v_dual_add_nc_u32 v130, 8, v130
	s_wait_loadcnt_dscnt 0x0
	v_pk_mul_f32 v[136:137], v[134:135], v[132:133] op_sel:[1,1] op_sel_hi:[0,1]
	s_delay_alu instid0(VALU_DEP_1) | instskip(SKIP_2) | instid1(VALU_DEP_3)
	v_pk_fma_f32 v[138:139], v[134:135], v[132:133], v[136:137] op_sel_hi:[1,0,1]
	v_add_nc_u32_e32 v131, 1, v131
	v_pk_fma_f32 v[132:133], v[134:135], v[132:133], v[136:137] neg_lo:[0,0,1] neg_hi:[0,0,1]
	v_mov_b32_e32 v133, v139
	s_delay_alu instid0(VALU_DEP_3) | instskip(NEXT) | instid1(VALU_DEP_2)
	v_cmp_lt_u32_e32 vcc_lo, 19, v131
	v_pk_add_f32 v[126:127], v[126:127], v[132:133]
	s_or_b32 s3, vcc_lo, s3
	s_delay_alu instid0(SALU_CYCLE_1)
	s_and_not1_b32 exec_lo, exec_lo, s3
	s_cbranch_execnz .LBB60_807
; %bb.808:
	s_or_b32 exec_lo, exec_lo, s3
.LBB60_809:
	s_delay_alu instid0(SALU_CYCLE_1) | instskip(SKIP_4) | instid1(VALU_DEP_1)
	s_or_b32 exec_lo, exec_lo, s2
	v_mov_b32_e32 v129, 0
	ds_load_b64 v[130:131], v129 offset:168
	s_wait_dscnt 0x0
	v_pk_mul_f32 v[132:133], v[126:127], v[130:131] op_sel:[1,1] op_sel_hi:[0,1]
	v_pk_fma_f32 v[134:135], v[126:127], v[130:131], v[132:133] op_sel_hi:[1,0,1]
	v_pk_fma_f32 v[126:127], v[126:127], v[130:131], v[132:133] neg_lo:[0,0,1] neg_hi:[0,0,1]
	s_delay_alu instid0(VALU_DEP_2)
	v_mov_b32_e32 v127, v135
	scratch_store_b64 off, v[126:127], off offset:168
.LBB60_810:
	s_wait_xcnt 0x0
	s_or_b32 exec_lo, exec_lo, s0
	scratch_load_b64 v[126:127], off, off offset:176
	s_mov_b32 s0, exec_lo
	s_wait_loadcnt 0x0
	ds_store_b64 v1, v[126:127]
	s_wait_storecnt_dscnt 0x0
	s_barrier_signal -1
	s_barrier_wait -1
	s_wait_xcnt 0x0
	v_cmpx_gt_u32_e32 22, v0
	s_cbranch_execz .LBB60_820
; %bb.811:
	v_cmp_ne_u32_e32 vcc_lo, 1, v128
	s_cbranch_vccnz .LBB60_813
; %bb.812:
	scratch_load_b64 v[126:127], v39, off
	ds_load_b64 v[130:131], v1
	s_wait_loadcnt_dscnt 0x0
	v_pk_mul_f32 v[132:133], v[130:131], v[126:127] op_sel:[1,1] op_sel_hi:[0,1]
	s_delay_alu instid0(VALU_DEP_1) | instskip(SKIP_1) | instid1(VALU_DEP_2)
	v_pk_fma_f32 v[134:135], v[130:131], v[126:127], v[132:133] op_sel_hi:[1,0,1]
	v_pk_fma_f32 v[126:127], v[130:131], v[126:127], v[132:133] neg_lo:[0,0,1] neg_hi:[0,0,1]
	v_mov_b32_e32 v127, v135
	s_cbranch_execz .LBB60_814
	s_branch .LBB60_815
.LBB60_813:
                                        ; implicit-def: $vgpr126_vgpr127
.LBB60_814:
	ds_load_b64 v[126:127], v1
.LBB60_815:
	s_mov_b32 s2, exec_lo
	v_cmpx_ne_u32_e32 21, v0
	s_cbranch_execz .LBB60_819
; %bb.816:
	v_add_nc_u32_e32 v129, 0x1f8, v38
	v_add3_u32 v130, 0, v38, 8
	v_mov_b32_e32 v131, v0
	s_mov_b32 s3, 0
.LBB60_817:                             ; =>This Inner Loop Header: Depth=1
	scratch_load_b64 v[132:133], v130, off
	ds_load_b64 v[134:135], v129
	s_wait_xcnt 0x0
	v_dual_add_nc_u32 v129, 8, v129 :: v_dual_add_nc_u32 v130, 8, v130
	s_wait_loadcnt_dscnt 0x0
	v_pk_mul_f32 v[136:137], v[134:135], v[132:133] op_sel:[1,1] op_sel_hi:[0,1]
	s_delay_alu instid0(VALU_DEP_1) | instskip(SKIP_2) | instid1(VALU_DEP_3)
	v_pk_fma_f32 v[138:139], v[134:135], v[132:133], v[136:137] op_sel_hi:[1,0,1]
	v_add_nc_u32_e32 v131, 1, v131
	v_pk_fma_f32 v[132:133], v[134:135], v[132:133], v[136:137] neg_lo:[0,0,1] neg_hi:[0,0,1]
	v_mov_b32_e32 v133, v139
	s_delay_alu instid0(VALU_DEP_3) | instskip(NEXT) | instid1(VALU_DEP_2)
	v_cmp_lt_u32_e32 vcc_lo, 20, v131
	v_pk_add_f32 v[126:127], v[126:127], v[132:133]
	s_or_b32 s3, vcc_lo, s3
	s_delay_alu instid0(SALU_CYCLE_1)
	s_and_not1_b32 exec_lo, exec_lo, s3
	s_cbranch_execnz .LBB60_817
; %bb.818:
	s_or_b32 exec_lo, exec_lo, s3
.LBB60_819:
	s_delay_alu instid0(SALU_CYCLE_1) | instskip(SKIP_4) | instid1(VALU_DEP_1)
	s_or_b32 exec_lo, exec_lo, s2
	v_mov_b32_e32 v129, 0
	ds_load_b64 v[130:131], v129 offset:176
	s_wait_dscnt 0x0
	v_pk_mul_f32 v[132:133], v[126:127], v[130:131] op_sel:[1,1] op_sel_hi:[0,1]
	v_pk_fma_f32 v[134:135], v[126:127], v[130:131], v[132:133] op_sel_hi:[1,0,1]
	v_pk_fma_f32 v[126:127], v[126:127], v[130:131], v[132:133] neg_lo:[0,0,1] neg_hi:[0,0,1]
	s_delay_alu instid0(VALU_DEP_2)
	v_mov_b32_e32 v127, v135
	scratch_store_b64 off, v[126:127], off offset:176
.LBB60_820:
	s_wait_xcnt 0x0
	s_or_b32 exec_lo, exec_lo, s0
	scratch_load_b64 v[126:127], off, off offset:184
	s_mov_b32 s0, exec_lo
	s_wait_loadcnt 0x0
	ds_store_b64 v1, v[126:127]
	s_wait_storecnt_dscnt 0x0
	s_barrier_signal -1
	s_barrier_wait -1
	s_wait_xcnt 0x0
	v_cmpx_gt_u32_e32 23, v0
	s_cbranch_execz .LBB60_830
; %bb.821:
	v_cmp_ne_u32_e32 vcc_lo, 1, v128
	s_cbranch_vccnz .LBB60_823
; %bb.822:
	scratch_load_b64 v[126:127], v39, off
	ds_load_b64 v[130:131], v1
	s_wait_loadcnt_dscnt 0x0
	v_pk_mul_f32 v[132:133], v[130:131], v[126:127] op_sel:[1,1] op_sel_hi:[0,1]
	s_delay_alu instid0(VALU_DEP_1) | instskip(SKIP_1) | instid1(VALU_DEP_2)
	v_pk_fma_f32 v[134:135], v[130:131], v[126:127], v[132:133] op_sel_hi:[1,0,1]
	v_pk_fma_f32 v[126:127], v[130:131], v[126:127], v[132:133] neg_lo:[0,0,1] neg_hi:[0,0,1]
	v_mov_b32_e32 v127, v135
	s_cbranch_execz .LBB60_824
	s_branch .LBB60_825
.LBB60_823:
                                        ; implicit-def: $vgpr126_vgpr127
.LBB60_824:
	ds_load_b64 v[126:127], v1
.LBB60_825:
	s_mov_b32 s2, exec_lo
	v_cmpx_ne_u32_e32 22, v0
	s_cbranch_execz .LBB60_829
; %bb.826:
	v_add_nc_u32_e32 v129, 0x1f8, v38
	v_add3_u32 v130, 0, v38, 8
	v_mov_b32_e32 v131, v0
	s_mov_b32 s3, 0
.LBB60_827:                             ; =>This Inner Loop Header: Depth=1
	scratch_load_b64 v[132:133], v130, off
	ds_load_b64 v[134:135], v129
	s_wait_xcnt 0x0
	v_dual_add_nc_u32 v129, 8, v129 :: v_dual_add_nc_u32 v130, 8, v130
	s_wait_loadcnt_dscnt 0x0
	v_pk_mul_f32 v[136:137], v[134:135], v[132:133] op_sel:[1,1] op_sel_hi:[0,1]
	s_delay_alu instid0(VALU_DEP_1) | instskip(SKIP_2) | instid1(VALU_DEP_3)
	v_pk_fma_f32 v[138:139], v[134:135], v[132:133], v[136:137] op_sel_hi:[1,0,1]
	v_add_nc_u32_e32 v131, 1, v131
	v_pk_fma_f32 v[132:133], v[134:135], v[132:133], v[136:137] neg_lo:[0,0,1] neg_hi:[0,0,1]
	v_mov_b32_e32 v133, v139
	s_delay_alu instid0(VALU_DEP_3) | instskip(NEXT) | instid1(VALU_DEP_2)
	v_cmp_lt_u32_e32 vcc_lo, 21, v131
	v_pk_add_f32 v[126:127], v[126:127], v[132:133]
	s_or_b32 s3, vcc_lo, s3
	s_delay_alu instid0(SALU_CYCLE_1)
	s_and_not1_b32 exec_lo, exec_lo, s3
	s_cbranch_execnz .LBB60_827
; %bb.828:
	s_or_b32 exec_lo, exec_lo, s3
.LBB60_829:
	s_delay_alu instid0(SALU_CYCLE_1) | instskip(SKIP_4) | instid1(VALU_DEP_1)
	s_or_b32 exec_lo, exec_lo, s2
	v_mov_b32_e32 v129, 0
	ds_load_b64 v[130:131], v129 offset:184
	s_wait_dscnt 0x0
	v_pk_mul_f32 v[132:133], v[126:127], v[130:131] op_sel:[1,1] op_sel_hi:[0,1]
	v_pk_fma_f32 v[134:135], v[126:127], v[130:131], v[132:133] op_sel_hi:[1,0,1]
	v_pk_fma_f32 v[126:127], v[126:127], v[130:131], v[132:133] neg_lo:[0,0,1] neg_hi:[0,0,1]
	s_delay_alu instid0(VALU_DEP_2)
	v_mov_b32_e32 v127, v135
	scratch_store_b64 off, v[126:127], off offset:184
.LBB60_830:
	s_wait_xcnt 0x0
	s_or_b32 exec_lo, exec_lo, s0
	scratch_load_b64 v[126:127], off, off offset:192
	s_mov_b32 s0, exec_lo
	s_wait_loadcnt 0x0
	ds_store_b64 v1, v[126:127]
	s_wait_storecnt_dscnt 0x0
	s_barrier_signal -1
	s_barrier_wait -1
	s_wait_xcnt 0x0
	v_cmpx_gt_u32_e32 24, v0
	s_cbranch_execz .LBB60_840
; %bb.831:
	v_cmp_ne_u32_e32 vcc_lo, 1, v128
	s_cbranch_vccnz .LBB60_833
; %bb.832:
	scratch_load_b64 v[126:127], v39, off
	ds_load_b64 v[130:131], v1
	s_wait_loadcnt_dscnt 0x0
	v_pk_mul_f32 v[132:133], v[130:131], v[126:127] op_sel:[1,1] op_sel_hi:[0,1]
	s_delay_alu instid0(VALU_DEP_1) | instskip(SKIP_1) | instid1(VALU_DEP_2)
	v_pk_fma_f32 v[134:135], v[130:131], v[126:127], v[132:133] op_sel_hi:[1,0,1]
	v_pk_fma_f32 v[126:127], v[130:131], v[126:127], v[132:133] neg_lo:[0,0,1] neg_hi:[0,0,1]
	v_mov_b32_e32 v127, v135
	s_cbranch_execz .LBB60_834
	s_branch .LBB60_835
.LBB60_833:
                                        ; implicit-def: $vgpr126_vgpr127
.LBB60_834:
	ds_load_b64 v[126:127], v1
.LBB60_835:
	s_mov_b32 s2, exec_lo
	v_cmpx_ne_u32_e32 23, v0
	s_cbranch_execz .LBB60_839
; %bb.836:
	v_add_nc_u32_e32 v129, 0x1f8, v38
	v_add3_u32 v130, 0, v38, 8
	v_mov_b32_e32 v131, v0
	s_mov_b32 s3, 0
.LBB60_837:                             ; =>This Inner Loop Header: Depth=1
	scratch_load_b64 v[132:133], v130, off
	ds_load_b64 v[134:135], v129
	s_wait_xcnt 0x0
	v_dual_add_nc_u32 v129, 8, v129 :: v_dual_add_nc_u32 v130, 8, v130
	s_wait_loadcnt_dscnt 0x0
	v_pk_mul_f32 v[136:137], v[134:135], v[132:133] op_sel:[1,1] op_sel_hi:[0,1]
	s_delay_alu instid0(VALU_DEP_1) | instskip(SKIP_2) | instid1(VALU_DEP_3)
	v_pk_fma_f32 v[138:139], v[134:135], v[132:133], v[136:137] op_sel_hi:[1,0,1]
	v_add_nc_u32_e32 v131, 1, v131
	v_pk_fma_f32 v[132:133], v[134:135], v[132:133], v[136:137] neg_lo:[0,0,1] neg_hi:[0,0,1]
	v_mov_b32_e32 v133, v139
	s_delay_alu instid0(VALU_DEP_3) | instskip(NEXT) | instid1(VALU_DEP_2)
	v_cmp_lt_u32_e32 vcc_lo, 22, v131
	v_pk_add_f32 v[126:127], v[126:127], v[132:133]
	s_or_b32 s3, vcc_lo, s3
	s_delay_alu instid0(SALU_CYCLE_1)
	s_and_not1_b32 exec_lo, exec_lo, s3
	s_cbranch_execnz .LBB60_837
; %bb.838:
	s_or_b32 exec_lo, exec_lo, s3
.LBB60_839:
	s_delay_alu instid0(SALU_CYCLE_1) | instskip(SKIP_4) | instid1(VALU_DEP_1)
	s_or_b32 exec_lo, exec_lo, s2
	v_mov_b32_e32 v129, 0
	ds_load_b64 v[130:131], v129 offset:192
	s_wait_dscnt 0x0
	v_pk_mul_f32 v[132:133], v[126:127], v[130:131] op_sel:[1,1] op_sel_hi:[0,1]
	v_pk_fma_f32 v[134:135], v[126:127], v[130:131], v[132:133] op_sel_hi:[1,0,1]
	v_pk_fma_f32 v[126:127], v[126:127], v[130:131], v[132:133] neg_lo:[0,0,1] neg_hi:[0,0,1]
	s_delay_alu instid0(VALU_DEP_2)
	v_mov_b32_e32 v127, v135
	scratch_store_b64 off, v[126:127], off offset:192
.LBB60_840:
	s_wait_xcnt 0x0
	s_or_b32 exec_lo, exec_lo, s0
	scratch_load_b64 v[126:127], off, off offset:200
	s_mov_b32 s0, exec_lo
	s_wait_loadcnt 0x0
	ds_store_b64 v1, v[126:127]
	s_wait_storecnt_dscnt 0x0
	s_barrier_signal -1
	s_barrier_wait -1
	s_wait_xcnt 0x0
	v_cmpx_gt_u32_e32 25, v0
	s_cbranch_execz .LBB60_850
; %bb.841:
	v_cmp_ne_u32_e32 vcc_lo, 1, v128
	s_cbranch_vccnz .LBB60_843
; %bb.842:
	scratch_load_b64 v[126:127], v39, off
	ds_load_b64 v[130:131], v1
	s_wait_loadcnt_dscnt 0x0
	v_pk_mul_f32 v[132:133], v[130:131], v[126:127] op_sel:[1,1] op_sel_hi:[0,1]
	s_delay_alu instid0(VALU_DEP_1) | instskip(SKIP_1) | instid1(VALU_DEP_2)
	v_pk_fma_f32 v[134:135], v[130:131], v[126:127], v[132:133] op_sel_hi:[1,0,1]
	v_pk_fma_f32 v[126:127], v[130:131], v[126:127], v[132:133] neg_lo:[0,0,1] neg_hi:[0,0,1]
	v_mov_b32_e32 v127, v135
	s_cbranch_execz .LBB60_844
	s_branch .LBB60_845
.LBB60_843:
                                        ; implicit-def: $vgpr126_vgpr127
.LBB60_844:
	ds_load_b64 v[126:127], v1
.LBB60_845:
	s_mov_b32 s2, exec_lo
	v_cmpx_ne_u32_e32 24, v0
	s_cbranch_execz .LBB60_849
; %bb.846:
	v_add_nc_u32_e32 v129, 0x1f8, v38
	v_add3_u32 v130, 0, v38, 8
	v_mov_b32_e32 v131, v0
	s_mov_b32 s3, 0
.LBB60_847:                             ; =>This Inner Loop Header: Depth=1
	scratch_load_b64 v[132:133], v130, off
	ds_load_b64 v[134:135], v129
	s_wait_xcnt 0x0
	v_dual_add_nc_u32 v129, 8, v129 :: v_dual_add_nc_u32 v130, 8, v130
	s_wait_loadcnt_dscnt 0x0
	v_pk_mul_f32 v[136:137], v[134:135], v[132:133] op_sel:[1,1] op_sel_hi:[0,1]
	s_delay_alu instid0(VALU_DEP_1) | instskip(SKIP_2) | instid1(VALU_DEP_3)
	v_pk_fma_f32 v[138:139], v[134:135], v[132:133], v[136:137] op_sel_hi:[1,0,1]
	v_add_nc_u32_e32 v131, 1, v131
	v_pk_fma_f32 v[132:133], v[134:135], v[132:133], v[136:137] neg_lo:[0,0,1] neg_hi:[0,0,1]
	v_mov_b32_e32 v133, v139
	s_delay_alu instid0(VALU_DEP_3) | instskip(NEXT) | instid1(VALU_DEP_2)
	v_cmp_lt_u32_e32 vcc_lo, 23, v131
	v_pk_add_f32 v[126:127], v[126:127], v[132:133]
	s_or_b32 s3, vcc_lo, s3
	s_delay_alu instid0(SALU_CYCLE_1)
	s_and_not1_b32 exec_lo, exec_lo, s3
	s_cbranch_execnz .LBB60_847
; %bb.848:
	s_or_b32 exec_lo, exec_lo, s3
.LBB60_849:
	s_delay_alu instid0(SALU_CYCLE_1) | instskip(SKIP_4) | instid1(VALU_DEP_1)
	s_or_b32 exec_lo, exec_lo, s2
	v_mov_b32_e32 v129, 0
	ds_load_b64 v[130:131], v129 offset:200
	s_wait_dscnt 0x0
	v_pk_mul_f32 v[132:133], v[126:127], v[130:131] op_sel:[1,1] op_sel_hi:[0,1]
	v_pk_fma_f32 v[134:135], v[126:127], v[130:131], v[132:133] op_sel_hi:[1,0,1]
	v_pk_fma_f32 v[126:127], v[126:127], v[130:131], v[132:133] neg_lo:[0,0,1] neg_hi:[0,0,1]
	s_delay_alu instid0(VALU_DEP_2)
	v_mov_b32_e32 v127, v135
	scratch_store_b64 off, v[126:127], off offset:200
.LBB60_850:
	s_wait_xcnt 0x0
	s_or_b32 exec_lo, exec_lo, s0
	scratch_load_b64 v[126:127], off, off offset:208
	s_mov_b32 s0, exec_lo
	s_wait_loadcnt 0x0
	ds_store_b64 v1, v[126:127]
	s_wait_storecnt_dscnt 0x0
	s_barrier_signal -1
	s_barrier_wait -1
	s_wait_xcnt 0x0
	v_cmpx_gt_u32_e32 26, v0
	s_cbranch_execz .LBB60_860
; %bb.851:
	v_cmp_ne_u32_e32 vcc_lo, 1, v128
	s_cbranch_vccnz .LBB60_853
; %bb.852:
	scratch_load_b64 v[126:127], v39, off
	ds_load_b64 v[130:131], v1
	s_wait_loadcnt_dscnt 0x0
	v_pk_mul_f32 v[132:133], v[130:131], v[126:127] op_sel:[1,1] op_sel_hi:[0,1]
	s_delay_alu instid0(VALU_DEP_1) | instskip(SKIP_1) | instid1(VALU_DEP_2)
	v_pk_fma_f32 v[134:135], v[130:131], v[126:127], v[132:133] op_sel_hi:[1,0,1]
	v_pk_fma_f32 v[126:127], v[130:131], v[126:127], v[132:133] neg_lo:[0,0,1] neg_hi:[0,0,1]
	v_mov_b32_e32 v127, v135
	s_cbranch_execz .LBB60_854
	s_branch .LBB60_855
.LBB60_853:
                                        ; implicit-def: $vgpr126_vgpr127
.LBB60_854:
	ds_load_b64 v[126:127], v1
.LBB60_855:
	s_mov_b32 s2, exec_lo
	v_cmpx_ne_u32_e32 25, v0
	s_cbranch_execz .LBB60_859
; %bb.856:
	v_add_nc_u32_e32 v129, 0x1f8, v38
	v_add3_u32 v130, 0, v38, 8
	v_mov_b32_e32 v131, v0
	s_mov_b32 s3, 0
.LBB60_857:                             ; =>This Inner Loop Header: Depth=1
	scratch_load_b64 v[132:133], v130, off
	ds_load_b64 v[134:135], v129
	s_wait_xcnt 0x0
	v_dual_add_nc_u32 v129, 8, v129 :: v_dual_add_nc_u32 v130, 8, v130
	s_wait_loadcnt_dscnt 0x0
	v_pk_mul_f32 v[136:137], v[134:135], v[132:133] op_sel:[1,1] op_sel_hi:[0,1]
	s_delay_alu instid0(VALU_DEP_1) | instskip(SKIP_2) | instid1(VALU_DEP_3)
	v_pk_fma_f32 v[138:139], v[134:135], v[132:133], v[136:137] op_sel_hi:[1,0,1]
	v_add_nc_u32_e32 v131, 1, v131
	v_pk_fma_f32 v[132:133], v[134:135], v[132:133], v[136:137] neg_lo:[0,0,1] neg_hi:[0,0,1]
	v_mov_b32_e32 v133, v139
	s_delay_alu instid0(VALU_DEP_3) | instskip(NEXT) | instid1(VALU_DEP_2)
	v_cmp_lt_u32_e32 vcc_lo, 24, v131
	v_pk_add_f32 v[126:127], v[126:127], v[132:133]
	s_or_b32 s3, vcc_lo, s3
	s_delay_alu instid0(SALU_CYCLE_1)
	s_and_not1_b32 exec_lo, exec_lo, s3
	s_cbranch_execnz .LBB60_857
; %bb.858:
	s_or_b32 exec_lo, exec_lo, s3
.LBB60_859:
	s_delay_alu instid0(SALU_CYCLE_1) | instskip(SKIP_4) | instid1(VALU_DEP_1)
	s_or_b32 exec_lo, exec_lo, s2
	v_mov_b32_e32 v129, 0
	ds_load_b64 v[130:131], v129 offset:208
	s_wait_dscnt 0x0
	v_pk_mul_f32 v[132:133], v[126:127], v[130:131] op_sel:[1,1] op_sel_hi:[0,1]
	v_pk_fma_f32 v[134:135], v[126:127], v[130:131], v[132:133] op_sel_hi:[1,0,1]
	v_pk_fma_f32 v[126:127], v[126:127], v[130:131], v[132:133] neg_lo:[0,0,1] neg_hi:[0,0,1]
	s_delay_alu instid0(VALU_DEP_2)
	v_mov_b32_e32 v127, v135
	scratch_store_b64 off, v[126:127], off offset:208
.LBB60_860:
	s_wait_xcnt 0x0
	s_or_b32 exec_lo, exec_lo, s0
	scratch_load_b64 v[126:127], off, off offset:216
	s_mov_b32 s0, exec_lo
	s_wait_loadcnt 0x0
	ds_store_b64 v1, v[126:127]
	s_wait_storecnt_dscnt 0x0
	s_barrier_signal -1
	s_barrier_wait -1
	s_wait_xcnt 0x0
	v_cmpx_gt_u32_e32 27, v0
	s_cbranch_execz .LBB60_870
; %bb.861:
	v_cmp_ne_u32_e32 vcc_lo, 1, v128
	s_cbranch_vccnz .LBB60_863
; %bb.862:
	scratch_load_b64 v[126:127], v39, off
	ds_load_b64 v[130:131], v1
	s_wait_loadcnt_dscnt 0x0
	v_pk_mul_f32 v[132:133], v[130:131], v[126:127] op_sel:[1,1] op_sel_hi:[0,1]
	s_delay_alu instid0(VALU_DEP_1) | instskip(SKIP_1) | instid1(VALU_DEP_2)
	v_pk_fma_f32 v[134:135], v[130:131], v[126:127], v[132:133] op_sel_hi:[1,0,1]
	v_pk_fma_f32 v[126:127], v[130:131], v[126:127], v[132:133] neg_lo:[0,0,1] neg_hi:[0,0,1]
	v_mov_b32_e32 v127, v135
	s_cbranch_execz .LBB60_864
	s_branch .LBB60_865
.LBB60_863:
                                        ; implicit-def: $vgpr126_vgpr127
.LBB60_864:
	ds_load_b64 v[126:127], v1
.LBB60_865:
	s_mov_b32 s2, exec_lo
	v_cmpx_ne_u32_e32 26, v0
	s_cbranch_execz .LBB60_869
; %bb.866:
	v_add_nc_u32_e32 v129, 0x1f8, v38
	v_add3_u32 v130, 0, v38, 8
	v_mov_b32_e32 v131, v0
	s_mov_b32 s3, 0
.LBB60_867:                             ; =>This Inner Loop Header: Depth=1
	scratch_load_b64 v[132:133], v130, off
	ds_load_b64 v[134:135], v129
	s_wait_xcnt 0x0
	v_dual_add_nc_u32 v129, 8, v129 :: v_dual_add_nc_u32 v130, 8, v130
	s_wait_loadcnt_dscnt 0x0
	v_pk_mul_f32 v[136:137], v[134:135], v[132:133] op_sel:[1,1] op_sel_hi:[0,1]
	s_delay_alu instid0(VALU_DEP_1) | instskip(SKIP_2) | instid1(VALU_DEP_3)
	v_pk_fma_f32 v[138:139], v[134:135], v[132:133], v[136:137] op_sel_hi:[1,0,1]
	v_add_nc_u32_e32 v131, 1, v131
	v_pk_fma_f32 v[132:133], v[134:135], v[132:133], v[136:137] neg_lo:[0,0,1] neg_hi:[0,0,1]
	v_mov_b32_e32 v133, v139
	s_delay_alu instid0(VALU_DEP_3) | instskip(NEXT) | instid1(VALU_DEP_2)
	v_cmp_lt_u32_e32 vcc_lo, 25, v131
	v_pk_add_f32 v[126:127], v[126:127], v[132:133]
	s_or_b32 s3, vcc_lo, s3
	s_delay_alu instid0(SALU_CYCLE_1)
	s_and_not1_b32 exec_lo, exec_lo, s3
	s_cbranch_execnz .LBB60_867
; %bb.868:
	s_or_b32 exec_lo, exec_lo, s3
.LBB60_869:
	s_delay_alu instid0(SALU_CYCLE_1) | instskip(SKIP_4) | instid1(VALU_DEP_1)
	s_or_b32 exec_lo, exec_lo, s2
	v_mov_b32_e32 v129, 0
	ds_load_b64 v[130:131], v129 offset:216
	s_wait_dscnt 0x0
	v_pk_mul_f32 v[132:133], v[126:127], v[130:131] op_sel:[1,1] op_sel_hi:[0,1]
	v_pk_fma_f32 v[134:135], v[126:127], v[130:131], v[132:133] op_sel_hi:[1,0,1]
	v_pk_fma_f32 v[126:127], v[126:127], v[130:131], v[132:133] neg_lo:[0,0,1] neg_hi:[0,0,1]
	s_delay_alu instid0(VALU_DEP_2)
	v_mov_b32_e32 v127, v135
	scratch_store_b64 off, v[126:127], off offset:216
.LBB60_870:
	s_wait_xcnt 0x0
	s_or_b32 exec_lo, exec_lo, s0
	scratch_load_b64 v[126:127], off, off offset:224
	s_mov_b32 s0, exec_lo
	s_wait_loadcnt 0x0
	ds_store_b64 v1, v[126:127]
	s_wait_storecnt_dscnt 0x0
	s_barrier_signal -1
	s_barrier_wait -1
	s_wait_xcnt 0x0
	v_cmpx_gt_u32_e32 28, v0
	s_cbranch_execz .LBB60_880
; %bb.871:
	v_cmp_ne_u32_e32 vcc_lo, 1, v128
	s_cbranch_vccnz .LBB60_873
; %bb.872:
	scratch_load_b64 v[126:127], v39, off
	ds_load_b64 v[130:131], v1
	s_wait_loadcnt_dscnt 0x0
	v_pk_mul_f32 v[132:133], v[130:131], v[126:127] op_sel:[1,1] op_sel_hi:[0,1]
	s_delay_alu instid0(VALU_DEP_1) | instskip(SKIP_1) | instid1(VALU_DEP_2)
	v_pk_fma_f32 v[134:135], v[130:131], v[126:127], v[132:133] op_sel_hi:[1,0,1]
	v_pk_fma_f32 v[126:127], v[130:131], v[126:127], v[132:133] neg_lo:[0,0,1] neg_hi:[0,0,1]
	v_mov_b32_e32 v127, v135
	s_cbranch_execz .LBB60_874
	s_branch .LBB60_875
.LBB60_873:
                                        ; implicit-def: $vgpr126_vgpr127
.LBB60_874:
	ds_load_b64 v[126:127], v1
.LBB60_875:
	s_mov_b32 s2, exec_lo
	v_cmpx_ne_u32_e32 27, v0
	s_cbranch_execz .LBB60_879
; %bb.876:
	v_add_nc_u32_e32 v129, 0x1f8, v38
	v_add3_u32 v130, 0, v38, 8
	v_mov_b32_e32 v131, v0
	s_mov_b32 s3, 0
.LBB60_877:                             ; =>This Inner Loop Header: Depth=1
	scratch_load_b64 v[132:133], v130, off
	ds_load_b64 v[134:135], v129
	s_wait_xcnt 0x0
	v_dual_add_nc_u32 v129, 8, v129 :: v_dual_add_nc_u32 v130, 8, v130
	s_wait_loadcnt_dscnt 0x0
	v_pk_mul_f32 v[136:137], v[134:135], v[132:133] op_sel:[1,1] op_sel_hi:[0,1]
	s_delay_alu instid0(VALU_DEP_1) | instskip(SKIP_2) | instid1(VALU_DEP_3)
	v_pk_fma_f32 v[138:139], v[134:135], v[132:133], v[136:137] op_sel_hi:[1,0,1]
	v_add_nc_u32_e32 v131, 1, v131
	v_pk_fma_f32 v[132:133], v[134:135], v[132:133], v[136:137] neg_lo:[0,0,1] neg_hi:[0,0,1]
	v_mov_b32_e32 v133, v139
	s_delay_alu instid0(VALU_DEP_3) | instskip(NEXT) | instid1(VALU_DEP_2)
	v_cmp_lt_u32_e32 vcc_lo, 26, v131
	v_pk_add_f32 v[126:127], v[126:127], v[132:133]
	s_or_b32 s3, vcc_lo, s3
	s_delay_alu instid0(SALU_CYCLE_1)
	s_and_not1_b32 exec_lo, exec_lo, s3
	s_cbranch_execnz .LBB60_877
; %bb.878:
	s_or_b32 exec_lo, exec_lo, s3
.LBB60_879:
	s_delay_alu instid0(SALU_CYCLE_1) | instskip(SKIP_4) | instid1(VALU_DEP_1)
	s_or_b32 exec_lo, exec_lo, s2
	v_mov_b32_e32 v129, 0
	ds_load_b64 v[130:131], v129 offset:224
	s_wait_dscnt 0x0
	v_pk_mul_f32 v[132:133], v[126:127], v[130:131] op_sel:[1,1] op_sel_hi:[0,1]
	v_pk_fma_f32 v[134:135], v[126:127], v[130:131], v[132:133] op_sel_hi:[1,0,1]
	v_pk_fma_f32 v[126:127], v[126:127], v[130:131], v[132:133] neg_lo:[0,0,1] neg_hi:[0,0,1]
	s_delay_alu instid0(VALU_DEP_2)
	v_mov_b32_e32 v127, v135
	scratch_store_b64 off, v[126:127], off offset:224
.LBB60_880:
	s_wait_xcnt 0x0
	s_or_b32 exec_lo, exec_lo, s0
	scratch_load_b64 v[126:127], off, off offset:232
	s_mov_b32 s0, exec_lo
	s_wait_loadcnt 0x0
	ds_store_b64 v1, v[126:127]
	s_wait_storecnt_dscnt 0x0
	s_barrier_signal -1
	s_barrier_wait -1
	s_wait_xcnt 0x0
	v_cmpx_gt_u32_e32 29, v0
	s_cbranch_execz .LBB60_890
; %bb.881:
	v_cmp_ne_u32_e32 vcc_lo, 1, v128
	s_cbranch_vccnz .LBB60_883
; %bb.882:
	scratch_load_b64 v[126:127], v39, off
	ds_load_b64 v[130:131], v1
	s_wait_loadcnt_dscnt 0x0
	v_pk_mul_f32 v[132:133], v[130:131], v[126:127] op_sel:[1,1] op_sel_hi:[0,1]
	s_delay_alu instid0(VALU_DEP_1) | instskip(SKIP_1) | instid1(VALU_DEP_2)
	v_pk_fma_f32 v[134:135], v[130:131], v[126:127], v[132:133] op_sel_hi:[1,0,1]
	v_pk_fma_f32 v[126:127], v[130:131], v[126:127], v[132:133] neg_lo:[0,0,1] neg_hi:[0,0,1]
	v_mov_b32_e32 v127, v135
	s_cbranch_execz .LBB60_884
	s_branch .LBB60_885
.LBB60_883:
                                        ; implicit-def: $vgpr126_vgpr127
.LBB60_884:
	ds_load_b64 v[126:127], v1
.LBB60_885:
	s_mov_b32 s2, exec_lo
	v_cmpx_ne_u32_e32 28, v0
	s_cbranch_execz .LBB60_889
; %bb.886:
	v_add_nc_u32_e32 v129, 0x1f8, v38
	v_add3_u32 v130, 0, v38, 8
	v_mov_b32_e32 v131, v0
	s_mov_b32 s3, 0
.LBB60_887:                             ; =>This Inner Loop Header: Depth=1
	scratch_load_b64 v[132:133], v130, off
	ds_load_b64 v[134:135], v129
	s_wait_xcnt 0x0
	v_dual_add_nc_u32 v129, 8, v129 :: v_dual_add_nc_u32 v130, 8, v130
	s_wait_loadcnt_dscnt 0x0
	v_pk_mul_f32 v[136:137], v[134:135], v[132:133] op_sel:[1,1] op_sel_hi:[0,1]
	s_delay_alu instid0(VALU_DEP_1) | instskip(SKIP_2) | instid1(VALU_DEP_3)
	v_pk_fma_f32 v[138:139], v[134:135], v[132:133], v[136:137] op_sel_hi:[1,0,1]
	v_add_nc_u32_e32 v131, 1, v131
	v_pk_fma_f32 v[132:133], v[134:135], v[132:133], v[136:137] neg_lo:[0,0,1] neg_hi:[0,0,1]
	v_mov_b32_e32 v133, v139
	s_delay_alu instid0(VALU_DEP_3) | instskip(NEXT) | instid1(VALU_DEP_2)
	v_cmp_lt_u32_e32 vcc_lo, 27, v131
	v_pk_add_f32 v[126:127], v[126:127], v[132:133]
	s_or_b32 s3, vcc_lo, s3
	s_delay_alu instid0(SALU_CYCLE_1)
	s_and_not1_b32 exec_lo, exec_lo, s3
	s_cbranch_execnz .LBB60_887
; %bb.888:
	s_or_b32 exec_lo, exec_lo, s3
.LBB60_889:
	s_delay_alu instid0(SALU_CYCLE_1) | instskip(SKIP_4) | instid1(VALU_DEP_1)
	s_or_b32 exec_lo, exec_lo, s2
	v_mov_b32_e32 v129, 0
	ds_load_b64 v[130:131], v129 offset:232
	s_wait_dscnt 0x0
	v_pk_mul_f32 v[132:133], v[126:127], v[130:131] op_sel:[1,1] op_sel_hi:[0,1]
	v_pk_fma_f32 v[134:135], v[126:127], v[130:131], v[132:133] op_sel_hi:[1,0,1]
	v_pk_fma_f32 v[126:127], v[126:127], v[130:131], v[132:133] neg_lo:[0,0,1] neg_hi:[0,0,1]
	s_delay_alu instid0(VALU_DEP_2)
	v_mov_b32_e32 v127, v135
	scratch_store_b64 off, v[126:127], off offset:232
.LBB60_890:
	s_wait_xcnt 0x0
	s_or_b32 exec_lo, exec_lo, s0
	scratch_load_b64 v[126:127], off, off offset:240
	s_mov_b32 s0, exec_lo
	s_wait_loadcnt 0x0
	ds_store_b64 v1, v[126:127]
	s_wait_storecnt_dscnt 0x0
	s_barrier_signal -1
	s_barrier_wait -1
	s_wait_xcnt 0x0
	v_cmpx_gt_u32_e32 30, v0
	s_cbranch_execz .LBB60_900
; %bb.891:
	v_cmp_ne_u32_e32 vcc_lo, 1, v128
	s_cbranch_vccnz .LBB60_893
; %bb.892:
	scratch_load_b64 v[126:127], v39, off
	ds_load_b64 v[130:131], v1
	s_wait_loadcnt_dscnt 0x0
	v_pk_mul_f32 v[132:133], v[130:131], v[126:127] op_sel:[1,1] op_sel_hi:[0,1]
	s_delay_alu instid0(VALU_DEP_1) | instskip(SKIP_1) | instid1(VALU_DEP_2)
	v_pk_fma_f32 v[134:135], v[130:131], v[126:127], v[132:133] op_sel_hi:[1,0,1]
	v_pk_fma_f32 v[126:127], v[130:131], v[126:127], v[132:133] neg_lo:[0,0,1] neg_hi:[0,0,1]
	v_mov_b32_e32 v127, v135
	s_cbranch_execz .LBB60_894
	s_branch .LBB60_895
.LBB60_893:
                                        ; implicit-def: $vgpr126_vgpr127
.LBB60_894:
	ds_load_b64 v[126:127], v1
.LBB60_895:
	s_mov_b32 s2, exec_lo
	v_cmpx_ne_u32_e32 29, v0
	s_cbranch_execz .LBB60_899
; %bb.896:
	v_add_nc_u32_e32 v129, 0x1f8, v38
	v_add3_u32 v130, 0, v38, 8
	v_mov_b32_e32 v131, v0
	s_mov_b32 s3, 0
.LBB60_897:                             ; =>This Inner Loop Header: Depth=1
	scratch_load_b64 v[132:133], v130, off
	ds_load_b64 v[134:135], v129
	s_wait_xcnt 0x0
	v_dual_add_nc_u32 v129, 8, v129 :: v_dual_add_nc_u32 v130, 8, v130
	s_wait_loadcnt_dscnt 0x0
	v_pk_mul_f32 v[136:137], v[134:135], v[132:133] op_sel:[1,1] op_sel_hi:[0,1]
	s_delay_alu instid0(VALU_DEP_1) | instskip(SKIP_2) | instid1(VALU_DEP_3)
	v_pk_fma_f32 v[138:139], v[134:135], v[132:133], v[136:137] op_sel_hi:[1,0,1]
	v_add_nc_u32_e32 v131, 1, v131
	v_pk_fma_f32 v[132:133], v[134:135], v[132:133], v[136:137] neg_lo:[0,0,1] neg_hi:[0,0,1]
	v_mov_b32_e32 v133, v139
	s_delay_alu instid0(VALU_DEP_3) | instskip(NEXT) | instid1(VALU_DEP_2)
	v_cmp_lt_u32_e32 vcc_lo, 28, v131
	v_pk_add_f32 v[126:127], v[126:127], v[132:133]
	s_or_b32 s3, vcc_lo, s3
	s_delay_alu instid0(SALU_CYCLE_1)
	s_and_not1_b32 exec_lo, exec_lo, s3
	s_cbranch_execnz .LBB60_897
; %bb.898:
	s_or_b32 exec_lo, exec_lo, s3
.LBB60_899:
	s_delay_alu instid0(SALU_CYCLE_1) | instskip(SKIP_4) | instid1(VALU_DEP_1)
	s_or_b32 exec_lo, exec_lo, s2
	v_mov_b32_e32 v129, 0
	ds_load_b64 v[130:131], v129 offset:240
	s_wait_dscnt 0x0
	v_pk_mul_f32 v[132:133], v[126:127], v[130:131] op_sel:[1,1] op_sel_hi:[0,1]
	v_pk_fma_f32 v[134:135], v[126:127], v[130:131], v[132:133] op_sel_hi:[1,0,1]
	v_pk_fma_f32 v[126:127], v[126:127], v[130:131], v[132:133] neg_lo:[0,0,1] neg_hi:[0,0,1]
	s_delay_alu instid0(VALU_DEP_2)
	v_mov_b32_e32 v127, v135
	scratch_store_b64 off, v[126:127], off offset:240
.LBB60_900:
	s_wait_xcnt 0x0
	s_or_b32 exec_lo, exec_lo, s0
	scratch_load_b64 v[126:127], off, off offset:248
	s_mov_b32 s0, exec_lo
	s_wait_loadcnt 0x0
	ds_store_b64 v1, v[126:127]
	s_wait_storecnt_dscnt 0x0
	s_barrier_signal -1
	s_barrier_wait -1
	s_wait_xcnt 0x0
	v_cmpx_gt_u32_e32 31, v0
	s_cbranch_execz .LBB60_910
; %bb.901:
	v_cmp_ne_u32_e32 vcc_lo, 1, v128
	s_cbranch_vccnz .LBB60_903
; %bb.902:
	scratch_load_b64 v[126:127], v39, off
	ds_load_b64 v[130:131], v1
	s_wait_loadcnt_dscnt 0x0
	v_pk_mul_f32 v[132:133], v[130:131], v[126:127] op_sel:[1,1] op_sel_hi:[0,1]
	s_delay_alu instid0(VALU_DEP_1) | instskip(SKIP_1) | instid1(VALU_DEP_2)
	v_pk_fma_f32 v[134:135], v[130:131], v[126:127], v[132:133] op_sel_hi:[1,0,1]
	v_pk_fma_f32 v[126:127], v[130:131], v[126:127], v[132:133] neg_lo:[0,0,1] neg_hi:[0,0,1]
	v_mov_b32_e32 v127, v135
	s_cbranch_execz .LBB60_904
	s_branch .LBB60_905
.LBB60_903:
                                        ; implicit-def: $vgpr126_vgpr127
.LBB60_904:
	ds_load_b64 v[126:127], v1
.LBB60_905:
	s_mov_b32 s2, exec_lo
	v_cmpx_ne_u32_e32 30, v0
	s_cbranch_execz .LBB60_909
; %bb.906:
	v_add_nc_u32_e32 v129, 0x1f8, v38
	v_add3_u32 v130, 0, v38, 8
	v_mov_b32_e32 v131, v0
	s_mov_b32 s3, 0
.LBB60_907:                             ; =>This Inner Loop Header: Depth=1
	scratch_load_b64 v[132:133], v130, off
	ds_load_b64 v[134:135], v129
	s_wait_xcnt 0x0
	v_dual_add_nc_u32 v129, 8, v129 :: v_dual_add_nc_u32 v130, 8, v130
	s_wait_loadcnt_dscnt 0x0
	v_pk_mul_f32 v[136:137], v[134:135], v[132:133] op_sel:[1,1] op_sel_hi:[0,1]
	s_delay_alu instid0(VALU_DEP_1) | instskip(SKIP_2) | instid1(VALU_DEP_3)
	v_pk_fma_f32 v[138:139], v[134:135], v[132:133], v[136:137] op_sel_hi:[1,0,1]
	v_add_nc_u32_e32 v131, 1, v131
	v_pk_fma_f32 v[132:133], v[134:135], v[132:133], v[136:137] neg_lo:[0,0,1] neg_hi:[0,0,1]
	v_mov_b32_e32 v133, v139
	s_delay_alu instid0(VALU_DEP_3) | instskip(NEXT) | instid1(VALU_DEP_2)
	v_cmp_lt_u32_e32 vcc_lo, 29, v131
	v_pk_add_f32 v[126:127], v[126:127], v[132:133]
	s_or_b32 s3, vcc_lo, s3
	s_delay_alu instid0(SALU_CYCLE_1)
	s_and_not1_b32 exec_lo, exec_lo, s3
	s_cbranch_execnz .LBB60_907
; %bb.908:
	s_or_b32 exec_lo, exec_lo, s3
.LBB60_909:
	s_delay_alu instid0(SALU_CYCLE_1) | instskip(SKIP_4) | instid1(VALU_DEP_1)
	s_or_b32 exec_lo, exec_lo, s2
	v_mov_b32_e32 v129, 0
	ds_load_b64 v[130:131], v129 offset:248
	s_wait_dscnt 0x0
	v_pk_mul_f32 v[132:133], v[126:127], v[130:131] op_sel:[1,1] op_sel_hi:[0,1]
	v_pk_fma_f32 v[134:135], v[126:127], v[130:131], v[132:133] op_sel_hi:[1,0,1]
	v_pk_fma_f32 v[126:127], v[126:127], v[130:131], v[132:133] neg_lo:[0,0,1] neg_hi:[0,0,1]
	s_delay_alu instid0(VALU_DEP_2)
	v_mov_b32_e32 v127, v135
	scratch_store_b64 off, v[126:127], off offset:248
.LBB60_910:
	s_wait_xcnt 0x0
	s_or_b32 exec_lo, exec_lo, s0
	scratch_load_b64 v[126:127], off, off offset:256
	s_mov_b32 s0, exec_lo
	s_wait_loadcnt 0x0
	ds_store_b64 v1, v[126:127]
	s_wait_storecnt_dscnt 0x0
	s_barrier_signal -1
	s_barrier_wait -1
	s_wait_xcnt 0x0
	v_cmpx_gt_u32_e32 32, v0
	s_cbranch_execz .LBB60_920
; %bb.911:
	v_cmp_ne_u32_e32 vcc_lo, 1, v128
	s_cbranch_vccnz .LBB60_913
; %bb.912:
	scratch_load_b64 v[126:127], v39, off
	ds_load_b64 v[130:131], v1
	s_wait_loadcnt_dscnt 0x0
	v_pk_mul_f32 v[132:133], v[130:131], v[126:127] op_sel:[1,1] op_sel_hi:[0,1]
	s_delay_alu instid0(VALU_DEP_1) | instskip(SKIP_1) | instid1(VALU_DEP_2)
	v_pk_fma_f32 v[134:135], v[130:131], v[126:127], v[132:133] op_sel_hi:[1,0,1]
	v_pk_fma_f32 v[126:127], v[130:131], v[126:127], v[132:133] neg_lo:[0,0,1] neg_hi:[0,0,1]
	v_mov_b32_e32 v127, v135
	s_cbranch_execz .LBB60_914
	s_branch .LBB60_915
.LBB60_913:
                                        ; implicit-def: $vgpr126_vgpr127
.LBB60_914:
	ds_load_b64 v[126:127], v1
.LBB60_915:
	s_mov_b32 s2, exec_lo
	v_cmpx_ne_u32_e32 31, v0
	s_cbranch_execz .LBB60_919
; %bb.916:
	v_add_nc_u32_e32 v129, 0x1f8, v38
	v_add3_u32 v130, 0, v38, 8
	v_mov_b32_e32 v131, v0
	s_mov_b32 s3, 0
.LBB60_917:                             ; =>This Inner Loop Header: Depth=1
	scratch_load_b64 v[132:133], v130, off
	ds_load_b64 v[134:135], v129
	s_wait_xcnt 0x0
	v_dual_add_nc_u32 v129, 8, v129 :: v_dual_add_nc_u32 v130, 8, v130
	s_wait_loadcnt_dscnt 0x0
	v_pk_mul_f32 v[136:137], v[134:135], v[132:133] op_sel:[1,1] op_sel_hi:[0,1]
	s_delay_alu instid0(VALU_DEP_1) | instskip(SKIP_2) | instid1(VALU_DEP_3)
	v_pk_fma_f32 v[138:139], v[134:135], v[132:133], v[136:137] op_sel_hi:[1,0,1]
	v_add_nc_u32_e32 v131, 1, v131
	v_pk_fma_f32 v[132:133], v[134:135], v[132:133], v[136:137] neg_lo:[0,0,1] neg_hi:[0,0,1]
	v_mov_b32_e32 v133, v139
	s_delay_alu instid0(VALU_DEP_3) | instskip(NEXT) | instid1(VALU_DEP_2)
	v_cmp_lt_u32_e32 vcc_lo, 30, v131
	v_pk_add_f32 v[126:127], v[126:127], v[132:133]
	s_or_b32 s3, vcc_lo, s3
	s_delay_alu instid0(SALU_CYCLE_1)
	s_and_not1_b32 exec_lo, exec_lo, s3
	s_cbranch_execnz .LBB60_917
; %bb.918:
	s_or_b32 exec_lo, exec_lo, s3
.LBB60_919:
	s_delay_alu instid0(SALU_CYCLE_1) | instskip(SKIP_4) | instid1(VALU_DEP_1)
	s_or_b32 exec_lo, exec_lo, s2
	v_mov_b32_e32 v129, 0
	ds_load_b64 v[130:131], v129 offset:256
	s_wait_dscnt 0x0
	v_pk_mul_f32 v[132:133], v[126:127], v[130:131] op_sel:[1,1] op_sel_hi:[0,1]
	v_pk_fma_f32 v[134:135], v[126:127], v[130:131], v[132:133] op_sel_hi:[1,0,1]
	v_pk_fma_f32 v[126:127], v[126:127], v[130:131], v[132:133] neg_lo:[0,0,1] neg_hi:[0,0,1]
	s_delay_alu instid0(VALU_DEP_2)
	v_mov_b32_e32 v127, v135
	scratch_store_b64 off, v[126:127], off offset:256
.LBB60_920:
	s_wait_xcnt 0x0
	s_or_b32 exec_lo, exec_lo, s0
	scratch_load_b64 v[126:127], off, off offset:264
	s_mov_b32 s0, exec_lo
	s_wait_loadcnt 0x0
	ds_store_b64 v1, v[126:127]
	s_wait_storecnt_dscnt 0x0
	s_barrier_signal -1
	s_barrier_wait -1
	s_wait_xcnt 0x0
	v_cmpx_gt_u32_e32 33, v0
	s_cbranch_execz .LBB60_930
; %bb.921:
	v_cmp_ne_u32_e32 vcc_lo, 1, v128
	s_cbranch_vccnz .LBB60_923
; %bb.922:
	scratch_load_b64 v[126:127], v39, off
	ds_load_b64 v[130:131], v1
	s_wait_loadcnt_dscnt 0x0
	v_pk_mul_f32 v[132:133], v[130:131], v[126:127] op_sel:[1,1] op_sel_hi:[0,1]
	s_delay_alu instid0(VALU_DEP_1) | instskip(SKIP_1) | instid1(VALU_DEP_2)
	v_pk_fma_f32 v[134:135], v[130:131], v[126:127], v[132:133] op_sel_hi:[1,0,1]
	v_pk_fma_f32 v[126:127], v[130:131], v[126:127], v[132:133] neg_lo:[0,0,1] neg_hi:[0,0,1]
	v_mov_b32_e32 v127, v135
	s_cbranch_execz .LBB60_924
	s_branch .LBB60_925
.LBB60_923:
                                        ; implicit-def: $vgpr126_vgpr127
.LBB60_924:
	ds_load_b64 v[126:127], v1
.LBB60_925:
	s_mov_b32 s2, exec_lo
	v_cmpx_ne_u32_e32 32, v0
	s_cbranch_execz .LBB60_929
; %bb.926:
	v_add_nc_u32_e32 v129, 0x1f8, v38
	v_add3_u32 v130, 0, v38, 8
	v_mov_b32_e32 v131, v0
	s_mov_b32 s3, 0
.LBB60_927:                             ; =>This Inner Loop Header: Depth=1
	scratch_load_b64 v[132:133], v130, off
	ds_load_b64 v[134:135], v129
	s_wait_xcnt 0x0
	v_dual_add_nc_u32 v129, 8, v129 :: v_dual_add_nc_u32 v130, 8, v130
	s_wait_loadcnt_dscnt 0x0
	v_pk_mul_f32 v[136:137], v[134:135], v[132:133] op_sel:[1,1] op_sel_hi:[0,1]
	s_delay_alu instid0(VALU_DEP_1) | instskip(SKIP_2) | instid1(VALU_DEP_3)
	v_pk_fma_f32 v[138:139], v[134:135], v[132:133], v[136:137] op_sel_hi:[1,0,1]
	v_add_nc_u32_e32 v131, 1, v131
	v_pk_fma_f32 v[132:133], v[134:135], v[132:133], v[136:137] neg_lo:[0,0,1] neg_hi:[0,0,1]
	v_mov_b32_e32 v133, v139
	s_delay_alu instid0(VALU_DEP_3) | instskip(NEXT) | instid1(VALU_DEP_2)
	v_cmp_lt_u32_e32 vcc_lo, 31, v131
	v_pk_add_f32 v[126:127], v[126:127], v[132:133]
	s_or_b32 s3, vcc_lo, s3
	s_delay_alu instid0(SALU_CYCLE_1)
	s_and_not1_b32 exec_lo, exec_lo, s3
	s_cbranch_execnz .LBB60_927
; %bb.928:
	s_or_b32 exec_lo, exec_lo, s3
.LBB60_929:
	s_delay_alu instid0(SALU_CYCLE_1) | instskip(SKIP_4) | instid1(VALU_DEP_1)
	s_or_b32 exec_lo, exec_lo, s2
	v_mov_b32_e32 v129, 0
	ds_load_b64 v[130:131], v129 offset:264
	s_wait_dscnt 0x0
	v_pk_mul_f32 v[132:133], v[126:127], v[130:131] op_sel:[1,1] op_sel_hi:[0,1]
	v_pk_fma_f32 v[134:135], v[126:127], v[130:131], v[132:133] op_sel_hi:[1,0,1]
	v_pk_fma_f32 v[126:127], v[126:127], v[130:131], v[132:133] neg_lo:[0,0,1] neg_hi:[0,0,1]
	s_delay_alu instid0(VALU_DEP_2)
	v_mov_b32_e32 v127, v135
	scratch_store_b64 off, v[126:127], off offset:264
.LBB60_930:
	s_wait_xcnt 0x0
	s_or_b32 exec_lo, exec_lo, s0
	scratch_load_b64 v[126:127], off, off offset:272
	s_mov_b32 s0, exec_lo
	s_wait_loadcnt 0x0
	ds_store_b64 v1, v[126:127]
	s_wait_storecnt_dscnt 0x0
	s_barrier_signal -1
	s_barrier_wait -1
	s_wait_xcnt 0x0
	v_cmpx_gt_u32_e32 34, v0
	s_cbranch_execz .LBB60_940
; %bb.931:
	v_cmp_ne_u32_e32 vcc_lo, 1, v128
	s_cbranch_vccnz .LBB60_933
; %bb.932:
	scratch_load_b64 v[126:127], v39, off
	ds_load_b64 v[130:131], v1
	s_wait_loadcnt_dscnt 0x0
	v_pk_mul_f32 v[132:133], v[130:131], v[126:127] op_sel:[1,1] op_sel_hi:[0,1]
	s_delay_alu instid0(VALU_DEP_1) | instskip(SKIP_1) | instid1(VALU_DEP_2)
	v_pk_fma_f32 v[134:135], v[130:131], v[126:127], v[132:133] op_sel_hi:[1,0,1]
	v_pk_fma_f32 v[126:127], v[130:131], v[126:127], v[132:133] neg_lo:[0,0,1] neg_hi:[0,0,1]
	v_mov_b32_e32 v127, v135
	s_cbranch_execz .LBB60_934
	s_branch .LBB60_935
.LBB60_933:
                                        ; implicit-def: $vgpr126_vgpr127
.LBB60_934:
	ds_load_b64 v[126:127], v1
.LBB60_935:
	s_mov_b32 s2, exec_lo
	v_cmpx_ne_u32_e32 33, v0
	s_cbranch_execz .LBB60_939
; %bb.936:
	v_add_nc_u32_e32 v129, 0x1f8, v38
	v_add3_u32 v130, 0, v38, 8
	v_mov_b32_e32 v131, v0
	s_mov_b32 s3, 0
.LBB60_937:                             ; =>This Inner Loop Header: Depth=1
	scratch_load_b64 v[132:133], v130, off
	ds_load_b64 v[134:135], v129
	s_wait_xcnt 0x0
	v_dual_add_nc_u32 v129, 8, v129 :: v_dual_add_nc_u32 v130, 8, v130
	s_wait_loadcnt_dscnt 0x0
	v_pk_mul_f32 v[136:137], v[134:135], v[132:133] op_sel:[1,1] op_sel_hi:[0,1]
	s_delay_alu instid0(VALU_DEP_1) | instskip(SKIP_2) | instid1(VALU_DEP_3)
	v_pk_fma_f32 v[138:139], v[134:135], v[132:133], v[136:137] op_sel_hi:[1,0,1]
	v_add_nc_u32_e32 v131, 1, v131
	v_pk_fma_f32 v[132:133], v[134:135], v[132:133], v[136:137] neg_lo:[0,0,1] neg_hi:[0,0,1]
	v_mov_b32_e32 v133, v139
	s_delay_alu instid0(VALU_DEP_3) | instskip(NEXT) | instid1(VALU_DEP_2)
	v_cmp_lt_u32_e32 vcc_lo, 32, v131
	v_pk_add_f32 v[126:127], v[126:127], v[132:133]
	s_or_b32 s3, vcc_lo, s3
	s_delay_alu instid0(SALU_CYCLE_1)
	s_and_not1_b32 exec_lo, exec_lo, s3
	s_cbranch_execnz .LBB60_937
; %bb.938:
	s_or_b32 exec_lo, exec_lo, s3
.LBB60_939:
	s_delay_alu instid0(SALU_CYCLE_1) | instskip(SKIP_4) | instid1(VALU_DEP_1)
	s_or_b32 exec_lo, exec_lo, s2
	v_mov_b32_e32 v129, 0
	ds_load_b64 v[130:131], v129 offset:272
	s_wait_dscnt 0x0
	v_pk_mul_f32 v[132:133], v[126:127], v[130:131] op_sel:[1,1] op_sel_hi:[0,1]
	v_pk_fma_f32 v[134:135], v[126:127], v[130:131], v[132:133] op_sel_hi:[1,0,1]
	v_pk_fma_f32 v[126:127], v[126:127], v[130:131], v[132:133] neg_lo:[0,0,1] neg_hi:[0,0,1]
	s_delay_alu instid0(VALU_DEP_2)
	v_mov_b32_e32 v127, v135
	scratch_store_b64 off, v[126:127], off offset:272
.LBB60_940:
	s_wait_xcnt 0x0
	s_or_b32 exec_lo, exec_lo, s0
	scratch_load_b64 v[126:127], off, off offset:280
	s_mov_b32 s0, exec_lo
	s_wait_loadcnt 0x0
	ds_store_b64 v1, v[126:127]
	s_wait_storecnt_dscnt 0x0
	s_barrier_signal -1
	s_barrier_wait -1
	s_wait_xcnt 0x0
	v_cmpx_gt_u32_e32 35, v0
	s_cbranch_execz .LBB60_950
; %bb.941:
	v_cmp_ne_u32_e32 vcc_lo, 1, v128
	s_cbranch_vccnz .LBB60_943
; %bb.942:
	scratch_load_b64 v[126:127], v39, off
	ds_load_b64 v[130:131], v1
	s_wait_loadcnt_dscnt 0x0
	v_pk_mul_f32 v[132:133], v[130:131], v[126:127] op_sel:[1,1] op_sel_hi:[0,1]
	s_delay_alu instid0(VALU_DEP_1) | instskip(SKIP_1) | instid1(VALU_DEP_2)
	v_pk_fma_f32 v[134:135], v[130:131], v[126:127], v[132:133] op_sel_hi:[1,0,1]
	v_pk_fma_f32 v[126:127], v[130:131], v[126:127], v[132:133] neg_lo:[0,0,1] neg_hi:[0,0,1]
	v_mov_b32_e32 v127, v135
	s_cbranch_execz .LBB60_944
	s_branch .LBB60_945
.LBB60_943:
                                        ; implicit-def: $vgpr126_vgpr127
.LBB60_944:
	ds_load_b64 v[126:127], v1
.LBB60_945:
	s_mov_b32 s2, exec_lo
	v_cmpx_ne_u32_e32 34, v0
	s_cbranch_execz .LBB60_949
; %bb.946:
	v_add_nc_u32_e32 v129, 0x1f8, v38
	v_add3_u32 v130, 0, v38, 8
	v_mov_b32_e32 v131, v0
	s_mov_b32 s3, 0
.LBB60_947:                             ; =>This Inner Loop Header: Depth=1
	scratch_load_b64 v[132:133], v130, off
	ds_load_b64 v[134:135], v129
	s_wait_xcnt 0x0
	v_dual_add_nc_u32 v129, 8, v129 :: v_dual_add_nc_u32 v130, 8, v130
	s_wait_loadcnt_dscnt 0x0
	v_pk_mul_f32 v[136:137], v[134:135], v[132:133] op_sel:[1,1] op_sel_hi:[0,1]
	s_delay_alu instid0(VALU_DEP_1) | instskip(SKIP_2) | instid1(VALU_DEP_3)
	v_pk_fma_f32 v[138:139], v[134:135], v[132:133], v[136:137] op_sel_hi:[1,0,1]
	v_add_nc_u32_e32 v131, 1, v131
	v_pk_fma_f32 v[132:133], v[134:135], v[132:133], v[136:137] neg_lo:[0,0,1] neg_hi:[0,0,1]
	v_mov_b32_e32 v133, v139
	s_delay_alu instid0(VALU_DEP_3) | instskip(NEXT) | instid1(VALU_DEP_2)
	v_cmp_lt_u32_e32 vcc_lo, 33, v131
	v_pk_add_f32 v[126:127], v[126:127], v[132:133]
	s_or_b32 s3, vcc_lo, s3
	s_delay_alu instid0(SALU_CYCLE_1)
	s_and_not1_b32 exec_lo, exec_lo, s3
	s_cbranch_execnz .LBB60_947
; %bb.948:
	s_or_b32 exec_lo, exec_lo, s3
.LBB60_949:
	s_delay_alu instid0(SALU_CYCLE_1) | instskip(SKIP_4) | instid1(VALU_DEP_1)
	s_or_b32 exec_lo, exec_lo, s2
	v_mov_b32_e32 v129, 0
	ds_load_b64 v[130:131], v129 offset:280
	s_wait_dscnt 0x0
	v_pk_mul_f32 v[132:133], v[126:127], v[130:131] op_sel:[1,1] op_sel_hi:[0,1]
	v_pk_fma_f32 v[134:135], v[126:127], v[130:131], v[132:133] op_sel_hi:[1,0,1]
	v_pk_fma_f32 v[126:127], v[126:127], v[130:131], v[132:133] neg_lo:[0,0,1] neg_hi:[0,0,1]
	s_delay_alu instid0(VALU_DEP_2)
	v_mov_b32_e32 v127, v135
	scratch_store_b64 off, v[126:127], off offset:280
.LBB60_950:
	s_wait_xcnt 0x0
	s_or_b32 exec_lo, exec_lo, s0
	scratch_load_b64 v[126:127], off, off offset:288
	s_mov_b32 s0, exec_lo
	s_wait_loadcnt 0x0
	ds_store_b64 v1, v[126:127]
	s_wait_storecnt_dscnt 0x0
	s_barrier_signal -1
	s_barrier_wait -1
	s_wait_xcnt 0x0
	v_cmpx_gt_u32_e32 36, v0
	s_cbranch_execz .LBB60_960
; %bb.951:
	v_cmp_ne_u32_e32 vcc_lo, 1, v128
	s_cbranch_vccnz .LBB60_953
; %bb.952:
	scratch_load_b64 v[126:127], v39, off
	ds_load_b64 v[130:131], v1
	s_wait_loadcnt_dscnt 0x0
	v_pk_mul_f32 v[132:133], v[130:131], v[126:127] op_sel:[1,1] op_sel_hi:[0,1]
	s_delay_alu instid0(VALU_DEP_1) | instskip(SKIP_1) | instid1(VALU_DEP_2)
	v_pk_fma_f32 v[134:135], v[130:131], v[126:127], v[132:133] op_sel_hi:[1,0,1]
	v_pk_fma_f32 v[126:127], v[130:131], v[126:127], v[132:133] neg_lo:[0,0,1] neg_hi:[0,0,1]
	v_mov_b32_e32 v127, v135
	s_cbranch_execz .LBB60_954
	s_branch .LBB60_955
.LBB60_953:
                                        ; implicit-def: $vgpr126_vgpr127
.LBB60_954:
	ds_load_b64 v[126:127], v1
.LBB60_955:
	s_mov_b32 s2, exec_lo
	v_cmpx_ne_u32_e32 35, v0
	s_cbranch_execz .LBB60_959
; %bb.956:
	v_add_nc_u32_e32 v129, 0x1f8, v38
	v_add3_u32 v130, 0, v38, 8
	v_mov_b32_e32 v131, v0
	s_mov_b32 s3, 0
.LBB60_957:                             ; =>This Inner Loop Header: Depth=1
	scratch_load_b64 v[132:133], v130, off
	ds_load_b64 v[134:135], v129
	s_wait_xcnt 0x0
	v_dual_add_nc_u32 v129, 8, v129 :: v_dual_add_nc_u32 v130, 8, v130
	s_wait_loadcnt_dscnt 0x0
	v_pk_mul_f32 v[136:137], v[134:135], v[132:133] op_sel:[1,1] op_sel_hi:[0,1]
	s_delay_alu instid0(VALU_DEP_1) | instskip(SKIP_2) | instid1(VALU_DEP_3)
	v_pk_fma_f32 v[138:139], v[134:135], v[132:133], v[136:137] op_sel_hi:[1,0,1]
	v_add_nc_u32_e32 v131, 1, v131
	v_pk_fma_f32 v[132:133], v[134:135], v[132:133], v[136:137] neg_lo:[0,0,1] neg_hi:[0,0,1]
	v_mov_b32_e32 v133, v139
	s_delay_alu instid0(VALU_DEP_3) | instskip(NEXT) | instid1(VALU_DEP_2)
	v_cmp_lt_u32_e32 vcc_lo, 34, v131
	v_pk_add_f32 v[126:127], v[126:127], v[132:133]
	s_or_b32 s3, vcc_lo, s3
	s_delay_alu instid0(SALU_CYCLE_1)
	s_and_not1_b32 exec_lo, exec_lo, s3
	s_cbranch_execnz .LBB60_957
; %bb.958:
	s_or_b32 exec_lo, exec_lo, s3
.LBB60_959:
	s_delay_alu instid0(SALU_CYCLE_1) | instskip(SKIP_4) | instid1(VALU_DEP_1)
	s_or_b32 exec_lo, exec_lo, s2
	v_mov_b32_e32 v129, 0
	ds_load_b64 v[130:131], v129 offset:288
	s_wait_dscnt 0x0
	v_pk_mul_f32 v[132:133], v[126:127], v[130:131] op_sel:[1,1] op_sel_hi:[0,1]
	v_pk_fma_f32 v[134:135], v[126:127], v[130:131], v[132:133] op_sel_hi:[1,0,1]
	v_pk_fma_f32 v[126:127], v[126:127], v[130:131], v[132:133] neg_lo:[0,0,1] neg_hi:[0,0,1]
	s_delay_alu instid0(VALU_DEP_2)
	v_mov_b32_e32 v127, v135
	scratch_store_b64 off, v[126:127], off offset:288
.LBB60_960:
	s_wait_xcnt 0x0
	s_or_b32 exec_lo, exec_lo, s0
	scratch_load_b64 v[126:127], off, off offset:296
	s_mov_b32 s0, exec_lo
	s_wait_loadcnt 0x0
	ds_store_b64 v1, v[126:127]
	s_wait_storecnt_dscnt 0x0
	s_barrier_signal -1
	s_barrier_wait -1
	s_wait_xcnt 0x0
	v_cmpx_gt_u32_e32 37, v0
	s_cbranch_execz .LBB60_970
; %bb.961:
	v_cmp_ne_u32_e32 vcc_lo, 1, v128
	s_cbranch_vccnz .LBB60_963
; %bb.962:
	scratch_load_b64 v[126:127], v39, off
	ds_load_b64 v[130:131], v1
	s_wait_loadcnt_dscnt 0x0
	v_pk_mul_f32 v[132:133], v[130:131], v[126:127] op_sel:[1,1] op_sel_hi:[0,1]
	s_delay_alu instid0(VALU_DEP_1) | instskip(SKIP_1) | instid1(VALU_DEP_2)
	v_pk_fma_f32 v[134:135], v[130:131], v[126:127], v[132:133] op_sel_hi:[1,0,1]
	v_pk_fma_f32 v[126:127], v[130:131], v[126:127], v[132:133] neg_lo:[0,0,1] neg_hi:[0,0,1]
	v_mov_b32_e32 v127, v135
	s_cbranch_execz .LBB60_964
	s_branch .LBB60_965
.LBB60_963:
                                        ; implicit-def: $vgpr126_vgpr127
.LBB60_964:
	ds_load_b64 v[126:127], v1
.LBB60_965:
	s_mov_b32 s2, exec_lo
	v_cmpx_ne_u32_e32 36, v0
	s_cbranch_execz .LBB60_969
; %bb.966:
	v_add_nc_u32_e32 v129, 0x1f8, v38
	v_add3_u32 v130, 0, v38, 8
	v_mov_b32_e32 v131, v0
	s_mov_b32 s3, 0
.LBB60_967:                             ; =>This Inner Loop Header: Depth=1
	scratch_load_b64 v[132:133], v130, off
	ds_load_b64 v[134:135], v129
	s_wait_xcnt 0x0
	v_dual_add_nc_u32 v129, 8, v129 :: v_dual_add_nc_u32 v130, 8, v130
	s_wait_loadcnt_dscnt 0x0
	v_pk_mul_f32 v[136:137], v[134:135], v[132:133] op_sel:[1,1] op_sel_hi:[0,1]
	s_delay_alu instid0(VALU_DEP_1) | instskip(SKIP_2) | instid1(VALU_DEP_3)
	v_pk_fma_f32 v[138:139], v[134:135], v[132:133], v[136:137] op_sel_hi:[1,0,1]
	v_add_nc_u32_e32 v131, 1, v131
	v_pk_fma_f32 v[132:133], v[134:135], v[132:133], v[136:137] neg_lo:[0,0,1] neg_hi:[0,0,1]
	v_mov_b32_e32 v133, v139
	s_delay_alu instid0(VALU_DEP_3) | instskip(NEXT) | instid1(VALU_DEP_2)
	v_cmp_lt_u32_e32 vcc_lo, 35, v131
	v_pk_add_f32 v[126:127], v[126:127], v[132:133]
	s_or_b32 s3, vcc_lo, s3
	s_delay_alu instid0(SALU_CYCLE_1)
	s_and_not1_b32 exec_lo, exec_lo, s3
	s_cbranch_execnz .LBB60_967
; %bb.968:
	s_or_b32 exec_lo, exec_lo, s3
.LBB60_969:
	s_delay_alu instid0(SALU_CYCLE_1) | instskip(SKIP_4) | instid1(VALU_DEP_1)
	s_or_b32 exec_lo, exec_lo, s2
	v_mov_b32_e32 v129, 0
	ds_load_b64 v[130:131], v129 offset:296
	s_wait_dscnt 0x0
	v_pk_mul_f32 v[132:133], v[126:127], v[130:131] op_sel:[1,1] op_sel_hi:[0,1]
	v_pk_fma_f32 v[134:135], v[126:127], v[130:131], v[132:133] op_sel_hi:[1,0,1]
	v_pk_fma_f32 v[126:127], v[126:127], v[130:131], v[132:133] neg_lo:[0,0,1] neg_hi:[0,0,1]
	s_delay_alu instid0(VALU_DEP_2)
	v_mov_b32_e32 v127, v135
	scratch_store_b64 off, v[126:127], off offset:296
.LBB60_970:
	s_wait_xcnt 0x0
	s_or_b32 exec_lo, exec_lo, s0
	scratch_load_b64 v[126:127], off, off offset:304
	s_mov_b32 s0, exec_lo
	s_wait_loadcnt 0x0
	ds_store_b64 v1, v[126:127]
	s_wait_storecnt_dscnt 0x0
	s_barrier_signal -1
	s_barrier_wait -1
	s_wait_xcnt 0x0
	v_cmpx_gt_u32_e32 38, v0
	s_cbranch_execz .LBB60_980
; %bb.971:
	v_cmp_ne_u32_e32 vcc_lo, 1, v128
	s_cbranch_vccnz .LBB60_973
; %bb.972:
	scratch_load_b64 v[126:127], v39, off
	ds_load_b64 v[130:131], v1
	s_wait_loadcnt_dscnt 0x0
	v_pk_mul_f32 v[132:133], v[130:131], v[126:127] op_sel:[1,1] op_sel_hi:[0,1]
	s_delay_alu instid0(VALU_DEP_1) | instskip(SKIP_1) | instid1(VALU_DEP_2)
	v_pk_fma_f32 v[134:135], v[130:131], v[126:127], v[132:133] op_sel_hi:[1,0,1]
	v_pk_fma_f32 v[126:127], v[130:131], v[126:127], v[132:133] neg_lo:[0,0,1] neg_hi:[0,0,1]
	v_mov_b32_e32 v127, v135
	s_cbranch_execz .LBB60_974
	s_branch .LBB60_975
.LBB60_973:
                                        ; implicit-def: $vgpr126_vgpr127
.LBB60_974:
	ds_load_b64 v[126:127], v1
.LBB60_975:
	s_mov_b32 s2, exec_lo
	v_cmpx_ne_u32_e32 37, v0
	s_cbranch_execz .LBB60_979
; %bb.976:
	v_add_nc_u32_e32 v129, 0x1f8, v38
	v_add3_u32 v130, 0, v38, 8
	v_mov_b32_e32 v131, v0
	s_mov_b32 s3, 0
.LBB60_977:                             ; =>This Inner Loop Header: Depth=1
	scratch_load_b64 v[132:133], v130, off
	ds_load_b64 v[134:135], v129
	s_wait_xcnt 0x0
	v_dual_add_nc_u32 v129, 8, v129 :: v_dual_add_nc_u32 v130, 8, v130
	s_wait_loadcnt_dscnt 0x0
	v_pk_mul_f32 v[136:137], v[134:135], v[132:133] op_sel:[1,1] op_sel_hi:[0,1]
	s_delay_alu instid0(VALU_DEP_1) | instskip(SKIP_2) | instid1(VALU_DEP_3)
	v_pk_fma_f32 v[138:139], v[134:135], v[132:133], v[136:137] op_sel_hi:[1,0,1]
	v_add_nc_u32_e32 v131, 1, v131
	v_pk_fma_f32 v[132:133], v[134:135], v[132:133], v[136:137] neg_lo:[0,0,1] neg_hi:[0,0,1]
	v_mov_b32_e32 v133, v139
	s_delay_alu instid0(VALU_DEP_3) | instskip(NEXT) | instid1(VALU_DEP_2)
	v_cmp_lt_u32_e32 vcc_lo, 36, v131
	v_pk_add_f32 v[126:127], v[126:127], v[132:133]
	s_or_b32 s3, vcc_lo, s3
	s_delay_alu instid0(SALU_CYCLE_1)
	s_and_not1_b32 exec_lo, exec_lo, s3
	s_cbranch_execnz .LBB60_977
; %bb.978:
	s_or_b32 exec_lo, exec_lo, s3
.LBB60_979:
	s_delay_alu instid0(SALU_CYCLE_1) | instskip(SKIP_4) | instid1(VALU_DEP_1)
	s_or_b32 exec_lo, exec_lo, s2
	v_mov_b32_e32 v129, 0
	ds_load_b64 v[130:131], v129 offset:304
	s_wait_dscnt 0x0
	v_pk_mul_f32 v[132:133], v[126:127], v[130:131] op_sel:[1,1] op_sel_hi:[0,1]
	v_pk_fma_f32 v[134:135], v[126:127], v[130:131], v[132:133] op_sel_hi:[1,0,1]
	v_pk_fma_f32 v[126:127], v[126:127], v[130:131], v[132:133] neg_lo:[0,0,1] neg_hi:[0,0,1]
	s_delay_alu instid0(VALU_DEP_2)
	v_mov_b32_e32 v127, v135
	scratch_store_b64 off, v[126:127], off offset:304
.LBB60_980:
	s_wait_xcnt 0x0
	s_or_b32 exec_lo, exec_lo, s0
	scratch_load_b64 v[126:127], off, off offset:312
	s_mov_b32 s0, exec_lo
	s_wait_loadcnt 0x0
	ds_store_b64 v1, v[126:127]
	s_wait_storecnt_dscnt 0x0
	s_barrier_signal -1
	s_barrier_wait -1
	s_wait_xcnt 0x0
	v_cmpx_gt_u32_e32 39, v0
	s_cbranch_execz .LBB60_990
; %bb.981:
	v_cmp_ne_u32_e32 vcc_lo, 1, v128
	s_cbranch_vccnz .LBB60_983
; %bb.982:
	scratch_load_b64 v[126:127], v39, off
	ds_load_b64 v[130:131], v1
	s_wait_loadcnt_dscnt 0x0
	v_pk_mul_f32 v[132:133], v[130:131], v[126:127] op_sel:[1,1] op_sel_hi:[0,1]
	s_delay_alu instid0(VALU_DEP_1) | instskip(SKIP_1) | instid1(VALU_DEP_2)
	v_pk_fma_f32 v[134:135], v[130:131], v[126:127], v[132:133] op_sel_hi:[1,0,1]
	v_pk_fma_f32 v[126:127], v[130:131], v[126:127], v[132:133] neg_lo:[0,0,1] neg_hi:[0,0,1]
	v_mov_b32_e32 v127, v135
	s_cbranch_execz .LBB60_984
	s_branch .LBB60_985
.LBB60_983:
                                        ; implicit-def: $vgpr126_vgpr127
.LBB60_984:
	ds_load_b64 v[126:127], v1
.LBB60_985:
	s_mov_b32 s2, exec_lo
	v_cmpx_ne_u32_e32 38, v0
	s_cbranch_execz .LBB60_989
; %bb.986:
	v_add_nc_u32_e32 v129, 0x1f8, v38
	v_add3_u32 v130, 0, v38, 8
	v_mov_b32_e32 v131, v0
	s_mov_b32 s3, 0
.LBB60_987:                             ; =>This Inner Loop Header: Depth=1
	scratch_load_b64 v[132:133], v130, off
	ds_load_b64 v[134:135], v129
	s_wait_xcnt 0x0
	v_dual_add_nc_u32 v129, 8, v129 :: v_dual_add_nc_u32 v130, 8, v130
	s_wait_loadcnt_dscnt 0x0
	v_pk_mul_f32 v[136:137], v[134:135], v[132:133] op_sel:[1,1] op_sel_hi:[0,1]
	s_delay_alu instid0(VALU_DEP_1) | instskip(SKIP_2) | instid1(VALU_DEP_3)
	v_pk_fma_f32 v[138:139], v[134:135], v[132:133], v[136:137] op_sel_hi:[1,0,1]
	v_add_nc_u32_e32 v131, 1, v131
	v_pk_fma_f32 v[132:133], v[134:135], v[132:133], v[136:137] neg_lo:[0,0,1] neg_hi:[0,0,1]
	v_mov_b32_e32 v133, v139
	s_delay_alu instid0(VALU_DEP_3) | instskip(NEXT) | instid1(VALU_DEP_2)
	v_cmp_lt_u32_e32 vcc_lo, 37, v131
	v_pk_add_f32 v[126:127], v[126:127], v[132:133]
	s_or_b32 s3, vcc_lo, s3
	s_delay_alu instid0(SALU_CYCLE_1)
	s_and_not1_b32 exec_lo, exec_lo, s3
	s_cbranch_execnz .LBB60_987
; %bb.988:
	s_or_b32 exec_lo, exec_lo, s3
.LBB60_989:
	s_delay_alu instid0(SALU_CYCLE_1) | instskip(SKIP_4) | instid1(VALU_DEP_1)
	s_or_b32 exec_lo, exec_lo, s2
	v_mov_b32_e32 v129, 0
	ds_load_b64 v[130:131], v129 offset:312
	s_wait_dscnt 0x0
	v_pk_mul_f32 v[132:133], v[126:127], v[130:131] op_sel:[1,1] op_sel_hi:[0,1]
	v_pk_fma_f32 v[134:135], v[126:127], v[130:131], v[132:133] op_sel_hi:[1,0,1]
	v_pk_fma_f32 v[126:127], v[126:127], v[130:131], v[132:133] neg_lo:[0,0,1] neg_hi:[0,0,1]
	s_delay_alu instid0(VALU_DEP_2)
	v_mov_b32_e32 v127, v135
	scratch_store_b64 off, v[126:127], off offset:312
.LBB60_990:
	s_wait_xcnt 0x0
	s_or_b32 exec_lo, exec_lo, s0
	scratch_load_b64 v[126:127], off, off offset:320
	s_mov_b32 s0, exec_lo
	s_wait_loadcnt 0x0
	ds_store_b64 v1, v[126:127]
	s_wait_storecnt_dscnt 0x0
	s_barrier_signal -1
	s_barrier_wait -1
	s_wait_xcnt 0x0
	v_cmpx_gt_u32_e32 40, v0
	s_cbranch_execz .LBB60_1000
; %bb.991:
	v_cmp_ne_u32_e32 vcc_lo, 1, v128
	s_cbranch_vccnz .LBB60_993
; %bb.992:
	scratch_load_b64 v[126:127], v39, off
	ds_load_b64 v[130:131], v1
	s_wait_loadcnt_dscnt 0x0
	v_pk_mul_f32 v[132:133], v[130:131], v[126:127] op_sel:[1,1] op_sel_hi:[0,1]
	s_delay_alu instid0(VALU_DEP_1) | instskip(SKIP_1) | instid1(VALU_DEP_2)
	v_pk_fma_f32 v[134:135], v[130:131], v[126:127], v[132:133] op_sel_hi:[1,0,1]
	v_pk_fma_f32 v[126:127], v[130:131], v[126:127], v[132:133] neg_lo:[0,0,1] neg_hi:[0,0,1]
	v_mov_b32_e32 v127, v135
	s_cbranch_execz .LBB60_994
	s_branch .LBB60_995
.LBB60_993:
                                        ; implicit-def: $vgpr126_vgpr127
.LBB60_994:
	ds_load_b64 v[126:127], v1
.LBB60_995:
	s_mov_b32 s2, exec_lo
	v_cmpx_ne_u32_e32 39, v0
	s_cbranch_execz .LBB60_999
; %bb.996:
	v_add_nc_u32_e32 v129, 0x1f8, v38
	v_add3_u32 v130, 0, v38, 8
	v_mov_b32_e32 v131, v0
	s_mov_b32 s3, 0
.LBB60_997:                             ; =>This Inner Loop Header: Depth=1
	scratch_load_b64 v[132:133], v130, off
	ds_load_b64 v[134:135], v129
	s_wait_xcnt 0x0
	v_dual_add_nc_u32 v129, 8, v129 :: v_dual_add_nc_u32 v130, 8, v130
	s_wait_loadcnt_dscnt 0x0
	v_pk_mul_f32 v[136:137], v[134:135], v[132:133] op_sel:[1,1] op_sel_hi:[0,1]
	s_delay_alu instid0(VALU_DEP_1) | instskip(SKIP_2) | instid1(VALU_DEP_3)
	v_pk_fma_f32 v[138:139], v[134:135], v[132:133], v[136:137] op_sel_hi:[1,0,1]
	v_add_nc_u32_e32 v131, 1, v131
	v_pk_fma_f32 v[132:133], v[134:135], v[132:133], v[136:137] neg_lo:[0,0,1] neg_hi:[0,0,1]
	v_mov_b32_e32 v133, v139
	s_delay_alu instid0(VALU_DEP_3) | instskip(NEXT) | instid1(VALU_DEP_2)
	v_cmp_lt_u32_e32 vcc_lo, 38, v131
	v_pk_add_f32 v[126:127], v[126:127], v[132:133]
	s_or_b32 s3, vcc_lo, s3
	s_delay_alu instid0(SALU_CYCLE_1)
	s_and_not1_b32 exec_lo, exec_lo, s3
	s_cbranch_execnz .LBB60_997
; %bb.998:
	s_or_b32 exec_lo, exec_lo, s3
.LBB60_999:
	s_delay_alu instid0(SALU_CYCLE_1) | instskip(SKIP_4) | instid1(VALU_DEP_1)
	s_or_b32 exec_lo, exec_lo, s2
	v_mov_b32_e32 v129, 0
	ds_load_b64 v[130:131], v129 offset:320
	s_wait_dscnt 0x0
	v_pk_mul_f32 v[132:133], v[126:127], v[130:131] op_sel:[1,1] op_sel_hi:[0,1]
	v_pk_fma_f32 v[134:135], v[126:127], v[130:131], v[132:133] op_sel_hi:[1,0,1]
	v_pk_fma_f32 v[126:127], v[126:127], v[130:131], v[132:133] neg_lo:[0,0,1] neg_hi:[0,0,1]
	s_delay_alu instid0(VALU_DEP_2)
	v_mov_b32_e32 v127, v135
	scratch_store_b64 off, v[126:127], off offset:320
.LBB60_1000:
	s_wait_xcnt 0x0
	s_or_b32 exec_lo, exec_lo, s0
	scratch_load_b64 v[126:127], off, off offset:328
	s_mov_b32 s0, exec_lo
	s_wait_loadcnt 0x0
	ds_store_b64 v1, v[126:127]
	s_wait_storecnt_dscnt 0x0
	s_barrier_signal -1
	s_barrier_wait -1
	s_wait_xcnt 0x0
	v_cmpx_gt_u32_e32 41, v0
	s_cbranch_execz .LBB60_1010
; %bb.1001:
	v_cmp_ne_u32_e32 vcc_lo, 1, v128
	s_cbranch_vccnz .LBB60_1003
; %bb.1002:
	scratch_load_b64 v[126:127], v39, off
	ds_load_b64 v[130:131], v1
	s_wait_loadcnt_dscnt 0x0
	v_pk_mul_f32 v[132:133], v[130:131], v[126:127] op_sel:[1,1] op_sel_hi:[0,1]
	s_delay_alu instid0(VALU_DEP_1) | instskip(SKIP_1) | instid1(VALU_DEP_2)
	v_pk_fma_f32 v[134:135], v[130:131], v[126:127], v[132:133] op_sel_hi:[1,0,1]
	v_pk_fma_f32 v[126:127], v[130:131], v[126:127], v[132:133] neg_lo:[0,0,1] neg_hi:[0,0,1]
	v_mov_b32_e32 v127, v135
	s_cbranch_execz .LBB60_1004
	s_branch .LBB60_1005
.LBB60_1003:
                                        ; implicit-def: $vgpr126_vgpr127
.LBB60_1004:
	ds_load_b64 v[126:127], v1
.LBB60_1005:
	s_mov_b32 s2, exec_lo
	v_cmpx_ne_u32_e32 40, v0
	s_cbranch_execz .LBB60_1009
; %bb.1006:
	v_add_nc_u32_e32 v129, 0x1f8, v38
	v_add3_u32 v130, 0, v38, 8
	v_mov_b32_e32 v131, v0
	s_mov_b32 s3, 0
.LBB60_1007:                            ; =>This Inner Loop Header: Depth=1
	scratch_load_b64 v[132:133], v130, off
	ds_load_b64 v[134:135], v129
	s_wait_xcnt 0x0
	v_dual_add_nc_u32 v129, 8, v129 :: v_dual_add_nc_u32 v130, 8, v130
	s_wait_loadcnt_dscnt 0x0
	v_pk_mul_f32 v[136:137], v[134:135], v[132:133] op_sel:[1,1] op_sel_hi:[0,1]
	s_delay_alu instid0(VALU_DEP_1) | instskip(SKIP_2) | instid1(VALU_DEP_3)
	v_pk_fma_f32 v[138:139], v[134:135], v[132:133], v[136:137] op_sel_hi:[1,0,1]
	v_add_nc_u32_e32 v131, 1, v131
	v_pk_fma_f32 v[132:133], v[134:135], v[132:133], v[136:137] neg_lo:[0,0,1] neg_hi:[0,0,1]
	v_mov_b32_e32 v133, v139
	s_delay_alu instid0(VALU_DEP_3) | instskip(NEXT) | instid1(VALU_DEP_2)
	v_cmp_lt_u32_e32 vcc_lo, 39, v131
	v_pk_add_f32 v[126:127], v[126:127], v[132:133]
	s_or_b32 s3, vcc_lo, s3
	s_delay_alu instid0(SALU_CYCLE_1)
	s_and_not1_b32 exec_lo, exec_lo, s3
	s_cbranch_execnz .LBB60_1007
; %bb.1008:
	s_or_b32 exec_lo, exec_lo, s3
.LBB60_1009:
	s_delay_alu instid0(SALU_CYCLE_1) | instskip(SKIP_4) | instid1(VALU_DEP_1)
	s_or_b32 exec_lo, exec_lo, s2
	v_mov_b32_e32 v129, 0
	ds_load_b64 v[130:131], v129 offset:328
	s_wait_dscnt 0x0
	v_pk_mul_f32 v[132:133], v[126:127], v[130:131] op_sel:[1,1] op_sel_hi:[0,1]
	v_pk_fma_f32 v[134:135], v[126:127], v[130:131], v[132:133] op_sel_hi:[1,0,1]
	v_pk_fma_f32 v[126:127], v[126:127], v[130:131], v[132:133] neg_lo:[0,0,1] neg_hi:[0,0,1]
	s_delay_alu instid0(VALU_DEP_2)
	v_mov_b32_e32 v127, v135
	scratch_store_b64 off, v[126:127], off offset:328
.LBB60_1010:
	s_wait_xcnt 0x0
	s_or_b32 exec_lo, exec_lo, s0
	scratch_load_b64 v[126:127], off, off offset:336
	s_mov_b32 s0, exec_lo
	s_wait_loadcnt 0x0
	ds_store_b64 v1, v[126:127]
	s_wait_storecnt_dscnt 0x0
	s_barrier_signal -1
	s_barrier_wait -1
	s_wait_xcnt 0x0
	v_cmpx_gt_u32_e32 42, v0
	s_cbranch_execz .LBB60_1020
; %bb.1011:
	v_cmp_ne_u32_e32 vcc_lo, 1, v128
	s_cbranch_vccnz .LBB60_1013
; %bb.1012:
	scratch_load_b64 v[126:127], v39, off
	ds_load_b64 v[130:131], v1
	s_wait_loadcnt_dscnt 0x0
	v_pk_mul_f32 v[132:133], v[130:131], v[126:127] op_sel:[1,1] op_sel_hi:[0,1]
	s_delay_alu instid0(VALU_DEP_1) | instskip(SKIP_1) | instid1(VALU_DEP_2)
	v_pk_fma_f32 v[134:135], v[130:131], v[126:127], v[132:133] op_sel_hi:[1,0,1]
	v_pk_fma_f32 v[126:127], v[130:131], v[126:127], v[132:133] neg_lo:[0,0,1] neg_hi:[0,0,1]
	v_mov_b32_e32 v127, v135
	s_cbranch_execz .LBB60_1014
	s_branch .LBB60_1015
.LBB60_1013:
                                        ; implicit-def: $vgpr126_vgpr127
.LBB60_1014:
	ds_load_b64 v[126:127], v1
.LBB60_1015:
	s_mov_b32 s2, exec_lo
	v_cmpx_ne_u32_e32 41, v0
	s_cbranch_execz .LBB60_1019
; %bb.1016:
	v_add_nc_u32_e32 v129, 0x1f8, v38
	v_add3_u32 v130, 0, v38, 8
	v_mov_b32_e32 v131, v0
	s_mov_b32 s3, 0
.LBB60_1017:                            ; =>This Inner Loop Header: Depth=1
	scratch_load_b64 v[132:133], v130, off
	ds_load_b64 v[134:135], v129
	s_wait_xcnt 0x0
	v_dual_add_nc_u32 v129, 8, v129 :: v_dual_add_nc_u32 v130, 8, v130
	s_wait_loadcnt_dscnt 0x0
	v_pk_mul_f32 v[136:137], v[134:135], v[132:133] op_sel:[1,1] op_sel_hi:[0,1]
	s_delay_alu instid0(VALU_DEP_1) | instskip(SKIP_2) | instid1(VALU_DEP_3)
	v_pk_fma_f32 v[138:139], v[134:135], v[132:133], v[136:137] op_sel_hi:[1,0,1]
	v_add_nc_u32_e32 v131, 1, v131
	v_pk_fma_f32 v[132:133], v[134:135], v[132:133], v[136:137] neg_lo:[0,0,1] neg_hi:[0,0,1]
	v_mov_b32_e32 v133, v139
	s_delay_alu instid0(VALU_DEP_3) | instskip(NEXT) | instid1(VALU_DEP_2)
	v_cmp_lt_u32_e32 vcc_lo, 40, v131
	v_pk_add_f32 v[126:127], v[126:127], v[132:133]
	s_or_b32 s3, vcc_lo, s3
	s_delay_alu instid0(SALU_CYCLE_1)
	s_and_not1_b32 exec_lo, exec_lo, s3
	s_cbranch_execnz .LBB60_1017
; %bb.1018:
	s_or_b32 exec_lo, exec_lo, s3
.LBB60_1019:
	s_delay_alu instid0(SALU_CYCLE_1) | instskip(SKIP_4) | instid1(VALU_DEP_1)
	s_or_b32 exec_lo, exec_lo, s2
	v_mov_b32_e32 v129, 0
	ds_load_b64 v[130:131], v129 offset:336
	s_wait_dscnt 0x0
	v_pk_mul_f32 v[132:133], v[126:127], v[130:131] op_sel:[1,1] op_sel_hi:[0,1]
	v_pk_fma_f32 v[134:135], v[126:127], v[130:131], v[132:133] op_sel_hi:[1,0,1]
	v_pk_fma_f32 v[126:127], v[126:127], v[130:131], v[132:133] neg_lo:[0,0,1] neg_hi:[0,0,1]
	s_delay_alu instid0(VALU_DEP_2)
	v_mov_b32_e32 v127, v135
	scratch_store_b64 off, v[126:127], off offset:336
.LBB60_1020:
	s_wait_xcnt 0x0
	s_or_b32 exec_lo, exec_lo, s0
	scratch_load_b64 v[126:127], off, off offset:344
	s_mov_b32 s0, exec_lo
	s_wait_loadcnt 0x0
	ds_store_b64 v1, v[126:127]
	s_wait_storecnt_dscnt 0x0
	s_barrier_signal -1
	s_barrier_wait -1
	s_wait_xcnt 0x0
	v_cmpx_gt_u32_e32 43, v0
	s_cbranch_execz .LBB60_1030
; %bb.1021:
	v_cmp_ne_u32_e32 vcc_lo, 1, v128
	s_cbranch_vccnz .LBB60_1023
; %bb.1022:
	scratch_load_b64 v[126:127], v39, off
	ds_load_b64 v[130:131], v1
	s_wait_loadcnt_dscnt 0x0
	v_pk_mul_f32 v[132:133], v[130:131], v[126:127] op_sel:[1,1] op_sel_hi:[0,1]
	s_delay_alu instid0(VALU_DEP_1) | instskip(SKIP_1) | instid1(VALU_DEP_2)
	v_pk_fma_f32 v[134:135], v[130:131], v[126:127], v[132:133] op_sel_hi:[1,0,1]
	v_pk_fma_f32 v[126:127], v[130:131], v[126:127], v[132:133] neg_lo:[0,0,1] neg_hi:[0,0,1]
	v_mov_b32_e32 v127, v135
	s_cbranch_execz .LBB60_1024
	s_branch .LBB60_1025
.LBB60_1023:
                                        ; implicit-def: $vgpr126_vgpr127
.LBB60_1024:
	ds_load_b64 v[126:127], v1
.LBB60_1025:
	s_mov_b32 s2, exec_lo
	v_cmpx_ne_u32_e32 42, v0
	s_cbranch_execz .LBB60_1029
; %bb.1026:
	v_add_nc_u32_e32 v129, 0x1f8, v38
	v_add3_u32 v130, 0, v38, 8
	v_mov_b32_e32 v131, v0
	s_mov_b32 s3, 0
.LBB60_1027:                            ; =>This Inner Loop Header: Depth=1
	scratch_load_b64 v[132:133], v130, off
	ds_load_b64 v[134:135], v129
	s_wait_xcnt 0x0
	v_dual_add_nc_u32 v129, 8, v129 :: v_dual_add_nc_u32 v130, 8, v130
	s_wait_loadcnt_dscnt 0x0
	v_pk_mul_f32 v[136:137], v[134:135], v[132:133] op_sel:[1,1] op_sel_hi:[0,1]
	s_delay_alu instid0(VALU_DEP_1) | instskip(SKIP_2) | instid1(VALU_DEP_3)
	v_pk_fma_f32 v[138:139], v[134:135], v[132:133], v[136:137] op_sel_hi:[1,0,1]
	v_add_nc_u32_e32 v131, 1, v131
	v_pk_fma_f32 v[132:133], v[134:135], v[132:133], v[136:137] neg_lo:[0,0,1] neg_hi:[0,0,1]
	v_mov_b32_e32 v133, v139
	s_delay_alu instid0(VALU_DEP_3) | instskip(NEXT) | instid1(VALU_DEP_2)
	v_cmp_lt_u32_e32 vcc_lo, 41, v131
	v_pk_add_f32 v[126:127], v[126:127], v[132:133]
	s_or_b32 s3, vcc_lo, s3
	s_delay_alu instid0(SALU_CYCLE_1)
	s_and_not1_b32 exec_lo, exec_lo, s3
	s_cbranch_execnz .LBB60_1027
; %bb.1028:
	s_or_b32 exec_lo, exec_lo, s3
.LBB60_1029:
	s_delay_alu instid0(SALU_CYCLE_1) | instskip(SKIP_4) | instid1(VALU_DEP_1)
	s_or_b32 exec_lo, exec_lo, s2
	v_mov_b32_e32 v129, 0
	ds_load_b64 v[130:131], v129 offset:344
	s_wait_dscnt 0x0
	v_pk_mul_f32 v[132:133], v[126:127], v[130:131] op_sel:[1,1] op_sel_hi:[0,1]
	v_pk_fma_f32 v[134:135], v[126:127], v[130:131], v[132:133] op_sel_hi:[1,0,1]
	v_pk_fma_f32 v[126:127], v[126:127], v[130:131], v[132:133] neg_lo:[0,0,1] neg_hi:[0,0,1]
	s_delay_alu instid0(VALU_DEP_2)
	v_mov_b32_e32 v127, v135
	scratch_store_b64 off, v[126:127], off offset:344
.LBB60_1030:
	s_wait_xcnt 0x0
	s_or_b32 exec_lo, exec_lo, s0
	scratch_load_b64 v[126:127], off, off offset:352
	s_mov_b32 s0, exec_lo
	s_wait_loadcnt 0x0
	ds_store_b64 v1, v[126:127]
	s_wait_storecnt_dscnt 0x0
	s_barrier_signal -1
	s_barrier_wait -1
	s_wait_xcnt 0x0
	v_cmpx_gt_u32_e32 44, v0
	s_cbranch_execz .LBB60_1040
; %bb.1031:
	v_cmp_ne_u32_e32 vcc_lo, 1, v128
	s_cbranch_vccnz .LBB60_1033
; %bb.1032:
	scratch_load_b64 v[126:127], v39, off
	ds_load_b64 v[130:131], v1
	s_wait_loadcnt_dscnt 0x0
	v_pk_mul_f32 v[132:133], v[130:131], v[126:127] op_sel:[1,1] op_sel_hi:[0,1]
	s_delay_alu instid0(VALU_DEP_1) | instskip(SKIP_1) | instid1(VALU_DEP_2)
	v_pk_fma_f32 v[134:135], v[130:131], v[126:127], v[132:133] op_sel_hi:[1,0,1]
	v_pk_fma_f32 v[126:127], v[130:131], v[126:127], v[132:133] neg_lo:[0,0,1] neg_hi:[0,0,1]
	v_mov_b32_e32 v127, v135
	s_cbranch_execz .LBB60_1034
	s_branch .LBB60_1035
.LBB60_1033:
                                        ; implicit-def: $vgpr126_vgpr127
.LBB60_1034:
	ds_load_b64 v[126:127], v1
.LBB60_1035:
	s_mov_b32 s2, exec_lo
	v_cmpx_ne_u32_e32 43, v0
	s_cbranch_execz .LBB60_1039
; %bb.1036:
	v_add_nc_u32_e32 v129, 0x1f8, v38
	v_add3_u32 v130, 0, v38, 8
	v_mov_b32_e32 v131, v0
	s_mov_b32 s3, 0
.LBB60_1037:                            ; =>This Inner Loop Header: Depth=1
	scratch_load_b64 v[132:133], v130, off
	ds_load_b64 v[134:135], v129
	s_wait_xcnt 0x0
	v_dual_add_nc_u32 v129, 8, v129 :: v_dual_add_nc_u32 v130, 8, v130
	s_wait_loadcnt_dscnt 0x0
	v_pk_mul_f32 v[136:137], v[134:135], v[132:133] op_sel:[1,1] op_sel_hi:[0,1]
	s_delay_alu instid0(VALU_DEP_1) | instskip(SKIP_2) | instid1(VALU_DEP_3)
	v_pk_fma_f32 v[138:139], v[134:135], v[132:133], v[136:137] op_sel_hi:[1,0,1]
	v_add_nc_u32_e32 v131, 1, v131
	v_pk_fma_f32 v[132:133], v[134:135], v[132:133], v[136:137] neg_lo:[0,0,1] neg_hi:[0,0,1]
	v_mov_b32_e32 v133, v139
	s_delay_alu instid0(VALU_DEP_3) | instskip(NEXT) | instid1(VALU_DEP_2)
	v_cmp_lt_u32_e32 vcc_lo, 42, v131
	v_pk_add_f32 v[126:127], v[126:127], v[132:133]
	s_or_b32 s3, vcc_lo, s3
	s_delay_alu instid0(SALU_CYCLE_1)
	s_and_not1_b32 exec_lo, exec_lo, s3
	s_cbranch_execnz .LBB60_1037
; %bb.1038:
	s_or_b32 exec_lo, exec_lo, s3
.LBB60_1039:
	s_delay_alu instid0(SALU_CYCLE_1) | instskip(SKIP_4) | instid1(VALU_DEP_1)
	s_or_b32 exec_lo, exec_lo, s2
	v_mov_b32_e32 v129, 0
	ds_load_b64 v[130:131], v129 offset:352
	s_wait_dscnt 0x0
	v_pk_mul_f32 v[132:133], v[126:127], v[130:131] op_sel:[1,1] op_sel_hi:[0,1]
	v_pk_fma_f32 v[134:135], v[126:127], v[130:131], v[132:133] op_sel_hi:[1,0,1]
	v_pk_fma_f32 v[126:127], v[126:127], v[130:131], v[132:133] neg_lo:[0,0,1] neg_hi:[0,0,1]
	s_delay_alu instid0(VALU_DEP_2)
	v_mov_b32_e32 v127, v135
	scratch_store_b64 off, v[126:127], off offset:352
.LBB60_1040:
	s_wait_xcnt 0x0
	s_or_b32 exec_lo, exec_lo, s0
	scratch_load_b64 v[126:127], off, off offset:360
	s_mov_b32 s0, exec_lo
	s_wait_loadcnt 0x0
	ds_store_b64 v1, v[126:127]
	s_wait_storecnt_dscnt 0x0
	s_barrier_signal -1
	s_barrier_wait -1
	s_wait_xcnt 0x0
	v_cmpx_gt_u32_e32 45, v0
	s_cbranch_execz .LBB60_1050
; %bb.1041:
	v_cmp_ne_u32_e32 vcc_lo, 1, v128
	s_cbranch_vccnz .LBB60_1043
; %bb.1042:
	scratch_load_b64 v[126:127], v39, off
	ds_load_b64 v[130:131], v1
	s_wait_loadcnt_dscnt 0x0
	v_pk_mul_f32 v[132:133], v[130:131], v[126:127] op_sel:[1,1] op_sel_hi:[0,1]
	s_delay_alu instid0(VALU_DEP_1) | instskip(SKIP_1) | instid1(VALU_DEP_2)
	v_pk_fma_f32 v[134:135], v[130:131], v[126:127], v[132:133] op_sel_hi:[1,0,1]
	v_pk_fma_f32 v[126:127], v[130:131], v[126:127], v[132:133] neg_lo:[0,0,1] neg_hi:[0,0,1]
	v_mov_b32_e32 v127, v135
	s_cbranch_execz .LBB60_1044
	s_branch .LBB60_1045
.LBB60_1043:
                                        ; implicit-def: $vgpr126_vgpr127
.LBB60_1044:
	ds_load_b64 v[126:127], v1
.LBB60_1045:
	s_mov_b32 s2, exec_lo
	v_cmpx_ne_u32_e32 44, v0
	s_cbranch_execz .LBB60_1049
; %bb.1046:
	v_add_nc_u32_e32 v129, 0x1f8, v38
	v_add3_u32 v130, 0, v38, 8
	v_mov_b32_e32 v131, v0
	s_mov_b32 s3, 0
.LBB60_1047:                            ; =>This Inner Loop Header: Depth=1
	scratch_load_b64 v[132:133], v130, off
	ds_load_b64 v[134:135], v129
	s_wait_xcnt 0x0
	v_dual_add_nc_u32 v129, 8, v129 :: v_dual_add_nc_u32 v130, 8, v130
	s_wait_loadcnt_dscnt 0x0
	v_pk_mul_f32 v[136:137], v[134:135], v[132:133] op_sel:[1,1] op_sel_hi:[0,1]
	s_delay_alu instid0(VALU_DEP_1) | instskip(SKIP_2) | instid1(VALU_DEP_3)
	v_pk_fma_f32 v[138:139], v[134:135], v[132:133], v[136:137] op_sel_hi:[1,0,1]
	v_add_nc_u32_e32 v131, 1, v131
	v_pk_fma_f32 v[132:133], v[134:135], v[132:133], v[136:137] neg_lo:[0,0,1] neg_hi:[0,0,1]
	v_mov_b32_e32 v133, v139
	s_delay_alu instid0(VALU_DEP_3) | instskip(NEXT) | instid1(VALU_DEP_2)
	v_cmp_lt_u32_e32 vcc_lo, 43, v131
	v_pk_add_f32 v[126:127], v[126:127], v[132:133]
	s_or_b32 s3, vcc_lo, s3
	s_delay_alu instid0(SALU_CYCLE_1)
	s_and_not1_b32 exec_lo, exec_lo, s3
	s_cbranch_execnz .LBB60_1047
; %bb.1048:
	s_or_b32 exec_lo, exec_lo, s3
.LBB60_1049:
	s_delay_alu instid0(SALU_CYCLE_1) | instskip(SKIP_4) | instid1(VALU_DEP_1)
	s_or_b32 exec_lo, exec_lo, s2
	v_mov_b32_e32 v129, 0
	ds_load_b64 v[130:131], v129 offset:360
	s_wait_dscnt 0x0
	v_pk_mul_f32 v[132:133], v[126:127], v[130:131] op_sel:[1,1] op_sel_hi:[0,1]
	v_pk_fma_f32 v[134:135], v[126:127], v[130:131], v[132:133] op_sel_hi:[1,0,1]
	v_pk_fma_f32 v[126:127], v[126:127], v[130:131], v[132:133] neg_lo:[0,0,1] neg_hi:[0,0,1]
	s_delay_alu instid0(VALU_DEP_2)
	v_mov_b32_e32 v127, v135
	scratch_store_b64 off, v[126:127], off offset:360
.LBB60_1050:
	s_wait_xcnt 0x0
	s_or_b32 exec_lo, exec_lo, s0
	scratch_load_b64 v[126:127], off, off offset:368
	s_mov_b32 s0, exec_lo
	s_wait_loadcnt 0x0
	ds_store_b64 v1, v[126:127]
	s_wait_storecnt_dscnt 0x0
	s_barrier_signal -1
	s_barrier_wait -1
	s_wait_xcnt 0x0
	v_cmpx_gt_u32_e32 46, v0
	s_cbranch_execz .LBB60_1060
; %bb.1051:
	v_cmp_ne_u32_e32 vcc_lo, 1, v128
	s_cbranch_vccnz .LBB60_1053
; %bb.1052:
	scratch_load_b64 v[126:127], v39, off
	ds_load_b64 v[130:131], v1
	s_wait_loadcnt_dscnt 0x0
	v_pk_mul_f32 v[132:133], v[130:131], v[126:127] op_sel:[1,1] op_sel_hi:[0,1]
	s_delay_alu instid0(VALU_DEP_1) | instskip(SKIP_1) | instid1(VALU_DEP_2)
	v_pk_fma_f32 v[134:135], v[130:131], v[126:127], v[132:133] op_sel_hi:[1,0,1]
	v_pk_fma_f32 v[126:127], v[130:131], v[126:127], v[132:133] neg_lo:[0,0,1] neg_hi:[0,0,1]
	v_mov_b32_e32 v127, v135
	s_cbranch_execz .LBB60_1054
	s_branch .LBB60_1055
.LBB60_1053:
                                        ; implicit-def: $vgpr126_vgpr127
.LBB60_1054:
	ds_load_b64 v[126:127], v1
.LBB60_1055:
	s_mov_b32 s2, exec_lo
	v_cmpx_ne_u32_e32 45, v0
	s_cbranch_execz .LBB60_1059
; %bb.1056:
	v_add_nc_u32_e32 v129, 0x1f8, v38
	v_add3_u32 v130, 0, v38, 8
	v_mov_b32_e32 v131, v0
	s_mov_b32 s3, 0
.LBB60_1057:                            ; =>This Inner Loop Header: Depth=1
	scratch_load_b64 v[132:133], v130, off
	ds_load_b64 v[134:135], v129
	s_wait_xcnt 0x0
	v_dual_add_nc_u32 v129, 8, v129 :: v_dual_add_nc_u32 v130, 8, v130
	s_wait_loadcnt_dscnt 0x0
	v_pk_mul_f32 v[136:137], v[134:135], v[132:133] op_sel:[1,1] op_sel_hi:[0,1]
	s_delay_alu instid0(VALU_DEP_1) | instskip(SKIP_2) | instid1(VALU_DEP_3)
	v_pk_fma_f32 v[138:139], v[134:135], v[132:133], v[136:137] op_sel_hi:[1,0,1]
	v_add_nc_u32_e32 v131, 1, v131
	v_pk_fma_f32 v[132:133], v[134:135], v[132:133], v[136:137] neg_lo:[0,0,1] neg_hi:[0,0,1]
	v_mov_b32_e32 v133, v139
	s_delay_alu instid0(VALU_DEP_3) | instskip(NEXT) | instid1(VALU_DEP_2)
	v_cmp_lt_u32_e32 vcc_lo, 44, v131
	v_pk_add_f32 v[126:127], v[126:127], v[132:133]
	s_or_b32 s3, vcc_lo, s3
	s_delay_alu instid0(SALU_CYCLE_1)
	s_and_not1_b32 exec_lo, exec_lo, s3
	s_cbranch_execnz .LBB60_1057
; %bb.1058:
	s_or_b32 exec_lo, exec_lo, s3
.LBB60_1059:
	s_delay_alu instid0(SALU_CYCLE_1) | instskip(SKIP_4) | instid1(VALU_DEP_1)
	s_or_b32 exec_lo, exec_lo, s2
	v_mov_b32_e32 v129, 0
	ds_load_b64 v[130:131], v129 offset:368
	s_wait_dscnt 0x0
	v_pk_mul_f32 v[132:133], v[126:127], v[130:131] op_sel:[1,1] op_sel_hi:[0,1]
	v_pk_fma_f32 v[134:135], v[126:127], v[130:131], v[132:133] op_sel_hi:[1,0,1]
	v_pk_fma_f32 v[126:127], v[126:127], v[130:131], v[132:133] neg_lo:[0,0,1] neg_hi:[0,0,1]
	s_delay_alu instid0(VALU_DEP_2)
	v_mov_b32_e32 v127, v135
	scratch_store_b64 off, v[126:127], off offset:368
.LBB60_1060:
	s_wait_xcnt 0x0
	s_or_b32 exec_lo, exec_lo, s0
	scratch_load_b64 v[126:127], off, off offset:376
	s_mov_b32 s0, exec_lo
	s_wait_loadcnt 0x0
	ds_store_b64 v1, v[126:127]
	s_wait_storecnt_dscnt 0x0
	s_barrier_signal -1
	s_barrier_wait -1
	s_wait_xcnt 0x0
	v_cmpx_gt_u32_e32 47, v0
	s_cbranch_execz .LBB60_1070
; %bb.1061:
	v_cmp_ne_u32_e32 vcc_lo, 1, v128
	s_cbranch_vccnz .LBB60_1063
; %bb.1062:
	scratch_load_b64 v[126:127], v39, off
	ds_load_b64 v[130:131], v1
	s_wait_loadcnt_dscnt 0x0
	v_pk_mul_f32 v[132:133], v[130:131], v[126:127] op_sel:[1,1] op_sel_hi:[0,1]
	s_delay_alu instid0(VALU_DEP_1) | instskip(SKIP_1) | instid1(VALU_DEP_2)
	v_pk_fma_f32 v[134:135], v[130:131], v[126:127], v[132:133] op_sel_hi:[1,0,1]
	v_pk_fma_f32 v[126:127], v[130:131], v[126:127], v[132:133] neg_lo:[0,0,1] neg_hi:[0,0,1]
	v_mov_b32_e32 v127, v135
	s_cbranch_execz .LBB60_1064
	s_branch .LBB60_1065
.LBB60_1063:
                                        ; implicit-def: $vgpr126_vgpr127
.LBB60_1064:
	ds_load_b64 v[126:127], v1
.LBB60_1065:
	s_mov_b32 s2, exec_lo
	v_cmpx_ne_u32_e32 46, v0
	s_cbranch_execz .LBB60_1069
; %bb.1066:
	v_add_nc_u32_e32 v129, 0x1f8, v38
	v_add3_u32 v130, 0, v38, 8
	v_mov_b32_e32 v131, v0
	s_mov_b32 s3, 0
.LBB60_1067:                            ; =>This Inner Loop Header: Depth=1
	scratch_load_b64 v[132:133], v130, off
	ds_load_b64 v[134:135], v129
	s_wait_xcnt 0x0
	v_dual_add_nc_u32 v129, 8, v129 :: v_dual_add_nc_u32 v130, 8, v130
	s_wait_loadcnt_dscnt 0x0
	v_pk_mul_f32 v[136:137], v[134:135], v[132:133] op_sel:[1,1] op_sel_hi:[0,1]
	s_delay_alu instid0(VALU_DEP_1) | instskip(SKIP_2) | instid1(VALU_DEP_3)
	v_pk_fma_f32 v[138:139], v[134:135], v[132:133], v[136:137] op_sel_hi:[1,0,1]
	v_add_nc_u32_e32 v131, 1, v131
	v_pk_fma_f32 v[132:133], v[134:135], v[132:133], v[136:137] neg_lo:[0,0,1] neg_hi:[0,0,1]
	v_mov_b32_e32 v133, v139
	s_delay_alu instid0(VALU_DEP_3) | instskip(NEXT) | instid1(VALU_DEP_2)
	v_cmp_lt_u32_e32 vcc_lo, 45, v131
	v_pk_add_f32 v[126:127], v[126:127], v[132:133]
	s_or_b32 s3, vcc_lo, s3
	s_delay_alu instid0(SALU_CYCLE_1)
	s_and_not1_b32 exec_lo, exec_lo, s3
	s_cbranch_execnz .LBB60_1067
; %bb.1068:
	s_or_b32 exec_lo, exec_lo, s3
.LBB60_1069:
	s_delay_alu instid0(SALU_CYCLE_1) | instskip(SKIP_4) | instid1(VALU_DEP_1)
	s_or_b32 exec_lo, exec_lo, s2
	v_mov_b32_e32 v129, 0
	ds_load_b64 v[130:131], v129 offset:376
	s_wait_dscnt 0x0
	v_pk_mul_f32 v[132:133], v[126:127], v[130:131] op_sel:[1,1] op_sel_hi:[0,1]
	v_pk_fma_f32 v[134:135], v[126:127], v[130:131], v[132:133] op_sel_hi:[1,0,1]
	v_pk_fma_f32 v[126:127], v[126:127], v[130:131], v[132:133] neg_lo:[0,0,1] neg_hi:[0,0,1]
	s_delay_alu instid0(VALU_DEP_2)
	v_mov_b32_e32 v127, v135
	scratch_store_b64 off, v[126:127], off offset:376
.LBB60_1070:
	s_wait_xcnt 0x0
	s_or_b32 exec_lo, exec_lo, s0
	scratch_load_b64 v[126:127], off, off offset:384
	s_mov_b32 s0, exec_lo
	s_wait_loadcnt 0x0
	ds_store_b64 v1, v[126:127]
	s_wait_storecnt_dscnt 0x0
	s_barrier_signal -1
	s_barrier_wait -1
	s_wait_xcnt 0x0
	v_cmpx_gt_u32_e32 48, v0
	s_cbranch_execz .LBB60_1080
; %bb.1071:
	v_cmp_ne_u32_e32 vcc_lo, 1, v128
	s_cbranch_vccnz .LBB60_1073
; %bb.1072:
	scratch_load_b64 v[126:127], v39, off
	ds_load_b64 v[130:131], v1
	s_wait_loadcnt_dscnt 0x0
	v_pk_mul_f32 v[132:133], v[130:131], v[126:127] op_sel:[1,1] op_sel_hi:[0,1]
	s_delay_alu instid0(VALU_DEP_1) | instskip(SKIP_1) | instid1(VALU_DEP_2)
	v_pk_fma_f32 v[134:135], v[130:131], v[126:127], v[132:133] op_sel_hi:[1,0,1]
	v_pk_fma_f32 v[126:127], v[130:131], v[126:127], v[132:133] neg_lo:[0,0,1] neg_hi:[0,0,1]
	v_mov_b32_e32 v127, v135
	s_cbranch_execz .LBB60_1074
	s_branch .LBB60_1075
.LBB60_1073:
                                        ; implicit-def: $vgpr126_vgpr127
.LBB60_1074:
	ds_load_b64 v[126:127], v1
.LBB60_1075:
	s_mov_b32 s2, exec_lo
	v_cmpx_ne_u32_e32 47, v0
	s_cbranch_execz .LBB60_1079
; %bb.1076:
	v_add_nc_u32_e32 v129, 0x1f8, v38
	v_add3_u32 v130, 0, v38, 8
	v_mov_b32_e32 v131, v0
	s_mov_b32 s3, 0
.LBB60_1077:                            ; =>This Inner Loop Header: Depth=1
	scratch_load_b64 v[132:133], v130, off
	ds_load_b64 v[134:135], v129
	s_wait_xcnt 0x0
	v_dual_add_nc_u32 v129, 8, v129 :: v_dual_add_nc_u32 v130, 8, v130
	s_wait_loadcnt_dscnt 0x0
	v_pk_mul_f32 v[136:137], v[134:135], v[132:133] op_sel:[1,1] op_sel_hi:[0,1]
	s_delay_alu instid0(VALU_DEP_1) | instskip(SKIP_2) | instid1(VALU_DEP_3)
	v_pk_fma_f32 v[138:139], v[134:135], v[132:133], v[136:137] op_sel_hi:[1,0,1]
	v_add_nc_u32_e32 v131, 1, v131
	v_pk_fma_f32 v[132:133], v[134:135], v[132:133], v[136:137] neg_lo:[0,0,1] neg_hi:[0,0,1]
	v_mov_b32_e32 v133, v139
	s_delay_alu instid0(VALU_DEP_3) | instskip(NEXT) | instid1(VALU_DEP_2)
	v_cmp_lt_u32_e32 vcc_lo, 46, v131
	v_pk_add_f32 v[126:127], v[126:127], v[132:133]
	s_or_b32 s3, vcc_lo, s3
	s_delay_alu instid0(SALU_CYCLE_1)
	s_and_not1_b32 exec_lo, exec_lo, s3
	s_cbranch_execnz .LBB60_1077
; %bb.1078:
	s_or_b32 exec_lo, exec_lo, s3
.LBB60_1079:
	s_delay_alu instid0(SALU_CYCLE_1) | instskip(SKIP_4) | instid1(VALU_DEP_1)
	s_or_b32 exec_lo, exec_lo, s2
	v_mov_b32_e32 v129, 0
	ds_load_b64 v[130:131], v129 offset:384
	s_wait_dscnt 0x0
	v_pk_mul_f32 v[132:133], v[126:127], v[130:131] op_sel:[1,1] op_sel_hi:[0,1]
	v_pk_fma_f32 v[134:135], v[126:127], v[130:131], v[132:133] op_sel_hi:[1,0,1]
	v_pk_fma_f32 v[126:127], v[126:127], v[130:131], v[132:133] neg_lo:[0,0,1] neg_hi:[0,0,1]
	s_delay_alu instid0(VALU_DEP_2)
	v_mov_b32_e32 v127, v135
	scratch_store_b64 off, v[126:127], off offset:384
.LBB60_1080:
	s_wait_xcnt 0x0
	s_or_b32 exec_lo, exec_lo, s0
	scratch_load_b64 v[126:127], off, off offset:392
	s_mov_b32 s0, exec_lo
	s_wait_loadcnt 0x0
	ds_store_b64 v1, v[126:127]
	s_wait_storecnt_dscnt 0x0
	s_barrier_signal -1
	s_barrier_wait -1
	s_wait_xcnt 0x0
	v_cmpx_gt_u32_e32 49, v0
	s_cbranch_execz .LBB60_1090
; %bb.1081:
	v_cmp_ne_u32_e32 vcc_lo, 1, v128
	s_cbranch_vccnz .LBB60_1083
; %bb.1082:
	scratch_load_b64 v[126:127], v39, off
	ds_load_b64 v[130:131], v1
	s_wait_loadcnt_dscnt 0x0
	v_pk_mul_f32 v[132:133], v[130:131], v[126:127] op_sel:[1,1] op_sel_hi:[0,1]
	s_delay_alu instid0(VALU_DEP_1) | instskip(SKIP_1) | instid1(VALU_DEP_2)
	v_pk_fma_f32 v[134:135], v[130:131], v[126:127], v[132:133] op_sel_hi:[1,0,1]
	v_pk_fma_f32 v[126:127], v[130:131], v[126:127], v[132:133] neg_lo:[0,0,1] neg_hi:[0,0,1]
	v_mov_b32_e32 v127, v135
	s_cbranch_execz .LBB60_1084
	s_branch .LBB60_1085
.LBB60_1083:
                                        ; implicit-def: $vgpr126_vgpr127
.LBB60_1084:
	ds_load_b64 v[126:127], v1
.LBB60_1085:
	s_mov_b32 s2, exec_lo
	v_cmpx_ne_u32_e32 48, v0
	s_cbranch_execz .LBB60_1089
; %bb.1086:
	v_add_nc_u32_e32 v129, 0x1f8, v38
	v_add3_u32 v130, 0, v38, 8
	v_mov_b32_e32 v131, v0
	s_mov_b32 s3, 0
.LBB60_1087:                            ; =>This Inner Loop Header: Depth=1
	scratch_load_b64 v[132:133], v130, off
	ds_load_b64 v[134:135], v129
	s_wait_xcnt 0x0
	v_dual_add_nc_u32 v129, 8, v129 :: v_dual_add_nc_u32 v130, 8, v130
	s_wait_loadcnt_dscnt 0x0
	v_pk_mul_f32 v[136:137], v[134:135], v[132:133] op_sel:[1,1] op_sel_hi:[0,1]
	s_delay_alu instid0(VALU_DEP_1) | instskip(SKIP_2) | instid1(VALU_DEP_3)
	v_pk_fma_f32 v[138:139], v[134:135], v[132:133], v[136:137] op_sel_hi:[1,0,1]
	v_add_nc_u32_e32 v131, 1, v131
	v_pk_fma_f32 v[132:133], v[134:135], v[132:133], v[136:137] neg_lo:[0,0,1] neg_hi:[0,0,1]
	v_mov_b32_e32 v133, v139
	s_delay_alu instid0(VALU_DEP_3) | instskip(NEXT) | instid1(VALU_DEP_2)
	v_cmp_lt_u32_e32 vcc_lo, 47, v131
	v_pk_add_f32 v[126:127], v[126:127], v[132:133]
	s_or_b32 s3, vcc_lo, s3
	s_delay_alu instid0(SALU_CYCLE_1)
	s_and_not1_b32 exec_lo, exec_lo, s3
	s_cbranch_execnz .LBB60_1087
; %bb.1088:
	s_or_b32 exec_lo, exec_lo, s3
.LBB60_1089:
	s_delay_alu instid0(SALU_CYCLE_1) | instskip(SKIP_4) | instid1(VALU_DEP_1)
	s_or_b32 exec_lo, exec_lo, s2
	v_mov_b32_e32 v129, 0
	ds_load_b64 v[130:131], v129 offset:392
	s_wait_dscnt 0x0
	v_pk_mul_f32 v[132:133], v[126:127], v[130:131] op_sel:[1,1] op_sel_hi:[0,1]
	v_pk_fma_f32 v[134:135], v[126:127], v[130:131], v[132:133] op_sel_hi:[1,0,1]
	v_pk_fma_f32 v[126:127], v[126:127], v[130:131], v[132:133] neg_lo:[0,0,1] neg_hi:[0,0,1]
	s_delay_alu instid0(VALU_DEP_2)
	v_mov_b32_e32 v127, v135
	scratch_store_b64 off, v[126:127], off offset:392
.LBB60_1090:
	s_wait_xcnt 0x0
	s_or_b32 exec_lo, exec_lo, s0
	scratch_load_b64 v[126:127], off, off offset:400
	s_mov_b32 s0, exec_lo
	s_wait_loadcnt 0x0
	ds_store_b64 v1, v[126:127]
	s_wait_storecnt_dscnt 0x0
	s_barrier_signal -1
	s_barrier_wait -1
	s_wait_xcnt 0x0
	v_cmpx_gt_u32_e32 50, v0
	s_cbranch_execz .LBB60_1100
; %bb.1091:
	v_cmp_ne_u32_e32 vcc_lo, 1, v128
	s_cbranch_vccnz .LBB60_1093
; %bb.1092:
	scratch_load_b64 v[126:127], v39, off
	ds_load_b64 v[130:131], v1
	s_wait_loadcnt_dscnt 0x0
	v_pk_mul_f32 v[132:133], v[130:131], v[126:127] op_sel:[1,1] op_sel_hi:[0,1]
	s_delay_alu instid0(VALU_DEP_1) | instskip(SKIP_1) | instid1(VALU_DEP_2)
	v_pk_fma_f32 v[134:135], v[130:131], v[126:127], v[132:133] op_sel_hi:[1,0,1]
	v_pk_fma_f32 v[126:127], v[130:131], v[126:127], v[132:133] neg_lo:[0,0,1] neg_hi:[0,0,1]
	v_mov_b32_e32 v127, v135
	s_cbranch_execz .LBB60_1094
	s_branch .LBB60_1095
.LBB60_1093:
                                        ; implicit-def: $vgpr126_vgpr127
.LBB60_1094:
	ds_load_b64 v[126:127], v1
.LBB60_1095:
	s_mov_b32 s2, exec_lo
	v_cmpx_ne_u32_e32 49, v0
	s_cbranch_execz .LBB60_1099
; %bb.1096:
	v_add_nc_u32_e32 v129, 0x1f8, v38
	v_add3_u32 v130, 0, v38, 8
	v_mov_b32_e32 v131, v0
	s_mov_b32 s3, 0
.LBB60_1097:                            ; =>This Inner Loop Header: Depth=1
	scratch_load_b64 v[132:133], v130, off
	ds_load_b64 v[134:135], v129
	s_wait_xcnt 0x0
	v_dual_add_nc_u32 v129, 8, v129 :: v_dual_add_nc_u32 v130, 8, v130
	s_wait_loadcnt_dscnt 0x0
	v_pk_mul_f32 v[136:137], v[134:135], v[132:133] op_sel:[1,1] op_sel_hi:[0,1]
	s_delay_alu instid0(VALU_DEP_1) | instskip(SKIP_2) | instid1(VALU_DEP_3)
	v_pk_fma_f32 v[138:139], v[134:135], v[132:133], v[136:137] op_sel_hi:[1,0,1]
	v_add_nc_u32_e32 v131, 1, v131
	v_pk_fma_f32 v[132:133], v[134:135], v[132:133], v[136:137] neg_lo:[0,0,1] neg_hi:[0,0,1]
	v_mov_b32_e32 v133, v139
	s_delay_alu instid0(VALU_DEP_3) | instskip(NEXT) | instid1(VALU_DEP_2)
	v_cmp_lt_u32_e32 vcc_lo, 48, v131
	v_pk_add_f32 v[126:127], v[126:127], v[132:133]
	s_or_b32 s3, vcc_lo, s3
	s_delay_alu instid0(SALU_CYCLE_1)
	s_and_not1_b32 exec_lo, exec_lo, s3
	s_cbranch_execnz .LBB60_1097
; %bb.1098:
	s_or_b32 exec_lo, exec_lo, s3
.LBB60_1099:
	s_delay_alu instid0(SALU_CYCLE_1) | instskip(SKIP_4) | instid1(VALU_DEP_1)
	s_or_b32 exec_lo, exec_lo, s2
	v_mov_b32_e32 v129, 0
	ds_load_b64 v[130:131], v129 offset:400
	s_wait_dscnt 0x0
	v_pk_mul_f32 v[132:133], v[126:127], v[130:131] op_sel:[1,1] op_sel_hi:[0,1]
	v_pk_fma_f32 v[134:135], v[126:127], v[130:131], v[132:133] op_sel_hi:[1,0,1]
	v_pk_fma_f32 v[126:127], v[126:127], v[130:131], v[132:133] neg_lo:[0,0,1] neg_hi:[0,0,1]
	s_delay_alu instid0(VALU_DEP_2)
	v_mov_b32_e32 v127, v135
	scratch_store_b64 off, v[126:127], off offset:400
.LBB60_1100:
	s_wait_xcnt 0x0
	s_or_b32 exec_lo, exec_lo, s0
	scratch_load_b64 v[126:127], off, off offset:408
	s_mov_b32 s0, exec_lo
	s_wait_loadcnt 0x0
	ds_store_b64 v1, v[126:127]
	s_wait_storecnt_dscnt 0x0
	s_barrier_signal -1
	s_barrier_wait -1
	s_wait_xcnt 0x0
	v_cmpx_gt_u32_e32 51, v0
	s_cbranch_execz .LBB60_1110
; %bb.1101:
	v_cmp_ne_u32_e32 vcc_lo, 1, v128
	s_cbranch_vccnz .LBB60_1103
; %bb.1102:
	scratch_load_b64 v[126:127], v39, off
	ds_load_b64 v[130:131], v1
	s_wait_loadcnt_dscnt 0x0
	v_pk_mul_f32 v[132:133], v[130:131], v[126:127] op_sel:[1,1] op_sel_hi:[0,1]
	s_delay_alu instid0(VALU_DEP_1) | instskip(SKIP_1) | instid1(VALU_DEP_2)
	v_pk_fma_f32 v[134:135], v[130:131], v[126:127], v[132:133] op_sel_hi:[1,0,1]
	v_pk_fma_f32 v[126:127], v[130:131], v[126:127], v[132:133] neg_lo:[0,0,1] neg_hi:[0,0,1]
	v_mov_b32_e32 v127, v135
	s_cbranch_execz .LBB60_1104
	s_branch .LBB60_1105
.LBB60_1103:
                                        ; implicit-def: $vgpr126_vgpr127
.LBB60_1104:
	ds_load_b64 v[126:127], v1
.LBB60_1105:
	s_mov_b32 s2, exec_lo
	v_cmpx_ne_u32_e32 50, v0
	s_cbranch_execz .LBB60_1109
; %bb.1106:
	v_add_nc_u32_e32 v129, 0x1f8, v38
	v_add3_u32 v130, 0, v38, 8
	v_mov_b32_e32 v131, v0
	s_mov_b32 s3, 0
.LBB60_1107:                            ; =>This Inner Loop Header: Depth=1
	scratch_load_b64 v[132:133], v130, off
	ds_load_b64 v[134:135], v129
	s_wait_xcnt 0x0
	v_dual_add_nc_u32 v129, 8, v129 :: v_dual_add_nc_u32 v130, 8, v130
	s_wait_loadcnt_dscnt 0x0
	v_pk_mul_f32 v[136:137], v[134:135], v[132:133] op_sel:[1,1] op_sel_hi:[0,1]
	s_delay_alu instid0(VALU_DEP_1) | instskip(SKIP_2) | instid1(VALU_DEP_3)
	v_pk_fma_f32 v[138:139], v[134:135], v[132:133], v[136:137] op_sel_hi:[1,0,1]
	v_add_nc_u32_e32 v131, 1, v131
	v_pk_fma_f32 v[132:133], v[134:135], v[132:133], v[136:137] neg_lo:[0,0,1] neg_hi:[0,0,1]
	v_mov_b32_e32 v133, v139
	s_delay_alu instid0(VALU_DEP_3) | instskip(NEXT) | instid1(VALU_DEP_2)
	v_cmp_lt_u32_e32 vcc_lo, 49, v131
	v_pk_add_f32 v[126:127], v[126:127], v[132:133]
	s_or_b32 s3, vcc_lo, s3
	s_delay_alu instid0(SALU_CYCLE_1)
	s_and_not1_b32 exec_lo, exec_lo, s3
	s_cbranch_execnz .LBB60_1107
; %bb.1108:
	s_or_b32 exec_lo, exec_lo, s3
.LBB60_1109:
	s_delay_alu instid0(SALU_CYCLE_1) | instskip(SKIP_4) | instid1(VALU_DEP_1)
	s_or_b32 exec_lo, exec_lo, s2
	v_mov_b32_e32 v129, 0
	ds_load_b64 v[130:131], v129 offset:408
	s_wait_dscnt 0x0
	v_pk_mul_f32 v[132:133], v[126:127], v[130:131] op_sel:[1,1] op_sel_hi:[0,1]
	v_pk_fma_f32 v[134:135], v[126:127], v[130:131], v[132:133] op_sel_hi:[1,0,1]
	v_pk_fma_f32 v[126:127], v[126:127], v[130:131], v[132:133] neg_lo:[0,0,1] neg_hi:[0,0,1]
	s_delay_alu instid0(VALU_DEP_2)
	v_mov_b32_e32 v127, v135
	scratch_store_b64 off, v[126:127], off offset:408
.LBB60_1110:
	s_wait_xcnt 0x0
	s_or_b32 exec_lo, exec_lo, s0
	scratch_load_b64 v[126:127], off, off offset:416
	s_mov_b32 s0, exec_lo
	s_wait_loadcnt 0x0
	ds_store_b64 v1, v[126:127]
	s_wait_storecnt_dscnt 0x0
	s_barrier_signal -1
	s_barrier_wait -1
	s_wait_xcnt 0x0
	v_cmpx_gt_u32_e32 52, v0
	s_cbranch_execz .LBB60_1120
; %bb.1111:
	v_cmp_ne_u32_e32 vcc_lo, 1, v128
	s_cbranch_vccnz .LBB60_1113
; %bb.1112:
	scratch_load_b64 v[126:127], v39, off
	ds_load_b64 v[130:131], v1
	s_wait_loadcnt_dscnt 0x0
	v_pk_mul_f32 v[132:133], v[130:131], v[126:127] op_sel:[1,1] op_sel_hi:[0,1]
	s_delay_alu instid0(VALU_DEP_1) | instskip(SKIP_1) | instid1(VALU_DEP_2)
	v_pk_fma_f32 v[134:135], v[130:131], v[126:127], v[132:133] op_sel_hi:[1,0,1]
	v_pk_fma_f32 v[126:127], v[130:131], v[126:127], v[132:133] neg_lo:[0,0,1] neg_hi:[0,0,1]
	v_mov_b32_e32 v127, v135
	s_cbranch_execz .LBB60_1114
	s_branch .LBB60_1115
.LBB60_1113:
                                        ; implicit-def: $vgpr126_vgpr127
.LBB60_1114:
	ds_load_b64 v[126:127], v1
.LBB60_1115:
	s_mov_b32 s2, exec_lo
	v_cmpx_ne_u32_e32 51, v0
	s_cbranch_execz .LBB60_1119
; %bb.1116:
	v_add_nc_u32_e32 v129, 0x1f8, v38
	v_add3_u32 v130, 0, v38, 8
	v_mov_b32_e32 v131, v0
	s_mov_b32 s3, 0
.LBB60_1117:                            ; =>This Inner Loop Header: Depth=1
	scratch_load_b64 v[132:133], v130, off
	ds_load_b64 v[134:135], v129
	s_wait_xcnt 0x0
	v_dual_add_nc_u32 v129, 8, v129 :: v_dual_add_nc_u32 v130, 8, v130
	s_wait_loadcnt_dscnt 0x0
	v_pk_mul_f32 v[136:137], v[134:135], v[132:133] op_sel:[1,1] op_sel_hi:[0,1]
	s_delay_alu instid0(VALU_DEP_1) | instskip(SKIP_2) | instid1(VALU_DEP_3)
	v_pk_fma_f32 v[138:139], v[134:135], v[132:133], v[136:137] op_sel_hi:[1,0,1]
	v_add_nc_u32_e32 v131, 1, v131
	v_pk_fma_f32 v[132:133], v[134:135], v[132:133], v[136:137] neg_lo:[0,0,1] neg_hi:[0,0,1]
	v_mov_b32_e32 v133, v139
	s_delay_alu instid0(VALU_DEP_3) | instskip(NEXT) | instid1(VALU_DEP_2)
	v_cmp_lt_u32_e32 vcc_lo, 50, v131
	v_pk_add_f32 v[126:127], v[126:127], v[132:133]
	s_or_b32 s3, vcc_lo, s3
	s_delay_alu instid0(SALU_CYCLE_1)
	s_and_not1_b32 exec_lo, exec_lo, s3
	s_cbranch_execnz .LBB60_1117
; %bb.1118:
	s_or_b32 exec_lo, exec_lo, s3
.LBB60_1119:
	s_delay_alu instid0(SALU_CYCLE_1) | instskip(SKIP_4) | instid1(VALU_DEP_1)
	s_or_b32 exec_lo, exec_lo, s2
	v_mov_b32_e32 v129, 0
	ds_load_b64 v[130:131], v129 offset:416
	s_wait_dscnt 0x0
	v_pk_mul_f32 v[132:133], v[126:127], v[130:131] op_sel:[1,1] op_sel_hi:[0,1]
	v_pk_fma_f32 v[134:135], v[126:127], v[130:131], v[132:133] op_sel_hi:[1,0,1]
	v_pk_fma_f32 v[126:127], v[126:127], v[130:131], v[132:133] neg_lo:[0,0,1] neg_hi:[0,0,1]
	s_delay_alu instid0(VALU_DEP_2)
	v_mov_b32_e32 v127, v135
	scratch_store_b64 off, v[126:127], off offset:416
.LBB60_1120:
	s_wait_xcnt 0x0
	s_or_b32 exec_lo, exec_lo, s0
	scratch_load_b64 v[126:127], off, off offset:424
	s_mov_b32 s0, exec_lo
	s_wait_loadcnt 0x0
	ds_store_b64 v1, v[126:127]
	s_wait_storecnt_dscnt 0x0
	s_barrier_signal -1
	s_barrier_wait -1
	s_wait_xcnt 0x0
	v_cmpx_gt_u32_e32 53, v0
	s_cbranch_execz .LBB60_1130
; %bb.1121:
	v_cmp_ne_u32_e32 vcc_lo, 1, v128
	s_cbranch_vccnz .LBB60_1123
; %bb.1122:
	scratch_load_b64 v[126:127], v39, off
	ds_load_b64 v[130:131], v1
	s_wait_loadcnt_dscnt 0x0
	v_pk_mul_f32 v[132:133], v[130:131], v[126:127] op_sel:[1,1] op_sel_hi:[0,1]
	s_delay_alu instid0(VALU_DEP_1) | instskip(SKIP_1) | instid1(VALU_DEP_2)
	v_pk_fma_f32 v[134:135], v[130:131], v[126:127], v[132:133] op_sel_hi:[1,0,1]
	v_pk_fma_f32 v[126:127], v[130:131], v[126:127], v[132:133] neg_lo:[0,0,1] neg_hi:[0,0,1]
	v_mov_b32_e32 v127, v135
	s_cbranch_execz .LBB60_1124
	s_branch .LBB60_1125
.LBB60_1123:
                                        ; implicit-def: $vgpr126_vgpr127
.LBB60_1124:
	ds_load_b64 v[126:127], v1
.LBB60_1125:
	s_mov_b32 s2, exec_lo
	v_cmpx_ne_u32_e32 52, v0
	s_cbranch_execz .LBB60_1129
; %bb.1126:
	v_add_nc_u32_e32 v129, 0x1f8, v38
	v_add3_u32 v130, 0, v38, 8
	v_mov_b32_e32 v131, v0
	s_mov_b32 s3, 0
.LBB60_1127:                            ; =>This Inner Loop Header: Depth=1
	scratch_load_b64 v[132:133], v130, off
	ds_load_b64 v[134:135], v129
	s_wait_xcnt 0x0
	v_dual_add_nc_u32 v129, 8, v129 :: v_dual_add_nc_u32 v130, 8, v130
	s_wait_loadcnt_dscnt 0x0
	v_pk_mul_f32 v[136:137], v[134:135], v[132:133] op_sel:[1,1] op_sel_hi:[0,1]
	s_delay_alu instid0(VALU_DEP_1) | instskip(SKIP_2) | instid1(VALU_DEP_3)
	v_pk_fma_f32 v[138:139], v[134:135], v[132:133], v[136:137] op_sel_hi:[1,0,1]
	v_add_nc_u32_e32 v131, 1, v131
	v_pk_fma_f32 v[132:133], v[134:135], v[132:133], v[136:137] neg_lo:[0,0,1] neg_hi:[0,0,1]
	v_mov_b32_e32 v133, v139
	s_delay_alu instid0(VALU_DEP_3) | instskip(NEXT) | instid1(VALU_DEP_2)
	v_cmp_lt_u32_e32 vcc_lo, 51, v131
	v_pk_add_f32 v[126:127], v[126:127], v[132:133]
	s_or_b32 s3, vcc_lo, s3
	s_delay_alu instid0(SALU_CYCLE_1)
	s_and_not1_b32 exec_lo, exec_lo, s3
	s_cbranch_execnz .LBB60_1127
; %bb.1128:
	s_or_b32 exec_lo, exec_lo, s3
.LBB60_1129:
	s_delay_alu instid0(SALU_CYCLE_1) | instskip(SKIP_4) | instid1(VALU_DEP_1)
	s_or_b32 exec_lo, exec_lo, s2
	v_mov_b32_e32 v129, 0
	ds_load_b64 v[130:131], v129 offset:424
	s_wait_dscnt 0x0
	v_pk_mul_f32 v[132:133], v[126:127], v[130:131] op_sel:[1,1] op_sel_hi:[0,1]
	v_pk_fma_f32 v[134:135], v[126:127], v[130:131], v[132:133] op_sel_hi:[1,0,1]
	v_pk_fma_f32 v[126:127], v[126:127], v[130:131], v[132:133] neg_lo:[0,0,1] neg_hi:[0,0,1]
	s_delay_alu instid0(VALU_DEP_2)
	v_mov_b32_e32 v127, v135
	scratch_store_b64 off, v[126:127], off offset:424
.LBB60_1130:
	s_wait_xcnt 0x0
	s_or_b32 exec_lo, exec_lo, s0
	scratch_load_b64 v[126:127], off, off offset:432
	s_mov_b32 s0, exec_lo
	s_wait_loadcnt 0x0
	ds_store_b64 v1, v[126:127]
	s_wait_storecnt_dscnt 0x0
	s_barrier_signal -1
	s_barrier_wait -1
	s_wait_xcnt 0x0
	v_cmpx_gt_u32_e32 54, v0
	s_cbranch_execz .LBB60_1140
; %bb.1131:
	v_cmp_ne_u32_e32 vcc_lo, 1, v128
	s_cbranch_vccnz .LBB60_1133
; %bb.1132:
	scratch_load_b64 v[126:127], v39, off
	ds_load_b64 v[130:131], v1
	s_wait_loadcnt_dscnt 0x0
	v_pk_mul_f32 v[132:133], v[130:131], v[126:127] op_sel:[1,1] op_sel_hi:[0,1]
	s_delay_alu instid0(VALU_DEP_1) | instskip(SKIP_1) | instid1(VALU_DEP_2)
	v_pk_fma_f32 v[134:135], v[130:131], v[126:127], v[132:133] op_sel_hi:[1,0,1]
	v_pk_fma_f32 v[126:127], v[130:131], v[126:127], v[132:133] neg_lo:[0,0,1] neg_hi:[0,0,1]
	v_mov_b32_e32 v127, v135
	s_cbranch_execz .LBB60_1134
	s_branch .LBB60_1135
.LBB60_1133:
                                        ; implicit-def: $vgpr126_vgpr127
.LBB60_1134:
	ds_load_b64 v[126:127], v1
.LBB60_1135:
	s_mov_b32 s2, exec_lo
	v_cmpx_ne_u32_e32 53, v0
	s_cbranch_execz .LBB60_1139
; %bb.1136:
	v_add_nc_u32_e32 v129, 0x1f8, v38
	v_add3_u32 v130, 0, v38, 8
	v_mov_b32_e32 v131, v0
	s_mov_b32 s3, 0
.LBB60_1137:                            ; =>This Inner Loop Header: Depth=1
	scratch_load_b64 v[132:133], v130, off
	ds_load_b64 v[134:135], v129
	s_wait_xcnt 0x0
	v_dual_add_nc_u32 v129, 8, v129 :: v_dual_add_nc_u32 v130, 8, v130
	s_wait_loadcnt_dscnt 0x0
	v_pk_mul_f32 v[136:137], v[134:135], v[132:133] op_sel:[1,1] op_sel_hi:[0,1]
	s_delay_alu instid0(VALU_DEP_1) | instskip(SKIP_2) | instid1(VALU_DEP_3)
	v_pk_fma_f32 v[138:139], v[134:135], v[132:133], v[136:137] op_sel_hi:[1,0,1]
	v_add_nc_u32_e32 v131, 1, v131
	v_pk_fma_f32 v[132:133], v[134:135], v[132:133], v[136:137] neg_lo:[0,0,1] neg_hi:[0,0,1]
	v_mov_b32_e32 v133, v139
	s_delay_alu instid0(VALU_DEP_3) | instskip(NEXT) | instid1(VALU_DEP_2)
	v_cmp_lt_u32_e32 vcc_lo, 52, v131
	v_pk_add_f32 v[126:127], v[126:127], v[132:133]
	s_or_b32 s3, vcc_lo, s3
	s_delay_alu instid0(SALU_CYCLE_1)
	s_and_not1_b32 exec_lo, exec_lo, s3
	s_cbranch_execnz .LBB60_1137
; %bb.1138:
	s_or_b32 exec_lo, exec_lo, s3
.LBB60_1139:
	s_delay_alu instid0(SALU_CYCLE_1) | instskip(SKIP_4) | instid1(VALU_DEP_1)
	s_or_b32 exec_lo, exec_lo, s2
	v_mov_b32_e32 v129, 0
	ds_load_b64 v[130:131], v129 offset:432
	s_wait_dscnt 0x0
	v_pk_mul_f32 v[132:133], v[126:127], v[130:131] op_sel:[1,1] op_sel_hi:[0,1]
	v_pk_fma_f32 v[134:135], v[126:127], v[130:131], v[132:133] op_sel_hi:[1,0,1]
	v_pk_fma_f32 v[126:127], v[126:127], v[130:131], v[132:133] neg_lo:[0,0,1] neg_hi:[0,0,1]
	s_delay_alu instid0(VALU_DEP_2)
	v_mov_b32_e32 v127, v135
	scratch_store_b64 off, v[126:127], off offset:432
.LBB60_1140:
	s_wait_xcnt 0x0
	s_or_b32 exec_lo, exec_lo, s0
	scratch_load_b64 v[126:127], off, off offset:440
	s_mov_b32 s0, exec_lo
	s_wait_loadcnt 0x0
	ds_store_b64 v1, v[126:127]
	s_wait_storecnt_dscnt 0x0
	s_barrier_signal -1
	s_barrier_wait -1
	s_wait_xcnt 0x0
	v_cmpx_gt_u32_e32 55, v0
	s_cbranch_execz .LBB60_1150
; %bb.1141:
	v_cmp_ne_u32_e32 vcc_lo, 1, v128
	s_cbranch_vccnz .LBB60_1143
; %bb.1142:
	scratch_load_b64 v[126:127], v39, off
	ds_load_b64 v[130:131], v1
	s_wait_loadcnt_dscnt 0x0
	v_pk_mul_f32 v[132:133], v[130:131], v[126:127] op_sel:[1,1] op_sel_hi:[0,1]
	s_delay_alu instid0(VALU_DEP_1) | instskip(SKIP_1) | instid1(VALU_DEP_2)
	v_pk_fma_f32 v[134:135], v[130:131], v[126:127], v[132:133] op_sel_hi:[1,0,1]
	v_pk_fma_f32 v[126:127], v[130:131], v[126:127], v[132:133] neg_lo:[0,0,1] neg_hi:[0,0,1]
	v_mov_b32_e32 v127, v135
	s_cbranch_execz .LBB60_1144
	s_branch .LBB60_1145
.LBB60_1143:
                                        ; implicit-def: $vgpr126_vgpr127
.LBB60_1144:
	ds_load_b64 v[126:127], v1
.LBB60_1145:
	s_mov_b32 s2, exec_lo
	v_cmpx_ne_u32_e32 54, v0
	s_cbranch_execz .LBB60_1149
; %bb.1146:
	v_add_nc_u32_e32 v129, 0x1f8, v38
	v_add3_u32 v130, 0, v38, 8
	v_mov_b32_e32 v131, v0
	s_mov_b32 s3, 0
.LBB60_1147:                            ; =>This Inner Loop Header: Depth=1
	scratch_load_b64 v[132:133], v130, off
	ds_load_b64 v[134:135], v129
	s_wait_xcnt 0x0
	v_dual_add_nc_u32 v129, 8, v129 :: v_dual_add_nc_u32 v130, 8, v130
	s_wait_loadcnt_dscnt 0x0
	v_pk_mul_f32 v[136:137], v[134:135], v[132:133] op_sel:[1,1] op_sel_hi:[0,1]
	s_delay_alu instid0(VALU_DEP_1) | instskip(SKIP_2) | instid1(VALU_DEP_3)
	v_pk_fma_f32 v[138:139], v[134:135], v[132:133], v[136:137] op_sel_hi:[1,0,1]
	v_add_nc_u32_e32 v131, 1, v131
	v_pk_fma_f32 v[132:133], v[134:135], v[132:133], v[136:137] neg_lo:[0,0,1] neg_hi:[0,0,1]
	v_mov_b32_e32 v133, v139
	s_delay_alu instid0(VALU_DEP_3) | instskip(NEXT) | instid1(VALU_DEP_2)
	v_cmp_lt_u32_e32 vcc_lo, 53, v131
	v_pk_add_f32 v[126:127], v[126:127], v[132:133]
	s_or_b32 s3, vcc_lo, s3
	s_delay_alu instid0(SALU_CYCLE_1)
	s_and_not1_b32 exec_lo, exec_lo, s3
	s_cbranch_execnz .LBB60_1147
; %bb.1148:
	s_or_b32 exec_lo, exec_lo, s3
.LBB60_1149:
	s_delay_alu instid0(SALU_CYCLE_1) | instskip(SKIP_4) | instid1(VALU_DEP_1)
	s_or_b32 exec_lo, exec_lo, s2
	v_mov_b32_e32 v129, 0
	ds_load_b64 v[130:131], v129 offset:440
	s_wait_dscnt 0x0
	v_pk_mul_f32 v[132:133], v[126:127], v[130:131] op_sel:[1,1] op_sel_hi:[0,1]
	v_pk_fma_f32 v[134:135], v[126:127], v[130:131], v[132:133] op_sel_hi:[1,0,1]
	v_pk_fma_f32 v[126:127], v[126:127], v[130:131], v[132:133] neg_lo:[0,0,1] neg_hi:[0,0,1]
	s_delay_alu instid0(VALU_DEP_2)
	v_mov_b32_e32 v127, v135
	scratch_store_b64 off, v[126:127], off offset:440
.LBB60_1150:
	s_wait_xcnt 0x0
	s_or_b32 exec_lo, exec_lo, s0
	scratch_load_b64 v[126:127], off, off offset:448
	s_mov_b32 s0, exec_lo
	s_wait_loadcnt 0x0
	ds_store_b64 v1, v[126:127]
	s_wait_storecnt_dscnt 0x0
	s_barrier_signal -1
	s_barrier_wait -1
	s_wait_xcnt 0x0
	v_cmpx_gt_u32_e32 56, v0
	s_cbranch_execz .LBB60_1160
; %bb.1151:
	v_cmp_ne_u32_e32 vcc_lo, 1, v128
	s_cbranch_vccnz .LBB60_1153
; %bb.1152:
	scratch_load_b64 v[126:127], v39, off
	ds_load_b64 v[130:131], v1
	s_wait_loadcnt_dscnt 0x0
	v_pk_mul_f32 v[132:133], v[130:131], v[126:127] op_sel:[1,1] op_sel_hi:[0,1]
	s_delay_alu instid0(VALU_DEP_1) | instskip(SKIP_1) | instid1(VALU_DEP_2)
	v_pk_fma_f32 v[134:135], v[130:131], v[126:127], v[132:133] op_sel_hi:[1,0,1]
	v_pk_fma_f32 v[126:127], v[130:131], v[126:127], v[132:133] neg_lo:[0,0,1] neg_hi:[0,0,1]
	v_mov_b32_e32 v127, v135
	s_cbranch_execz .LBB60_1154
	s_branch .LBB60_1155
.LBB60_1153:
                                        ; implicit-def: $vgpr126_vgpr127
.LBB60_1154:
	ds_load_b64 v[126:127], v1
.LBB60_1155:
	s_mov_b32 s2, exec_lo
	v_cmpx_ne_u32_e32 55, v0
	s_cbranch_execz .LBB60_1159
; %bb.1156:
	v_add_nc_u32_e32 v129, 0x1f8, v38
	v_add3_u32 v130, 0, v38, 8
	v_mov_b32_e32 v131, v0
	s_mov_b32 s3, 0
.LBB60_1157:                            ; =>This Inner Loop Header: Depth=1
	scratch_load_b64 v[132:133], v130, off
	ds_load_b64 v[134:135], v129
	s_wait_xcnt 0x0
	v_dual_add_nc_u32 v129, 8, v129 :: v_dual_add_nc_u32 v130, 8, v130
	s_wait_loadcnt_dscnt 0x0
	v_pk_mul_f32 v[136:137], v[134:135], v[132:133] op_sel:[1,1] op_sel_hi:[0,1]
	s_delay_alu instid0(VALU_DEP_1) | instskip(SKIP_2) | instid1(VALU_DEP_3)
	v_pk_fma_f32 v[138:139], v[134:135], v[132:133], v[136:137] op_sel_hi:[1,0,1]
	v_add_nc_u32_e32 v131, 1, v131
	v_pk_fma_f32 v[132:133], v[134:135], v[132:133], v[136:137] neg_lo:[0,0,1] neg_hi:[0,0,1]
	v_mov_b32_e32 v133, v139
	s_delay_alu instid0(VALU_DEP_3) | instskip(NEXT) | instid1(VALU_DEP_2)
	v_cmp_lt_u32_e32 vcc_lo, 54, v131
	v_pk_add_f32 v[126:127], v[126:127], v[132:133]
	s_or_b32 s3, vcc_lo, s3
	s_delay_alu instid0(SALU_CYCLE_1)
	s_and_not1_b32 exec_lo, exec_lo, s3
	s_cbranch_execnz .LBB60_1157
; %bb.1158:
	s_or_b32 exec_lo, exec_lo, s3
.LBB60_1159:
	s_delay_alu instid0(SALU_CYCLE_1) | instskip(SKIP_4) | instid1(VALU_DEP_1)
	s_or_b32 exec_lo, exec_lo, s2
	v_mov_b32_e32 v129, 0
	ds_load_b64 v[130:131], v129 offset:448
	s_wait_dscnt 0x0
	v_pk_mul_f32 v[132:133], v[126:127], v[130:131] op_sel:[1,1] op_sel_hi:[0,1]
	v_pk_fma_f32 v[134:135], v[126:127], v[130:131], v[132:133] op_sel_hi:[1,0,1]
	v_pk_fma_f32 v[126:127], v[126:127], v[130:131], v[132:133] neg_lo:[0,0,1] neg_hi:[0,0,1]
	s_delay_alu instid0(VALU_DEP_2)
	v_mov_b32_e32 v127, v135
	scratch_store_b64 off, v[126:127], off offset:448
.LBB60_1160:
	s_wait_xcnt 0x0
	s_or_b32 exec_lo, exec_lo, s0
	scratch_load_b64 v[126:127], off, off offset:456
	s_mov_b32 s0, exec_lo
	s_wait_loadcnt 0x0
	ds_store_b64 v1, v[126:127]
	s_wait_storecnt_dscnt 0x0
	s_barrier_signal -1
	s_barrier_wait -1
	s_wait_xcnt 0x0
	v_cmpx_gt_u32_e32 57, v0
	s_cbranch_execz .LBB60_1170
; %bb.1161:
	v_cmp_ne_u32_e32 vcc_lo, 1, v128
	s_cbranch_vccnz .LBB60_1163
; %bb.1162:
	scratch_load_b64 v[126:127], v39, off
	ds_load_b64 v[130:131], v1
	s_wait_loadcnt_dscnt 0x0
	v_pk_mul_f32 v[132:133], v[130:131], v[126:127] op_sel:[1,1] op_sel_hi:[0,1]
	s_delay_alu instid0(VALU_DEP_1) | instskip(SKIP_1) | instid1(VALU_DEP_2)
	v_pk_fma_f32 v[134:135], v[130:131], v[126:127], v[132:133] op_sel_hi:[1,0,1]
	v_pk_fma_f32 v[126:127], v[130:131], v[126:127], v[132:133] neg_lo:[0,0,1] neg_hi:[0,0,1]
	v_mov_b32_e32 v127, v135
	s_cbranch_execz .LBB60_1164
	s_branch .LBB60_1165
.LBB60_1163:
                                        ; implicit-def: $vgpr126_vgpr127
.LBB60_1164:
	ds_load_b64 v[126:127], v1
.LBB60_1165:
	s_mov_b32 s2, exec_lo
	v_cmpx_ne_u32_e32 56, v0
	s_cbranch_execz .LBB60_1169
; %bb.1166:
	v_add_nc_u32_e32 v129, 0x1f8, v38
	v_add3_u32 v130, 0, v38, 8
	v_mov_b32_e32 v131, v0
	s_mov_b32 s3, 0
.LBB60_1167:                            ; =>This Inner Loop Header: Depth=1
	scratch_load_b64 v[132:133], v130, off
	ds_load_b64 v[134:135], v129
	s_wait_xcnt 0x0
	v_dual_add_nc_u32 v129, 8, v129 :: v_dual_add_nc_u32 v130, 8, v130
	s_wait_loadcnt_dscnt 0x0
	v_pk_mul_f32 v[136:137], v[134:135], v[132:133] op_sel:[1,1] op_sel_hi:[0,1]
	s_delay_alu instid0(VALU_DEP_1) | instskip(SKIP_2) | instid1(VALU_DEP_3)
	v_pk_fma_f32 v[138:139], v[134:135], v[132:133], v[136:137] op_sel_hi:[1,0,1]
	v_add_nc_u32_e32 v131, 1, v131
	v_pk_fma_f32 v[132:133], v[134:135], v[132:133], v[136:137] neg_lo:[0,0,1] neg_hi:[0,0,1]
	v_mov_b32_e32 v133, v139
	s_delay_alu instid0(VALU_DEP_3) | instskip(NEXT) | instid1(VALU_DEP_2)
	v_cmp_lt_u32_e32 vcc_lo, 55, v131
	v_pk_add_f32 v[126:127], v[126:127], v[132:133]
	s_or_b32 s3, vcc_lo, s3
	s_delay_alu instid0(SALU_CYCLE_1)
	s_and_not1_b32 exec_lo, exec_lo, s3
	s_cbranch_execnz .LBB60_1167
; %bb.1168:
	s_or_b32 exec_lo, exec_lo, s3
.LBB60_1169:
	s_delay_alu instid0(SALU_CYCLE_1) | instskip(SKIP_4) | instid1(VALU_DEP_1)
	s_or_b32 exec_lo, exec_lo, s2
	v_mov_b32_e32 v129, 0
	ds_load_b64 v[130:131], v129 offset:456
	s_wait_dscnt 0x0
	v_pk_mul_f32 v[132:133], v[126:127], v[130:131] op_sel:[1,1] op_sel_hi:[0,1]
	v_pk_fma_f32 v[134:135], v[126:127], v[130:131], v[132:133] op_sel_hi:[1,0,1]
	v_pk_fma_f32 v[126:127], v[126:127], v[130:131], v[132:133] neg_lo:[0,0,1] neg_hi:[0,0,1]
	s_delay_alu instid0(VALU_DEP_2)
	v_mov_b32_e32 v127, v135
	scratch_store_b64 off, v[126:127], off offset:456
.LBB60_1170:
	s_wait_xcnt 0x0
	s_or_b32 exec_lo, exec_lo, s0
	scratch_load_b64 v[126:127], off, off offset:464
	s_mov_b32 s0, exec_lo
	s_wait_loadcnt 0x0
	ds_store_b64 v1, v[126:127]
	s_wait_storecnt_dscnt 0x0
	s_barrier_signal -1
	s_barrier_wait -1
	s_wait_xcnt 0x0
	v_cmpx_gt_u32_e32 58, v0
	s_cbranch_execz .LBB60_1180
; %bb.1171:
	v_cmp_ne_u32_e32 vcc_lo, 1, v128
	s_cbranch_vccnz .LBB60_1173
; %bb.1172:
	scratch_load_b64 v[126:127], v39, off
	ds_load_b64 v[130:131], v1
	s_wait_loadcnt_dscnt 0x0
	v_pk_mul_f32 v[132:133], v[130:131], v[126:127] op_sel:[1,1] op_sel_hi:[0,1]
	s_delay_alu instid0(VALU_DEP_1) | instskip(SKIP_1) | instid1(VALU_DEP_2)
	v_pk_fma_f32 v[134:135], v[130:131], v[126:127], v[132:133] op_sel_hi:[1,0,1]
	v_pk_fma_f32 v[126:127], v[130:131], v[126:127], v[132:133] neg_lo:[0,0,1] neg_hi:[0,0,1]
	v_mov_b32_e32 v127, v135
	s_cbranch_execz .LBB60_1174
	s_branch .LBB60_1175
.LBB60_1173:
                                        ; implicit-def: $vgpr126_vgpr127
.LBB60_1174:
	ds_load_b64 v[126:127], v1
.LBB60_1175:
	s_mov_b32 s2, exec_lo
	v_cmpx_ne_u32_e32 57, v0
	s_cbranch_execz .LBB60_1179
; %bb.1176:
	v_add_nc_u32_e32 v129, 0x1f8, v38
	v_add3_u32 v130, 0, v38, 8
	v_mov_b32_e32 v131, v0
	s_mov_b32 s3, 0
.LBB60_1177:                            ; =>This Inner Loop Header: Depth=1
	scratch_load_b64 v[132:133], v130, off
	ds_load_b64 v[134:135], v129
	s_wait_xcnt 0x0
	v_dual_add_nc_u32 v129, 8, v129 :: v_dual_add_nc_u32 v130, 8, v130
	s_wait_loadcnt_dscnt 0x0
	v_pk_mul_f32 v[136:137], v[134:135], v[132:133] op_sel:[1,1] op_sel_hi:[0,1]
	s_delay_alu instid0(VALU_DEP_1) | instskip(SKIP_2) | instid1(VALU_DEP_3)
	v_pk_fma_f32 v[138:139], v[134:135], v[132:133], v[136:137] op_sel_hi:[1,0,1]
	v_add_nc_u32_e32 v131, 1, v131
	v_pk_fma_f32 v[132:133], v[134:135], v[132:133], v[136:137] neg_lo:[0,0,1] neg_hi:[0,0,1]
	v_mov_b32_e32 v133, v139
	s_delay_alu instid0(VALU_DEP_3) | instskip(NEXT) | instid1(VALU_DEP_2)
	v_cmp_lt_u32_e32 vcc_lo, 56, v131
	v_pk_add_f32 v[126:127], v[126:127], v[132:133]
	s_or_b32 s3, vcc_lo, s3
	s_delay_alu instid0(SALU_CYCLE_1)
	s_and_not1_b32 exec_lo, exec_lo, s3
	s_cbranch_execnz .LBB60_1177
; %bb.1178:
	s_or_b32 exec_lo, exec_lo, s3
.LBB60_1179:
	s_delay_alu instid0(SALU_CYCLE_1) | instskip(SKIP_4) | instid1(VALU_DEP_1)
	s_or_b32 exec_lo, exec_lo, s2
	v_mov_b32_e32 v129, 0
	ds_load_b64 v[130:131], v129 offset:464
	s_wait_dscnt 0x0
	v_pk_mul_f32 v[132:133], v[126:127], v[130:131] op_sel:[1,1] op_sel_hi:[0,1]
	v_pk_fma_f32 v[134:135], v[126:127], v[130:131], v[132:133] op_sel_hi:[1,0,1]
	v_pk_fma_f32 v[126:127], v[126:127], v[130:131], v[132:133] neg_lo:[0,0,1] neg_hi:[0,0,1]
	s_delay_alu instid0(VALU_DEP_2)
	v_mov_b32_e32 v127, v135
	scratch_store_b64 off, v[126:127], off offset:464
.LBB60_1180:
	s_wait_xcnt 0x0
	s_or_b32 exec_lo, exec_lo, s0
	scratch_load_b64 v[126:127], off, off offset:472
	v_cmp_gt_u32_e64 s0, 59, v0
	s_wait_loadcnt 0x0
	ds_store_b64 v1, v[126:127]
	s_wait_storecnt_dscnt 0x0
	s_barrier_signal -1
	s_barrier_wait -1
	s_wait_xcnt 0x0
	s_and_saveexec_b32 s2, s0
	s_cbranch_execz .LBB60_1190
; %bb.1181:
	v_cmp_ne_u32_e32 vcc_lo, 1, v128
	s_cbranch_vccnz .LBB60_1183
; %bb.1182:
	scratch_load_b64 v[126:127], v39, off
	ds_load_b64 v[130:131], v1
	s_wait_loadcnt_dscnt 0x0
	v_pk_mul_f32 v[132:133], v[130:131], v[126:127] op_sel:[1,1] op_sel_hi:[0,1]
	s_delay_alu instid0(VALU_DEP_1) | instskip(SKIP_1) | instid1(VALU_DEP_2)
	v_pk_fma_f32 v[134:135], v[130:131], v[126:127], v[132:133] op_sel_hi:[1,0,1]
	v_pk_fma_f32 v[126:127], v[130:131], v[126:127], v[132:133] neg_lo:[0,0,1] neg_hi:[0,0,1]
	v_mov_b32_e32 v127, v135
	s_cbranch_execz .LBB60_1184
	s_branch .LBB60_1185
.LBB60_1183:
                                        ; implicit-def: $vgpr126_vgpr127
.LBB60_1184:
	ds_load_b64 v[126:127], v1
.LBB60_1185:
	s_mov_b32 s3, exec_lo
	v_cmpx_ne_u32_e32 58, v0
	s_cbranch_execz .LBB60_1189
; %bb.1186:
	v_add_nc_u32_e32 v129, 0x1f8, v38
	v_add3_u32 v130, 0, v38, 8
	v_mov_b32_e32 v131, v0
	s_mov_b32 s4, 0
.LBB60_1187:                            ; =>This Inner Loop Header: Depth=1
	scratch_load_b64 v[132:133], v130, off
	ds_load_b64 v[134:135], v129
	s_wait_xcnt 0x0
	v_dual_add_nc_u32 v129, 8, v129 :: v_dual_add_nc_u32 v130, 8, v130
	s_wait_loadcnt_dscnt 0x0
	v_pk_mul_f32 v[136:137], v[134:135], v[132:133] op_sel:[1,1] op_sel_hi:[0,1]
	s_delay_alu instid0(VALU_DEP_1) | instskip(SKIP_2) | instid1(VALU_DEP_3)
	v_pk_fma_f32 v[138:139], v[134:135], v[132:133], v[136:137] op_sel_hi:[1,0,1]
	v_add_nc_u32_e32 v131, 1, v131
	v_pk_fma_f32 v[132:133], v[134:135], v[132:133], v[136:137] neg_lo:[0,0,1] neg_hi:[0,0,1]
	v_mov_b32_e32 v133, v139
	s_delay_alu instid0(VALU_DEP_3) | instskip(NEXT) | instid1(VALU_DEP_2)
	v_cmp_lt_u32_e32 vcc_lo, 57, v131
	v_pk_add_f32 v[126:127], v[126:127], v[132:133]
	s_or_b32 s4, vcc_lo, s4
	s_delay_alu instid0(SALU_CYCLE_1)
	s_and_not1_b32 exec_lo, exec_lo, s4
	s_cbranch_execnz .LBB60_1187
; %bb.1188:
	s_or_b32 exec_lo, exec_lo, s4
.LBB60_1189:
	s_delay_alu instid0(SALU_CYCLE_1) | instskip(SKIP_4) | instid1(VALU_DEP_1)
	s_or_b32 exec_lo, exec_lo, s3
	v_mov_b32_e32 v129, 0
	ds_load_b64 v[130:131], v129 offset:472
	s_wait_dscnt 0x0
	v_pk_mul_f32 v[132:133], v[126:127], v[130:131] op_sel:[1,1] op_sel_hi:[0,1]
	v_pk_fma_f32 v[134:135], v[126:127], v[130:131], v[132:133] op_sel_hi:[1,0,1]
	v_pk_fma_f32 v[126:127], v[126:127], v[130:131], v[132:133] neg_lo:[0,0,1] neg_hi:[0,0,1]
	s_delay_alu instid0(VALU_DEP_2)
	v_mov_b32_e32 v127, v135
	scratch_store_b64 off, v[126:127], off offset:472
.LBB60_1190:
	s_wait_xcnt 0x0
	s_or_b32 exec_lo, exec_lo, s2
	scratch_load_b64 v[126:127], off, off offset:480
	s_mov_b32 s2, exec_lo
                                        ; implicit-def: $vgpr174
                                        ; implicit-def: $sgpr4
	s_wait_loadcnt 0x0
	ds_store_b64 v1, v[126:127]
	s_wait_storecnt_dscnt 0x0
	s_barrier_signal -1
	s_barrier_wait -1
	s_wait_xcnt 0x0
	v_cmpx_ne_u32_e32 60, v0
	s_cbranch_execz .LBB60_1200
; %bb.1191:
	v_cmp_ne_u32_e32 vcc_lo, 1, v128
	s_cbranch_vccnz .LBB60_1193
; %bb.1192:
	scratch_load_b64 v[128:129], v39, off
	ds_load_b64 v[130:131], v1
	s_wait_loadcnt_dscnt 0x0
	v_dual_mul_f32 v39, v131, v129 :: v_dual_mul_f32 v127, v130, v129
	s_delay_alu instid0(VALU_DEP_1) | instskip(NEXT) | instid1(VALU_DEP_2)
	v_fma_f32 v126, v130, v128, -v39
	v_fmac_f32_e32 v127, v131, v128
	s_cbranch_execz .LBB60_1194
	s_branch .LBB60_1195
.LBB60_1193:
                                        ; implicit-def: $vgpr127
.LBB60_1194:
	ds_load_b64 v[126:127], v1
.LBB60_1195:
	s_and_saveexec_b32 s3, s0
	s_cbranch_execz .LBB60_1199
; %bb.1196:
	v_add_nc_u32_e32 v1, 0x1f8, v38
	v_add3_u32 v38, 0, v38, 8
	s_mov_b32 s0, 0
.LBB60_1197:                            ; =>This Inner Loop Header: Depth=1
	scratch_load_b64 v[128:129], v38, off
	ds_load_b64 v[130:131], v1
	v_dual_add_nc_u32 v0, 1, v0 :: v_dual_add_nc_u32 v1, 8, v1
	s_delay_alu instid0(VALU_DEP_1) | instskip(SKIP_3) | instid1(VALU_DEP_1)
	v_cmp_lt_u32_e32 vcc_lo, 58, v0
	s_or_b32 s0, vcc_lo, s0
	s_wait_loadcnt_dscnt 0x0
	v_dual_mul_f32 v39, v131, v129 :: v_dual_mul_f32 v129, v130, v129
	v_dual_fma_f32 v39, v130, v128, -v39 :: v_dual_fmac_f32 v129, v131, v128
	s_delay_alu instid0(VALU_DEP_1) | instskip(NEXT) | instid1(VALU_DEP_2)
	v_dual_add_nc_u32 v38, 8, v38 :: v_dual_add_f32 v126, v126, v39
	v_add_f32_e32 v127, v127, v129
	s_and_not1_b32 exec_lo, exec_lo, s0
	s_cbranch_execnz .LBB60_1197
; %bb.1198:
	s_or_b32 exec_lo, exec_lo, s0
.LBB60_1199:
	s_delay_alu instid0(SALU_CYCLE_1)
	s_or_b32 exec_lo, exec_lo, s3
	v_mov_b32_e32 v0, 0
	s_movk_i32 s4, 0x1e4
	s_or_b32 s1, s1, exec_lo
	ds_load_b64 v[0:1], v0 offset:480
	s_wait_dscnt 0x0
	v_dual_mul_f32 v38, v127, v1 :: v_dual_mul_f32 v174, v126, v1
	s_delay_alu instid0(VALU_DEP_1) | instskip(NEXT) | instid1(VALU_DEP_2)
	v_fma_f32 v1, v126, v0, -v38
	v_fmac_f32_e32 v174, v127, v0
	scratch_store_b32 off, v1, off offset:480
.LBB60_1200:
	s_wait_xcnt 0x0
	s_or_b32 exec_lo, exec_lo, s2
.LBB60_1201:
	v_lshl_add_u64 v[172:173], v[6:7], 3, s[6:7]
	v_lshl_add_u64 v[170:171], v[8:9], 3, s[6:7]
	;; [unrolled: 1-line block ×59, first 2 shown]
	s_and_saveexec_b32 s0, s1
	s_cbranch_execz .LBB60_1203
; %bb.1202:
	scratch_store_b32 off, v174, s4
.LBB60_1203:
	s_wait_xcnt 0x0
	s_or_b32 exec_lo, exec_lo, s0
	s_clause 0xc
	scratch_load_b128 v[74:77], off, off
	scratch_load_b128 v[78:81], off, off offset:16
	scratch_load_b128 v[82:85], off, off offset:32
	;; [unrolled: 1-line block ×12, first 2 shown]
	s_wait_loadcnt 0xc
	s_clause 0x1
	global_store_b64 v[2:3], v[74:75], off
	global_store_b64 v[4:5], v[76:77], off
	scratch_load_b128 v[2:5], off, off offset:80
	s_wait_loadcnt 0xc
	global_store_b64 v[172:173], v[78:79], off
	scratch_load_b128 v[74:77], off, off offset:96
	global_store_b64 v[170:171], v[80:81], off
	scratch_load_b128 v[78:81], off, off offset:112
	s_wait_loadcnt 0xd
	s_clause 0x1
	global_store_b64 v[168:169], v[82:83], off
	global_store_b64 v[166:167], v[84:85], off
	scratch_load_b128 v[82:85], off, off offset:144
	s_wait_loadcnt 0xd
	s_clause 0x1
	global_store_b64 v[164:165], v[86:87], off
	;; [unrolled: 5-line block ×4, first 2 shown]
	global_store_b64 v[154:155], v[4:5], off
	s_wait_loadcnt 0x4
	s_clause 0x1
	global_store_b64 v[152:153], v[74:75], off
	global_store_b64 v[150:151], v[76:77], off
	s_wait_loadcnt 0x3
	s_clause 0x3
	global_store_b64 v[148:149], v[78:79], off
	global_store_b64 v[146:147], v[80:81], off
	global_store_b64 v[144:145], v[94:95], off
	global_store_b64 v[142:143], v[96:97], off
	s_wait_loadcnt 0x2
	s_clause 0x3
	global_store_b64 v[140:141], v[82:83], off
	global_store_b64 v[138:139], v[84:85], off
	;; [unrolled: 6-line block ×3, first 2 shown]
	global_store_b64 v[128:129], v[102:103], off
	global_store_b64 v[126:127], v[104:105], off
	s_clause 0xb
	scratch_load_b128 v[2:5], off, off offset:240
	scratch_load_b128 v[74:77], off, off offset:272
	;; [unrolled: 1-line block ×11, first 2 shown]
	scratch_load_b64 v[126:127], off, off offset:480
	s_wait_loadcnt 0xc
	s_clause 0x3
	global_store_b64 v[0:1], v[90:91], off
	global_store_b64 v[6:7], v[92:93], off
	global_store_b64 v[8:9], v[106:107], off
	global_store_b64 v[10:11], v[108:109], off
	s_wait_loadcnt 0xb
	s_clause 0x3
	global_store_b64 v[12:13], v[2:3], off
	global_store_b64 v[14:15], v[4:5], off
	global_store_b64 v[16:17], v[110:111], off
	global_store_b64 v[18:19], v[112:113], off
	;; [unrolled: 6-line block ×5, first 2 shown]
	s_wait_loadcnt 0x7
	s_clause 0x1
	global_store_b64 v[44:45], v[82:83], off
	global_store_b64 v[46:47], v[84:85], off
	s_wait_loadcnt 0x6
	s_clause 0x1
	global_store_b64 v[48:49], v[136:137], off
	global_store_b64 v[50:51], v[138:139], off
	;; [unrolled: 4-line block ×7, first 2 shown]
	s_wait_loadcnt 0x0
	global_store_b64 v[72:73], v[126:127], off
.LBB60_1204:
	s_sendmsg sendmsg(MSG_DEALLOC_VGPRS)
	s_endpgm
	.section	.rodata,"a",@progbits
	.p2align	6, 0x0
	.amdhsa_kernel _ZN9rocsolver6v33100L18trti2_kernel_smallILi61E19rocblas_complex_numIfEPS3_EEv13rocblas_fill_17rocblas_diagonal_T1_iil
		.amdhsa_group_segment_fixed_size 984
		.amdhsa_private_segment_fixed_size 496
		.amdhsa_kernarg_size 32
		.amdhsa_user_sgpr_count 2
		.amdhsa_user_sgpr_dispatch_ptr 0
		.amdhsa_user_sgpr_queue_ptr 0
		.amdhsa_user_sgpr_kernarg_segment_ptr 1
		.amdhsa_user_sgpr_dispatch_id 0
		.amdhsa_user_sgpr_kernarg_preload_length 0
		.amdhsa_user_sgpr_kernarg_preload_offset 0
		.amdhsa_user_sgpr_private_segment_size 0
		.amdhsa_wavefront_size32 1
		.amdhsa_uses_dynamic_stack 0
		.amdhsa_enable_private_segment 1
		.amdhsa_system_sgpr_workgroup_id_x 1
		.amdhsa_system_sgpr_workgroup_id_y 0
		.amdhsa_system_sgpr_workgroup_id_z 0
		.amdhsa_system_sgpr_workgroup_info 0
		.amdhsa_system_vgpr_workitem_id 0
		.amdhsa_next_free_vgpr 175
		.amdhsa_next_free_sgpr 38
		.amdhsa_named_barrier_count 0
		.amdhsa_reserve_vcc 1
		.amdhsa_float_round_mode_32 0
		.amdhsa_float_round_mode_16_64 0
		.amdhsa_float_denorm_mode_32 3
		.amdhsa_float_denorm_mode_16_64 3
		.amdhsa_fp16_overflow 0
		.amdhsa_memory_ordered 1
		.amdhsa_forward_progress 1
		.amdhsa_inst_pref_size 255
		.amdhsa_round_robin_scheduling 0
		.amdhsa_exception_fp_ieee_invalid_op 0
		.amdhsa_exception_fp_denorm_src 0
		.amdhsa_exception_fp_ieee_div_zero 0
		.amdhsa_exception_fp_ieee_overflow 0
		.amdhsa_exception_fp_ieee_underflow 0
		.amdhsa_exception_fp_ieee_inexact 0
		.amdhsa_exception_int_div_zero 0
	.end_amdhsa_kernel
	.section	.text._ZN9rocsolver6v33100L18trti2_kernel_smallILi61E19rocblas_complex_numIfEPS3_EEv13rocblas_fill_17rocblas_diagonal_T1_iil,"axG",@progbits,_ZN9rocsolver6v33100L18trti2_kernel_smallILi61E19rocblas_complex_numIfEPS3_EEv13rocblas_fill_17rocblas_diagonal_T1_iil,comdat
.Lfunc_end60:
	.size	_ZN9rocsolver6v33100L18trti2_kernel_smallILi61E19rocblas_complex_numIfEPS3_EEv13rocblas_fill_17rocblas_diagonal_T1_iil, .Lfunc_end60-_ZN9rocsolver6v33100L18trti2_kernel_smallILi61E19rocblas_complex_numIfEPS3_EEv13rocblas_fill_17rocblas_diagonal_T1_iil
                                        ; -- End function
	.set _ZN9rocsolver6v33100L18trti2_kernel_smallILi61E19rocblas_complex_numIfEPS3_EEv13rocblas_fill_17rocblas_diagonal_T1_iil.num_vgpr, 175
	.set _ZN9rocsolver6v33100L18trti2_kernel_smallILi61E19rocblas_complex_numIfEPS3_EEv13rocblas_fill_17rocblas_diagonal_T1_iil.num_agpr, 0
	.set _ZN9rocsolver6v33100L18trti2_kernel_smallILi61E19rocblas_complex_numIfEPS3_EEv13rocblas_fill_17rocblas_diagonal_T1_iil.numbered_sgpr, 38
	.set _ZN9rocsolver6v33100L18trti2_kernel_smallILi61E19rocblas_complex_numIfEPS3_EEv13rocblas_fill_17rocblas_diagonal_T1_iil.num_named_barrier, 0
	.set _ZN9rocsolver6v33100L18trti2_kernel_smallILi61E19rocblas_complex_numIfEPS3_EEv13rocblas_fill_17rocblas_diagonal_T1_iil.private_seg_size, 496
	.set _ZN9rocsolver6v33100L18trti2_kernel_smallILi61E19rocblas_complex_numIfEPS3_EEv13rocblas_fill_17rocblas_diagonal_T1_iil.uses_vcc, 1
	.set _ZN9rocsolver6v33100L18trti2_kernel_smallILi61E19rocblas_complex_numIfEPS3_EEv13rocblas_fill_17rocblas_diagonal_T1_iil.uses_flat_scratch, 1
	.set _ZN9rocsolver6v33100L18trti2_kernel_smallILi61E19rocblas_complex_numIfEPS3_EEv13rocblas_fill_17rocblas_diagonal_T1_iil.has_dyn_sized_stack, 0
	.set _ZN9rocsolver6v33100L18trti2_kernel_smallILi61E19rocblas_complex_numIfEPS3_EEv13rocblas_fill_17rocblas_diagonal_T1_iil.has_recursion, 0
	.set _ZN9rocsolver6v33100L18trti2_kernel_smallILi61E19rocblas_complex_numIfEPS3_EEv13rocblas_fill_17rocblas_diagonal_T1_iil.has_indirect_call, 0
	.section	.AMDGPU.csdata,"",@progbits
; Kernel info:
; codeLenInByte = 46228
; TotalNumSgprs: 40
; NumVgprs: 175
; ScratchSize: 496
; MemoryBound: 0
; FloatMode: 240
; IeeeMode: 1
; LDSByteSize: 984 bytes/workgroup (compile time only)
; SGPRBlocks: 0
; VGPRBlocks: 10
; NumSGPRsForWavesPerEU: 40
; NumVGPRsForWavesPerEU: 175
; NamedBarCnt: 0
; Occupancy: 5
; WaveLimiterHint : 0
; COMPUTE_PGM_RSRC2:SCRATCH_EN: 1
; COMPUTE_PGM_RSRC2:USER_SGPR: 2
; COMPUTE_PGM_RSRC2:TRAP_HANDLER: 0
; COMPUTE_PGM_RSRC2:TGID_X_EN: 1
; COMPUTE_PGM_RSRC2:TGID_Y_EN: 0
; COMPUTE_PGM_RSRC2:TGID_Z_EN: 0
; COMPUTE_PGM_RSRC2:TIDIG_COMP_CNT: 0
	.section	.text._ZN9rocsolver6v33100L18trti2_kernel_smallILi62E19rocblas_complex_numIfEPS3_EEv13rocblas_fill_17rocblas_diagonal_T1_iil,"axG",@progbits,_ZN9rocsolver6v33100L18trti2_kernel_smallILi62E19rocblas_complex_numIfEPS3_EEv13rocblas_fill_17rocblas_diagonal_T1_iil,comdat
	.globl	_ZN9rocsolver6v33100L18trti2_kernel_smallILi62E19rocblas_complex_numIfEPS3_EEv13rocblas_fill_17rocblas_diagonal_T1_iil ; -- Begin function _ZN9rocsolver6v33100L18trti2_kernel_smallILi62E19rocblas_complex_numIfEPS3_EEv13rocblas_fill_17rocblas_diagonal_T1_iil
	.p2align	8
	.type	_ZN9rocsolver6v33100L18trti2_kernel_smallILi62E19rocblas_complex_numIfEPS3_EEv13rocblas_fill_17rocblas_diagonal_T1_iil,@function
_ZN9rocsolver6v33100L18trti2_kernel_smallILi62E19rocblas_complex_numIfEPS3_EEv13rocblas_fill_17rocblas_diagonal_T1_iil: ; @_ZN9rocsolver6v33100L18trti2_kernel_smallILi62E19rocblas_complex_numIfEPS3_EEv13rocblas_fill_17rocblas_diagonal_T1_iil
; %bb.0:
	s_mov_b32 s2, exec_lo
	v_cmpx_gt_u32_e32 62, v0
	s_cbranch_execz .LBB61_1224
; %bb.1:
	s_load_b256 s[4:11], s[0:1], 0x0
	s_wait_xcnt 0x0
	s_bfe_u32 s0, ttmp6, 0x4000c
	s_and_b32 s1, ttmp6, 15
	s_add_co_i32 s0, s0, 1
	s_getreg_b32 s2, hwreg(HW_REG_IB_STS2, 6, 4)
	s_mul_i32 s0, ttmp9, s0
	v_lshlrev_b32_e32 v50, 3, v0
	s_add_co_i32 s0, s1, s0
	s_wait_kmcnt 0x0
	v_add3_u32 v4, s9, s9, v0
	s_ashr_i32 s1, s8, 31
	s_cmp_eq_u32 s2, 0
	s_cselect_b32 s2, ttmp9, s0
	s_delay_alu instid0(VALU_DEP_1)
	v_add_nc_u32_e32 v6, s9, v4
	s_ashr_i32 s3, s2, 31
	s_mov_b32 s0, s8
	s_mul_u64 s[2:3], s[10:11], s[2:3]
	s_lshl_b64 s[0:1], s[0:1], 3
	v_add_nc_u32_e32 v10, s9, v6
	s_lshl_b64 s[2:3], s[2:3], 3
	s_delay_alu instid0(SALU_CYCLE_1) | instskip(NEXT) | instid1(VALU_DEP_1)
	s_add_nc_u64 s[2:3], s[6:7], s[2:3]
	v_add_nc_u32_e32 v12, s9, v10
	s_add_nc_u64 s[6:7], s[2:3], s[0:1]
	s_mov_b32 s0, s9
	s_ashr_i32 s1, s9, 31
	s_cmp_lg_u32 s5, 0x84
	v_add_nc_u32_e32 v14, s9, v12
	s_clause 0x1
	global_load_b64 v[84:85], v10, s[6:7] scale_offset
	global_load_b64 v[86:87], v12, s[6:7] scale_offset
	s_cselect_b32 s3, -1, 0
	s_delay_alu instid0(SALU_CYCLE_1) | instskip(SKIP_1) | instid1(VALU_DEP_1)
	s_and_b32 vcc_lo, exec_lo, s3
	v_add_nc_u32_e32 v16, s9, v14
	v_add_nc_u32_e32 v18, s9, v16
	s_delay_alu instid0(VALU_DEP_1) | instskip(NEXT) | instid1(VALU_DEP_1)
	v_add_nc_u32_e32 v20, s9, v18
	v_add_nc_u32_e32 v22, s9, v20
	s_delay_alu instid0(VALU_DEP_1) | instskip(NEXT) | instid1(VALU_DEP_1)
	v_dual_mov_b32 v51, 0 :: v_dual_add_nc_u32 v24, s9, v22
	v_add_nc_u32_e32 v26, s9, v24
	s_delay_alu instid0(VALU_DEP_2) | instskip(NEXT) | instid1(VALU_DEP_2)
	v_add_nc_u64_e32 v[2:3], s[6:7], v[50:51]
	v_add_nc_u32_e32 v28, s9, v26
	s_delay_alu instid0(VALU_DEP_2) | instskip(SKIP_1) | instid1(VALU_DEP_2)
	v_lshl_add_u64 v[8:9], s[0:1], 3, v[2:3]
	s_mov_b32 s0, -1
	v_add_nc_u32_e32 v30, s9, v28
	s_clause 0x9
	global_load_b64 v[88:89], v0, s[6:7] scale_offset
	global_load_b64 v[90:91], v[8:9], off
	global_load_b64 v[92:93], v4, s[6:7] scale_offset
	global_load_b64 v[94:95], v6, s[6:7] scale_offset
	;; [unrolled: 1-line block ×8, first 2 shown]
	v_add_nc_u32_e32 v32, s9, v30
	s_delay_alu instid0(VALU_DEP_1) | instskip(NEXT) | instid1(VALU_DEP_1)
	v_add_nc_u32_e32 v34, s9, v32
	v_add_nc_u32_e32 v36, s9, v34
	s_delay_alu instid0(VALU_DEP_1)
	v_add_nc_u32_e32 v38, s9, v36
	s_clause 0x5
	global_load_b64 v[108:109], v26, s[6:7] scale_offset
	global_load_b64 v[110:111], v28, s[6:7] scale_offset
	;; [unrolled: 1-line block ×6, first 2 shown]
	v_add_nc_u32_e32 v40, s9, v38
	s_delay_alu instid0(VALU_DEP_1) | instskip(NEXT) | instid1(VALU_DEP_1)
	v_add_nc_u32_e32 v42, s9, v40
	v_add_nc_u32_e32 v44, s9, v42
	s_delay_alu instid0(VALU_DEP_1) | instskip(SKIP_4) | instid1(VALU_DEP_1)
	v_add_nc_u32_e32 v46, s9, v44
	s_clause 0x1
	global_load_b64 v[120:121], v38, s[6:7] scale_offset
	global_load_b64 v[122:123], v40, s[6:7] scale_offset
	v_add_nc_u32_e32 v48, s9, v46
	v_add_nc_u32_e32 v52, s9, v48
	s_clause 0x3
	global_load_b64 v[124:125], v42, s[6:7] scale_offset
	global_load_b64 v[126:127], v44, s[6:7] scale_offset
	;; [unrolled: 1-line block ×4, first 2 shown]
	v_add_nc_u32_e32 v54, s9, v52
	s_delay_alu instid0(VALU_DEP_1) | instskip(NEXT) | instid1(VALU_DEP_1)
	v_add_nc_u32_e32 v56, s9, v54
	v_add_nc_u32_e32 v58, s9, v56
	s_delay_alu instid0(VALU_DEP_1) | instskip(SKIP_4) | instid1(VALU_DEP_1)
	v_add_nc_u32_e32 v60, s9, v58
	s_clause 0x1
	global_load_b64 v[132:133], v52, s[6:7] scale_offset
	global_load_b64 v[134:135], v54, s[6:7] scale_offset
	v_add_nc_u32_e32 v62, s9, v60
	v_add_nc_u32_e32 v64, s9, v62
	s_clause 0x1
	global_load_b64 v[136:137], v56, s[6:7] scale_offset
	global_load_b64 v[138:139], v58, s[6:7] scale_offset
	v_add_nc_u32_e32 v66, s9, v64
	s_delay_alu instid0(VALU_DEP_1) | instskip(NEXT) | instid1(VALU_DEP_1)
	v_add_nc_u32_e32 v68, s9, v66
	v_add_nc_u32_e32 v70, s9, v68
	s_delay_alu instid0(VALU_DEP_1) | instskip(NEXT) | instid1(VALU_DEP_1)
	v_add_nc_u32_e32 v72, s9, v70
	;; [unrolled: 3-line block ×4, first 2 shown]
	v_add_nc_u32_e32 v82, s9, v80
	s_wait_loadcnt 0x1a
	scratch_store_b128 off, v[84:87], off offset:32
	s_wait_xcnt 0x0
	v_add_nc_u32_e32 v84, s9, v82
	s_clause 0x1
	global_load_b64 v[140:141], v60, s[6:7] scale_offset
	global_load_b64 v[142:143], v62, s[6:7] scale_offset
	v_add_nc_u32_e32 v86, s9, v84
	s_wait_loadcnt 0x1a
	scratch_store_b128 off, v[88:91], off
	s_wait_xcnt 0x0
	v_add_nc_u32_e32 v88, s9, v86
	s_wait_loadcnt 0x18
	scratch_store_b128 off, v[92:95], off offset:16
	s_clause 0x1
	global_load_b64 v[144:145], v64, s[6:7] scale_offset
	global_load_b64 v[146:147], v66, s[6:7] scale_offset
	s_wait_loadcnt 0x18
	scratch_store_b128 off, v[96:99], off offset:48
	s_clause 0x1
	global_load_b64 v[148:149], v68, s[6:7] scale_offset
	global_load_b64 v[150:151], v70, s[6:7] scale_offset
	s_wait_loadcnt 0x18
	scratch_store_b128 off, v[100:103], off offset:64
	s_clause 0x1
	global_load_b64 v[152:153], v72, s[6:7] scale_offset
	global_load_b64 v[154:155], v74, s[6:7] scale_offset
	s_wait_loadcnt 0x18
	scratch_store_b128 off, v[104:107], off offset:80
	v_add_nc_u32_e32 v90, s9, v88
	s_wait_loadcnt 0x16
	scratch_store_b128 off, v[108:111], off offset:96
	s_wait_loadcnt 0x14
	scratch_store_b128 off, v[112:115], off offset:112
	s_clause 0x3
	global_load_b64 v[112:113], v76, s[6:7] scale_offset
	global_load_b64 v[114:115], v78, s[6:7] scale_offset
	;; [unrolled: 1-line block ×4, first 2 shown]
	s_wait_loadcnt 0x16
	scratch_store_b128 off, v[116:119], off offset:128
	v_add_nc_u32_e32 v92, s9, v90
	s_clause 0x1
	global_load_b64 v[116:117], v84, s[6:7] scale_offset
	global_load_b64 v[118:119], v86, s[6:7] scale_offset
	v_add_nc_u32_e32 v94, s9, v92
	s_delay_alu instid0(VALU_DEP_1) | instskip(NEXT) | instid1(VALU_DEP_1)
	v_add_nc_u32_e32 v96, s9, v94
	v_add_nc_u32_e32 v98, s9, v96
	s_wait_loadcnt 0x16
	scratch_store_b128 off, v[120:123], off offset:144
	s_clause 0x1
	global_load_b64 v[120:121], v88, s[6:7] scale_offset
	global_load_b64 v[122:123], v90, s[6:7] scale_offset
	v_add_nc_u32_e32 v100, s9, v98
	s_delay_alu instid0(VALU_DEP_1)
	v_add_nc_u32_e32 v102, s9, v100
	s_wait_loadcnt 0x16
	scratch_store_b128 off, v[124:127], off offset:160
	s_wait_loadcnt 0x14
	scratch_store_b128 off, v[128:131], off offset:176
	v_add_nc_u32_e32 v104, s9, v102
	s_delay_alu instid0(VALU_DEP_1) | instskip(NEXT) | instid1(VALU_DEP_1)
	v_add_nc_u32_e32 v106, s9, v104
	v_add_nc_u32_e32 v108, s9, v106
	s_delay_alu instid0(VALU_DEP_1)
	v_add_nc_u32_e32 v110, s9, v108
	s_wait_loadcnt 0x12
	scratch_store_b128 off, v[132:135], off offset:192
	s_wait_loadcnt 0x10
	scratch_store_b128 off, v[136:139], off offset:208
	s_clause 0x1
	global_load_b64 v[124:125], v92, s[6:7] scale_offset
	global_load_b64 v[126:127], v94, s[6:7] scale_offset
	s_wait_loadcnt 0x10
	scratch_store_b128 off, v[140:143], off offset:224
	s_wait_loadcnt 0xe
	scratch_store_b128 off, v[144:147], off offset:240
	s_clause 0x1
	global_load_b64 v[128:129], v96, s[6:7] scale_offset
	global_load_b64 v[130:131], v98, s[6:7] scale_offset
	;; [unrolled: 7-line block ×3, first 2 shown]
	s_wait_loadcnt 0xc
	scratch_store_b128 off, v[112:115], off offset:288
	s_wait_xcnt 0x0
	v_add_nc_u32_e32 v112, s9, v110
	s_wait_loadcnt 0xa
	scratch_store_b128 off, v[156:159], off offset:304
	s_clause 0x1
	global_load_b64 v[136:137], v104, s[6:7] scale_offset
	global_load_b64 v[138:139], v106, s[6:7] scale_offset
	s_wait_loadcnt 0xa
	scratch_store_b128 off, v[116:119], off offset:320
	v_add_nc_u32_e32 v114, s9, v112
	s_clause 0x1
	global_load_b64 v[140:141], v108, s[6:7] scale_offset
	global_load_b64 v[142:143], v110, s[6:7] scale_offset
	s_wait_xcnt 0x2
	v_add_nc_u32_e32 v116, s9, v114
	s_delay_alu instid0(VALU_DEP_1)
	v_add_nc_u32_e32 v118, s9, v116
	s_wait_loadcnt 0xa
	scratch_store_b128 off, v[120:123], off offset:336
	s_wait_xcnt 0x0
	v_add_nc_u32_e32 v120, s9, v118
	s_clause 0x1
	global_load_b64 v[144:145], v112, s[6:7] scale_offset
	global_load_b64 v[146:147], v114, s[6:7] scale_offset
	v_add_nc_u32_e32 v122, s9, v120
	s_wait_loadcnt 0xa
	scratch_store_b128 off, v[124:127], off offset:352
	s_wait_xcnt 0x0
	v_add_nc_u32_e32 v124, s9, v122
	s_delay_alu instid0(VALU_DEP_1)
	v_add_nc_u32_e32 v126, s9, v124
	s_wait_loadcnt 0x8
	scratch_store_b128 off, v[128:131], off offset:368
	s_wait_loadcnt 0x6
	scratch_store_b128 off, v[132:135], off offset:384
	;; [unrolled: 2-line block ×4, first 2 shown]
	s_clause 0x3
	global_load_b64 v[128:129], v116, s[6:7] scale_offset
	global_load_b64 v[130:131], v118, s[6:7] scale_offset
	;; [unrolled: 1-line block ×4, first 2 shown]
	s_wait_loadcnt 0x4
	scratch_store_b128 off, v[144:147], off offset:432
	s_clause 0x1
	global_load_b64 v[136:137], v124, s[6:7] scale_offset
	global_load_b64 v[138:139], v126, s[6:7] scale_offset
	s_wait_loadcnt 0x4
	scratch_store_b128 off, v[128:131], off offset:448
	s_wait_loadcnt 0x2
	scratch_store_b128 off, v[132:135], off offset:464
	;; [unrolled: 2-line block ×3, first 2 shown]
	s_cbranch_vccz .LBB61_7
; %bb.2:
	scratch_load_b64 v[128:129], v0, off scale_offset
                                        ; implicit-def: $vgpr133
                                        ; implicit-def: $vgpr130
	s_wait_loadcnt 0x0
	v_cmp_ngt_f32_e64 s0, |v128|, |v129|
	s_wait_xcnt 0x0
	s_and_saveexec_b32 s1, s0
	s_delay_alu instid0(SALU_CYCLE_1)
	s_xor_b32 s0, exec_lo, s1
	s_cbranch_execz .LBB61_4
; %bb.3:
	v_div_scale_f32 v1, null, v129, v129, v128
	v_div_scale_f32 v11, vcc_lo, v128, v129, v128
	s_delay_alu instid0(VALU_DEP_2) | instskip(SKIP_1) | instid1(TRANS32_DEP_1)
	v_rcp_f32_e32 v5, v1
	v_nop
	v_fma_f32 v7, -v1, v5, 1.0
	s_delay_alu instid0(VALU_DEP_1) | instskip(NEXT) | instid1(VALU_DEP_1)
	v_fmac_f32_e32 v5, v7, v5
	v_mul_f32_e32 v7, v11, v5
	s_delay_alu instid0(VALU_DEP_1) | instskip(NEXT) | instid1(VALU_DEP_1)
	v_fma_f32 v13, -v1, v7, v11
	v_fmac_f32_e32 v7, v13, v5
	s_delay_alu instid0(VALU_DEP_1) | instskip(NEXT) | instid1(VALU_DEP_1)
	v_fma_f32 v1, -v1, v7, v11
	v_div_fmas_f32 v1, v1, v5, v7
	s_delay_alu instid0(VALU_DEP_1) | instskip(NEXT) | instid1(VALU_DEP_1)
	v_div_fixup_f32 v1, v1, v129, v128
	v_fmac_f32_e32 v129, v128, v1
	s_delay_alu instid0(VALU_DEP_1) | instskip(NEXT) | instid1(VALU_DEP_1)
	v_div_scale_f32 v5, null, v129, v129, -1.0
	v_rcp_f32_e32 v7, v5
	v_nop
	s_delay_alu instid0(TRANS32_DEP_1) | instskip(NEXT) | instid1(VALU_DEP_1)
	v_fma_f32 v11, -v5, v7, 1.0
	v_fmac_f32_e32 v7, v11, v7
	v_div_scale_f32 v11, vcc_lo, -1.0, v129, -1.0
	s_delay_alu instid0(VALU_DEP_1) | instskip(NEXT) | instid1(VALU_DEP_1)
	v_mul_f32_e32 v13, v11, v7
	v_fma_f32 v15, -v5, v13, v11
	s_delay_alu instid0(VALU_DEP_1) | instskip(NEXT) | instid1(VALU_DEP_1)
	v_fmac_f32_e32 v13, v15, v7
	v_fma_f32 v5, -v5, v13, v11
	s_delay_alu instid0(VALU_DEP_1) | instskip(NEXT) | instid1(VALU_DEP_1)
	v_div_fmas_f32 v5, v5, v7, v13
	v_div_fixup_f32 v133, v5, v129, -1.0
                                        ; implicit-def: $vgpr128_vgpr129
	s_delay_alu instid0(VALU_DEP_1) | instskip(NEXT) | instid1(VALU_DEP_1)
	v_mul_f32_e32 v130, v1, v133
	v_xor_b32_e32 v132, 0x80000000, v130
.LBB61_4:
	s_or_saveexec_b32 s0, s0
	v_lshl_add_u32 v1, v0, 3, 0
	s_xor_b32 exec_lo, exec_lo, s0
	s_cbranch_execz .LBB61_6
; %bb.5:
	v_div_scale_f32 v5, null, v128, v128, v129
	v_div_scale_f32 v13, vcc_lo, v129, v128, v129
	s_delay_alu instid0(VALU_DEP_2) | instskip(SKIP_1) | instid1(TRANS32_DEP_1)
	v_rcp_f32_e32 v7, v5
	v_nop
	v_fma_f32 v11, -v5, v7, 1.0
	s_delay_alu instid0(VALU_DEP_1) | instskip(NEXT) | instid1(VALU_DEP_1)
	v_fmac_f32_e32 v7, v11, v7
	v_mul_f32_e32 v11, v13, v7
	s_delay_alu instid0(VALU_DEP_1) | instskip(NEXT) | instid1(VALU_DEP_1)
	v_fma_f32 v15, -v5, v11, v13
	v_fmac_f32_e32 v11, v15, v7
	s_delay_alu instid0(VALU_DEP_1) | instskip(NEXT) | instid1(VALU_DEP_1)
	v_fma_f32 v5, -v5, v11, v13
	v_div_fmas_f32 v5, v5, v7, v11
	s_delay_alu instid0(VALU_DEP_1) | instskip(NEXT) | instid1(VALU_DEP_1)
	v_div_fixup_f32 v5, v5, v128, v129
	v_fmac_f32_e32 v128, v129, v5
	s_delay_alu instid0(VALU_DEP_1) | instskip(SKIP_1) | instid1(VALU_DEP_2)
	v_div_scale_f32 v7, null, v128, v128, 1.0
	v_div_scale_f32 v15, vcc_lo, 1.0, v128, 1.0
	v_rcp_f32_e32 v11, v7
	v_nop
	s_delay_alu instid0(TRANS32_DEP_1) | instskip(NEXT) | instid1(VALU_DEP_1)
	v_fma_f32 v13, -v7, v11, 1.0
	v_fmac_f32_e32 v11, v13, v11
	s_delay_alu instid0(VALU_DEP_1) | instskip(NEXT) | instid1(VALU_DEP_1)
	v_mul_f32_e32 v13, v15, v11
	v_fma_f32 v17, -v7, v13, v15
	s_delay_alu instid0(VALU_DEP_1) | instskip(NEXT) | instid1(VALU_DEP_1)
	v_fmac_f32_e32 v13, v17, v11
	v_fma_f32 v7, -v7, v13, v15
	s_delay_alu instid0(VALU_DEP_1) | instskip(NEXT) | instid1(VALU_DEP_1)
	v_div_fmas_f32 v7, v7, v11, v13
	v_div_fixup_f32 v132, v7, v128, 1.0
	s_delay_alu instid0(VALU_DEP_1)
	v_xor_b32_e32 v130, 0x80000000, v132
	v_mul_f32_e64 v133, v5, -v132
.LBB61_6:
	s_or_b32 exec_lo, exec_lo, s0
	s_delay_alu instid0(VALU_DEP_1)
	v_xor_b32_e32 v131, 0x80000000, v133
	s_mov_b32 s0, 0
	scratch_store_b64 v1, v[132:133], off
	ds_store_b64 v50, v[130:131]
.LBB61_7:
	s_and_b32 vcc_lo, exec_lo, s0
	s_cbranch_vccz .LBB61_9
; %bb.8:
	s_mov_b64 s[0:1], 0xbf800000
	s_wait_xcnt 0x2
	v_mov_b64_e32 v[128:129], s[0:1]
	ds_store_b64 v50, v[128:129]
.LBB61_9:
	v_dual_ashrrev_i32 v5, 31, v4 :: v_dual_ashrrev_i32 v7, 31, v6
	v_dual_ashrrev_i32 v11, 31, v10 :: v_dual_ashrrev_i32 v13, 31, v12
	;; [unrolled: 1-line block ×30, first 2 shown]
	s_wait_xcnt 0x0
	v_add_nc_u32_e32 v1, 0x1f0, v50
	v_mov_b32_e32 v51, v50
	s_cmp_eq_u32 s4, 0x79
	s_cbranch_scc1 .LBB61_13
; %bb.10:
	scratch_load_b64 v[128:129], off, off offset:480
	v_cmp_eq_u32_e64 s0, 61, v0
	s_movk_i32 s1, 0x50
	s_movk_i32 s10, 0x60
	;; [unrolled: 1-line block ×25, first 2 shown]
	s_wait_loadcnt 0x0
	ds_store_b64 v1, v[128:129]
	s_wait_storecnt_dscnt 0x0
	s_barrier_signal -1
	s_barrier_wait -1
	s_wait_xcnt 0x0
	s_and_saveexec_b32 s2, s0
	s_cbranch_execz .LBB61_17
; %bb.11:
	s_and_b32 vcc_lo, exec_lo, s3
	s_cbranch_vccz .LBB61_14
; %bb.12:
	scratch_load_b64 v[128:129], v51, off
	ds_load_b64 v[130:131], v1
	s_wait_loadcnt_dscnt 0x0
	v_pk_mul_f32 v[132:133], v[130:131], v[128:129] op_sel:[1,1] op_sel_hi:[0,1]
	v_pk_mul_f32 v[134:135], v[130:131], v[128:129] op_sel_hi:[1,0]
	s_delay_alu instid0(VALU_DEP_2) | instskip(NEXT) | instid1(VALU_DEP_2)
	v_pk_fma_f32 v[128:129], v[130:131], v[128:129], v[132:133] op_sel_hi:[1,0,1]
	v_sub_f32_e32 v128, v134, v132
	s_cbranch_execz .LBB61_15
	s_branch .LBB61_16
.LBB61_13:
	s_mov_b32 s1, 0
                                        ; implicit-def: $vgpr180
                                        ; implicit-def: $sgpr4
	s_cbranch_execnz .LBB61_616
	s_branch .LBB61_1221
.LBB61_14:
                                        ; implicit-def: $vgpr129
.LBB61_15:
	ds_load_b64 v[128:129], v1
.LBB61_16:
	s_wait_dscnt 0x0
	v_dual_mov_b32 v130, 0 :: v_dual_mov_b32 v132, v129
	v_mov_b32_e32 v133, v128
	ds_load_b64 v[130:131], v130 offset:480
	s_wait_dscnt 0x0
	v_pk_mul_f32 v[132:133], v[132:133], v[130:131] op_sel:[0,1]
	s_delay_alu instid0(VALU_DEP_1) | instskip(SKIP_1) | instid1(VALU_DEP_2)
	v_pk_fma_f32 v[134:135], v[128:129], v[130:131], v[132:133] op_sel_hi:[1,0,1]
	v_pk_fma_f32 v[128:129], v[128:129], v[130:131], v[132:133] neg_lo:[0,0,1] neg_hi:[0,0,1]
	v_mov_b32_e32 v129, v135
	scratch_store_b64 off, v[128:129], off offset:480
.LBB61_17:
	s_wait_xcnt 0x0
	s_or_b32 exec_lo, exec_lo, s2
	scratch_load_b64 v[128:129], off, off offset:472
	s_mov_b32 s9, s1
	v_cmp_lt_u32_e64 s1, 59, v0
	s_mov_b32 s4, 16
	s_mov_b32 s5, 32
	s_mov_b32 s2, 48
	s_mov_b32 s8, 64
	s_wait_loadcnt 0x0
	ds_store_b64 v1, v[128:129]
	s_wait_storecnt_dscnt 0x0
	s_barrier_signal -1
	s_barrier_wait -1
	s_wait_xcnt 0x0
	s_and_saveexec_b32 s35, s1
	s_cbranch_execz .LBB61_25
; %bb.18:
	s_and_not1_b32 vcc_lo, exec_lo, s3
	s_cbranch_vccnz .LBB61_20
; %bb.19:
	scratch_load_b64 v[128:129], v51, off
	ds_load_b64 v[130:131], v1
	s_wait_loadcnt_dscnt 0x0
	v_pk_mul_f32 v[132:133], v[130:131], v[128:129] op_sel:[1,1] op_sel_hi:[0,1]
	s_delay_alu instid0(VALU_DEP_1) | instskip(SKIP_1) | instid1(VALU_DEP_2)
	v_pk_fma_f32 v[134:135], v[130:131], v[128:129], v[132:133] op_sel_hi:[1,0,1]
	v_pk_fma_f32 v[128:129], v[130:131], v[128:129], v[132:133] neg_lo:[0,0,1] neg_hi:[0,0,1]
	v_mov_b32_e32 v129, v135
	s_cbranch_execz .LBB61_21
	s_branch .LBB61_22
.LBB61_20:
                                        ; implicit-def: $vgpr128_vgpr129
.LBB61_21:
	ds_load_b64 v[128:129], v1
.LBB61_22:
	s_and_saveexec_b32 s36, s0
	s_cbranch_execz .LBB61_24
; %bb.23:
	scratch_load_b64 v[130:131], off, off offset:480
	v_mov_b32_e32 v132, 0
	ds_load_b64 v[132:133], v132 offset:976
	s_wait_loadcnt_dscnt 0x0
	v_pk_mul_f32 v[134:135], v[132:133], v[130:131] op_sel:[1,1] op_sel_hi:[0,1]
	s_delay_alu instid0(VALU_DEP_1) | instskip(SKIP_1) | instid1(VALU_DEP_2)
	v_pk_fma_f32 v[136:137], v[132:133], v[130:131], v[134:135] op_sel_hi:[1,0,1]
	v_pk_fma_f32 v[130:131], v[132:133], v[130:131], v[134:135] neg_lo:[0,0,1] neg_hi:[0,0,1]
	v_mov_b32_e32 v131, v137
	s_delay_alu instid0(VALU_DEP_1)
	v_pk_add_f32 v[128:129], v[128:129], v[130:131]
.LBB61_24:
	s_or_b32 exec_lo, exec_lo, s36
	v_mov_b32_e32 v130, 0
	ds_load_b64 v[130:131], v130 offset:472
	s_wait_dscnt 0x0
	v_pk_mul_f32 v[132:133], v[128:129], v[130:131] op_sel:[1,1] op_sel_hi:[0,1]
	s_delay_alu instid0(VALU_DEP_1) | instskip(SKIP_1) | instid1(VALU_DEP_2)
	v_pk_fma_f32 v[134:135], v[128:129], v[130:131], v[132:133] op_sel_hi:[1,0,1]
	v_pk_fma_f32 v[128:129], v[128:129], v[130:131], v[132:133] neg_lo:[0,0,1] neg_hi:[0,0,1]
	v_mov_b32_e32 v129, v135
	scratch_store_b64 off, v[128:129], off offset:472
.LBB61_25:
	s_wait_xcnt 0x0
	s_or_b32 exec_lo, exec_lo, s35
	scratch_load_b64 v[128:129], off, off offset:464
	v_cmp_lt_u32_e64 s0, 58, v0
	s_wait_loadcnt 0x0
	ds_store_b64 v1, v[128:129]
	s_wait_storecnt_dscnt 0x0
	s_barrier_signal -1
	s_barrier_wait -1
	s_wait_xcnt 0x0
	s_and_saveexec_b32 s35, s0
	s_cbranch_execz .LBB61_35
; %bb.26:
	s_and_not1_b32 vcc_lo, exec_lo, s3
	s_cbranch_vccnz .LBB61_28
; %bb.27:
	scratch_load_b64 v[128:129], v51, off
	ds_load_b64 v[130:131], v1
	s_wait_loadcnt_dscnt 0x0
	v_pk_mul_f32 v[132:133], v[130:131], v[128:129] op_sel:[1,1] op_sel_hi:[0,1]
	s_delay_alu instid0(VALU_DEP_1) | instskip(SKIP_1) | instid1(VALU_DEP_2)
	v_pk_fma_f32 v[134:135], v[130:131], v[128:129], v[132:133] op_sel_hi:[1,0,1]
	v_pk_fma_f32 v[128:129], v[130:131], v[128:129], v[132:133] neg_lo:[0,0,1] neg_hi:[0,0,1]
	v_mov_b32_e32 v129, v135
	s_cbranch_execz .LBB61_29
	s_branch .LBB61_30
.LBB61_28:
                                        ; implicit-def: $vgpr128_vgpr129
.LBB61_29:
	ds_load_b64 v[128:129], v1
.LBB61_30:
	s_and_saveexec_b32 s36, s1
	s_cbranch_execz .LBB61_34
; %bb.31:
	v_subrev_nc_u32_e32 v130, 59, v0
	s_movk_i32 s1, 0x1d8
	s_movk_i32 s38, 0x3c8
	s_mov_b32 s37, 0
.LBB61_32:                              ; =>This Inner Loop Header: Depth=1
	scratch_load_b64 v[132:133], off, s1
	v_dual_mov_b32 v131, s38 :: v_dual_add_nc_u32 v130, -1, v130
	s_add_co_i32 s38, s38, 8
	s_wait_xcnt 0x0
	s_add_co_i32 s1, s1, 8
	ds_load_b64 v[134:135], v131
	v_cmp_eq_u32_e32 vcc_lo, 0, v130
	s_or_b32 s37, vcc_lo, s37
	s_wait_loadcnt_dscnt 0x0
	v_pk_mul_f32 v[136:137], v[134:135], v[132:133] op_sel:[1,1] op_sel_hi:[0,1]
	s_delay_alu instid0(VALU_DEP_1) | instskip(SKIP_1) | instid1(VALU_DEP_2)
	v_pk_fma_f32 v[138:139], v[134:135], v[132:133], v[136:137] op_sel_hi:[1,0,1]
	v_pk_fma_f32 v[132:133], v[134:135], v[132:133], v[136:137] neg_lo:[0,0,1] neg_hi:[0,0,1]
	v_mov_b32_e32 v133, v139
	s_delay_alu instid0(VALU_DEP_1)
	v_pk_add_f32 v[128:129], v[128:129], v[132:133]
	s_and_not1_b32 exec_lo, exec_lo, s37
	s_cbranch_execnz .LBB61_32
; %bb.33:
	s_or_b32 exec_lo, exec_lo, s37
.LBB61_34:
	s_delay_alu instid0(SALU_CYCLE_1) | instskip(SKIP_4) | instid1(VALU_DEP_1)
	s_or_b32 exec_lo, exec_lo, s36
	v_mov_b32_e32 v130, 0
	ds_load_b64 v[130:131], v130 offset:464
	s_wait_dscnt 0x0
	v_pk_mul_f32 v[132:133], v[128:129], v[130:131] op_sel:[1,1] op_sel_hi:[0,1]
	v_pk_fma_f32 v[134:135], v[128:129], v[130:131], v[132:133] op_sel_hi:[1,0,1]
	v_pk_fma_f32 v[128:129], v[128:129], v[130:131], v[132:133] neg_lo:[0,0,1] neg_hi:[0,0,1]
	s_delay_alu instid0(VALU_DEP_2)
	v_mov_b32_e32 v129, v135
	scratch_store_b64 off, v[128:129], off offset:464
.LBB61_35:
	s_wait_xcnt 0x0
	s_or_b32 exec_lo, exec_lo, s35
	scratch_load_b64 v[128:129], off, off offset:456
	v_cmp_lt_u32_e64 s1, 57, v0
	s_wait_loadcnt 0x0
	ds_store_b64 v1, v[128:129]
	s_wait_storecnt_dscnt 0x0
	s_barrier_signal -1
	s_barrier_wait -1
	s_wait_xcnt 0x0
	s_and_saveexec_b32 s35, s1
	s_cbranch_execz .LBB61_45
; %bb.36:
	s_and_not1_b32 vcc_lo, exec_lo, s3
	s_cbranch_vccnz .LBB61_38
; %bb.37:
	scratch_load_b64 v[128:129], v51, off
	ds_load_b64 v[130:131], v1
	s_wait_loadcnt_dscnt 0x0
	v_pk_mul_f32 v[132:133], v[130:131], v[128:129] op_sel:[1,1] op_sel_hi:[0,1]
	s_delay_alu instid0(VALU_DEP_1) | instskip(SKIP_1) | instid1(VALU_DEP_2)
	v_pk_fma_f32 v[134:135], v[130:131], v[128:129], v[132:133] op_sel_hi:[1,0,1]
	v_pk_fma_f32 v[128:129], v[130:131], v[128:129], v[132:133] neg_lo:[0,0,1] neg_hi:[0,0,1]
	v_mov_b32_e32 v129, v135
	s_cbranch_execz .LBB61_39
	s_branch .LBB61_40
.LBB61_38:
                                        ; implicit-def: $vgpr128_vgpr129
.LBB61_39:
	ds_load_b64 v[128:129], v1
.LBB61_40:
	s_and_saveexec_b32 s36, s0
	s_cbranch_execz .LBB61_44
; %bb.41:
	v_subrev_nc_u32_e32 v130, 58, v0
	s_movk_i32 s37, 0x3c0
	s_mov_b32 s0, 0
.LBB61_42:                              ; =>This Inner Loop Header: Depth=1
	scratch_load_b64 v[132:133], off, s34
	v_dual_mov_b32 v131, s37 :: v_dual_add_nc_u32 v130, -1, v130
	s_add_co_i32 s37, s37, 8
	s_wait_xcnt 0x0
	s_add_co_i32 s34, s34, 8
	ds_load_b64 v[134:135], v131
	v_cmp_eq_u32_e32 vcc_lo, 0, v130
	s_or_b32 s0, vcc_lo, s0
	s_wait_loadcnt_dscnt 0x0
	v_pk_mul_f32 v[136:137], v[134:135], v[132:133] op_sel:[1,1] op_sel_hi:[0,1]
	s_delay_alu instid0(VALU_DEP_1) | instskip(SKIP_1) | instid1(VALU_DEP_2)
	v_pk_fma_f32 v[138:139], v[134:135], v[132:133], v[136:137] op_sel_hi:[1,0,1]
	v_pk_fma_f32 v[132:133], v[134:135], v[132:133], v[136:137] neg_lo:[0,0,1] neg_hi:[0,0,1]
	v_mov_b32_e32 v133, v139
	s_delay_alu instid0(VALU_DEP_1)
	v_pk_add_f32 v[128:129], v[128:129], v[132:133]
	s_and_not1_b32 exec_lo, exec_lo, s0
	s_cbranch_execnz .LBB61_42
; %bb.43:
	s_or_b32 exec_lo, exec_lo, s0
.LBB61_44:
	s_delay_alu instid0(SALU_CYCLE_1) | instskip(SKIP_4) | instid1(VALU_DEP_1)
	s_or_b32 exec_lo, exec_lo, s36
	v_mov_b32_e32 v130, 0
	ds_load_b64 v[130:131], v130 offset:456
	s_wait_dscnt 0x0
	v_pk_mul_f32 v[132:133], v[128:129], v[130:131] op_sel:[1,1] op_sel_hi:[0,1]
	v_pk_fma_f32 v[134:135], v[128:129], v[130:131], v[132:133] op_sel_hi:[1,0,1]
	v_pk_fma_f32 v[128:129], v[128:129], v[130:131], v[132:133] neg_lo:[0,0,1] neg_hi:[0,0,1]
	s_delay_alu instid0(VALU_DEP_2)
	v_mov_b32_e32 v129, v135
	scratch_store_b64 off, v[128:129], off offset:456
.LBB61_45:
	s_wait_xcnt 0x0
	s_or_b32 exec_lo, exec_lo, s35
	scratch_load_b64 v[128:129], off, off offset:448
	v_cmp_lt_u32_e64 s0, 56, v0
	s_wait_loadcnt 0x0
	ds_store_b64 v1, v[128:129]
	s_wait_storecnt_dscnt 0x0
	s_barrier_signal -1
	s_barrier_wait -1
	s_wait_xcnt 0x0
	s_and_saveexec_b32 s34, s0
	s_cbranch_execz .LBB61_55
; %bb.46:
	s_and_not1_b32 vcc_lo, exec_lo, s3
	s_cbranch_vccnz .LBB61_48
; %bb.47:
	scratch_load_b64 v[128:129], v51, off
	ds_load_b64 v[130:131], v1
	s_wait_loadcnt_dscnt 0x0
	v_pk_mul_f32 v[132:133], v[130:131], v[128:129] op_sel:[1,1] op_sel_hi:[0,1]
	s_delay_alu instid0(VALU_DEP_1) | instskip(SKIP_1) | instid1(VALU_DEP_2)
	v_pk_fma_f32 v[134:135], v[130:131], v[128:129], v[132:133] op_sel_hi:[1,0,1]
	v_pk_fma_f32 v[128:129], v[130:131], v[128:129], v[132:133] neg_lo:[0,0,1] neg_hi:[0,0,1]
	v_mov_b32_e32 v129, v135
	s_cbranch_execz .LBB61_49
	s_branch .LBB61_50
.LBB61_48:
                                        ; implicit-def: $vgpr128_vgpr129
.LBB61_49:
	ds_load_b64 v[128:129], v1
.LBB61_50:
	s_and_saveexec_b32 s35, s1
	s_cbranch_execz .LBB61_54
; %bb.51:
	v_subrev_nc_u32_e32 v130, 57, v0
	s_movk_i32 s1, 0x1c8
	s_movk_i32 s37, 0x3b8
	s_mov_b32 s36, 0
.LBB61_52:                              ; =>This Inner Loop Header: Depth=1
	scratch_load_b64 v[132:133], off, s1
	v_dual_mov_b32 v131, s37 :: v_dual_add_nc_u32 v130, -1, v130
	s_add_co_i32 s37, s37, 8
	s_wait_xcnt 0x0
	s_add_co_i32 s1, s1, 8
	ds_load_b64 v[134:135], v131
	v_cmp_eq_u32_e32 vcc_lo, 0, v130
	s_or_b32 s36, vcc_lo, s36
	s_wait_loadcnt_dscnt 0x0
	v_pk_mul_f32 v[136:137], v[134:135], v[132:133] op_sel:[1,1] op_sel_hi:[0,1]
	s_delay_alu instid0(VALU_DEP_1) | instskip(SKIP_1) | instid1(VALU_DEP_2)
	v_pk_fma_f32 v[138:139], v[134:135], v[132:133], v[136:137] op_sel_hi:[1,0,1]
	v_pk_fma_f32 v[132:133], v[134:135], v[132:133], v[136:137] neg_lo:[0,0,1] neg_hi:[0,0,1]
	v_mov_b32_e32 v133, v139
	s_delay_alu instid0(VALU_DEP_1)
	v_pk_add_f32 v[128:129], v[128:129], v[132:133]
	s_and_not1_b32 exec_lo, exec_lo, s36
	s_cbranch_execnz .LBB61_52
; %bb.53:
	s_or_b32 exec_lo, exec_lo, s36
.LBB61_54:
	s_delay_alu instid0(SALU_CYCLE_1) | instskip(SKIP_4) | instid1(VALU_DEP_1)
	s_or_b32 exec_lo, exec_lo, s35
	v_mov_b32_e32 v130, 0
	ds_load_b64 v[130:131], v130 offset:448
	s_wait_dscnt 0x0
	v_pk_mul_f32 v[132:133], v[128:129], v[130:131] op_sel:[1,1] op_sel_hi:[0,1]
	v_pk_fma_f32 v[134:135], v[128:129], v[130:131], v[132:133] op_sel_hi:[1,0,1]
	v_pk_fma_f32 v[128:129], v[128:129], v[130:131], v[132:133] neg_lo:[0,0,1] neg_hi:[0,0,1]
	s_delay_alu instid0(VALU_DEP_2)
	v_mov_b32_e32 v129, v135
	scratch_store_b64 off, v[128:129], off offset:448
.LBB61_55:
	s_wait_xcnt 0x0
	s_or_b32 exec_lo, exec_lo, s34
	scratch_load_b64 v[128:129], off, off offset:440
	v_cmp_lt_u32_e64 s1, 55, v0
	s_wait_loadcnt 0x0
	ds_store_b64 v1, v[128:129]
	s_wait_storecnt_dscnt 0x0
	s_barrier_signal -1
	s_barrier_wait -1
	s_wait_xcnt 0x0
	s_and_saveexec_b32 s34, s1
	s_cbranch_execz .LBB61_65
; %bb.56:
	s_and_not1_b32 vcc_lo, exec_lo, s3
	s_cbranch_vccnz .LBB61_58
; %bb.57:
	scratch_load_b64 v[128:129], v51, off
	ds_load_b64 v[130:131], v1
	s_wait_loadcnt_dscnt 0x0
	v_pk_mul_f32 v[132:133], v[130:131], v[128:129] op_sel:[1,1] op_sel_hi:[0,1]
	s_delay_alu instid0(VALU_DEP_1) | instskip(SKIP_1) | instid1(VALU_DEP_2)
	v_pk_fma_f32 v[134:135], v[130:131], v[128:129], v[132:133] op_sel_hi:[1,0,1]
	v_pk_fma_f32 v[128:129], v[130:131], v[128:129], v[132:133] neg_lo:[0,0,1] neg_hi:[0,0,1]
	v_mov_b32_e32 v129, v135
	s_cbranch_execz .LBB61_59
	s_branch .LBB61_60
.LBB61_58:
                                        ; implicit-def: $vgpr128_vgpr129
.LBB61_59:
	ds_load_b64 v[128:129], v1
.LBB61_60:
	s_and_saveexec_b32 s35, s0
	s_cbranch_execz .LBB61_64
; %bb.61:
	v_subrev_nc_u32_e32 v130, 56, v0
	s_movk_i32 s36, 0x3b0
	s_mov_b32 s0, 0
.LBB61_62:                              ; =>This Inner Loop Header: Depth=1
	scratch_load_b64 v[132:133], off, s33
	v_dual_mov_b32 v131, s36 :: v_dual_add_nc_u32 v130, -1, v130
	s_add_co_i32 s36, s36, 8
	s_wait_xcnt 0x0
	s_add_co_i32 s33, s33, 8
	ds_load_b64 v[134:135], v131
	v_cmp_eq_u32_e32 vcc_lo, 0, v130
	s_or_b32 s0, vcc_lo, s0
	s_wait_loadcnt_dscnt 0x0
	v_pk_mul_f32 v[136:137], v[134:135], v[132:133] op_sel:[1,1] op_sel_hi:[0,1]
	s_delay_alu instid0(VALU_DEP_1) | instskip(SKIP_1) | instid1(VALU_DEP_2)
	v_pk_fma_f32 v[138:139], v[134:135], v[132:133], v[136:137] op_sel_hi:[1,0,1]
	v_pk_fma_f32 v[132:133], v[134:135], v[132:133], v[136:137] neg_lo:[0,0,1] neg_hi:[0,0,1]
	v_mov_b32_e32 v133, v139
	s_delay_alu instid0(VALU_DEP_1)
	v_pk_add_f32 v[128:129], v[128:129], v[132:133]
	s_and_not1_b32 exec_lo, exec_lo, s0
	s_cbranch_execnz .LBB61_62
; %bb.63:
	s_or_b32 exec_lo, exec_lo, s0
.LBB61_64:
	s_delay_alu instid0(SALU_CYCLE_1) | instskip(SKIP_4) | instid1(VALU_DEP_1)
	s_or_b32 exec_lo, exec_lo, s35
	v_mov_b32_e32 v130, 0
	ds_load_b64 v[130:131], v130 offset:440
	s_wait_dscnt 0x0
	v_pk_mul_f32 v[132:133], v[128:129], v[130:131] op_sel:[1,1] op_sel_hi:[0,1]
	v_pk_fma_f32 v[134:135], v[128:129], v[130:131], v[132:133] op_sel_hi:[1,0,1]
	v_pk_fma_f32 v[128:129], v[128:129], v[130:131], v[132:133] neg_lo:[0,0,1] neg_hi:[0,0,1]
	s_delay_alu instid0(VALU_DEP_2)
	v_mov_b32_e32 v129, v135
	scratch_store_b64 off, v[128:129], off offset:440
.LBB61_65:
	s_wait_xcnt 0x0
	s_or_b32 exec_lo, exec_lo, s34
	scratch_load_b64 v[128:129], off, off offset:432
	v_cmp_lt_u32_e64 s0, 54, v0
	s_wait_loadcnt 0x0
	ds_store_b64 v1, v[128:129]
	s_wait_storecnt_dscnt 0x0
	s_barrier_signal -1
	s_barrier_wait -1
	s_wait_xcnt 0x0
	s_and_saveexec_b32 s33, s0
	s_cbranch_execz .LBB61_75
; %bb.66:
	s_and_not1_b32 vcc_lo, exec_lo, s3
	s_cbranch_vccnz .LBB61_68
; %bb.67:
	scratch_load_b64 v[128:129], v51, off
	ds_load_b64 v[130:131], v1
	s_wait_loadcnt_dscnt 0x0
	v_pk_mul_f32 v[132:133], v[130:131], v[128:129] op_sel:[1,1] op_sel_hi:[0,1]
	s_delay_alu instid0(VALU_DEP_1) | instskip(SKIP_1) | instid1(VALU_DEP_2)
	v_pk_fma_f32 v[134:135], v[130:131], v[128:129], v[132:133] op_sel_hi:[1,0,1]
	v_pk_fma_f32 v[128:129], v[130:131], v[128:129], v[132:133] neg_lo:[0,0,1] neg_hi:[0,0,1]
	v_mov_b32_e32 v129, v135
	s_cbranch_execz .LBB61_69
	s_branch .LBB61_70
.LBB61_68:
                                        ; implicit-def: $vgpr128_vgpr129
.LBB61_69:
	ds_load_b64 v[128:129], v1
.LBB61_70:
	s_and_saveexec_b32 s34, s1
	s_cbranch_execz .LBB61_74
; %bb.71:
	v_subrev_nc_u32_e32 v130, 55, v0
	s_movk_i32 s1, 0x1b8
	s_movk_i32 s36, 0x3a8
	s_mov_b32 s35, 0
.LBB61_72:                              ; =>This Inner Loop Header: Depth=1
	scratch_load_b64 v[132:133], off, s1
	v_dual_mov_b32 v131, s36 :: v_dual_add_nc_u32 v130, -1, v130
	s_add_co_i32 s36, s36, 8
	s_wait_xcnt 0x0
	s_add_co_i32 s1, s1, 8
	ds_load_b64 v[134:135], v131
	v_cmp_eq_u32_e32 vcc_lo, 0, v130
	s_or_b32 s35, vcc_lo, s35
	s_wait_loadcnt_dscnt 0x0
	v_pk_mul_f32 v[136:137], v[134:135], v[132:133] op_sel:[1,1] op_sel_hi:[0,1]
	s_delay_alu instid0(VALU_DEP_1) | instskip(SKIP_1) | instid1(VALU_DEP_2)
	v_pk_fma_f32 v[138:139], v[134:135], v[132:133], v[136:137] op_sel_hi:[1,0,1]
	v_pk_fma_f32 v[132:133], v[134:135], v[132:133], v[136:137] neg_lo:[0,0,1] neg_hi:[0,0,1]
	v_mov_b32_e32 v133, v139
	s_delay_alu instid0(VALU_DEP_1)
	v_pk_add_f32 v[128:129], v[128:129], v[132:133]
	s_and_not1_b32 exec_lo, exec_lo, s35
	s_cbranch_execnz .LBB61_72
; %bb.73:
	s_or_b32 exec_lo, exec_lo, s35
.LBB61_74:
	s_delay_alu instid0(SALU_CYCLE_1) | instskip(SKIP_4) | instid1(VALU_DEP_1)
	s_or_b32 exec_lo, exec_lo, s34
	v_mov_b32_e32 v130, 0
	ds_load_b64 v[130:131], v130 offset:432
	s_wait_dscnt 0x0
	v_pk_mul_f32 v[132:133], v[128:129], v[130:131] op_sel:[1,1] op_sel_hi:[0,1]
	v_pk_fma_f32 v[134:135], v[128:129], v[130:131], v[132:133] op_sel_hi:[1,0,1]
	v_pk_fma_f32 v[128:129], v[128:129], v[130:131], v[132:133] neg_lo:[0,0,1] neg_hi:[0,0,1]
	s_delay_alu instid0(VALU_DEP_2)
	v_mov_b32_e32 v129, v135
	scratch_store_b64 off, v[128:129], off offset:432
.LBB61_75:
	s_wait_xcnt 0x0
	s_or_b32 exec_lo, exec_lo, s33
	scratch_load_b64 v[128:129], off, off offset:424
	v_cmp_lt_u32_e64 s1, 53, v0
	s_wait_loadcnt 0x0
	ds_store_b64 v1, v[128:129]
	s_wait_storecnt_dscnt 0x0
	s_barrier_signal -1
	s_barrier_wait -1
	s_wait_xcnt 0x0
	s_and_saveexec_b32 s33, s1
	s_cbranch_execz .LBB61_85
; %bb.76:
	s_and_not1_b32 vcc_lo, exec_lo, s3
	s_cbranch_vccnz .LBB61_78
; %bb.77:
	scratch_load_b64 v[128:129], v51, off
	ds_load_b64 v[130:131], v1
	s_wait_loadcnt_dscnt 0x0
	v_pk_mul_f32 v[132:133], v[130:131], v[128:129] op_sel:[1,1] op_sel_hi:[0,1]
	s_delay_alu instid0(VALU_DEP_1) | instskip(SKIP_1) | instid1(VALU_DEP_2)
	v_pk_fma_f32 v[134:135], v[130:131], v[128:129], v[132:133] op_sel_hi:[1,0,1]
	v_pk_fma_f32 v[128:129], v[130:131], v[128:129], v[132:133] neg_lo:[0,0,1] neg_hi:[0,0,1]
	v_mov_b32_e32 v129, v135
	s_cbranch_execz .LBB61_79
	s_branch .LBB61_80
.LBB61_78:
                                        ; implicit-def: $vgpr128_vgpr129
.LBB61_79:
	ds_load_b64 v[128:129], v1
.LBB61_80:
	s_and_saveexec_b32 s34, s0
	s_cbranch_execz .LBB61_84
; %bb.81:
	v_subrev_nc_u32_e32 v130, 54, v0
	s_movk_i32 s35, 0x3a0
	s_mov_b32 s0, 0
.LBB61_82:                              ; =>This Inner Loop Header: Depth=1
	scratch_load_b64 v[132:133], off, s31
	v_dual_mov_b32 v131, s35 :: v_dual_add_nc_u32 v130, -1, v130
	s_add_co_i32 s35, s35, 8
	s_wait_xcnt 0x0
	s_add_co_i32 s31, s31, 8
	ds_load_b64 v[134:135], v131
	v_cmp_eq_u32_e32 vcc_lo, 0, v130
	s_or_b32 s0, vcc_lo, s0
	s_wait_loadcnt_dscnt 0x0
	v_pk_mul_f32 v[136:137], v[134:135], v[132:133] op_sel:[1,1] op_sel_hi:[0,1]
	s_delay_alu instid0(VALU_DEP_1) | instskip(SKIP_1) | instid1(VALU_DEP_2)
	v_pk_fma_f32 v[138:139], v[134:135], v[132:133], v[136:137] op_sel_hi:[1,0,1]
	v_pk_fma_f32 v[132:133], v[134:135], v[132:133], v[136:137] neg_lo:[0,0,1] neg_hi:[0,0,1]
	v_mov_b32_e32 v133, v139
	s_delay_alu instid0(VALU_DEP_1)
	v_pk_add_f32 v[128:129], v[128:129], v[132:133]
	s_and_not1_b32 exec_lo, exec_lo, s0
	s_cbranch_execnz .LBB61_82
; %bb.83:
	s_or_b32 exec_lo, exec_lo, s0
.LBB61_84:
	s_delay_alu instid0(SALU_CYCLE_1) | instskip(SKIP_4) | instid1(VALU_DEP_1)
	s_or_b32 exec_lo, exec_lo, s34
	v_mov_b32_e32 v130, 0
	ds_load_b64 v[130:131], v130 offset:424
	s_wait_dscnt 0x0
	v_pk_mul_f32 v[132:133], v[128:129], v[130:131] op_sel:[1,1] op_sel_hi:[0,1]
	v_pk_fma_f32 v[134:135], v[128:129], v[130:131], v[132:133] op_sel_hi:[1,0,1]
	v_pk_fma_f32 v[128:129], v[128:129], v[130:131], v[132:133] neg_lo:[0,0,1] neg_hi:[0,0,1]
	s_delay_alu instid0(VALU_DEP_2)
	v_mov_b32_e32 v129, v135
	scratch_store_b64 off, v[128:129], off offset:424
.LBB61_85:
	s_wait_xcnt 0x0
	s_or_b32 exec_lo, exec_lo, s33
	scratch_load_b64 v[128:129], off, off offset:416
	v_cmp_lt_u32_e64 s0, 52, v0
	s_wait_loadcnt 0x0
	ds_store_b64 v1, v[128:129]
	s_wait_storecnt_dscnt 0x0
	s_barrier_signal -1
	s_barrier_wait -1
	s_wait_xcnt 0x0
	s_and_saveexec_b32 s31, s0
	s_cbranch_execz .LBB61_95
; %bb.86:
	s_and_not1_b32 vcc_lo, exec_lo, s3
	s_cbranch_vccnz .LBB61_88
; %bb.87:
	scratch_load_b64 v[128:129], v51, off
	ds_load_b64 v[130:131], v1
	s_wait_loadcnt_dscnt 0x0
	v_pk_mul_f32 v[132:133], v[130:131], v[128:129] op_sel:[1,1] op_sel_hi:[0,1]
	s_delay_alu instid0(VALU_DEP_1) | instskip(SKIP_1) | instid1(VALU_DEP_2)
	v_pk_fma_f32 v[134:135], v[130:131], v[128:129], v[132:133] op_sel_hi:[1,0,1]
	v_pk_fma_f32 v[128:129], v[130:131], v[128:129], v[132:133] neg_lo:[0,0,1] neg_hi:[0,0,1]
	v_mov_b32_e32 v129, v135
	s_cbranch_execz .LBB61_89
	s_branch .LBB61_90
.LBB61_88:
                                        ; implicit-def: $vgpr128_vgpr129
.LBB61_89:
	ds_load_b64 v[128:129], v1
.LBB61_90:
	s_and_saveexec_b32 s33, s1
	s_cbranch_execz .LBB61_94
; %bb.91:
	v_subrev_nc_u32_e32 v130, 53, v0
	s_movk_i32 s1, 0x1a8
	s_movk_i32 s35, 0x398
	s_mov_b32 s34, 0
.LBB61_92:                              ; =>This Inner Loop Header: Depth=1
	scratch_load_b64 v[132:133], off, s1
	v_dual_mov_b32 v131, s35 :: v_dual_add_nc_u32 v130, -1, v130
	s_add_co_i32 s35, s35, 8
	s_wait_xcnt 0x0
	s_add_co_i32 s1, s1, 8
	ds_load_b64 v[134:135], v131
	v_cmp_eq_u32_e32 vcc_lo, 0, v130
	s_or_b32 s34, vcc_lo, s34
	s_wait_loadcnt_dscnt 0x0
	v_pk_mul_f32 v[136:137], v[134:135], v[132:133] op_sel:[1,1] op_sel_hi:[0,1]
	s_delay_alu instid0(VALU_DEP_1) | instskip(SKIP_1) | instid1(VALU_DEP_2)
	v_pk_fma_f32 v[138:139], v[134:135], v[132:133], v[136:137] op_sel_hi:[1,0,1]
	v_pk_fma_f32 v[132:133], v[134:135], v[132:133], v[136:137] neg_lo:[0,0,1] neg_hi:[0,0,1]
	v_mov_b32_e32 v133, v139
	s_delay_alu instid0(VALU_DEP_1)
	v_pk_add_f32 v[128:129], v[128:129], v[132:133]
	s_and_not1_b32 exec_lo, exec_lo, s34
	s_cbranch_execnz .LBB61_92
; %bb.93:
	s_or_b32 exec_lo, exec_lo, s34
.LBB61_94:
	s_delay_alu instid0(SALU_CYCLE_1) | instskip(SKIP_4) | instid1(VALU_DEP_1)
	s_or_b32 exec_lo, exec_lo, s33
	v_mov_b32_e32 v130, 0
	ds_load_b64 v[130:131], v130 offset:416
	s_wait_dscnt 0x0
	v_pk_mul_f32 v[132:133], v[128:129], v[130:131] op_sel:[1,1] op_sel_hi:[0,1]
	v_pk_fma_f32 v[134:135], v[128:129], v[130:131], v[132:133] op_sel_hi:[1,0,1]
	v_pk_fma_f32 v[128:129], v[128:129], v[130:131], v[132:133] neg_lo:[0,0,1] neg_hi:[0,0,1]
	s_delay_alu instid0(VALU_DEP_2)
	v_mov_b32_e32 v129, v135
	scratch_store_b64 off, v[128:129], off offset:416
.LBB61_95:
	s_wait_xcnt 0x0
	s_or_b32 exec_lo, exec_lo, s31
	scratch_load_b64 v[128:129], off, off offset:408
	v_cmp_lt_u32_e64 s1, 51, v0
	s_wait_loadcnt 0x0
	ds_store_b64 v1, v[128:129]
	s_wait_storecnt_dscnt 0x0
	s_barrier_signal -1
	s_barrier_wait -1
	s_wait_xcnt 0x0
	s_and_saveexec_b32 s31, s1
	s_cbranch_execz .LBB61_105
; %bb.96:
	s_and_not1_b32 vcc_lo, exec_lo, s3
	s_cbranch_vccnz .LBB61_98
; %bb.97:
	scratch_load_b64 v[128:129], v51, off
	ds_load_b64 v[130:131], v1
	s_wait_loadcnt_dscnt 0x0
	v_pk_mul_f32 v[132:133], v[130:131], v[128:129] op_sel:[1,1] op_sel_hi:[0,1]
	s_delay_alu instid0(VALU_DEP_1) | instskip(SKIP_1) | instid1(VALU_DEP_2)
	v_pk_fma_f32 v[134:135], v[130:131], v[128:129], v[132:133] op_sel_hi:[1,0,1]
	v_pk_fma_f32 v[128:129], v[130:131], v[128:129], v[132:133] neg_lo:[0,0,1] neg_hi:[0,0,1]
	v_mov_b32_e32 v129, v135
	s_cbranch_execz .LBB61_99
	s_branch .LBB61_100
.LBB61_98:
                                        ; implicit-def: $vgpr128_vgpr129
.LBB61_99:
	ds_load_b64 v[128:129], v1
.LBB61_100:
	s_and_saveexec_b32 s33, s0
	s_cbranch_execz .LBB61_104
; %bb.101:
	v_subrev_nc_u32_e32 v130, 52, v0
	s_movk_i32 s34, 0x390
	s_mov_b32 s0, 0
.LBB61_102:                             ; =>This Inner Loop Header: Depth=1
	scratch_load_b64 v[132:133], off, s30
	v_dual_mov_b32 v131, s34 :: v_dual_add_nc_u32 v130, -1, v130
	s_add_co_i32 s34, s34, 8
	s_wait_xcnt 0x0
	s_add_co_i32 s30, s30, 8
	ds_load_b64 v[134:135], v131
	v_cmp_eq_u32_e32 vcc_lo, 0, v130
	s_or_b32 s0, vcc_lo, s0
	s_wait_loadcnt_dscnt 0x0
	v_pk_mul_f32 v[136:137], v[134:135], v[132:133] op_sel:[1,1] op_sel_hi:[0,1]
	s_delay_alu instid0(VALU_DEP_1) | instskip(SKIP_1) | instid1(VALU_DEP_2)
	v_pk_fma_f32 v[138:139], v[134:135], v[132:133], v[136:137] op_sel_hi:[1,0,1]
	v_pk_fma_f32 v[132:133], v[134:135], v[132:133], v[136:137] neg_lo:[0,0,1] neg_hi:[0,0,1]
	v_mov_b32_e32 v133, v139
	s_delay_alu instid0(VALU_DEP_1)
	v_pk_add_f32 v[128:129], v[128:129], v[132:133]
	s_and_not1_b32 exec_lo, exec_lo, s0
	s_cbranch_execnz .LBB61_102
; %bb.103:
	s_or_b32 exec_lo, exec_lo, s0
.LBB61_104:
	s_delay_alu instid0(SALU_CYCLE_1) | instskip(SKIP_4) | instid1(VALU_DEP_1)
	s_or_b32 exec_lo, exec_lo, s33
	v_mov_b32_e32 v130, 0
	ds_load_b64 v[130:131], v130 offset:408
	s_wait_dscnt 0x0
	v_pk_mul_f32 v[132:133], v[128:129], v[130:131] op_sel:[1,1] op_sel_hi:[0,1]
	v_pk_fma_f32 v[134:135], v[128:129], v[130:131], v[132:133] op_sel_hi:[1,0,1]
	v_pk_fma_f32 v[128:129], v[128:129], v[130:131], v[132:133] neg_lo:[0,0,1] neg_hi:[0,0,1]
	s_delay_alu instid0(VALU_DEP_2)
	v_mov_b32_e32 v129, v135
	scratch_store_b64 off, v[128:129], off offset:408
.LBB61_105:
	s_wait_xcnt 0x0
	s_or_b32 exec_lo, exec_lo, s31
	scratch_load_b64 v[128:129], off, off offset:400
	v_cmp_lt_u32_e64 s0, 50, v0
	s_wait_loadcnt 0x0
	ds_store_b64 v1, v[128:129]
	s_wait_storecnt_dscnt 0x0
	s_barrier_signal -1
	s_barrier_wait -1
	s_wait_xcnt 0x0
	s_and_saveexec_b32 s30, s0
	s_cbranch_execz .LBB61_115
; %bb.106:
	s_and_not1_b32 vcc_lo, exec_lo, s3
	s_cbranch_vccnz .LBB61_108
; %bb.107:
	scratch_load_b64 v[128:129], v51, off
	ds_load_b64 v[130:131], v1
	s_wait_loadcnt_dscnt 0x0
	v_pk_mul_f32 v[132:133], v[130:131], v[128:129] op_sel:[1,1] op_sel_hi:[0,1]
	s_delay_alu instid0(VALU_DEP_1) | instskip(SKIP_1) | instid1(VALU_DEP_2)
	v_pk_fma_f32 v[134:135], v[130:131], v[128:129], v[132:133] op_sel_hi:[1,0,1]
	v_pk_fma_f32 v[128:129], v[130:131], v[128:129], v[132:133] neg_lo:[0,0,1] neg_hi:[0,0,1]
	v_mov_b32_e32 v129, v135
	s_cbranch_execz .LBB61_109
	s_branch .LBB61_110
.LBB61_108:
                                        ; implicit-def: $vgpr128_vgpr129
.LBB61_109:
	ds_load_b64 v[128:129], v1
.LBB61_110:
	s_and_saveexec_b32 s31, s1
	s_cbranch_execz .LBB61_114
; %bb.111:
	v_subrev_nc_u32_e32 v130, 51, v0
	s_movk_i32 s1, 0x198
	s_movk_i32 s34, 0x388
	s_mov_b32 s33, 0
.LBB61_112:                             ; =>This Inner Loop Header: Depth=1
	scratch_load_b64 v[132:133], off, s1
	v_dual_mov_b32 v131, s34 :: v_dual_add_nc_u32 v130, -1, v130
	s_add_co_i32 s34, s34, 8
	s_wait_xcnt 0x0
	s_add_co_i32 s1, s1, 8
	ds_load_b64 v[134:135], v131
	v_cmp_eq_u32_e32 vcc_lo, 0, v130
	s_or_b32 s33, vcc_lo, s33
	s_wait_loadcnt_dscnt 0x0
	v_pk_mul_f32 v[136:137], v[134:135], v[132:133] op_sel:[1,1] op_sel_hi:[0,1]
	s_delay_alu instid0(VALU_DEP_1) | instskip(SKIP_1) | instid1(VALU_DEP_2)
	v_pk_fma_f32 v[138:139], v[134:135], v[132:133], v[136:137] op_sel_hi:[1,0,1]
	v_pk_fma_f32 v[132:133], v[134:135], v[132:133], v[136:137] neg_lo:[0,0,1] neg_hi:[0,0,1]
	v_mov_b32_e32 v133, v139
	s_delay_alu instid0(VALU_DEP_1)
	v_pk_add_f32 v[128:129], v[128:129], v[132:133]
	s_and_not1_b32 exec_lo, exec_lo, s33
	s_cbranch_execnz .LBB61_112
; %bb.113:
	s_or_b32 exec_lo, exec_lo, s33
.LBB61_114:
	s_delay_alu instid0(SALU_CYCLE_1) | instskip(SKIP_4) | instid1(VALU_DEP_1)
	s_or_b32 exec_lo, exec_lo, s31
	v_mov_b32_e32 v130, 0
	ds_load_b64 v[130:131], v130 offset:400
	s_wait_dscnt 0x0
	v_pk_mul_f32 v[132:133], v[128:129], v[130:131] op_sel:[1,1] op_sel_hi:[0,1]
	v_pk_fma_f32 v[134:135], v[128:129], v[130:131], v[132:133] op_sel_hi:[1,0,1]
	v_pk_fma_f32 v[128:129], v[128:129], v[130:131], v[132:133] neg_lo:[0,0,1] neg_hi:[0,0,1]
	s_delay_alu instid0(VALU_DEP_2)
	v_mov_b32_e32 v129, v135
	scratch_store_b64 off, v[128:129], off offset:400
.LBB61_115:
	s_wait_xcnt 0x0
	s_or_b32 exec_lo, exec_lo, s30
	scratch_load_b64 v[128:129], off, off offset:392
	v_cmp_lt_u32_e64 s1, 49, v0
	s_wait_loadcnt 0x0
	ds_store_b64 v1, v[128:129]
	s_wait_storecnt_dscnt 0x0
	s_barrier_signal -1
	s_barrier_wait -1
	s_wait_xcnt 0x0
	s_and_saveexec_b32 s30, s1
	s_cbranch_execz .LBB61_125
; %bb.116:
	s_and_not1_b32 vcc_lo, exec_lo, s3
	s_cbranch_vccnz .LBB61_118
; %bb.117:
	scratch_load_b64 v[128:129], v51, off
	ds_load_b64 v[130:131], v1
	s_wait_loadcnt_dscnt 0x0
	v_pk_mul_f32 v[132:133], v[130:131], v[128:129] op_sel:[1,1] op_sel_hi:[0,1]
	s_delay_alu instid0(VALU_DEP_1) | instskip(SKIP_1) | instid1(VALU_DEP_2)
	v_pk_fma_f32 v[134:135], v[130:131], v[128:129], v[132:133] op_sel_hi:[1,0,1]
	v_pk_fma_f32 v[128:129], v[130:131], v[128:129], v[132:133] neg_lo:[0,0,1] neg_hi:[0,0,1]
	v_mov_b32_e32 v129, v135
	s_cbranch_execz .LBB61_119
	s_branch .LBB61_120
.LBB61_118:
                                        ; implicit-def: $vgpr128_vgpr129
.LBB61_119:
	ds_load_b64 v[128:129], v1
.LBB61_120:
	s_and_saveexec_b32 s31, s0
	s_cbranch_execz .LBB61_124
; %bb.121:
	v_subrev_nc_u32_e32 v130, 50, v0
	s_movk_i32 s33, 0x380
	s_mov_b32 s0, 0
.LBB61_122:                             ; =>This Inner Loop Header: Depth=1
	scratch_load_b64 v[132:133], off, s29
	v_dual_mov_b32 v131, s33 :: v_dual_add_nc_u32 v130, -1, v130
	s_add_co_i32 s33, s33, 8
	s_wait_xcnt 0x0
	s_add_co_i32 s29, s29, 8
	ds_load_b64 v[134:135], v131
	v_cmp_eq_u32_e32 vcc_lo, 0, v130
	s_or_b32 s0, vcc_lo, s0
	s_wait_loadcnt_dscnt 0x0
	v_pk_mul_f32 v[136:137], v[134:135], v[132:133] op_sel:[1,1] op_sel_hi:[0,1]
	s_delay_alu instid0(VALU_DEP_1) | instskip(SKIP_1) | instid1(VALU_DEP_2)
	v_pk_fma_f32 v[138:139], v[134:135], v[132:133], v[136:137] op_sel_hi:[1,0,1]
	v_pk_fma_f32 v[132:133], v[134:135], v[132:133], v[136:137] neg_lo:[0,0,1] neg_hi:[0,0,1]
	v_mov_b32_e32 v133, v139
	s_delay_alu instid0(VALU_DEP_1)
	v_pk_add_f32 v[128:129], v[128:129], v[132:133]
	s_and_not1_b32 exec_lo, exec_lo, s0
	s_cbranch_execnz .LBB61_122
; %bb.123:
	s_or_b32 exec_lo, exec_lo, s0
.LBB61_124:
	s_delay_alu instid0(SALU_CYCLE_1) | instskip(SKIP_4) | instid1(VALU_DEP_1)
	s_or_b32 exec_lo, exec_lo, s31
	v_mov_b32_e32 v130, 0
	ds_load_b64 v[130:131], v130 offset:392
	s_wait_dscnt 0x0
	v_pk_mul_f32 v[132:133], v[128:129], v[130:131] op_sel:[1,1] op_sel_hi:[0,1]
	v_pk_fma_f32 v[134:135], v[128:129], v[130:131], v[132:133] op_sel_hi:[1,0,1]
	v_pk_fma_f32 v[128:129], v[128:129], v[130:131], v[132:133] neg_lo:[0,0,1] neg_hi:[0,0,1]
	s_delay_alu instid0(VALU_DEP_2)
	v_mov_b32_e32 v129, v135
	scratch_store_b64 off, v[128:129], off offset:392
.LBB61_125:
	s_wait_xcnt 0x0
	s_or_b32 exec_lo, exec_lo, s30
	scratch_load_b64 v[128:129], off, off offset:384
	v_cmp_lt_u32_e64 s0, 48, v0
	s_wait_loadcnt 0x0
	ds_store_b64 v1, v[128:129]
	s_wait_storecnt_dscnt 0x0
	s_barrier_signal -1
	s_barrier_wait -1
	s_wait_xcnt 0x0
	s_and_saveexec_b32 s29, s0
	s_cbranch_execz .LBB61_135
; %bb.126:
	s_and_not1_b32 vcc_lo, exec_lo, s3
	s_cbranch_vccnz .LBB61_128
; %bb.127:
	scratch_load_b64 v[128:129], v51, off
	ds_load_b64 v[130:131], v1
	s_wait_loadcnt_dscnt 0x0
	v_pk_mul_f32 v[132:133], v[130:131], v[128:129] op_sel:[1,1] op_sel_hi:[0,1]
	s_delay_alu instid0(VALU_DEP_1) | instskip(SKIP_1) | instid1(VALU_DEP_2)
	v_pk_fma_f32 v[134:135], v[130:131], v[128:129], v[132:133] op_sel_hi:[1,0,1]
	v_pk_fma_f32 v[128:129], v[130:131], v[128:129], v[132:133] neg_lo:[0,0,1] neg_hi:[0,0,1]
	v_mov_b32_e32 v129, v135
	s_cbranch_execz .LBB61_129
	s_branch .LBB61_130
.LBB61_128:
                                        ; implicit-def: $vgpr128_vgpr129
.LBB61_129:
	ds_load_b64 v[128:129], v1
.LBB61_130:
	s_and_saveexec_b32 s30, s1
	s_cbranch_execz .LBB61_134
; %bb.131:
	v_subrev_nc_u32_e32 v130, 49, v0
	s_movk_i32 s1, 0x188
	s_movk_i32 s33, 0x378
	s_mov_b32 s31, 0
.LBB61_132:                             ; =>This Inner Loop Header: Depth=1
	scratch_load_b64 v[132:133], off, s1
	v_dual_mov_b32 v131, s33 :: v_dual_add_nc_u32 v130, -1, v130
	s_add_co_i32 s33, s33, 8
	s_wait_xcnt 0x0
	s_add_co_i32 s1, s1, 8
	ds_load_b64 v[134:135], v131
	v_cmp_eq_u32_e32 vcc_lo, 0, v130
	s_or_b32 s31, vcc_lo, s31
	s_wait_loadcnt_dscnt 0x0
	v_pk_mul_f32 v[136:137], v[134:135], v[132:133] op_sel:[1,1] op_sel_hi:[0,1]
	s_delay_alu instid0(VALU_DEP_1) | instskip(SKIP_1) | instid1(VALU_DEP_2)
	v_pk_fma_f32 v[138:139], v[134:135], v[132:133], v[136:137] op_sel_hi:[1,0,1]
	v_pk_fma_f32 v[132:133], v[134:135], v[132:133], v[136:137] neg_lo:[0,0,1] neg_hi:[0,0,1]
	v_mov_b32_e32 v133, v139
	s_delay_alu instid0(VALU_DEP_1)
	v_pk_add_f32 v[128:129], v[128:129], v[132:133]
	s_and_not1_b32 exec_lo, exec_lo, s31
	s_cbranch_execnz .LBB61_132
; %bb.133:
	s_or_b32 exec_lo, exec_lo, s31
.LBB61_134:
	s_delay_alu instid0(SALU_CYCLE_1) | instskip(SKIP_4) | instid1(VALU_DEP_1)
	s_or_b32 exec_lo, exec_lo, s30
	v_mov_b32_e32 v130, 0
	ds_load_b64 v[130:131], v130 offset:384
	s_wait_dscnt 0x0
	v_pk_mul_f32 v[132:133], v[128:129], v[130:131] op_sel:[1,1] op_sel_hi:[0,1]
	v_pk_fma_f32 v[134:135], v[128:129], v[130:131], v[132:133] op_sel_hi:[1,0,1]
	v_pk_fma_f32 v[128:129], v[128:129], v[130:131], v[132:133] neg_lo:[0,0,1] neg_hi:[0,0,1]
	s_delay_alu instid0(VALU_DEP_2)
	v_mov_b32_e32 v129, v135
	scratch_store_b64 off, v[128:129], off offset:384
.LBB61_135:
	s_wait_xcnt 0x0
	s_or_b32 exec_lo, exec_lo, s29
	scratch_load_b64 v[128:129], off, off offset:376
	v_cmp_lt_u32_e64 s1, 47, v0
	s_wait_loadcnt 0x0
	ds_store_b64 v1, v[128:129]
	s_wait_storecnt_dscnt 0x0
	s_barrier_signal -1
	s_barrier_wait -1
	s_wait_xcnt 0x0
	s_and_saveexec_b32 s29, s1
	s_cbranch_execz .LBB61_145
; %bb.136:
	s_and_not1_b32 vcc_lo, exec_lo, s3
	s_cbranch_vccnz .LBB61_138
; %bb.137:
	scratch_load_b64 v[128:129], v51, off
	ds_load_b64 v[130:131], v1
	s_wait_loadcnt_dscnt 0x0
	v_pk_mul_f32 v[132:133], v[130:131], v[128:129] op_sel:[1,1] op_sel_hi:[0,1]
	s_delay_alu instid0(VALU_DEP_1) | instskip(SKIP_1) | instid1(VALU_DEP_2)
	v_pk_fma_f32 v[134:135], v[130:131], v[128:129], v[132:133] op_sel_hi:[1,0,1]
	v_pk_fma_f32 v[128:129], v[130:131], v[128:129], v[132:133] neg_lo:[0,0,1] neg_hi:[0,0,1]
	v_mov_b32_e32 v129, v135
	s_cbranch_execz .LBB61_139
	s_branch .LBB61_140
.LBB61_138:
                                        ; implicit-def: $vgpr128_vgpr129
.LBB61_139:
	ds_load_b64 v[128:129], v1
.LBB61_140:
	s_and_saveexec_b32 s30, s0
	s_cbranch_execz .LBB61_144
; %bb.141:
	v_subrev_nc_u32_e32 v130, 48, v0
	s_movk_i32 s31, 0x370
	s_mov_b32 s0, 0
.LBB61_142:                             ; =>This Inner Loop Header: Depth=1
	scratch_load_b64 v[132:133], off, s28
	v_dual_mov_b32 v131, s31 :: v_dual_add_nc_u32 v130, -1, v130
	s_add_co_i32 s31, s31, 8
	s_wait_xcnt 0x0
	s_add_co_i32 s28, s28, 8
	ds_load_b64 v[134:135], v131
	v_cmp_eq_u32_e32 vcc_lo, 0, v130
	s_or_b32 s0, vcc_lo, s0
	s_wait_loadcnt_dscnt 0x0
	v_pk_mul_f32 v[136:137], v[134:135], v[132:133] op_sel:[1,1] op_sel_hi:[0,1]
	s_delay_alu instid0(VALU_DEP_1) | instskip(SKIP_1) | instid1(VALU_DEP_2)
	v_pk_fma_f32 v[138:139], v[134:135], v[132:133], v[136:137] op_sel_hi:[1,0,1]
	v_pk_fma_f32 v[132:133], v[134:135], v[132:133], v[136:137] neg_lo:[0,0,1] neg_hi:[0,0,1]
	v_mov_b32_e32 v133, v139
	s_delay_alu instid0(VALU_DEP_1)
	v_pk_add_f32 v[128:129], v[128:129], v[132:133]
	s_and_not1_b32 exec_lo, exec_lo, s0
	s_cbranch_execnz .LBB61_142
; %bb.143:
	s_or_b32 exec_lo, exec_lo, s0
.LBB61_144:
	s_delay_alu instid0(SALU_CYCLE_1) | instskip(SKIP_4) | instid1(VALU_DEP_1)
	s_or_b32 exec_lo, exec_lo, s30
	v_mov_b32_e32 v130, 0
	ds_load_b64 v[130:131], v130 offset:376
	s_wait_dscnt 0x0
	v_pk_mul_f32 v[132:133], v[128:129], v[130:131] op_sel:[1,1] op_sel_hi:[0,1]
	v_pk_fma_f32 v[134:135], v[128:129], v[130:131], v[132:133] op_sel_hi:[1,0,1]
	v_pk_fma_f32 v[128:129], v[128:129], v[130:131], v[132:133] neg_lo:[0,0,1] neg_hi:[0,0,1]
	s_delay_alu instid0(VALU_DEP_2)
	v_mov_b32_e32 v129, v135
	scratch_store_b64 off, v[128:129], off offset:376
.LBB61_145:
	s_wait_xcnt 0x0
	s_or_b32 exec_lo, exec_lo, s29
	scratch_load_b64 v[128:129], off, off offset:368
	v_cmp_lt_u32_e64 s0, 46, v0
	s_wait_loadcnt 0x0
	ds_store_b64 v1, v[128:129]
	s_wait_storecnt_dscnt 0x0
	s_barrier_signal -1
	s_barrier_wait -1
	s_wait_xcnt 0x0
	s_and_saveexec_b32 s28, s0
	s_cbranch_execz .LBB61_155
; %bb.146:
	s_and_not1_b32 vcc_lo, exec_lo, s3
	s_cbranch_vccnz .LBB61_148
; %bb.147:
	scratch_load_b64 v[128:129], v51, off
	ds_load_b64 v[130:131], v1
	s_wait_loadcnt_dscnt 0x0
	v_pk_mul_f32 v[132:133], v[130:131], v[128:129] op_sel:[1,1] op_sel_hi:[0,1]
	s_delay_alu instid0(VALU_DEP_1) | instskip(SKIP_1) | instid1(VALU_DEP_2)
	v_pk_fma_f32 v[134:135], v[130:131], v[128:129], v[132:133] op_sel_hi:[1,0,1]
	v_pk_fma_f32 v[128:129], v[130:131], v[128:129], v[132:133] neg_lo:[0,0,1] neg_hi:[0,0,1]
	v_mov_b32_e32 v129, v135
	s_cbranch_execz .LBB61_149
	s_branch .LBB61_150
.LBB61_148:
                                        ; implicit-def: $vgpr128_vgpr129
.LBB61_149:
	ds_load_b64 v[128:129], v1
.LBB61_150:
	s_and_saveexec_b32 s29, s1
	s_cbranch_execz .LBB61_154
; %bb.151:
	v_subrev_nc_u32_e32 v130, 47, v0
	s_movk_i32 s1, 0x178
	s_movk_i32 s31, 0x368
	s_mov_b32 s30, 0
.LBB61_152:                             ; =>This Inner Loop Header: Depth=1
	scratch_load_b64 v[132:133], off, s1
	v_dual_mov_b32 v131, s31 :: v_dual_add_nc_u32 v130, -1, v130
	s_add_co_i32 s31, s31, 8
	s_wait_xcnt 0x0
	s_add_co_i32 s1, s1, 8
	ds_load_b64 v[134:135], v131
	v_cmp_eq_u32_e32 vcc_lo, 0, v130
	s_or_b32 s30, vcc_lo, s30
	s_wait_loadcnt_dscnt 0x0
	v_pk_mul_f32 v[136:137], v[134:135], v[132:133] op_sel:[1,1] op_sel_hi:[0,1]
	s_delay_alu instid0(VALU_DEP_1) | instskip(SKIP_1) | instid1(VALU_DEP_2)
	v_pk_fma_f32 v[138:139], v[134:135], v[132:133], v[136:137] op_sel_hi:[1,0,1]
	v_pk_fma_f32 v[132:133], v[134:135], v[132:133], v[136:137] neg_lo:[0,0,1] neg_hi:[0,0,1]
	v_mov_b32_e32 v133, v139
	s_delay_alu instid0(VALU_DEP_1)
	v_pk_add_f32 v[128:129], v[128:129], v[132:133]
	s_and_not1_b32 exec_lo, exec_lo, s30
	s_cbranch_execnz .LBB61_152
; %bb.153:
	s_or_b32 exec_lo, exec_lo, s30
.LBB61_154:
	s_delay_alu instid0(SALU_CYCLE_1) | instskip(SKIP_4) | instid1(VALU_DEP_1)
	s_or_b32 exec_lo, exec_lo, s29
	v_mov_b32_e32 v130, 0
	ds_load_b64 v[130:131], v130 offset:368
	s_wait_dscnt 0x0
	v_pk_mul_f32 v[132:133], v[128:129], v[130:131] op_sel:[1,1] op_sel_hi:[0,1]
	v_pk_fma_f32 v[134:135], v[128:129], v[130:131], v[132:133] op_sel_hi:[1,0,1]
	v_pk_fma_f32 v[128:129], v[128:129], v[130:131], v[132:133] neg_lo:[0,0,1] neg_hi:[0,0,1]
	s_delay_alu instid0(VALU_DEP_2)
	v_mov_b32_e32 v129, v135
	scratch_store_b64 off, v[128:129], off offset:368
.LBB61_155:
	s_wait_xcnt 0x0
	s_or_b32 exec_lo, exec_lo, s28
	scratch_load_b64 v[128:129], off, off offset:360
	v_cmp_lt_u32_e64 s1, 45, v0
	s_wait_loadcnt 0x0
	ds_store_b64 v1, v[128:129]
	s_wait_storecnt_dscnt 0x0
	s_barrier_signal -1
	s_barrier_wait -1
	s_wait_xcnt 0x0
	s_and_saveexec_b32 s28, s1
	s_cbranch_execz .LBB61_165
; %bb.156:
	s_and_not1_b32 vcc_lo, exec_lo, s3
	s_cbranch_vccnz .LBB61_158
; %bb.157:
	scratch_load_b64 v[128:129], v51, off
	ds_load_b64 v[130:131], v1
	s_wait_loadcnt_dscnt 0x0
	v_pk_mul_f32 v[132:133], v[130:131], v[128:129] op_sel:[1,1] op_sel_hi:[0,1]
	s_delay_alu instid0(VALU_DEP_1) | instskip(SKIP_1) | instid1(VALU_DEP_2)
	v_pk_fma_f32 v[134:135], v[130:131], v[128:129], v[132:133] op_sel_hi:[1,0,1]
	v_pk_fma_f32 v[128:129], v[130:131], v[128:129], v[132:133] neg_lo:[0,0,1] neg_hi:[0,0,1]
	v_mov_b32_e32 v129, v135
	s_cbranch_execz .LBB61_159
	s_branch .LBB61_160
.LBB61_158:
                                        ; implicit-def: $vgpr128_vgpr129
.LBB61_159:
	ds_load_b64 v[128:129], v1
.LBB61_160:
	s_and_saveexec_b32 s29, s0
	s_cbranch_execz .LBB61_164
; %bb.161:
	v_subrev_nc_u32_e32 v130, 46, v0
	s_movk_i32 s30, 0x360
	s_mov_b32 s0, 0
.LBB61_162:                             ; =>This Inner Loop Header: Depth=1
	scratch_load_b64 v[132:133], off, s27
	v_dual_mov_b32 v131, s30 :: v_dual_add_nc_u32 v130, -1, v130
	s_add_co_i32 s30, s30, 8
	s_wait_xcnt 0x0
	s_add_co_i32 s27, s27, 8
	ds_load_b64 v[134:135], v131
	v_cmp_eq_u32_e32 vcc_lo, 0, v130
	s_or_b32 s0, vcc_lo, s0
	s_wait_loadcnt_dscnt 0x0
	v_pk_mul_f32 v[136:137], v[134:135], v[132:133] op_sel:[1,1] op_sel_hi:[0,1]
	s_delay_alu instid0(VALU_DEP_1) | instskip(SKIP_1) | instid1(VALU_DEP_2)
	v_pk_fma_f32 v[138:139], v[134:135], v[132:133], v[136:137] op_sel_hi:[1,0,1]
	v_pk_fma_f32 v[132:133], v[134:135], v[132:133], v[136:137] neg_lo:[0,0,1] neg_hi:[0,0,1]
	v_mov_b32_e32 v133, v139
	s_delay_alu instid0(VALU_DEP_1)
	v_pk_add_f32 v[128:129], v[128:129], v[132:133]
	s_and_not1_b32 exec_lo, exec_lo, s0
	s_cbranch_execnz .LBB61_162
; %bb.163:
	s_or_b32 exec_lo, exec_lo, s0
.LBB61_164:
	s_delay_alu instid0(SALU_CYCLE_1) | instskip(SKIP_4) | instid1(VALU_DEP_1)
	s_or_b32 exec_lo, exec_lo, s29
	v_mov_b32_e32 v130, 0
	ds_load_b64 v[130:131], v130 offset:360
	s_wait_dscnt 0x0
	v_pk_mul_f32 v[132:133], v[128:129], v[130:131] op_sel:[1,1] op_sel_hi:[0,1]
	v_pk_fma_f32 v[134:135], v[128:129], v[130:131], v[132:133] op_sel_hi:[1,0,1]
	v_pk_fma_f32 v[128:129], v[128:129], v[130:131], v[132:133] neg_lo:[0,0,1] neg_hi:[0,0,1]
	s_delay_alu instid0(VALU_DEP_2)
	v_mov_b32_e32 v129, v135
	scratch_store_b64 off, v[128:129], off offset:360
.LBB61_165:
	s_wait_xcnt 0x0
	s_or_b32 exec_lo, exec_lo, s28
	scratch_load_b64 v[128:129], off, off offset:352
	v_cmp_lt_u32_e64 s0, 44, v0
	s_wait_loadcnt 0x0
	ds_store_b64 v1, v[128:129]
	s_wait_storecnt_dscnt 0x0
	s_barrier_signal -1
	s_barrier_wait -1
	s_wait_xcnt 0x0
	s_and_saveexec_b32 s27, s0
	s_cbranch_execz .LBB61_175
; %bb.166:
	s_and_not1_b32 vcc_lo, exec_lo, s3
	s_cbranch_vccnz .LBB61_168
; %bb.167:
	scratch_load_b64 v[128:129], v51, off
	ds_load_b64 v[130:131], v1
	s_wait_loadcnt_dscnt 0x0
	v_pk_mul_f32 v[132:133], v[130:131], v[128:129] op_sel:[1,1] op_sel_hi:[0,1]
	s_delay_alu instid0(VALU_DEP_1) | instskip(SKIP_1) | instid1(VALU_DEP_2)
	v_pk_fma_f32 v[134:135], v[130:131], v[128:129], v[132:133] op_sel_hi:[1,0,1]
	v_pk_fma_f32 v[128:129], v[130:131], v[128:129], v[132:133] neg_lo:[0,0,1] neg_hi:[0,0,1]
	v_mov_b32_e32 v129, v135
	s_cbranch_execz .LBB61_169
	s_branch .LBB61_170
.LBB61_168:
                                        ; implicit-def: $vgpr128_vgpr129
.LBB61_169:
	ds_load_b64 v[128:129], v1
.LBB61_170:
	s_and_saveexec_b32 s28, s1
	s_cbranch_execz .LBB61_174
; %bb.171:
	v_subrev_nc_u32_e32 v130, 45, v0
	s_movk_i32 s1, 0x168
	s_movk_i32 s30, 0x358
	s_mov_b32 s29, 0
.LBB61_172:                             ; =>This Inner Loop Header: Depth=1
	scratch_load_b64 v[132:133], off, s1
	v_dual_mov_b32 v131, s30 :: v_dual_add_nc_u32 v130, -1, v130
	s_add_co_i32 s30, s30, 8
	s_wait_xcnt 0x0
	s_add_co_i32 s1, s1, 8
	ds_load_b64 v[134:135], v131
	v_cmp_eq_u32_e32 vcc_lo, 0, v130
	s_or_b32 s29, vcc_lo, s29
	s_wait_loadcnt_dscnt 0x0
	v_pk_mul_f32 v[136:137], v[134:135], v[132:133] op_sel:[1,1] op_sel_hi:[0,1]
	s_delay_alu instid0(VALU_DEP_1) | instskip(SKIP_1) | instid1(VALU_DEP_2)
	v_pk_fma_f32 v[138:139], v[134:135], v[132:133], v[136:137] op_sel_hi:[1,0,1]
	v_pk_fma_f32 v[132:133], v[134:135], v[132:133], v[136:137] neg_lo:[0,0,1] neg_hi:[0,0,1]
	v_mov_b32_e32 v133, v139
	s_delay_alu instid0(VALU_DEP_1)
	v_pk_add_f32 v[128:129], v[128:129], v[132:133]
	s_and_not1_b32 exec_lo, exec_lo, s29
	s_cbranch_execnz .LBB61_172
; %bb.173:
	s_or_b32 exec_lo, exec_lo, s29
.LBB61_174:
	s_delay_alu instid0(SALU_CYCLE_1) | instskip(SKIP_4) | instid1(VALU_DEP_1)
	s_or_b32 exec_lo, exec_lo, s28
	v_mov_b32_e32 v130, 0
	ds_load_b64 v[130:131], v130 offset:352
	s_wait_dscnt 0x0
	v_pk_mul_f32 v[132:133], v[128:129], v[130:131] op_sel:[1,1] op_sel_hi:[0,1]
	v_pk_fma_f32 v[134:135], v[128:129], v[130:131], v[132:133] op_sel_hi:[1,0,1]
	v_pk_fma_f32 v[128:129], v[128:129], v[130:131], v[132:133] neg_lo:[0,0,1] neg_hi:[0,0,1]
	s_delay_alu instid0(VALU_DEP_2)
	v_mov_b32_e32 v129, v135
	scratch_store_b64 off, v[128:129], off offset:352
.LBB61_175:
	s_wait_xcnt 0x0
	s_or_b32 exec_lo, exec_lo, s27
	scratch_load_b64 v[128:129], off, off offset:344
	v_cmp_lt_u32_e64 s1, 43, v0
	s_wait_loadcnt 0x0
	ds_store_b64 v1, v[128:129]
	s_wait_storecnt_dscnt 0x0
	s_barrier_signal -1
	s_barrier_wait -1
	s_wait_xcnt 0x0
	s_and_saveexec_b32 s27, s1
	s_cbranch_execz .LBB61_185
; %bb.176:
	s_and_not1_b32 vcc_lo, exec_lo, s3
	s_cbranch_vccnz .LBB61_178
; %bb.177:
	scratch_load_b64 v[128:129], v51, off
	ds_load_b64 v[130:131], v1
	s_wait_loadcnt_dscnt 0x0
	v_pk_mul_f32 v[132:133], v[130:131], v[128:129] op_sel:[1,1] op_sel_hi:[0,1]
	s_delay_alu instid0(VALU_DEP_1) | instskip(SKIP_1) | instid1(VALU_DEP_2)
	v_pk_fma_f32 v[134:135], v[130:131], v[128:129], v[132:133] op_sel_hi:[1,0,1]
	v_pk_fma_f32 v[128:129], v[130:131], v[128:129], v[132:133] neg_lo:[0,0,1] neg_hi:[0,0,1]
	v_mov_b32_e32 v129, v135
	s_cbranch_execz .LBB61_179
	s_branch .LBB61_180
.LBB61_178:
                                        ; implicit-def: $vgpr128_vgpr129
.LBB61_179:
	ds_load_b64 v[128:129], v1
.LBB61_180:
	s_and_saveexec_b32 s28, s0
	s_cbranch_execz .LBB61_184
; %bb.181:
	v_subrev_nc_u32_e32 v130, 44, v0
	s_movk_i32 s29, 0x350
	s_mov_b32 s0, 0
.LBB61_182:                             ; =>This Inner Loop Header: Depth=1
	scratch_load_b64 v[132:133], off, s26
	v_dual_mov_b32 v131, s29 :: v_dual_add_nc_u32 v130, -1, v130
	s_add_co_i32 s29, s29, 8
	s_wait_xcnt 0x0
	s_add_co_i32 s26, s26, 8
	ds_load_b64 v[134:135], v131
	v_cmp_eq_u32_e32 vcc_lo, 0, v130
	s_or_b32 s0, vcc_lo, s0
	s_wait_loadcnt_dscnt 0x0
	v_pk_mul_f32 v[136:137], v[134:135], v[132:133] op_sel:[1,1] op_sel_hi:[0,1]
	s_delay_alu instid0(VALU_DEP_1) | instskip(SKIP_1) | instid1(VALU_DEP_2)
	v_pk_fma_f32 v[138:139], v[134:135], v[132:133], v[136:137] op_sel_hi:[1,0,1]
	v_pk_fma_f32 v[132:133], v[134:135], v[132:133], v[136:137] neg_lo:[0,0,1] neg_hi:[0,0,1]
	v_mov_b32_e32 v133, v139
	s_delay_alu instid0(VALU_DEP_1)
	v_pk_add_f32 v[128:129], v[128:129], v[132:133]
	s_and_not1_b32 exec_lo, exec_lo, s0
	s_cbranch_execnz .LBB61_182
; %bb.183:
	s_or_b32 exec_lo, exec_lo, s0
.LBB61_184:
	s_delay_alu instid0(SALU_CYCLE_1) | instskip(SKIP_4) | instid1(VALU_DEP_1)
	s_or_b32 exec_lo, exec_lo, s28
	v_mov_b32_e32 v130, 0
	ds_load_b64 v[130:131], v130 offset:344
	s_wait_dscnt 0x0
	v_pk_mul_f32 v[132:133], v[128:129], v[130:131] op_sel:[1,1] op_sel_hi:[0,1]
	v_pk_fma_f32 v[134:135], v[128:129], v[130:131], v[132:133] op_sel_hi:[1,0,1]
	v_pk_fma_f32 v[128:129], v[128:129], v[130:131], v[132:133] neg_lo:[0,0,1] neg_hi:[0,0,1]
	s_delay_alu instid0(VALU_DEP_2)
	v_mov_b32_e32 v129, v135
	scratch_store_b64 off, v[128:129], off offset:344
.LBB61_185:
	s_wait_xcnt 0x0
	s_or_b32 exec_lo, exec_lo, s27
	scratch_load_b64 v[128:129], off, off offset:336
	v_cmp_lt_u32_e64 s0, 42, v0
	s_wait_loadcnt 0x0
	ds_store_b64 v1, v[128:129]
	s_wait_storecnt_dscnt 0x0
	s_barrier_signal -1
	s_barrier_wait -1
	s_wait_xcnt 0x0
	s_and_saveexec_b32 s26, s0
	s_cbranch_execz .LBB61_195
; %bb.186:
	s_and_not1_b32 vcc_lo, exec_lo, s3
	s_cbranch_vccnz .LBB61_188
; %bb.187:
	scratch_load_b64 v[128:129], v51, off
	ds_load_b64 v[130:131], v1
	s_wait_loadcnt_dscnt 0x0
	v_pk_mul_f32 v[132:133], v[130:131], v[128:129] op_sel:[1,1] op_sel_hi:[0,1]
	s_delay_alu instid0(VALU_DEP_1) | instskip(SKIP_1) | instid1(VALU_DEP_2)
	v_pk_fma_f32 v[134:135], v[130:131], v[128:129], v[132:133] op_sel_hi:[1,0,1]
	v_pk_fma_f32 v[128:129], v[130:131], v[128:129], v[132:133] neg_lo:[0,0,1] neg_hi:[0,0,1]
	v_mov_b32_e32 v129, v135
	s_cbranch_execz .LBB61_189
	s_branch .LBB61_190
.LBB61_188:
                                        ; implicit-def: $vgpr128_vgpr129
.LBB61_189:
	ds_load_b64 v[128:129], v1
.LBB61_190:
	s_and_saveexec_b32 s27, s1
	s_cbranch_execz .LBB61_194
; %bb.191:
	v_subrev_nc_u32_e32 v130, 43, v0
	s_movk_i32 s1, 0x158
	s_movk_i32 s29, 0x348
	s_mov_b32 s28, 0
.LBB61_192:                             ; =>This Inner Loop Header: Depth=1
	scratch_load_b64 v[132:133], off, s1
	v_dual_mov_b32 v131, s29 :: v_dual_add_nc_u32 v130, -1, v130
	s_add_co_i32 s29, s29, 8
	s_wait_xcnt 0x0
	s_add_co_i32 s1, s1, 8
	ds_load_b64 v[134:135], v131
	v_cmp_eq_u32_e32 vcc_lo, 0, v130
	s_or_b32 s28, vcc_lo, s28
	s_wait_loadcnt_dscnt 0x0
	v_pk_mul_f32 v[136:137], v[134:135], v[132:133] op_sel:[1,1] op_sel_hi:[0,1]
	s_delay_alu instid0(VALU_DEP_1) | instskip(SKIP_1) | instid1(VALU_DEP_2)
	v_pk_fma_f32 v[138:139], v[134:135], v[132:133], v[136:137] op_sel_hi:[1,0,1]
	v_pk_fma_f32 v[132:133], v[134:135], v[132:133], v[136:137] neg_lo:[0,0,1] neg_hi:[0,0,1]
	v_mov_b32_e32 v133, v139
	s_delay_alu instid0(VALU_DEP_1)
	v_pk_add_f32 v[128:129], v[128:129], v[132:133]
	s_and_not1_b32 exec_lo, exec_lo, s28
	s_cbranch_execnz .LBB61_192
; %bb.193:
	s_or_b32 exec_lo, exec_lo, s28
.LBB61_194:
	s_delay_alu instid0(SALU_CYCLE_1) | instskip(SKIP_4) | instid1(VALU_DEP_1)
	s_or_b32 exec_lo, exec_lo, s27
	v_mov_b32_e32 v130, 0
	ds_load_b64 v[130:131], v130 offset:336
	s_wait_dscnt 0x0
	v_pk_mul_f32 v[132:133], v[128:129], v[130:131] op_sel:[1,1] op_sel_hi:[0,1]
	v_pk_fma_f32 v[134:135], v[128:129], v[130:131], v[132:133] op_sel_hi:[1,0,1]
	v_pk_fma_f32 v[128:129], v[128:129], v[130:131], v[132:133] neg_lo:[0,0,1] neg_hi:[0,0,1]
	s_delay_alu instid0(VALU_DEP_2)
	v_mov_b32_e32 v129, v135
	scratch_store_b64 off, v[128:129], off offset:336
.LBB61_195:
	s_wait_xcnt 0x0
	s_or_b32 exec_lo, exec_lo, s26
	scratch_load_b64 v[128:129], off, off offset:328
	v_cmp_lt_u32_e64 s1, 41, v0
	s_wait_loadcnt 0x0
	ds_store_b64 v1, v[128:129]
	s_wait_storecnt_dscnt 0x0
	s_barrier_signal -1
	s_barrier_wait -1
	s_wait_xcnt 0x0
	s_and_saveexec_b32 s26, s1
	s_cbranch_execz .LBB61_205
; %bb.196:
	s_and_not1_b32 vcc_lo, exec_lo, s3
	s_cbranch_vccnz .LBB61_198
; %bb.197:
	scratch_load_b64 v[128:129], v51, off
	ds_load_b64 v[130:131], v1
	s_wait_loadcnt_dscnt 0x0
	v_pk_mul_f32 v[132:133], v[130:131], v[128:129] op_sel:[1,1] op_sel_hi:[0,1]
	s_delay_alu instid0(VALU_DEP_1) | instskip(SKIP_1) | instid1(VALU_DEP_2)
	v_pk_fma_f32 v[134:135], v[130:131], v[128:129], v[132:133] op_sel_hi:[1,0,1]
	v_pk_fma_f32 v[128:129], v[130:131], v[128:129], v[132:133] neg_lo:[0,0,1] neg_hi:[0,0,1]
	v_mov_b32_e32 v129, v135
	s_cbranch_execz .LBB61_199
	s_branch .LBB61_200
.LBB61_198:
                                        ; implicit-def: $vgpr128_vgpr129
.LBB61_199:
	ds_load_b64 v[128:129], v1
.LBB61_200:
	s_and_saveexec_b32 s27, s0
	s_cbranch_execz .LBB61_204
; %bb.201:
	v_subrev_nc_u32_e32 v130, 42, v0
	s_movk_i32 s28, 0x340
	s_mov_b32 s0, 0
.LBB61_202:                             ; =>This Inner Loop Header: Depth=1
	scratch_load_b64 v[132:133], off, s25
	v_dual_mov_b32 v131, s28 :: v_dual_add_nc_u32 v130, -1, v130
	s_add_co_i32 s28, s28, 8
	s_wait_xcnt 0x0
	s_add_co_i32 s25, s25, 8
	ds_load_b64 v[134:135], v131
	v_cmp_eq_u32_e32 vcc_lo, 0, v130
	s_or_b32 s0, vcc_lo, s0
	s_wait_loadcnt_dscnt 0x0
	v_pk_mul_f32 v[136:137], v[134:135], v[132:133] op_sel:[1,1] op_sel_hi:[0,1]
	s_delay_alu instid0(VALU_DEP_1) | instskip(SKIP_1) | instid1(VALU_DEP_2)
	v_pk_fma_f32 v[138:139], v[134:135], v[132:133], v[136:137] op_sel_hi:[1,0,1]
	v_pk_fma_f32 v[132:133], v[134:135], v[132:133], v[136:137] neg_lo:[0,0,1] neg_hi:[0,0,1]
	v_mov_b32_e32 v133, v139
	s_delay_alu instid0(VALU_DEP_1)
	v_pk_add_f32 v[128:129], v[128:129], v[132:133]
	s_and_not1_b32 exec_lo, exec_lo, s0
	s_cbranch_execnz .LBB61_202
; %bb.203:
	s_or_b32 exec_lo, exec_lo, s0
.LBB61_204:
	s_delay_alu instid0(SALU_CYCLE_1) | instskip(SKIP_4) | instid1(VALU_DEP_1)
	s_or_b32 exec_lo, exec_lo, s27
	v_mov_b32_e32 v130, 0
	ds_load_b64 v[130:131], v130 offset:328
	s_wait_dscnt 0x0
	v_pk_mul_f32 v[132:133], v[128:129], v[130:131] op_sel:[1,1] op_sel_hi:[0,1]
	v_pk_fma_f32 v[134:135], v[128:129], v[130:131], v[132:133] op_sel_hi:[1,0,1]
	v_pk_fma_f32 v[128:129], v[128:129], v[130:131], v[132:133] neg_lo:[0,0,1] neg_hi:[0,0,1]
	s_delay_alu instid0(VALU_DEP_2)
	v_mov_b32_e32 v129, v135
	scratch_store_b64 off, v[128:129], off offset:328
.LBB61_205:
	s_wait_xcnt 0x0
	s_or_b32 exec_lo, exec_lo, s26
	scratch_load_b64 v[128:129], off, off offset:320
	v_cmp_lt_u32_e64 s0, 40, v0
	s_wait_loadcnt 0x0
	ds_store_b64 v1, v[128:129]
	s_wait_storecnt_dscnt 0x0
	s_barrier_signal -1
	s_barrier_wait -1
	s_wait_xcnt 0x0
	s_and_saveexec_b32 s25, s0
	s_cbranch_execz .LBB61_215
; %bb.206:
	s_and_not1_b32 vcc_lo, exec_lo, s3
	s_cbranch_vccnz .LBB61_208
; %bb.207:
	scratch_load_b64 v[128:129], v51, off
	ds_load_b64 v[130:131], v1
	s_wait_loadcnt_dscnt 0x0
	v_pk_mul_f32 v[132:133], v[130:131], v[128:129] op_sel:[1,1] op_sel_hi:[0,1]
	s_delay_alu instid0(VALU_DEP_1) | instskip(SKIP_1) | instid1(VALU_DEP_2)
	v_pk_fma_f32 v[134:135], v[130:131], v[128:129], v[132:133] op_sel_hi:[1,0,1]
	v_pk_fma_f32 v[128:129], v[130:131], v[128:129], v[132:133] neg_lo:[0,0,1] neg_hi:[0,0,1]
	v_mov_b32_e32 v129, v135
	s_cbranch_execz .LBB61_209
	s_branch .LBB61_210
.LBB61_208:
                                        ; implicit-def: $vgpr128_vgpr129
.LBB61_209:
	ds_load_b64 v[128:129], v1
.LBB61_210:
	s_and_saveexec_b32 s26, s1
	s_cbranch_execz .LBB61_214
; %bb.211:
	v_subrev_nc_u32_e32 v130, 41, v0
	s_movk_i32 s1, 0x148
	s_movk_i32 s28, 0x338
	s_mov_b32 s27, 0
.LBB61_212:                             ; =>This Inner Loop Header: Depth=1
	scratch_load_b64 v[132:133], off, s1
	v_dual_mov_b32 v131, s28 :: v_dual_add_nc_u32 v130, -1, v130
	s_add_co_i32 s28, s28, 8
	s_wait_xcnt 0x0
	s_add_co_i32 s1, s1, 8
	ds_load_b64 v[134:135], v131
	v_cmp_eq_u32_e32 vcc_lo, 0, v130
	s_or_b32 s27, vcc_lo, s27
	s_wait_loadcnt_dscnt 0x0
	v_pk_mul_f32 v[136:137], v[134:135], v[132:133] op_sel:[1,1] op_sel_hi:[0,1]
	s_delay_alu instid0(VALU_DEP_1) | instskip(SKIP_1) | instid1(VALU_DEP_2)
	v_pk_fma_f32 v[138:139], v[134:135], v[132:133], v[136:137] op_sel_hi:[1,0,1]
	v_pk_fma_f32 v[132:133], v[134:135], v[132:133], v[136:137] neg_lo:[0,0,1] neg_hi:[0,0,1]
	v_mov_b32_e32 v133, v139
	s_delay_alu instid0(VALU_DEP_1)
	v_pk_add_f32 v[128:129], v[128:129], v[132:133]
	s_and_not1_b32 exec_lo, exec_lo, s27
	s_cbranch_execnz .LBB61_212
; %bb.213:
	s_or_b32 exec_lo, exec_lo, s27
.LBB61_214:
	s_delay_alu instid0(SALU_CYCLE_1) | instskip(SKIP_4) | instid1(VALU_DEP_1)
	s_or_b32 exec_lo, exec_lo, s26
	v_mov_b32_e32 v130, 0
	ds_load_b64 v[130:131], v130 offset:320
	s_wait_dscnt 0x0
	v_pk_mul_f32 v[132:133], v[128:129], v[130:131] op_sel:[1,1] op_sel_hi:[0,1]
	v_pk_fma_f32 v[134:135], v[128:129], v[130:131], v[132:133] op_sel_hi:[1,0,1]
	v_pk_fma_f32 v[128:129], v[128:129], v[130:131], v[132:133] neg_lo:[0,0,1] neg_hi:[0,0,1]
	s_delay_alu instid0(VALU_DEP_2)
	v_mov_b32_e32 v129, v135
	scratch_store_b64 off, v[128:129], off offset:320
.LBB61_215:
	s_wait_xcnt 0x0
	s_or_b32 exec_lo, exec_lo, s25
	scratch_load_b64 v[128:129], off, off offset:312
	v_cmp_lt_u32_e64 s1, 39, v0
	s_wait_loadcnt 0x0
	ds_store_b64 v1, v[128:129]
	s_wait_storecnt_dscnt 0x0
	s_barrier_signal -1
	s_barrier_wait -1
	s_wait_xcnt 0x0
	s_and_saveexec_b32 s25, s1
	s_cbranch_execz .LBB61_225
; %bb.216:
	s_and_not1_b32 vcc_lo, exec_lo, s3
	s_cbranch_vccnz .LBB61_218
; %bb.217:
	scratch_load_b64 v[128:129], v51, off
	ds_load_b64 v[130:131], v1
	s_wait_loadcnt_dscnt 0x0
	v_pk_mul_f32 v[132:133], v[130:131], v[128:129] op_sel:[1,1] op_sel_hi:[0,1]
	s_delay_alu instid0(VALU_DEP_1) | instskip(SKIP_1) | instid1(VALU_DEP_2)
	v_pk_fma_f32 v[134:135], v[130:131], v[128:129], v[132:133] op_sel_hi:[1,0,1]
	v_pk_fma_f32 v[128:129], v[130:131], v[128:129], v[132:133] neg_lo:[0,0,1] neg_hi:[0,0,1]
	v_mov_b32_e32 v129, v135
	s_cbranch_execz .LBB61_219
	s_branch .LBB61_220
.LBB61_218:
                                        ; implicit-def: $vgpr128_vgpr129
.LBB61_219:
	ds_load_b64 v[128:129], v1
.LBB61_220:
	s_and_saveexec_b32 s26, s0
	s_cbranch_execz .LBB61_224
; %bb.221:
	v_subrev_nc_u32_e32 v130, 40, v0
	s_movk_i32 s27, 0x330
	s_mov_b32 s0, 0
.LBB61_222:                             ; =>This Inner Loop Header: Depth=1
	scratch_load_b64 v[132:133], off, s24
	v_dual_mov_b32 v131, s27 :: v_dual_add_nc_u32 v130, -1, v130
	s_add_co_i32 s27, s27, 8
	s_wait_xcnt 0x0
	s_add_co_i32 s24, s24, 8
	ds_load_b64 v[134:135], v131
	v_cmp_eq_u32_e32 vcc_lo, 0, v130
	s_or_b32 s0, vcc_lo, s0
	s_wait_loadcnt_dscnt 0x0
	v_pk_mul_f32 v[136:137], v[134:135], v[132:133] op_sel:[1,1] op_sel_hi:[0,1]
	s_delay_alu instid0(VALU_DEP_1) | instskip(SKIP_1) | instid1(VALU_DEP_2)
	v_pk_fma_f32 v[138:139], v[134:135], v[132:133], v[136:137] op_sel_hi:[1,0,1]
	v_pk_fma_f32 v[132:133], v[134:135], v[132:133], v[136:137] neg_lo:[0,0,1] neg_hi:[0,0,1]
	v_mov_b32_e32 v133, v139
	s_delay_alu instid0(VALU_DEP_1)
	v_pk_add_f32 v[128:129], v[128:129], v[132:133]
	s_and_not1_b32 exec_lo, exec_lo, s0
	s_cbranch_execnz .LBB61_222
; %bb.223:
	s_or_b32 exec_lo, exec_lo, s0
.LBB61_224:
	s_delay_alu instid0(SALU_CYCLE_1) | instskip(SKIP_4) | instid1(VALU_DEP_1)
	s_or_b32 exec_lo, exec_lo, s26
	v_mov_b32_e32 v130, 0
	ds_load_b64 v[130:131], v130 offset:312
	s_wait_dscnt 0x0
	v_pk_mul_f32 v[132:133], v[128:129], v[130:131] op_sel:[1,1] op_sel_hi:[0,1]
	v_pk_fma_f32 v[134:135], v[128:129], v[130:131], v[132:133] op_sel_hi:[1,0,1]
	v_pk_fma_f32 v[128:129], v[128:129], v[130:131], v[132:133] neg_lo:[0,0,1] neg_hi:[0,0,1]
	s_delay_alu instid0(VALU_DEP_2)
	v_mov_b32_e32 v129, v135
	scratch_store_b64 off, v[128:129], off offset:312
.LBB61_225:
	s_wait_xcnt 0x0
	s_or_b32 exec_lo, exec_lo, s25
	scratch_load_b64 v[128:129], off, off offset:304
	v_cmp_lt_u32_e64 s0, 38, v0
	s_wait_loadcnt 0x0
	ds_store_b64 v1, v[128:129]
	s_wait_storecnt_dscnt 0x0
	s_barrier_signal -1
	s_barrier_wait -1
	s_wait_xcnt 0x0
	s_and_saveexec_b32 s24, s0
	s_cbranch_execz .LBB61_235
; %bb.226:
	s_and_not1_b32 vcc_lo, exec_lo, s3
	s_cbranch_vccnz .LBB61_228
; %bb.227:
	scratch_load_b64 v[128:129], v51, off
	ds_load_b64 v[130:131], v1
	s_wait_loadcnt_dscnt 0x0
	v_pk_mul_f32 v[132:133], v[130:131], v[128:129] op_sel:[1,1] op_sel_hi:[0,1]
	s_delay_alu instid0(VALU_DEP_1) | instskip(SKIP_1) | instid1(VALU_DEP_2)
	v_pk_fma_f32 v[134:135], v[130:131], v[128:129], v[132:133] op_sel_hi:[1,0,1]
	v_pk_fma_f32 v[128:129], v[130:131], v[128:129], v[132:133] neg_lo:[0,0,1] neg_hi:[0,0,1]
	v_mov_b32_e32 v129, v135
	s_cbranch_execz .LBB61_229
	s_branch .LBB61_230
.LBB61_228:
                                        ; implicit-def: $vgpr128_vgpr129
.LBB61_229:
	ds_load_b64 v[128:129], v1
.LBB61_230:
	s_and_saveexec_b32 s25, s1
	s_cbranch_execz .LBB61_234
; %bb.231:
	v_subrev_nc_u32_e32 v130, 39, v0
	s_movk_i32 s1, 0x138
	s_movk_i32 s27, 0x328
	s_mov_b32 s26, 0
.LBB61_232:                             ; =>This Inner Loop Header: Depth=1
	scratch_load_b64 v[132:133], off, s1
	v_dual_mov_b32 v131, s27 :: v_dual_add_nc_u32 v130, -1, v130
	s_add_co_i32 s27, s27, 8
	s_wait_xcnt 0x0
	s_add_co_i32 s1, s1, 8
	ds_load_b64 v[134:135], v131
	v_cmp_eq_u32_e32 vcc_lo, 0, v130
	s_or_b32 s26, vcc_lo, s26
	s_wait_loadcnt_dscnt 0x0
	v_pk_mul_f32 v[136:137], v[134:135], v[132:133] op_sel:[1,1] op_sel_hi:[0,1]
	s_delay_alu instid0(VALU_DEP_1) | instskip(SKIP_1) | instid1(VALU_DEP_2)
	v_pk_fma_f32 v[138:139], v[134:135], v[132:133], v[136:137] op_sel_hi:[1,0,1]
	v_pk_fma_f32 v[132:133], v[134:135], v[132:133], v[136:137] neg_lo:[0,0,1] neg_hi:[0,0,1]
	v_mov_b32_e32 v133, v139
	s_delay_alu instid0(VALU_DEP_1)
	v_pk_add_f32 v[128:129], v[128:129], v[132:133]
	s_and_not1_b32 exec_lo, exec_lo, s26
	s_cbranch_execnz .LBB61_232
; %bb.233:
	s_or_b32 exec_lo, exec_lo, s26
.LBB61_234:
	s_delay_alu instid0(SALU_CYCLE_1) | instskip(SKIP_4) | instid1(VALU_DEP_1)
	s_or_b32 exec_lo, exec_lo, s25
	v_mov_b32_e32 v130, 0
	ds_load_b64 v[130:131], v130 offset:304
	s_wait_dscnt 0x0
	v_pk_mul_f32 v[132:133], v[128:129], v[130:131] op_sel:[1,1] op_sel_hi:[0,1]
	v_pk_fma_f32 v[134:135], v[128:129], v[130:131], v[132:133] op_sel_hi:[1,0,1]
	v_pk_fma_f32 v[128:129], v[128:129], v[130:131], v[132:133] neg_lo:[0,0,1] neg_hi:[0,0,1]
	s_delay_alu instid0(VALU_DEP_2)
	v_mov_b32_e32 v129, v135
	scratch_store_b64 off, v[128:129], off offset:304
.LBB61_235:
	s_wait_xcnt 0x0
	s_or_b32 exec_lo, exec_lo, s24
	scratch_load_b64 v[128:129], off, off offset:296
	v_cmp_lt_u32_e64 s1, 37, v0
	s_wait_loadcnt 0x0
	ds_store_b64 v1, v[128:129]
	s_wait_storecnt_dscnt 0x0
	s_barrier_signal -1
	s_barrier_wait -1
	s_wait_xcnt 0x0
	s_and_saveexec_b32 s24, s1
	s_cbranch_execz .LBB61_245
; %bb.236:
	s_and_not1_b32 vcc_lo, exec_lo, s3
	s_cbranch_vccnz .LBB61_238
; %bb.237:
	scratch_load_b64 v[128:129], v51, off
	ds_load_b64 v[130:131], v1
	s_wait_loadcnt_dscnt 0x0
	v_pk_mul_f32 v[132:133], v[130:131], v[128:129] op_sel:[1,1] op_sel_hi:[0,1]
	s_delay_alu instid0(VALU_DEP_1) | instskip(SKIP_1) | instid1(VALU_DEP_2)
	v_pk_fma_f32 v[134:135], v[130:131], v[128:129], v[132:133] op_sel_hi:[1,0,1]
	v_pk_fma_f32 v[128:129], v[130:131], v[128:129], v[132:133] neg_lo:[0,0,1] neg_hi:[0,0,1]
	v_mov_b32_e32 v129, v135
	s_cbranch_execz .LBB61_239
	s_branch .LBB61_240
.LBB61_238:
                                        ; implicit-def: $vgpr128_vgpr129
.LBB61_239:
	ds_load_b64 v[128:129], v1
.LBB61_240:
	s_and_saveexec_b32 s25, s0
	s_cbranch_execz .LBB61_244
; %bb.241:
	v_subrev_nc_u32_e32 v130, 38, v0
	s_movk_i32 s26, 0x320
	s_mov_b32 s0, 0
.LBB61_242:                             ; =>This Inner Loop Header: Depth=1
	scratch_load_b64 v[132:133], off, s23
	v_dual_mov_b32 v131, s26 :: v_dual_add_nc_u32 v130, -1, v130
	s_add_co_i32 s26, s26, 8
	s_wait_xcnt 0x0
	s_add_co_i32 s23, s23, 8
	ds_load_b64 v[134:135], v131
	v_cmp_eq_u32_e32 vcc_lo, 0, v130
	s_or_b32 s0, vcc_lo, s0
	s_wait_loadcnt_dscnt 0x0
	v_pk_mul_f32 v[136:137], v[134:135], v[132:133] op_sel:[1,1] op_sel_hi:[0,1]
	s_delay_alu instid0(VALU_DEP_1) | instskip(SKIP_1) | instid1(VALU_DEP_2)
	v_pk_fma_f32 v[138:139], v[134:135], v[132:133], v[136:137] op_sel_hi:[1,0,1]
	v_pk_fma_f32 v[132:133], v[134:135], v[132:133], v[136:137] neg_lo:[0,0,1] neg_hi:[0,0,1]
	v_mov_b32_e32 v133, v139
	s_delay_alu instid0(VALU_DEP_1)
	v_pk_add_f32 v[128:129], v[128:129], v[132:133]
	s_and_not1_b32 exec_lo, exec_lo, s0
	s_cbranch_execnz .LBB61_242
; %bb.243:
	s_or_b32 exec_lo, exec_lo, s0
.LBB61_244:
	s_delay_alu instid0(SALU_CYCLE_1) | instskip(SKIP_4) | instid1(VALU_DEP_1)
	s_or_b32 exec_lo, exec_lo, s25
	v_mov_b32_e32 v130, 0
	ds_load_b64 v[130:131], v130 offset:296
	s_wait_dscnt 0x0
	v_pk_mul_f32 v[132:133], v[128:129], v[130:131] op_sel:[1,1] op_sel_hi:[0,1]
	v_pk_fma_f32 v[134:135], v[128:129], v[130:131], v[132:133] op_sel_hi:[1,0,1]
	v_pk_fma_f32 v[128:129], v[128:129], v[130:131], v[132:133] neg_lo:[0,0,1] neg_hi:[0,0,1]
	s_delay_alu instid0(VALU_DEP_2)
	v_mov_b32_e32 v129, v135
	scratch_store_b64 off, v[128:129], off offset:296
.LBB61_245:
	s_wait_xcnt 0x0
	s_or_b32 exec_lo, exec_lo, s24
	scratch_load_b64 v[128:129], off, off offset:288
	v_cmp_lt_u32_e64 s0, 36, v0
	s_wait_loadcnt 0x0
	ds_store_b64 v1, v[128:129]
	s_wait_storecnt_dscnt 0x0
	s_barrier_signal -1
	s_barrier_wait -1
	s_wait_xcnt 0x0
	s_and_saveexec_b32 s23, s0
	s_cbranch_execz .LBB61_255
; %bb.246:
	s_and_not1_b32 vcc_lo, exec_lo, s3
	s_cbranch_vccnz .LBB61_248
; %bb.247:
	scratch_load_b64 v[128:129], v51, off
	ds_load_b64 v[130:131], v1
	s_wait_loadcnt_dscnt 0x0
	v_pk_mul_f32 v[132:133], v[130:131], v[128:129] op_sel:[1,1] op_sel_hi:[0,1]
	s_delay_alu instid0(VALU_DEP_1) | instskip(SKIP_1) | instid1(VALU_DEP_2)
	v_pk_fma_f32 v[134:135], v[130:131], v[128:129], v[132:133] op_sel_hi:[1,0,1]
	v_pk_fma_f32 v[128:129], v[130:131], v[128:129], v[132:133] neg_lo:[0,0,1] neg_hi:[0,0,1]
	v_mov_b32_e32 v129, v135
	s_cbranch_execz .LBB61_249
	s_branch .LBB61_250
.LBB61_248:
                                        ; implicit-def: $vgpr128_vgpr129
.LBB61_249:
	ds_load_b64 v[128:129], v1
.LBB61_250:
	s_and_saveexec_b32 s24, s1
	s_cbranch_execz .LBB61_254
; %bb.251:
	v_subrev_nc_u32_e32 v130, 37, v0
	s_movk_i32 s1, 0x128
	s_movk_i32 s26, 0x318
	s_mov_b32 s25, 0
.LBB61_252:                             ; =>This Inner Loop Header: Depth=1
	scratch_load_b64 v[132:133], off, s1
	v_dual_mov_b32 v131, s26 :: v_dual_add_nc_u32 v130, -1, v130
	s_add_co_i32 s26, s26, 8
	s_wait_xcnt 0x0
	s_add_co_i32 s1, s1, 8
	ds_load_b64 v[134:135], v131
	v_cmp_eq_u32_e32 vcc_lo, 0, v130
	s_or_b32 s25, vcc_lo, s25
	s_wait_loadcnt_dscnt 0x0
	v_pk_mul_f32 v[136:137], v[134:135], v[132:133] op_sel:[1,1] op_sel_hi:[0,1]
	s_delay_alu instid0(VALU_DEP_1) | instskip(SKIP_1) | instid1(VALU_DEP_2)
	v_pk_fma_f32 v[138:139], v[134:135], v[132:133], v[136:137] op_sel_hi:[1,0,1]
	v_pk_fma_f32 v[132:133], v[134:135], v[132:133], v[136:137] neg_lo:[0,0,1] neg_hi:[0,0,1]
	v_mov_b32_e32 v133, v139
	s_delay_alu instid0(VALU_DEP_1)
	v_pk_add_f32 v[128:129], v[128:129], v[132:133]
	s_and_not1_b32 exec_lo, exec_lo, s25
	s_cbranch_execnz .LBB61_252
; %bb.253:
	s_or_b32 exec_lo, exec_lo, s25
.LBB61_254:
	s_delay_alu instid0(SALU_CYCLE_1) | instskip(SKIP_4) | instid1(VALU_DEP_1)
	s_or_b32 exec_lo, exec_lo, s24
	v_mov_b32_e32 v130, 0
	ds_load_b64 v[130:131], v130 offset:288
	s_wait_dscnt 0x0
	v_pk_mul_f32 v[132:133], v[128:129], v[130:131] op_sel:[1,1] op_sel_hi:[0,1]
	v_pk_fma_f32 v[134:135], v[128:129], v[130:131], v[132:133] op_sel_hi:[1,0,1]
	v_pk_fma_f32 v[128:129], v[128:129], v[130:131], v[132:133] neg_lo:[0,0,1] neg_hi:[0,0,1]
	s_delay_alu instid0(VALU_DEP_2)
	v_mov_b32_e32 v129, v135
	scratch_store_b64 off, v[128:129], off offset:288
.LBB61_255:
	s_wait_xcnt 0x0
	s_or_b32 exec_lo, exec_lo, s23
	scratch_load_b64 v[128:129], off, off offset:280
	v_cmp_lt_u32_e64 s1, 35, v0
	s_wait_loadcnt 0x0
	ds_store_b64 v1, v[128:129]
	s_wait_storecnt_dscnt 0x0
	s_barrier_signal -1
	s_barrier_wait -1
	s_wait_xcnt 0x0
	s_and_saveexec_b32 s23, s1
	s_cbranch_execz .LBB61_265
; %bb.256:
	s_and_not1_b32 vcc_lo, exec_lo, s3
	s_cbranch_vccnz .LBB61_258
; %bb.257:
	scratch_load_b64 v[128:129], v51, off
	ds_load_b64 v[130:131], v1
	s_wait_loadcnt_dscnt 0x0
	v_pk_mul_f32 v[132:133], v[130:131], v[128:129] op_sel:[1,1] op_sel_hi:[0,1]
	s_delay_alu instid0(VALU_DEP_1) | instskip(SKIP_1) | instid1(VALU_DEP_2)
	v_pk_fma_f32 v[134:135], v[130:131], v[128:129], v[132:133] op_sel_hi:[1,0,1]
	v_pk_fma_f32 v[128:129], v[130:131], v[128:129], v[132:133] neg_lo:[0,0,1] neg_hi:[0,0,1]
	v_mov_b32_e32 v129, v135
	s_cbranch_execz .LBB61_259
	s_branch .LBB61_260
.LBB61_258:
                                        ; implicit-def: $vgpr128_vgpr129
.LBB61_259:
	ds_load_b64 v[128:129], v1
.LBB61_260:
	s_and_saveexec_b32 s24, s0
	s_cbranch_execz .LBB61_264
; %bb.261:
	v_subrev_nc_u32_e32 v130, 36, v0
	s_movk_i32 s25, 0x310
	s_mov_b32 s0, 0
.LBB61_262:                             ; =>This Inner Loop Header: Depth=1
	scratch_load_b64 v[132:133], off, s22
	v_dual_mov_b32 v131, s25 :: v_dual_add_nc_u32 v130, -1, v130
	s_add_co_i32 s25, s25, 8
	s_wait_xcnt 0x0
	s_add_co_i32 s22, s22, 8
	ds_load_b64 v[134:135], v131
	v_cmp_eq_u32_e32 vcc_lo, 0, v130
	s_or_b32 s0, vcc_lo, s0
	s_wait_loadcnt_dscnt 0x0
	v_pk_mul_f32 v[136:137], v[134:135], v[132:133] op_sel:[1,1] op_sel_hi:[0,1]
	s_delay_alu instid0(VALU_DEP_1) | instskip(SKIP_1) | instid1(VALU_DEP_2)
	v_pk_fma_f32 v[138:139], v[134:135], v[132:133], v[136:137] op_sel_hi:[1,0,1]
	v_pk_fma_f32 v[132:133], v[134:135], v[132:133], v[136:137] neg_lo:[0,0,1] neg_hi:[0,0,1]
	v_mov_b32_e32 v133, v139
	s_delay_alu instid0(VALU_DEP_1)
	v_pk_add_f32 v[128:129], v[128:129], v[132:133]
	s_and_not1_b32 exec_lo, exec_lo, s0
	s_cbranch_execnz .LBB61_262
; %bb.263:
	s_or_b32 exec_lo, exec_lo, s0
.LBB61_264:
	s_delay_alu instid0(SALU_CYCLE_1) | instskip(SKIP_4) | instid1(VALU_DEP_1)
	s_or_b32 exec_lo, exec_lo, s24
	v_mov_b32_e32 v130, 0
	ds_load_b64 v[130:131], v130 offset:280
	s_wait_dscnt 0x0
	v_pk_mul_f32 v[132:133], v[128:129], v[130:131] op_sel:[1,1] op_sel_hi:[0,1]
	v_pk_fma_f32 v[134:135], v[128:129], v[130:131], v[132:133] op_sel_hi:[1,0,1]
	v_pk_fma_f32 v[128:129], v[128:129], v[130:131], v[132:133] neg_lo:[0,0,1] neg_hi:[0,0,1]
	s_delay_alu instid0(VALU_DEP_2)
	v_mov_b32_e32 v129, v135
	scratch_store_b64 off, v[128:129], off offset:280
.LBB61_265:
	s_wait_xcnt 0x0
	s_or_b32 exec_lo, exec_lo, s23
	scratch_load_b64 v[128:129], off, off offset:272
	v_cmp_lt_u32_e64 s0, 34, v0
	s_wait_loadcnt 0x0
	ds_store_b64 v1, v[128:129]
	s_wait_storecnt_dscnt 0x0
	s_barrier_signal -1
	s_barrier_wait -1
	s_wait_xcnt 0x0
	s_and_saveexec_b32 s22, s0
	s_cbranch_execz .LBB61_275
; %bb.266:
	s_and_not1_b32 vcc_lo, exec_lo, s3
	s_cbranch_vccnz .LBB61_268
; %bb.267:
	scratch_load_b64 v[128:129], v51, off
	ds_load_b64 v[130:131], v1
	s_wait_loadcnt_dscnt 0x0
	v_pk_mul_f32 v[132:133], v[130:131], v[128:129] op_sel:[1,1] op_sel_hi:[0,1]
	s_delay_alu instid0(VALU_DEP_1) | instskip(SKIP_1) | instid1(VALU_DEP_2)
	v_pk_fma_f32 v[134:135], v[130:131], v[128:129], v[132:133] op_sel_hi:[1,0,1]
	v_pk_fma_f32 v[128:129], v[130:131], v[128:129], v[132:133] neg_lo:[0,0,1] neg_hi:[0,0,1]
	v_mov_b32_e32 v129, v135
	s_cbranch_execz .LBB61_269
	s_branch .LBB61_270
.LBB61_268:
                                        ; implicit-def: $vgpr128_vgpr129
.LBB61_269:
	ds_load_b64 v[128:129], v1
.LBB61_270:
	s_and_saveexec_b32 s23, s1
	s_cbranch_execz .LBB61_274
; %bb.271:
	v_subrev_nc_u32_e32 v130, 35, v0
	s_movk_i32 s1, 0x118
	s_movk_i32 s25, 0x308
	s_mov_b32 s24, 0
.LBB61_272:                             ; =>This Inner Loop Header: Depth=1
	scratch_load_b64 v[132:133], off, s1
	v_dual_mov_b32 v131, s25 :: v_dual_add_nc_u32 v130, -1, v130
	s_add_co_i32 s25, s25, 8
	s_wait_xcnt 0x0
	s_add_co_i32 s1, s1, 8
	ds_load_b64 v[134:135], v131
	v_cmp_eq_u32_e32 vcc_lo, 0, v130
	s_or_b32 s24, vcc_lo, s24
	s_wait_loadcnt_dscnt 0x0
	v_pk_mul_f32 v[136:137], v[134:135], v[132:133] op_sel:[1,1] op_sel_hi:[0,1]
	s_delay_alu instid0(VALU_DEP_1) | instskip(SKIP_1) | instid1(VALU_DEP_2)
	v_pk_fma_f32 v[138:139], v[134:135], v[132:133], v[136:137] op_sel_hi:[1,0,1]
	v_pk_fma_f32 v[132:133], v[134:135], v[132:133], v[136:137] neg_lo:[0,0,1] neg_hi:[0,0,1]
	v_mov_b32_e32 v133, v139
	s_delay_alu instid0(VALU_DEP_1)
	v_pk_add_f32 v[128:129], v[128:129], v[132:133]
	s_and_not1_b32 exec_lo, exec_lo, s24
	s_cbranch_execnz .LBB61_272
; %bb.273:
	s_or_b32 exec_lo, exec_lo, s24
.LBB61_274:
	s_delay_alu instid0(SALU_CYCLE_1) | instskip(SKIP_4) | instid1(VALU_DEP_1)
	s_or_b32 exec_lo, exec_lo, s23
	v_mov_b32_e32 v130, 0
	ds_load_b64 v[130:131], v130 offset:272
	s_wait_dscnt 0x0
	v_pk_mul_f32 v[132:133], v[128:129], v[130:131] op_sel:[1,1] op_sel_hi:[0,1]
	v_pk_fma_f32 v[134:135], v[128:129], v[130:131], v[132:133] op_sel_hi:[1,0,1]
	v_pk_fma_f32 v[128:129], v[128:129], v[130:131], v[132:133] neg_lo:[0,0,1] neg_hi:[0,0,1]
	s_delay_alu instid0(VALU_DEP_2)
	v_mov_b32_e32 v129, v135
	scratch_store_b64 off, v[128:129], off offset:272
.LBB61_275:
	s_wait_xcnt 0x0
	s_or_b32 exec_lo, exec_lo, s22
	scratch_load_b64 v[128:129], off, off offset:264
	v_cmp_lt_u32_e64 s1, 33, v0
	s_wait_loadcnt 0x0
	ds_store_b64 v1, v[128:129]
	s_wait_storecnt_dscnt 0x0
	s_barrier_signal -1
	s_barrier_wait -1
	s_wait_xcnt 0x0
	s_and_saveexec_b32 s22, s1
	s_cbranch_execz .LBB61_285
; %bb.276:
	s_and_not1_b32 vcc_lo, exec_lo, s3
	s_cbranch_vccnz .LBB61_278
; %bb.277:
	scratch_load_b64 v[128:129], v51, off
	ds_load_b64 v[130:131], v1
	s_wait_loadcnt_dscnt 0x0
	v_pk_mul_f32 v[132:133], v[130:131], v[128:129] op_sel:[1,1] op_sel_hi:[0,1]
	s_delay_alu instid0(VALU_DEP_1) | instskip(SKIP_1) | instid1(VALU_DEP_2)
	v_pk_fma_f32 v[134:135], v[130:131], v[128:129], v[132:133] op_sel_hi:[1,0,1]
	v_pk_fma_f32 v[128:129], v[130:131], v[128:129], v[132:133] neg_lo:[0,0,1] neg_hi:[0,0,1]
	v_mov_b32_e32 v129, v135
	s_cbranch_execz .LBB61_279
	s_branch .LBB61_280
.LBB61_278:
                                        ; implicit-def: $vgpr128_vgpr129
.LBB61_279:
	ds_load_b64 v[128:129], v1
.LBB61_280:
	s_and_saveexec_b32 s23, s0
	s_cbranch_execz .LBB61_284
; %bb.281:
	v_subrev_nc_u32_e32 v130, 34, v0
	s_movk_i32 s24, 0x300
	s_mov_b32 s0, 0
.LBB61_282:                             ; =>This Inner Loop Header: Depth=1
	scratch_load_b64 v[132:133], off, s21
	v_dual_mov_b32 v131, s24 :: v_dual_add_nc_u32 v130, -1, v130
	s_add_co_i32 s24, s24, 8
	s_wait_xcnt 0x0
	s_add_co_i32 s21, s21, 8
	ds_load_b64 v[134:135], v131
	v_cmp_eq_u32_e32 vcc_lo, 0, v130
	s_or_b32 s0, vcc_lo, s0
	s_wait_loadcnt_dscnt 0x0
	v_pk_mul_f32 v[136:137], v[134:135], v[132:133] op_sel:[1,1] op_sel_hi:[0,1]
	s_delay_alu instid0(VALU_DEP_1) | instskip(SKIP_1) | instid1(VALU_DEP_2)
	v_pk_fma_f32 v[138:139], v[134:135], v[132:133], v[136:137] op_sel_hi:[1,0,1]
	v_pk_fma_f32 v[132:133], v[134:135], v[132:133], v[136:137] neg_lo:[0,0,1] neg_hi:[0,0,1]
	v_mov_b32_e32 v133, v139
	s_delay_alu instid0(VALU_DEP_1)
	v_pk_add_f32 v[128:129], v[128:129], v[132:133]
	s_and_not1_b32 exec_lo, exec_lo, s0
	s_cbranch_execnz .LBB61_282
; %bb.283:
	s_or_b32 exec_lo, exec_lo, s0
.LBB61_284:
	s_delay_alu instid0(SALU_CYCLE_1) | instskip(SKIP_4) | instid1(VALU_DEP_1)
	s_or_b32 exec_lo, exec_lo, s23
	v_mov_b32_e32 v130, 0
	ds_load_b64 v[130:131], v130 offset:264
	s_wait_dscnt 0x0
	v_pk_mul_f32 v[132:133], v[128:129], v[130:131] op_sel:[1,1] op_sel_hi:[0,1]
	v_pk_fma_f32 v[134:135], v[128:129], v[130:131], v[132:133] op_sel_hi:[1,0,1]
	v_pk_fma_f32 v[128:129], v[128:129], v[130:131], v[132:133] neg_lo:[0,0,1] neg_hi:[0,0,1]
	s_delay_alu instid0(VALU_DEP_2)
	v_mov_b32_e32 v129, v135
	scratch_store_b64 off, v[128:129], off offset:264
.LBB61_285:
	s_wait_xcnt 0x0
	s_or_b32 exec_lo, exec_lo, s22
	scratch_load_b64 v[128:129], off, off offset:256
	v_cmp_lt_u32_e64 s0, 32, v0
	s_wait_loadcnt 0x0
	ds_store_b64 v1, v[128:129]
	s_wait_storecnt_dscnt 0x0
	s_barrier_signal -1
	s_barrier_wait -1
	s_wait_xcnt 0x0
	s_and_saveexec_b32 s21, s0
	s_cbranch_execz .LBB61_295
; %bb.286:
	s_and_not1_b32 vcc_lo, exec_lo, s3
	s_cbranch_vccnz .LBB61_288
; %bb.287:
	scratch_load_b64 v[128:129], v51, off
	ds_load_b64 v[130:131], v1
	s_wait_loadcnt_dscnt 0x0
	v_pk_mul_f32 v[132:133], v[130:131], v[128:129] op_sel:[1,1] op_sel_hi:[0,1]
	s_delay_alu instid0(VALU_DEP_1) | instskip(SKIP_1) | instid1(VALU_DEP_2)
	v_pk_fma_f32 v[134:135], v[130:131], v[128:129], v[132:133] op_sel_hi:[1,0,1]
	v_pk_fma_f32 v[128:129], v[130:131], v[128:129], v[132:133] neg_lo:[0,0,1] neg_hi:[0,0,1]
	v_mov_b32_e32 v129, v135
	s_cbranch_execz .LBB61_289
	s_branch .LBB61_290
.LBB61_288:
                                        ; implicit-def: $vgpr128_vgpr129
.LBB61_289:
	ds_load_b64 v[128:129], v1
.LBB61_290:
	s_and_saveexec_b32 s22, s1
	s_cbranch_execz .LBB61_294
; %bb.291:
	v_subrev_nc_u32_e32 v130, 33, v0
	s_movk_i32 s1, 0x108
	s_movk_i32 s24, 0x2f8
	s_mov_b32 s23, 0
.LBB61_292:                             ; =>This Inner Loop Header: Depth=1
	scratch_load_b64 v[132:133], off, s1
	v_dual_mov_b32 v131, s24 :: v_dual_add_nc_u32 v130, -1, v130
	s_add_co_i32 s24, s24, 8
	s_wait_xcnt 0x0
	s_add_co_i32 s1, s1, 8
	ds_load_b64 v[134:135], v131
	v_cmp_eq_u32_e32 vcc_lo, 0, v130
	s_or_b32 s23, vcc_lo, s23
	s_wait_loadcnt_dscnt 0x0
	v_pk_mul_f32 v[136:137], v[134:135], v[132:133] op_sel:[1,1] op_sel_hi:[0,1]
	s_delay_alu instid0(VALU_DEP_1) | instskip(SKIP_1) | instid1(VALU_DEP_2)
	v_pk_fma_f32 v[138:139], v[134:135], v[132:133], v[136:137] op_sel_hi:[1,0,1]
	v_pk_fma_f32 v[132:133], v[134:135], v[132:133], v[136:137] neg_lo:[0,0,1] neg_hi:[0,0,1]
	v_mov_b32_e32 v133, v139
	s_delay_alu instid0(VALU_DEP_1)
	v_pk_add_f32 v[128:129], v[128:129], v[132:133]
	s_and_not1_b32 exec_lo, exec_lo, s23
	s_cbranch_execnz .LBB61_292
; %bb.293:
	s_or_b32 exec_lo, exec_lo, s23
.LBB61_294:
	s_delay_alu instid0(SALU_CYCLE_1) | instskip(SKIP_4) | instid1(VALU_DEP_1)
	s_or_b32 exec_lo, exec_lo, s22
	v_mov_b32_e32 v130, 0
	ds_load_b64 v[130:131], v130 offset:256
	s_wait_dscnt 0x0
	v_pk_mul_f32 v[132:133], v[128:129], v[130:131] op_sel:[1,1] op_sel_hi:[0,1]
	v_pk_fma_f32 v[134:135], v[128:129], v[130:131], v[132:133] op_sel_hi:[1,0,1]
	v_pk_fma_f32 v[128:129], v[128:129], v[130:131], v[132:133] neg_lo:[0,0,1] neg_hi:[0,0,1]
	s_delay_alu instid0(VALU_DEP_2)
	v_mov_b32_e32 v129, v135
	scratch_store_b64 off, v[128:129], off offset:256
.LBB61_295:
	s_wait_xcnt 0x0
	s_or_b32 exec_lo, exec_lo, s21
	scratch_load_b64 v[128:129], off, off offset:248
	v_cmp_lt_u32_e64 s1, 31, v0
	s_wait_loadcnt 0x0
	ds_store_b64 v1, v[128:129]
	s_wait_storecnt_dscnt 0x0
	s_barrier_signal -1
	s_barrier_wait -1
	s_wait_xcnt 0x0
	s_and_saveexec_b32 s21, s1
	s_cbranch_execz .LBB61_305
; %bb.296:
	s_and_not1_b32 vcc_lo, exec_lo, s3
	s_cbranch_vccnz .LBB61_298
; %bb.297:
	scratch_load_b64 v[128:129], v51, off
	ds_load_b64 v[130:131], v1
	s_wait_loadcnt_dscnt 0x0
	v_pk_mul_f32 v[132:133], v[130:131], v[128:129] op_sel:[1,1] op_sel_hi:[0,1]
	s_delay_alu instid0(VALU_DEP_1) | instskip(SKIP_1) | instid1(VALU_DEP_2)
	v_pk_fma_f32 v[134:135], v[130:131], v[128:129], v[132:133] op_sel_hi:[1,0,1]
	v_pk_fma_f32 v[128:129], v[130:131], v[128:129], v[132:133] neg_lo:[0,0,1] neg_hi:[0,0,1]
	v_mov_b32_e32 v129, v135
	s_cbranch_execz .LBB61_299
	s_branch .LBB61_300
.LBB61_298:
                                        ; implicit-def: $vgpr128_vgpr129
.LBB61_299:
	ds_load_b64 v[128:129], v1
.LBB61_300:
	s_and_saveexec_b32 s22, s0
	s_cbranch_execz .LBB61_304
; %bb.301:
	v_subrev_nc_u32_e32 v130, 32, v0
	s_movk_i32 s23, 0x2f0
	s_mov_b32 s0, 0
.LBB61_302:                             ; =>This Inner Loop Header: Depth=1
	scratch_load_b64 v[132:133], off, s20
	v_dual_mov_b32 v131, s23 :: v_dual_add_nc_u32 v130, -1, v130
	s_add_co_i32 s23, s23, 8
	s_wait_xcnt 0x0
	s_add_co_i32 s20, s20, 8
	ds_load_b64 v[134:135], v131
	v_cmp_eq_u32_e32 vcc_lo, 0, v130
	s_or_b32 s0, vcc_lo, s0
	s_wait_loadcnt_dscnt 0x0
	v_pk_mul_f32 v[136:137], v[134:135], v[132:133] op_sel:[1,1] op_sel_hi:[0,1]
	s_delay_alu instid0(VALU_DEP_1) | instskip(SKIP_1) | instid1(VALU_DEP_2)
	v_pk_fma_f32 v[138:139], v[134:135], v[132:133], v[136:137] op_sel_hi:[1,0,1]
	v_pk_fma_f32 v[132:133], v[134:135], v[132:133], v[136:137] neg_lo:[0,0,1] neg_hi:[0,0,1]
	v_mov_b32_e32 v133, v139
	s_delay_alu instid0(VALU_DEP_1)
	v_pk_add_f32 v[128:129], v[128:129], v[132:133]
	s_and_not1_b32 exec_lo, exec_lo, s0
	s_cbranch_execnz .LBB61_302
; %bb.303:
	s_or_b32 exec_lo, exec_lo, s0
.LBB61_304:
	s_delay_alu instid0(SALU_CYCLE_1) | instskip(SKIP_4) | instid1(VALU_DEP_1)
	s_or_b32 exec_lo, exec_lo, s22
	v_mov_b32_e32 v130, 0
	ds_load_b64 v[130:131], v130 offset:248
	s_wait_dscnt 0x0
	v_pk_mul_f32 v[132:133], v[128:129], v[130:131] op_sel:[1,1] op_sel_hi:[0,1]
	v_pk_fma_f32 v[134:135], v[128:129], v[130:131], v[132:133] op_sel_hi:[1,0,1]
	v_pk_fma_f32 v[128:129], v[128:129], v[130:131], v[132:133] neg_lo:[0,0,1] neg_hi:[0,0,1]
	s_delay_alu instid0(VALU_DEP_2)
	v_mov_b32_e32 v129, v135
	scratch_store_b64 off, v[128:129], off offset:248
.LBB61_305:
	s_wait_xcnt 0x0
	s_or_b32 exec_lo, exec_lo, s21
	scratch_load_b64 v[128:129], off, off offset:240
	v_cmp_lt_u32_e64 s0, 30, v0
	s_wait_loadcnt 0x0
	ds_store_b64 v1, v[128:129]
	s_wait_storecnt_dscnt 0x0
	s_barrier_signal -1
	s_barrier_wait -1
	s_wait_xcnt 0x0
	s_and_saveexec_b32 s20, s0
	s_cbranch_execz .LBB61_315
; %bb.306:
	s_and_not1_b32 vcc_lo, exec_lo, s3
	s_cbranch_vccnz .LBB61_308
; %bb.307:
	scratch_load_b64 v[128:129], v51, off
	ds_load_b64 v[130:131], v1
	s_wait_loadcnt_dscnt 0x0
	v_pk_mul_f32 v[132:133], v[130:131], v[128:129] op_sel:[1,1] op_sel_hi:[0,1]
	s_delay_alu instid0(VALU_DEP_1) | instskip(SKIP_1) | instid1(VALU_DEP_2)
	v_pk_fma_f32 v[134:135], v[130:131], v[128:129], v[132:133] op_sel_hi:[1,0,1]
	v_pk_fma_f32 v[128:129], v[130:131], v[128:129], v[132:133] neg_lo:[0,0,1] neg_hi:[0,0,1]
	v_mov_b32_e32 v129, v135
	s_cbranch_execz .LBB61_309
	s_branch .LBB61_310
.LBB61_308:
                                        ; implicit-def: $vgpr128_vgpr129
.LBB61_309:
	ds_load_b64 v[128:129], v1
.LBB61_310:
	s_and_saveexec_b32 s21, s1
	s_cbranch_execz .LBB61_314
; %bb.311:
	v_subrev_nc_u32_e32 v130, 31, v0
	s_movk_i32 s1, 0xf8
	s_movk_i32 s23, 0x2e8
	s_mov_b32 s22, 0
.LBB61_312:                             ; =>This Inner Loop Header: Depth=1
	scratch_load_b64 v[132:133], off, s1
	v_dual_mov_b32 v131, s23 :: v_dual_add_nc_u32 v130, -1, v130
	s_add_co_i32 s23, s23, 8
	s_wait_xcnt 0x0
	s_add_co_i32 s1, s1, 8
	ds_load_b64 v[134:135], v131
	v_cmp_eq_u32_e32 vcc_lo, 0, v130
	s_or_b32 s22, vcc_lo, s22
	s_wait_loadcnt_dscnt 0x0
	v_pk_mul_f32 v[136:137], v[134:135], v[132:133] op_sel:[1,1] op_sel_hi:[0,1]
	s_delay_alu instid0(VALU_DEP_1) | instskip(SKIP_1) | instid1(VALU_DEP_2)
	v_pk_fma_f32 v[138:139], v[134:135], v[132:133], v[136:137] op_sel_hi:[1,0,1]
	v_pk_fma_f32 v[132:133], v[134:135], v[132:133], v[136:137] neg_lo:[0,0,1] neg_hi:[0,0,1]
	v_mov_b32_e32 v133, v139
	s_delay_alu instid0(VALU_DEP_1)
	v_pk_add_f32 v[128:129], v[128:129], v[132:133]
	s_and_not1_b32 exec_lo, exec_lo, s22
	s_cbranch_execnz .LBB61_312
; %bb.313:
	s_or_b32 exec_lo, exec_lo, s22
.LBB61_314:
	s_delay_alu instid0(SALU_CYCLE_1) | instskip(SKIP_4) | instid1(VALU_DEP_1)
	s_or_b32 exec_lo, exec_lo, s21
	v_mov_b32_e32 v130, 0
	ds_load_b64 v[130:131], v130 offset:240
	s_wait_dscnt 0x0
	v_pk_mul_f32 v[132:133], v[128:129], v[130:131] op_sel:[1,1] op_sel_hi:[0,1]
	v_pk_fma_f32 v[134:135], v[128:129], v[130:131], v[132:133] op_sel_hi:[1,0,1]
	v_pk_fma_f32 v[128:129], v[128:129], v[130:131], v[132:133] neg_lo:[0,0,1] neg_hi:[0,0,1]
	s_delay_alu instid0(VALU_DEP_2)
	v_mov_b32_e32 v129, v135
	scratch_store_b64 off, v[128:129], off offset:240
.LBB61_315:
	s_wait_xcnt 0x0
	s_or_b32 exec_lo, exec_lo, s20
	scratch_load_b64 v[128:129], off, off offset:232
	v_cmp_lt_u32_e64 s1, 29, v0
	s_wait_loadcnt 0x0
	ds_store_b64 v1, v[128:129]
	s_wait_storecnt_dscnt 0x0
	s_barrier_signal -1
	s_barrier_wait -1
	s_wait_xcnt 0x0
	s_and_saveexec_b32 s20, s1
	s_cbranch_execz .LBB61_325
; %bb.316:
	s_and_not1_b32 vcc_lo, exec_lo, s3
	s_cbranch_vccnz .LBB61_318
; %bb.317:
	scratch_load_b64 v[128:129], v51, off
	ds_load_b64 v[130:131], v1
	s_wait_loadcnt_dscnt 0x0
	v_pk_mul_f32 v[132:133], v[130:131], v[128:129] op_sel:[1,1] op_sel_hi:[0,1]
	s_delay_alu instid0(VALU_DEP_1) | instskip(SKIP_1) | instid1(VALU_DEP_2)
	v_pk_fma_f32 v[134:135], v[130:131], v[128:129], v[132:133] op_sel_hi:[1,0,1]
	v_pk_fma_f32 v[128:129], v[130:131], v[128:129], v[132:133] neg_lo:[0,0,1] neg_hi:[0,0,1]
	v_mov_b32_e32 v129, v135
	s_cbranch_execz .LBB61_319
	s_branch .LBB61_320
.LBB61_318:
                                        ; implicit-def: $vgpr128_vgpr129
.LBB61_319:
	ds_load_b64 v[128:129], v1
.LBB61_320:
	s_and_saveexec_b32 s21, s0
	s_cbranch_execz .LBB61_324
; %bb.321:
	v_subrev_nc_u32_e32 v130, 30, v0
	s_movk_i32 s22, 0x2e0
	s_mov_b32 s0, 0
.LBB61_322:                             ; =>This Inner Loop Header: Depth=1
	scratch_load_b64 v[132:133], off, s19
	v_dual_mov_b32 v131, s22 :: v_dual_add_nc_u32 v130, -1, v130
	s_add_co_i32 s22, s22, 8
	s_wait_xcnt 0x0
	s_add_co_i32 s19, s19, 8
	ds_load_b64 v[134:135], v131
	v_cmp_eq_u32_e32 vcc_lo, 0, v130
	s_or_b32 s0, vcc_lo, s0
	s_wait_loadcnt_dscnt 0x0
	v_pk_mul_f32 v[136:137], v[134:135], v[132:133] op_sel:[1,1] op_sel_hi:[0,1]
	s_delay_alu instid0(VALU_DEP_1) | instskip(SKIP_1) | instid1(VALU_DEP_2)
	v_pk_fma_f32 v[138:139], v[134:135], v[132:133], v[136:137] op_sel_hi:[1,0,1]
	v_pk_fma_f32 v[132:133], v[134:135], v[132:133], v[136:137] neg_lo:[0,0,1] neg_hi:[0,0,1]
	v_mov_b32_e32 v133, v139
	s_delay_alu instid0(VALU_DEP_1)
	v_pk_add_f32 v[128:129], v[128:129], v[132:133]
	s_and_not1_b32 exec_lo, exec_lo, s0
	s_cbranch_execnz .LBB61_322
; %bb.323:
	s_or_b32 exec_lo, exec_lo, s0
.LBB61_324:
	s_delay_alu instid0(SALU_CYCLE_1) | instskip(SKIP_4) | instid1(VALU_DEP_1)
	s_or_b32 exec_lo, exec_lo, s21
	v_mov_b32_e32 v130, 0
	ds_load_b64 v[130:131], v130 offset:232
	s_wait_dscnt 0x0
	v_pk_mul_f32 v[132:133], v[128:129], v[130:131] op_sel:[1,1] op_sel_hi:[0,1]
	v_pk_fma_f32 v[134:135], v[128:129], v[130:131], v[132:133] op_sel_hi:[1,0,1]
	v_pk_fma_f32 v[128:129], v[128:129], v[130:131], v[132:133] neg_lo:[0,0,1] neg_hi:[0,0,1]
	s_delay_alu instid0(VALU_DEP_2)
	v_mov_b32_e32 v129, v135
	scratch_store_b64 off, v[128:129], off offset:232
.LBB61_325:
	s_wait_xcnt 0x0
	s_or_b32 exec_lo, exec_lo, s20
	scratch_load_b64 v[128:129], off, off offset:224
	v_cmp_lt_u32_e64 s0, 28, v0
	s_wait_loadcnt 0x0
	ds_store_b64 v1, v[128:129]
	s_wait_storecnt_dscnt 0x0
	s_barrier_signal -1
	s_barrier_wait -1
	s_wait_xcnt 0x0
	s_and_saveexec_b32 s19, s0
	s_cbranch_execz .LBB61_335
; %bb.326:
	s_and_not1_b32 vcc_lo, exec_lo, s3
	s_cbranch_vccnz .LBB61_328
; %bb.327:
	scratch_load_b64 v[128:129], v51, off
	ds_load_b64 v[130:131], v1
	s_wait_loadcnt_dscnt 0x0
	v_pk_mul_f32 v[132:133], v[130:131], v[128:129] op_sel:[1,1] op_sel_hi:[0,1]
	s_delay_alu instid0(VALU_DEP_1) | instskip(SKIP_1) | instid1(VALU_DEP_2)
	v_pk_fma_f32 v[134:135], v[130:131], v[128:129], v[132:133] op_sel_hi:[1,0,1]
	v_pk_fma_f32 v[128:129], v[130:131], v[128:129], v[132:133] neg_lo:[0,0,1] neg_hi:[0,0,1]
	v_mov_b32_e32 v129, v135
	s_cbranch_execz .LBB61_329
	s_branch .LBB61_330
.LBB61_328:
                                        ; implicit-def: $vgpr128_vgpr129
.LBB61_329:
	ds_load_b64 v[128:129], v1
.LBB61_330:
	s_and_saveexec_b32 s20, s1
	s_cbranch_execz .LBB61_334
; %bb.331:
	v_subrev_nc_u32_e32 v130, 29, v0
	s_movk_i32 s1, 0xe8
	s_movk_i32 s22, 0x2d8
	s_mov_b32 s21, 0
.LBB61_332:                             ; =>This Inner Loop Header: Depth=1
	scratch_load_b64 v[132:133], off, s1
	v_dual_mov_b32 v131, s22 :: v_dual_add_nc_u32 v130, -1, v130
	s_add_co_i32 s22, s22, 8
	s_wait_xcnt 0x0
	s_add_co_i32 s1, s1, 8
	ds_load_b64 v[134:135], v131
	v_cmp_eq_u32_e32 vcc_lo, 0, v130
	s_or_b32 s21, vcc_lo, s21
	s_wait_loadcnt_dscnt 0x0
	v_pk_mul_f32 v[136:137], v[134:135], v[132:133] op_sel:[1,1] op_sel_hi:[0,1]
	s_delay_alu instid0(VALU_DEP_1) | instskip(SKIP_1) | instid1(VALU_DEP_2)
	v_pk_fma_f32 v[138:139], v[134:135], v[132:133], v[136:137] op_sel_hi:[1,0,1]
	v_pk_fma_f32 v[132:133], v[134:135], v[132:133], v[136:137] neg_lo:[0,0,1] neg_hi:[0,0,1]
	v_mov_b32_e32 v133, v139
	s_delay_alu instid0(VALU_DEP_1)
	v_pk_add_f32 v[128:129], v[128:129], v[132:133]
	s_and_not1_b32 exec_lo, exec_lo, s21
	s_cbranch_execnz .LBB61_332
; %bb.333:
	s_or_b32 exec_lo, exec_lo, s21
.LBB61_334:
	s_delay_alu instid0(SALU_CYCLE_1) | instskip(SKIP_4) | instid1(VALU_DEP_1)
	s_or_b32 exec_lo, exec_lo, s20
	v_mov_b32_e32 v130, 0
	ds_load_b64 v[130:131], v130 offset:224
	s_wait_dscnt 0x0
	v_pk_mul_f32 v[132:133], v[128:129], v[130:131] op_sel:[1,1] op_sel_hi:[0,1]
	v_pk_fma_f32 v[134:135], v[128:129], v[130:131], v[132:133] op_sel_hi:[1,0,1]
	v_pk_fma_f32 v[128:129], v[128:129], v[130:131], v[132:133] neg_lo:[0,0,1] neg_hi:[0,0,1]
	s_delay_alu instid0(VALU_DEP_2)
	v_mov_b32_e32 v129, v135
	scratch_store_b64 off, v[128:129], off offset:224
.LBB61_335:
	s_wait_xcnt 0x0
	s_or_b32 exec_lo, exec_lo, s19
	scratch_load_b64 v[128:129], off, off offset:216
	v_cmp_lt_u32_e64 s1, 27, v0
	s_wait_loadcnt 0x0
	ds_store_b64 v1, v[128:129]
	s_wait_storecnt_dscnt 0x0
	s_barrier_signal -1
	s_barrier_wait -1
	s_wait_xcnt 0x0
	s_and_saveexec_b32 s19, s1
	s_cbranch_execz .LBB61_345
; %bb.336:
	s_and_not1_b32 vcc_lo, exec_lo, s3
	s_cbranch_vccnz .LBB61_338
; %bb.337:
	scratch_load_b64 v[128:129], v51, off
	ds_load_b64 v[130:131], v1
	s_wait_loadcnt_dscnt 0x0
	v_pk_mul_f32 v[132:133], v[130:131], v[128:129] op_sel:[1,1] op_sel_hi:[0,1]
	s_delay_alu instid0(VALU_DEP_1) | instskip(SKIP_1) | instid1(VALU_DEP_2)
	v_pk_fma_f32 v[134:135], v[130:131], v[128:129], v[132:133] op_sel_hi:[1,0,1]
	v_pk_fma_f32 v[128:129], v[130:131], v[128:129], v[132:133] neg_lo:[0,0,1] neg_hi:[0,0,1]
	v_mov_b32_e32 v129, v135
	s_cbranch_execz .LBB61_339
	s_branch .LBB61_340
.LBB61_338:
                                        ; implicit-def: $vgpr128_vgpr129
.LBB61_339:
	ds_load_b64 v[128:129], v1
.LBB61_340:
	s_and_saveexec_b32 s20, s0
	s_cbranch_execz .LBB61_344
; %bb.341:
	v_subrev_nc_u32_e32 v130, 28, v0
	s_movk_i32 s21, 0x2d0
	s_mov_b32 s0, 0
.LBB61_342:                             ; =>This Inner Loop Header: Depth=1
	scratch_load_b64 v[132:133], off, s18
	v_dual_mov_b32 v131, s21 :: v_dual_add_nc_u32 v130, -1, v130
	s_add_co_i32 s21, s21, 8
	s_wait_xcnt 0x0
	s_add_co_i32 s18, s18, 8
	ds_load_b64 v[134:135], v131
	v_cmp_eq_u32_e32 vcc_lo, 0, v130
	s_or_b32 s0, vcc_lo, s0
	s_wait_loadcnt_dscnt 0x0
	v_pk_mul_f32 v[136:137], v[134:135], v[132:133] op_sel:[1,1] op_sel_hi:[0,1]
	s_delay_alu instid0(VALU_DEP_1) | instskip(SKIP_1) | instid1(VALU_DEP_2)
	v_pk_fma_f32 v[138:139], v[134:135], v[132:133], v[136:137] op_sel_hi:[1,0,1]
	v_pk_fma_f32 v[132:133], v[134:135], v[132:133], v[136:137] neg_lo:[0,0,1] neg_hi:[0,0,1]
	v_mov_b32_e32 v133, v139
	s_delay_alu instid0(VALU_DEP_1)
	v_pk_add_f32 v[128:129], v[128:129], v[132:133]
	s_and_not1_b32 exec_lo, exec_lo, s0
	s_cbranch_execnz .LBB61_342
; %bb.343:
	s_or_b32 exec_lo, exec_lo, s0
.LBB61_344:
	s_delay_alu instid0(SALU_CYCLE_1) | instskip(SKIP_4) | instid1(VALU_DEP_1)
	s_or_b32 exec_lo, exec_lo, s20
	v_mov_b32_e32 v130, 0
	ds_load_b64 v[130:131], v130 offset:216
	s_wait_dscnt 0x0
	v_pk_mul_f32 v[132:133], v[128:129], v[130:131] op_sel:[1,1] op_sel_hi:[0,1]
	v_pk_fma_f32 v[134:135], v[128:129], v[130:131], v[132:133] op_sel_hi:[1,0,1]
	v_pk_fma_f32 v[128:129], v[128:129], v[130:131], v[132:133] neg_lo:[0,0,1] neg_hi:[0,0,1]
	s_delay_alu instid0(VALU_DEP_2)
	v_mov_b32_e32 v129, v135
	scratch_store_b64 off, v[128:129], off offset:216
.LBB61_345:
	s_wait_xcnt 0x0
	s_or_b32 exec_lo, exec_lo, s19
	scratch_load_b64 v[128:129], off, off offset:208
	v_cmp_lt_u32_e64 s0, 26, v0
	s_wait_loadcnt 0x0
	ds_store_b64 v1, v[128:129]
	s_wait_storecnt_dscnt 0x0
	s_barrier_signal -1
	s_barrier_wait -1
	s_wait_xcnt 0x0
	s_and_saveexec_b32 s18, s0
	s_cbranch_execz .LBB61_355
; %bb.346:
	s_and_not1_b32 vcc_lo, exec_lo, s3
	s_cbranch_vccnz .LBB61_348
; %bb.347:
	scratch_load_b64 v[128:129], v51, off
	ds_load_b64 v[130:131], v1
	s_wait_loadcnt_dscnt 0x0
	v_pk_mul_f32 v[132:133], v[130:131], v[128:129] op_sel:[1,1] op_sel_hi:[0,1]
	s_delay_alu instid0(VALU_DEP_1) | instskip(SKIP_1) | instid1(VALU_DEP_2)
	v_pk_fma_f32 v[134:135], v[130:131], v[128:129], v[132:133] op_sel_hi:[1,0,1]
	v_pk_fma_f32 v[128:129], v[130:131], v[128:129], v[132:133] neg_lo:[0,0,1] neg_hi:[0,0,1]
	v_mov_b32_e32 v129, v135
	s_cbranch_execz .LBB61_349
	s_branch .LBB61_350
.LBB61_348:
                                        ; implicit-def: $vgpr128_vgpr129
.LBB61_349:
	ds_load_b64 v[128:129], v1
.LBB61_350:
	s_and_saveexec_b32 s19, s1
	s_cbranch_execz .LBB61_354
; %bb.351:
	v_subrev_nc_u32_e32 v130, 27, v0
	s_movk_i32 s1, 0xd8
	s_movk_i32 s21, 0x2c8
	s_mov_b32 s20, 0
.LBB61_352:                             ; =>This Inner Loop Header: Depth=1
	scratch_load_b64 v[132:133], off, s1
	v_dual_mov_b32 v131, s21 :: v_dual_add_nc_u32 v130, -1, v130
	s_add_co_i32 s21, s21, 8
	s_wait_xcnt 0x0
	s_add_co_i32 s1, s1, 8
	ds_load_b64 v[134:135], v131
	v_cmp_eq_u32_e32 vcc_lo, 0, v130
	s_or_b32 s20, vcc_lo, s20
	s_wait_loadcnt_dscnt 0x0
	v_pk_mul_f32 v[136:137], v[134:135], v[132:133] op_sel:[1,1] op_sel_hi:[0,1]
	s_delay_alu instid0(VALU_DEP_1) | instskip(SKIP_1) | instid1(VALU_DEP_2)
	v_pk_fma_f32 v[138:139], v[134:135], v[132:133], v[136:137] op_sel_hi:[1,0,1]
	v_pk_fma_f32 v[132:133], v[134:135], v[132:133], v[136:137] neg_lo:[0,0,1] neg_hi:[0,0,1]
	v_mov_b32_e32 v133, v139
	s_delay_alu instid0(VALU_DEP_1)
	v_pk_add_f32 v[128:129], v[128:129], v[132:133]
	s_and_not1_b32 exec_lo, exec_lo, s20
	s_cbranch_execnz .LBB61_352
; %bb.353:
	s_or_b32 exec_lo, exec_lo, s20
.LBB61_354:
	s_delay_alu instid0(SALU_CYCLE_1) | instskip(SKIP_4) | instid1(VALU_DEP_1)
	s_or_b32 exec_lo, exec_lo, s19
	v_mov_b32_e32 v130, 0
	ds_load_b64 v[130:131], v130 offset:208
	s_wait_dscnt 0x0
	v_pk_mul_f32 v[132:133], v[128:129], v[130:131] op_sel:[1,1] op_sel_hi:[0,1]
	v_pk_fma_f32 v[134:135], v[128:129], v[130:131], v[132:133] op_sel_hi:[1,0,1]
	v_pk_fma_f32 v[128:129], v[128:129], v[130:131], v[132:133] neg_lo:[0,0,1] neg_hi:[0,0,1]
	s_delay_alu instid0(VALU_DEP_2)
	v_mov_b32_e32 v129, v135
	scratch_store_b64 off, v[128:129], off offset:208
.LBB61_355:
	s_wait_xcnt 0x0
	s_or_b32 exec_lo, exec_lo, s18
	scratch_load_b64 v[128:129], off, off offset:200
	v_cmp_lt_u32_e64 s1, 25, v0
	s_wait_loadcnt 0x0
	ds_store_b64 v1, v[128:129]
	s_wait_storecnt_dscnt 0x0
	s_barrier_signal -1
	s_barrier_wait -1
	s_wait_xcnt 0x0
	s_and_saveexec_b32 s18, s1
	s_cbranch_execz .LBB61_365
; %bb.356:
	s_and_not1_b32 vcc_lo, exec_lo, s3
	s_cbranch_vccnz .LBB61_358
; %bb.357:
	scratch_load_b64 v[128:129], v51, off
	ds_load_b64 v[130:131], v1
	s_wait_loadcnt_dscnt 0x0
	v_pk_mul_f32 v[132:133], v[130:131], v[128:129] op_sel:[1,1] op_sel_hi:[0,1]
	s_delay_alu instid0(VALU_DEP_1) | instskip(SKIP_1) | instid1(VALU_DEP_2)
	v_pk_fma_f32 v[134:135], v[130:131], v[128:129], v[132:133] op_sel_hi:[1,0,1]
	v_pk_fma_f32 v[128:129], v[130:131], v[128:129], v[132:133] neg_lo:[0,0,1] neg_hi:[0,0,1]
	v_mov_b32_e32 v129, v135
	s_cbranch_execz .LBB61_359
	s_branch .LBB61_360
.LBB61_358:
                                        ; implicit-def: $vgpr128_vgpr129
.LBB61_359:
	ds_load_b64 v[128:129], v1
.LBB61_360:
	s_and_saveexec_b32 s19, s0
	s_cbranch_execz .LBB61_364
; %bb.361:
	v_subrev_nc_u32_e32 v130, 26, v0
	s_movk_i32 s20, 0x2c0
	s_mov_b32 s0, 0
.LBB61_362:                             ; =>This Inner Loop Header: Depth=1
	scratch_load_b64 v[132:133], off, s17
	v_dual_mov_b32 v131, s20 :: v_dual_add_nc_u32 v130, -1, v130
	s_add_co_i32 s20, s20, 8
	s_wait_xcnt 0x0
	s_add_co_i32 s17, s17, 8
	ds_load_b64 v[134:135], v131
	v_cmp_eq_u32_e32 vcc_lo, 0, v130
	s_or_b32 s0, vcc_lo, s0
	s_wait_loadcnt_dscnt 0x0
	v_pk_mul_f32 v[136:137], v[134:135], v[132:133] op_sel:[1,1] op_sel_hi:[0,1]
	s_delay_alu instid0(VALU_DEP_1) | instskip(SKIP_1) | instid1(VALU_DEP_2)
	v_pk_fma_f32 v[138:139], v[134:135], v[132:133], v[136:137] op_sel_hi:[1,0,1]
	v_pk_fma_f32 v[132:133], v[134:135], v[132:133], v[136:137] neg_lo:[0,0,1] neg_hi:[0,0,1]
	v_mov_b32_e32 v133, v139
	s_delay_alu instid0(VALU_DEP_1)
	v_pk_add_f32 v[128:129], v[128:129], v[132:133]
	s_and_not1_b32 exec_lo, exec_lo, s0
	s_cbranch_execnz .LBB61_362
; %bb.363:
	s_or_b32 exec_lo, exec_lo, s0
.LBB61_364:
	s_delay_alu instid0(SALU_CYCLE_1) | instskip(SKIP_4) | instid1(VALU_DEP_1)
	s_or_b32 exec_lo, exec_lo, s19
	v_mov_b32_e32 v130, 0
	ds_load_b64 v[130:131], v130 offset:200
	s_wait_dscnt 0x0
	v_pk_mul_f32 v[132:133], v[128:129], v[130:131] op_sel:[1,1] op_sel_hi:[0,1]
	v_pk_fma_f32 v[134:135], v[128:129], v[130:131], v[132:133] op_sel_hi:[1,0,1]
	v_pk_fma_f32 v[128:129], v[128:129], v[130:131], v[132:133] neg_lo:[0,0,1] neg_hi:[0,0,1]
	s_delay_alu instid0(VALU_DEP_2)
	v_mov_b32_e32 v129, v135
	scratch_store_b64 off, v[128:129], off offset:200
.LBB61_365:
	s_wait_xcnt 0x0
	s_or_b32 exec_lo, exec_lo, s18
	scratch_load_b64 v[128:129], off, off offset:192
	v_cmp_lt_u32_e64 s0, 24, v0
	s_wait_loadcnt 0x0
	ds_store_b64 v1, v[128:129]
	s_wait_storecnt_dscnt 0x0
	s_barrier_signal -1
	s_barrier_wait -1
	s_wait_xcnt 0x0
	s_and_saveexec_b32 s17, s0
	s_cbranch_execz .LBB61_375
; %bb.366:
	s_and_not1_b32 vcc_lo, exec_lo, s3
	s_cbranch_vccnz .LBB61_368
; %bb.367:
	scratch_load_b64 v[128:129], v51, off
	ds_load_b64 v[130:131], v1
	s_wait_loadcnt_dscnt 0x0
	v_pk_mul_f32 v[132:133], v[130:131], v[128:129] op_sel:[1,1] op_sel_hi:[0,1]
	s_delay_alu instid0(VALU_DEP_1) | instskip(SKIP_1) | instid1(VALU_DEP_2)
	v_pk_fma_f32 v[134:135], v[130:131], v[128:129], v[132:133] op_sel_hi:[1,0,1]
	v_pk_fma_f32 v[128:129], v[130:131], v[128:129], v[132:133] neg_lo:[0,0,1] neg_hi:[0,0,1]
	v_mov_b32_e32 v129, v135
	s_cbranch_execz .LBB61_369
	s_branch .LBB61_370
.LBB61_368:
                                        ; implicit-def: $vgpr128_vgpr129
.LBB61_369:
	ds_load_b64 v[128:129], v1
.LBB61_370:
	s_and_saveexec_b32 s18, s1
	s_cbranch_execz .LBB61_374
; %bb.371:
	v_subrev_nc_u32_e32 v130, 25, v0
	s_movk_i32 s1, 0xc8
	s_movk_i32 s20, 0x2b8
	s_mov_b32 s19, 0
.LBB61_372:                             ; =>This Inner Loop Header: Depth=1
	scratch_load_b64 v[132:133], off, s1
	v_dual_mov_b32 v131, s20 :: v_dual_add_nc_u32 v130, -1, v130
	s_add_co_i32 s20, s20, 8
	s_wait_xcnt 0x0
	s_add_co_i32 s1, s1, 8
	ds_load_b64 v[134:135], v131
	v_cmp_eq_u32_e32 vcc_lo, 0, v130
	s_or_b32 s19, vcc_lo, s19
	s_wait_loadcnt_dscnt 0x0
	v_pk_mul_f32 v[136:137], v[134:135], v[132:133] op_sel:[1,1] op_sel_hi:[0,1]
	s_delay_alu instid0(VALU_DEP_1) | instskip(SKIP_1) | instid1(VALU_DEP_2)
	v_pk_fma_f32 v[138:139], v[134:135], v[132:133], v[136:137] op_sel_hi:[1,0,1]
	v_pk_fma_f32 v[132:133], v[134:135], v[132:133], v[136:137] neg_lo:[0,0,1] neg_hi:[0,0,1]
	v_mov_b32_e32 v133, v139
	s_delay_alu instid0(VALU_DEP_1)
	v_pk_add_f32 v[128:129], v[128:129], v[132:133]
	s_and_not1_b32 exec_lo, exec_lo, s19
	s_cbranch_execnz .LBB61_372
; %bb.373:
	s_or_b32 exec_lo, exec_lo, s19
.LBB61_374:
	s_delay_alu instid0(SALU_CYCLE_1) | instskip(SKIP_4) | instid1(VALU_DEP_1)
	s_or_b32 exec_lo, exec_lo, s18
	v_mov_b32_e32 v130, 0
	ds_load_b64 v[130:131], v130 offset:192
	s_wait_dscnt 0x0
	v_pk_mul_f32 v[132:133], v[128:129], v[130:131] op_sel:[1,1] op_sel_hi:[0,1]
	v_pk_fma_f32 v[134:135], v[128:129], v[130:131], v[132:133] op_sel_hi:[1,0,1]
	v_pk_fma_f32 v[128:129], v[128:129], v[130:131], v[132:133] neg_lo:[0,0,1] neg_hi:[0,0,1]
	s_delay_alu instid0(VALU_DEP_2)
	v_mov_b32_e32 v129, v135
	scratch_store_b64 off, v[128:129], off offset:192
.LBB61_375:
	s_wait_xcnt 0x0
	s_or_b32 exec_lo, exec_lo, s17
	scratch_load_b64 v[128:129], off, off offset:184
	v_cmp_lt_u32_e64 s1, 23, v0
	s_wait_loadcnt 0x0
	ds_store_b64 v1, v[128:129]
	s_wait_storecnt_dscnt 0x0
	s_barrier_signal -1
	s_barrier_wait -1
	s_wait_xcnt 0x0
	s_and_saveexec_b32 s17, s1
	s_cbranch_execz .LBB61_385
; %bb.376:
	s_and_not1_b32 vcc_lo, exec_lo, s3
	s_cbranch_vccnz .LBB61_378
; %bb.377:
	scratch_load_b64 v[128:129], v51, off
	ds_load_b64 v[130:131], v1
	s_wait_loadcnt_dscnt 0x0
	v_pk_mul_f32 v[132:133], v[130:131], v[128:129] op_sel:[1,1] op_sel_hi:[0,1]
	s_delay_alu instid0(VALU_DEP_1) | instskip(SKIP_1) | instid1(VALU_DEP_2)
	v_pk_fma_f32 v[134:135], v[130:131], v[128:129], v[132:133] op_sel_hi:[1,0,1]
	v_pk_fma_f32 v[128:129], v[130:131], v[128:129], v[132:133] neg_lo:[0,0,1] neg_hi:[0,0,1]
	v_mov_b32_e32 v129, v135
	s_cbranch_execz .LBB61_379
	s_branch .LBB61_380
.LBB61_378:
                                        ; implicit-def: $vgpr128_vgpr129
.LBB61_379:
	ds_load_b64 v[128:129], v1
.LBB61_380:
	s_and_saveexec_b32 s18, s0
	s_cbranch_execz .LBB61_384
; %bb.381:
	v_subrev_nc_u32_e32 v130, 24, v0
	s_movk_i32 s19, 0x2b0
	s_mov_b32 s0, 0
.LBB61_382:                             ; =>This Inner Loop Header: Depth=1
	scratch_load_b64 v[132:133], off, s16
	v_dual_mov_b32 v131, s19 :: v_dual_add_nc_u32 v130, -1, v130
	s_add_co_i32 s19, s19, 8
	s_wait_xcnt 0x0
	s_add_co_i32 s16, s16, 8
	ds_load_b64 v[134:135], v131
	v_cmp_eq_u32_e32 vcc_lo, 0, v130
	s_or_b32 s0, vcc_lo, s0
	s_wait_loadcnt_dscnt 0x0
	v_pk_mul_f32 v[136:137], v[134:135], v[132:133] op_sel:[1,1] op_sel_hi:[0,1]
	s_delay_alu instid0(VALU_DEP_1) | instskip(SKIP_1) | instid1(VALU_DEP_2)
	v_pk_fma_f32 v[138:139], v[134:135], v[132:133], v[136:137] op_sel_hi:[1,0,1]
	v_pk_fma_f32 v[132:133], v[134:135], v[132:133], v[136:137] neg_lo:[0,0,1] neg_hi:[0,0,1]
	v_mov_b32_e32 v133, v139
	s_delay_alu instid0(VALU_DEP_1)
	v_pk_add_f32 v[128:129], v[128:129], v[132:133]
	s_and_not1_b32 exec_lo, exec_lo, s0
	s_cbranch_execnz .LBB61_382
; %bb.383:
	s_or_b32 exec_lo, exec_lo, s0
.LBB61_384:
	s_delay_alu instid0(SALU_CYCLE_1) | instskip(SKIP_4) | instid1(VALU_DEP_1)
	s_or_b32 exec_lo, exec_lo, s18
	v_mov_b32_e32 v130, 0
	ds_load_b64 v[130:131], v130 offset:184
	s_wait_dscnt 0x0
	v_pk_mul_f32 v[132:133], v[128:129], v[130:131] op_sel:[1,1] op_sel_hi:[0,1]
	v_pk_fma_f32 v[134:135], v[128:129], v[130:131], v[132:133] op_sel_hi:[1,0,1]
	v_pk_fma_f32 v[128:129], v[128:129], v[130:131], v[132:133] neg_lo:[0,0,1] neg_hi:[0,0,1]
	s_delay_alu instid0(VALU_DEP_2)
	v_mov_b32_e32 v129, v135
	scratch_store_b64 off, v[128:129], off offset:184
.LBB61_385:
	s_wait_xcnt 0x0
	s_or_b32 exec_lo, exec_lo, s17
	scratch_load_b64 v[128:129], off, off offset:176
	v_cmp_lt_u32_e64 s0, 22, v0
	s_wait_loadcnt 0x0
	ds_store_b64 v1, v[128:129]
	s_wait_storecnt_dscnt 0x0
	s_barrier_signal -1
	s_barrier_wait -1
	s_wait_xcnt 0x0
	s_and_saveexec_b32 s16, s0
	s_cbranch_execz .LBB61_395
; %bb.386:
	s_and_not1_b32 vcc_lo, exec_lo, s3
	s_cbranch_vccnz .LBB61_388
; %bb.387:
	scratch_load_b64 v[128:129], v51, off
	ds_load_b64 v[130:131], v1
	s_wait_loadcnt_dscnt 0x0
	v_pk_mul_f32 v[132:133], v[130:131], v[128:129] op_sel:[1,1] op_sel_hi:[0,1]
	s_delay_alu instid0(VALU_DEP_1) | instskip(SKIP_1) | instid1(VALU_DEP_2)
	v_pk_fma_f32 v[134:135], v[130:131], v[128:129], v[132:133] op_sel_hi:[1,0,1]
	v_pk_fma_f32 v[128:129], v[130:131], v[128:129], v[132:133] neg_lo:[0,0,1] neg_hi:[0,0,1]
	v_mov_b32_e32 v129, v135
	s_cbranch_execz .LBB61_389
	s_branch .LBB61_390
.LBB61_388:
                                        ; implicit-def: $vgpr128_vgpr129
.LBB61_389:
	ds_load_b64 v[128:129], v1
.LBB61_390:
	s_and_saveexec_b32 s17, s1
	s_cbranch_execz .LBB61_394
; %bb.391:
	v_subrev_nc_u32_e32 v130, 23, v0
	s_movk_i32 s1, 0xb8
	s_movk_i32 s19, 0x2a8
	s_mov_b32 s18, 0
.LBB61_392:                             ; =>This Inner Loop Header: Depth=1
	scratch_load_b64 v[132:133], off, s1
	v_dual_mov_b32 v131, s19 :: v_dual_add_nc_u32 v130, -1, v130
	s_add_co_i32 s19, s19, 8
	s_wait_xcnt 0x0
	s_add_co_i32 s1, s1, 8
	ds_load_b64 v[134:135], v131
	v_cmp_eq_u32_e32 vcc_lo, 0, v130
	s_or_b32 s18, vcc_lo, s18
	s_wait_loadcnt_dscnt 0x0
	v_pk_mul_f32 v[136:137], v[134:135], v[132:133] op_sel:[1,1] op_sel_hi:[0,1]
	s_delay_alu instid0(VALU_DEP_1) | instskip(SKIP_1) | instid1(VALU_DEP_2)
	v_pk_fma_f32 v[138:139], v[134:135], v[132:133], v[136:137] op_sel_hi:[1,0,1]
	v_pk_fma_f32 v[132:133], v[134:135], v[132:133], v[136:137] neg_lo:[0,0,1] neg_hi:[0,0,1]
	v_mov_b32_e32 v133, v139
	s_delay_alu instid0(VALU_DEP_1)
	v_pk_add_f32 v[128:129], v[128:129], v[132:133]
	s_and_not1_b32 exec_lo, exec_lo, s18
	s_cbranch_execnz .LBB61_392
; %bb.393:
	s_or_b32 exec_lo, exec_lo, s18
.LBB61_394:
	s_delay_alu instid0(SALU_CYCLE_1) | instskip(SKIP_4) | instid1(VALU_DEP_1)
	s_or_b32 exec_lo, exec_lo, s17
	v_mov_b32_e32 v130, 0
	ds_load_b64 v[130:131], v130 offset:176
	s_wait_dscnt 0x0
	v_pk_mul_f32 v[132:133], v[128:129], v[130:131] op_sel:[1,1] op_sel_hi:[0,1]
	v_pk_fma_f32 v[134:135], v[128:129], v[130:131], v[132:133] op_sel_hi:[1,0,1]
	v_pk_fma_f32 v[128:129], v[128:129], v[130:131], v[132:133] neg_lo:[0,0,1] neg_hi:[0,0,1]
	s_delay_alu instid0(VALU_DEP_2)
	v_mov_b32_e32 v129, v135
	scratch_store_b64 off, v[128:129], off offset:176
.LBB61_395:
	s_wait_xcnt 0x0
	s_or_b32 exec_lo, exec_lo, s16
	scratch_load_b64 v[128:129], off, off offset:168
	v_cmp_lt_u32_e64 s1, 21, v0
	s_wait_loadcnt 0x0
	ds_store_b64 v1, v[128:129]
	s_wait_storecnt_dscnt 0x0
	s_barrier_signal -1
	s_barrier_wait -1
	s_wait_xcnt 0x0
	s_and_saveexec_b32 s16, s1
	s_cbranch_execz .LBB61_405
; %bb.396:
	s_and_not1_b32 vcc_lo, exec_lo, s3
	s_cbranch_vccnz .LBB61_398
; %bb.397:
	scratch_load_b64 v[128:129], v51, off
	ds_load_b64 v[130:131], v1
	s_wait_loadcnt_dscnt 0x0
	v_pk_mul_f32 v[132:133], v[130:131], v[128:129] op_sel:[1,1] op_sel_hi:[0,1]
	s_delay_alu instid0(VALU_DEP_1) | instskip(SKIP_1) | instid1(VALU_DEP_2)
	v_pk_fma_f32 v[134:135], v[130:131], v[128:129], v[132:133] op_sel_hi:[1,0,1]
	v_pk_fma_f32 v[128:129], v[130:131], v[128:129], v[132:133] neg_lo:[0,0,1] neg_hi:[0,0,1]
	v_mov_b32_e32 v129, v135
	s_cbranch_execz .LBB61_399
	s_branch .LBB61_400
.LBB61_398:
                                        ; implicit-def: $vgpr128_vgpr129
.LBB61_399:
	ds_load_b64 v[128:129], v1
.LBB61_400:
	s_and_saveexec_b32 s17, s0
	s_cbranch_execz .LBB61_404
; %bb.401:
	v_subrev_nc_u32_e32 v130, 22, v0
	s_movk_i32 s18, 0x2a0
	s_mov_b32 s0, 0
.LBB61_402:                             ; =>This Inner Loop Header: Depth=1
	scratch_load_b64 v[132:133], off, s15
	v_dual_mov_b32 v131, s18 :: v_dual_add_nc_u32 v130, -1, v130
	s_add_co_i32 s18, s18, 8
	s_wait_xcnt 0x0
	s_add_co_i32 s15, s15, 8
	ds_load_b64 v[134:135], v131
	v_cmp_eq_u32_e32 vcc_lo, 0, v130
	s_or_b32 s0, vcc_lo, s0
	s_wait_loadcnt_dscnt 0x0
	v_pk_mul_f32 v[136:137], v[134:135], v[132:133] op_sel:[1,1] op_sel_hi:[0,1]
	s_delay_alu instid0(VALU_DEP_1) | instskip(SKIP_1) | instid1(VALU_DEP_2)
	v_pk_fma_f32 v[138:139], v[134:135], v[132:133], v[136:137] op_sel_hi:[1,0,1]
	v_pk_fma_f32 v[132:133], v[134:135], v[132:133], v[136:137] neg_lo:[0,0,1] neg_hi:[0,0,1]
	v_mov_b32_e32 v133, v139
	s_delay_alu instid0(VALU_DEP_1)
	v_pk_add_f32 v[128:129], v[128:129], v[132:133]
	s_and_not1_b32 exec_lo, exec_lo, s0
	s_cbranch_execnz .LBB61_402
; %bb.403:
	s_or_b32 exec_lo, exec_lo, s0
.LBB61_404:
	s_delay_alu instid0(SALU_CYCLE_1) | instskip(SKIP_4) | instid1(VALU_DEP_1)
	s_or_b32 exec_lo, exec_lo, s17
	v_mov_b32_e32 v130, 0
	ds_load_b64 v[130:131], v130 offset:168
	s_wait_dscnt 0x0
	v_pk_mul_f32 v[132:133], v[128:129], v[130:131] op_sel:[1,1] op_sel_hi:[0,1]
	v_pk_fma_f32 v[134:135], v[128:129], v[130:131], v[132:133] op_sel_hi:[1,0,1]
	v_pk_fma_f32 v[128:129], v[128:129], v[130:131], v[132:133] neg_lo:[0,0,1] neg_hi:[0,0,1]
	s_delay_alu instid0(VALU_DEP_2)
	v_mov_b32_e32 v129, v135
	scratch_store_b64 off, v[128:129], off offset:168
.LBB61_405:
	s_wait_xcnt 0x0
	s_or_b32 exec_lo, exec_lo, s16
	scratch_load_b64 v[128:129], off, off offset:160
	v_cmp_lt_u32_e64 s0, 20, v0
	s_wait_loadcnt 0x0
	ds_store_b64 v1, v[128:129]
	s_wait_storecnt_dscnt 0x0
	s_barrier_signal -1
	s_barrier_wait -1
	s_wait_xcnt 0x0
	s_and_saveexec_b32 s15, s0
	s_cbranch_execz .LBB61_415
; %bb.406:
	s_and_not1_b32 vcc_lo, exec_lo, s3
	s_cbranch_vccnz .LBB61_408
; %bb.407:
	scratch_load_b64 v[128:129], v51, off
	ds_load_b64 v[130:131], v1
	s_wait_loadcnt_dscnt 0x0
	v_pk_mul_f32 v[132:133], v[130:131], v[128:129] op_sel:[1,1] op_sel_hi:[0,1]
	s_delay_alu instid0(VALU_DEP_1) | instskip(SKIP_1) | instid1(VALU_DEP_2)
	v_pk_fma_f32 v[134:135], v[130:131], v[128:129], v[132:133] op_sel_hi:[1,0,1]
	v_pk_fma_f32 v[128:129], v[130:131], v[128:129], v[132:133] neg_lo:[0,0,1] neg_hi:[0,0,1]
	v_mov_b32_e32 v129, v135
	s_cbranch_execz .LBB61_409
	s_branch .LBB61_410
.LBB61_408:
                                        ; implicit-def: $vgpr128_vgpr129
.LBB61_409:
	ds_load_b64 v[128:129], v1
.LBB61_410:
	s_and_saveexec_b32 s16, s1
	s_cbranch_execz .LBB61_414
; %bb.411:
	v_subrev_nc_u32_e32 v130, 21, v0
	s_movk_i32 s1, 0xa8
	s_movk_i32 s18, 0x298
	s_mov_b32 s17, 0
.LBB61_412:                             ; =>This Inner Loop Header: Depth=1
	scratch_load_b64 v[132:133], off, s1
	v_dual_mov_b32 v131, s18 :: v_dual_add_nc_u32 v130, -1, v130
	s_add_co_i32 s18, s18, 8
	s_wait_xcnt 0x0
	s_add_co_i32 s1, s1, 8
	ds_load_b64 v[134:135], v131
	v_cmp_eq_u32_e32 vcc_lo, 0, v130
	s_or_b32 s17, vcc_lo, s17
	s_wait_loadcnt_dscnt 0x0
	v_pk_mul_f32 v[136:137], v[134:135], v[132:133] op_sel:[1,1] op_sel_hi:[0,1]
	s_delay_alu instid0(VALU_DEP_1) | instskip(SKIP_1) | instid1(VALU_DEP_2)
	v_pk_fma_f32 v[138:139], v[134:135], v[132:133], v[136:137] op_sel_hi:[1,0,1]
	v_pk_fma_f32 v[132:133], v[134:135], v[132:133], v[136:137] neg_lo:[0,0,1] neg_hi:[0,0,1]
	v_mov_b32_e32 v133, v139
	s_delay_alu instid0(VALU_DEP_1)
	v_pk_add_f32 v[128:129], v[128:129], v[132:133]
	s_and_not1_b32 exec_lo, exec_lo, s17
	s_cbranch_execnz .LBB61_412
; %bb.413:
	s_or_b32 exec_lo, exec_lo, s17
.LBB61_414:
	s_delay_alu instid0(SALU_CYCLE_1) | instskip(SKIP_4) | instid1(VALU_DEP_1)
	s_or_b32 exec_lo, exec_lo, s16
	v_mov_b32_e32 v130, 0
	ds_load_b64 v[130:131], v130 offset:160
	s_wait_dscnt 0x0
	v_pk_mul_f32 v[132:133], v[128:129], v[130:131] op_sel:[1,1] op_sel_hi:[0,1]
	v_pk_fma_f32 v[134:135], v[128:129], v[130:131], v[132:133] op_sel_hi:[1,0,1]
	v_pk_fma_f32 v[128:129], v[128:129], v[130:131], v[132:133] neg_lo:[0,0,1] neg_hi:[0,0,1]
	s_delay_alu instid0(VALU_DEP_2)
	v_mov_b32_e32 v129, v135
	scratch_store_b64 off, v[128:129], off offset:160
.LBB61_415:
	s_wait_xcnt 0x0
	s_or_b32 exec_lo, exec_lo, s15
	scratch_load_b64 v[128:129], off, off offset:152
	v_cmp_lt_u32_e64 s1, 19, v0
	s_wait_loadcnt 0x0
	ds_store_b64 v1, v[128:129]
	s_wait_storecnt_dscnt 0x0
	s_barrier_signal -1
	s_barrier_wait -1
	s_wait_xcnt 0x0
	s_and_saveexec_b32 s15, s1
	s_cbranch_execz .LBB61_425
; %bb.416:
	s_and_not1_b32 vcc_lo, exec_lo, s3
	s_cbranch_vccnz .LBB61_418
; %bb.417:
	scratch_load_b64 v[128:129], v51, off
	ds_load_b64 v[130:131], v1
	s_wait_loadcnt_dscnt 0x0
	v_pk_mul_f32 v[132:133], v[130:131], v[128:129] op_sel:[1,1] op_sel_hi:[0,1]
	s_delay_alu instid0(VALU_DEP_1) | instskip(SKIP_1) | instid1(VALU_DEP_2)
	v_pk_fma_f32 v[134:135], v[130:131], v[128:129], v[132:133] op_sel_hi:[1,0,1]
	v_pk_fma_f32 v[128:129], v[130:131], v[128:129], v[132:133] neg_lo:[0,0,1] neg_hi:[0,0,1]
	v_mov_b32_e32 v129, v135
	s_cbranch_execz .LBB61_419
	s_branch .LBB61_420
.LBB61_418:
                                        ; implicit-def: $vgpr128_vgpr129
.LBB61_419:
	ds_load_b64 v[128:129], v1
.LBB61_420:
	s_and_saveexec_b32 s16, s0
	s_cbranch_execz .LBB61_424
; %bb.421:
	v_subrev_nc_u32_e32 v130, 20, v0
	s_movk_i32 s17, 0x290
	s_mov_b32 s0, 0
.LBB61_422:                             ; =>This Inner Loop Header: Depth=1
	scratch_load_b64 v[132:133], off, s14
	v_dual_mov_b32 v131, s17 :: v_dual_add_nc_u32 v130, -1, v130
	s_add_co_i32 s17, s17, 8
	s_wait_xcnt 0x0
	s_add_co_i32 s14, s14, 8
	ds_load_b64 v[134:135], v131
	v_cmp_eq_u32_e32 vcc_lo, 0, v130
	s_or_b32 s0, vcc_lo, s0
	s_wait_loadcnt_dscnt 0x0
	v_pk_mul_f32 v[136:137], v[134:135], v[132:133] op_sel:[1,1] op_sel_hi:[0,1]
	s_delay_alu instid0(VALU_DEP_1) | instskip(SKIP_1) | instid1(VALU_DEP_2)
	v_pk_fma_f32 v[138:139], v[134:135], v[132:133], v[136:137] op_sel_hi:[1,0,1]
	v_pk_fma_f32 v[132:133], v[134:135], v[132:133], v[136:137] neg_lo:[0,0,1] neg_hi:[0,0,1]
	v_mov_b32_e32 v133, v139
	s_delay_alu instid0(VALU_DEP_1)
	v_pk_add_f32 v[128:129], v[128:129], v[132:133]
	s_and_not1_b32 exec_lo, exec_lo, s0
	s_cbranch_execnz .LBB61_422
; %bb.423:
	s_or_b32 exec_lo, exec_lo, s0
.LBB61_424:
	s_delay_alu instid0(SALU_CYCLE_1) | instskip(SKIP_4) | instid1(VALU_DEP_1)
	s_or_b32 exec_lo, exec_lo, s16
	v_mov_b32_e32 v130, 0
	ds_load_b64 v[130:131], v130 offset:152
	s_wait_dscnt 0x0
	v_pk_mul_f32 v[132:133], v[128:129], v[130:131] op_sel:[1,1] op_sel_hi:[0,1]
	v_pk_fma_f32 v[134:135], v[128:129], v[130:131], v[132:133] op_sel_hi:[1,0,1]
	v_pk_fma_f32 v[128:129], v[128:129], v[130:131], v[132:133] neg_lo:[0,0,1] neg_hi:[0,0,1]
	s_delay_alu instid0(VALU_DEP_2)
	v_mov_b32_e32 v129, v135
	scratch_store_b64 off, v[128:129], off offset:152
.LBB61_425:
	s_wait_xcnt 0x0
	s_or_b32 exec_lo, exec_lo, s15
	scratch_load_b64 v[128:129], off, off offset:144
	v_cmp_lt_u32_e64 s0, 18, v0
	s_wait_loadcnt 0x0
	ds_store_b64 v1, v[128:129]
	s_wait_storecnt_dscnt 0x0
	s_barrier_signal -1
	s_barrier_wait -1
	s_wait_xcnt 0x0
	s_and_saveexec_b32 s14, s0
	s_cbranch_execz .LBB61_435
; %bb.426:
	s_and_not1_b32 vcc_lo, exec_lo, s3
	s_cbranch_vccnz .LBB61_428
; %bb.427:
	scratch_load_b64 v[128:129], v51, off
	ds_load_b64 v[130:131], v1
	s_wait_loadcnt_dscnt 0x0
	v_pk_mul_f32 v[132:133], v[130:131], v[128:129] op_sel:[1,1] op_sel_hi:[0,1]
	s_delay_alu instid0(VALU_DEP_1) | instskip(SKIP_1) | instid1(VALU_DEP_2)
	v_pk_fma_f32 v[134:135], v[130:131], v[128:129], v[132:133] op_sel_hi:[1,0,1]
	v_pk_fma_f32 v[128:129], v[130:131], v[128:129], v[132:133] neg_lo:[0,0,1] neg_hi:[0,0,1]
	v_mov_b32_e32 v129, v135
	s_cbranch_execz .LBB61_429
	s_branch .LBB61_430
.LBB61_428:
                                        ; implicit-def: $vgpr128_vgpr129
.LBB61_429:
	ds_load_b64 v[128:129], v1
.LBB61_430:
	s_and_saveexec_b32 s15, s1
	s_cbranch_execz .LBB61_434
; %bb.431:
	v_subrev_nc_u32_e32 v130, 19, v0
	s_movk_i32 s1, 0x98
	s_movk_i32 s17, 0x288
	s_mov_b32 s16, 0
.LBB61_432:                             ; =>This Inner Loop Header: Depth=1
	scratch_load_b64 v[132:133], off, s1
	v_dual_mov_b32 v131, s17 :: v_dual_add_nc_u32 v130, -1, v130
	s_add_co_i32 s17, s17, 8
	s_wait_xcnt 0x0
	s_add_co_i32 s1, s1, 8
	ds_load_b64 v[134:135], v131
	v_cmp_eq_u32_e32 vcc_lo, 0, v130
	s_or_b32 s16, vcc_lo, s16
	s_wait_loadcnt_dscnt 0x0
	v_pk_mul_f32 v[136:137], v[134:135], v[132:133] op_sel:[1,1] op_sel_hi:[0,1]
	s_delay_alu instid0(VALU_DEP_1) | instskip(SKIP_1) | instid1(VALU_DEP_2)
	v_pk_fma_f32 v[138:139], v[134:135], v[132:133], v[136:137] op_sel_hi:[1,0,1]
	v_pk_fma_f32 v[132:133], v[134:135], v[132:133], v[136:137] neg_lo:[0,0,1] neg_hi:[0,0,1]
	v_mov_b32_e32 v133, v139
	s_delay_alu instid0(VALU_DEP_1)
	v_pk_add_f32 v[128:129], v[128:129], v[132:133]
	s_and_not1_b32 exec_lo, exec_lo, s16
	s_cbranch_execnz .LBB61_432
; %bb.433:
	s_or_b32 exec_lo, exec_lo, s16
.LBB61_434:
	s_delay_alu instid0(SALU_CYCLE_1) | instskip(SKIP_4) | instid1(VALU_DEP_1)
	s_or_b32 exec_lo, exec_lo, s15
	v_mov_b32_e32 v130, 0
	ds_load_b64 v[130:131], v130 offset:144
	s_wait_dscnt 0x0
	v_pk_mul_f32 v[132:133], v[128:129], v[130:131] op_sel:[1,1] op_sel_hi:[0,1]
	v_pk_fma_f32 v[134:135], v[128:129], v[130:131], v[132:133] op_sel_hi:[1,0,1]
	v_pk_fma_f32 v[128:129], v[128:129], v[130:131], v[132:133] neg_lo:[0,0,1] neg_hi:[0,0,1]
	s_delay_alu instid0(VALU_DEP_2)
	v_mov_b32_e32 v129, v135
	scratch_store_b64 off, v[128:129], off offset:144
.LBB61_435:
	s_wait_xcnt 0x0
	s_or_b32 exec_lo, exec_lo, s14
	scratch_load_b64 v[128:129], off, off offset:136
	v_cmp_lt_u32_e64 s1, 17, v0
	s_wait_loadcnt 0x0
	ds_store_b64 v1, v[128:129]
	s_wait_storecnt_dscnt 0x0
	s_barrier_signal -1
	s_barrier_wait -1
	s_wait_xcnt 0x0
	s_and_saveexec_b32 s14, s1
	s_cbranch_execz .LBB61_445
; %bb.436:
	s_and_not1_b32 vcc_lo, exec_lo, s3
	s_cbranch_vccnz .LBB61_438
; %bb.437:
	scratch_load_b64 v[128:129], v51, off
	ds_load_b64 v[130:131], v1
	s_wait_loadcnt_dscnt 0x0
	v_pk_mul_f32 v[132:133], v[130:131], v[128:129] op_sel:[1,1] op_sel_hi:[0,1]
	s_delay_alu instid0(VALU_DEP_1) | instskip(SKIP_1) | instid1(VALU_DEP_2)
	v_pk_fma_f32 v[134:135], v[130:131], v[128:129], v[132:133] op_sel_hi:[1,0,1]
	v_pk_fma_f32 v[128:129], v[130:131], v[128:129], v[132:133] neg_lo:[0,0,1] neg_hi:[0,0,1]
	v_mov_b32_e32 v129, v135
	s_cbranch_execz .LBB61_439
	s_branch .LBB61_440
.LBB61_438:
                                        ; implicit-def: $vgpr128_vgpr129
.LBB61_439:
	ds_load_b64 v[128:129], v1
.LBB61_440:
	s_and_saveexec_b32 s15, s0
	s_cbranch_execz .LBB61_444
; %bb.441:
	v_subrev_nc_u32_e32 v130, 18, v0
	s_movk_i32 s16, 0x280
	s_mov_b32 s0, 0
.LBB61_442:                             ; =>This Inner Loop Header: Depth=1
	scratch_load_b64 v[132:133], off, s13
	v_dual_mov_b32 v131, s16 :: v_dual_add_nc_u32 v130, -1, v130
	s_add_co_i32 s16, s16, 8
	s_wait_xcnt 0x0
	s_add_co_i32 s13, s13, 8
	ds_load_b64 v[134:135], v131
	v_cmp_eq_u32_e32 vcc_lo, 0, v130
	s_or_b32 s0, vcc_lo, s0
	s_wait_loadcnt_dscnt 0x0
	v_pk_mul_f32 v[136:137], v[134:135], v[132:133] op_sel:[1,1] op_sel_hi:[0,1]
	s_delay_alu instid0(VALU_DEP_1) | instskip(SKIP_1) | instid1(VALU_DEP_2)
	v_pk_fma_f32 v[138:139], v[134:135], v[132:133], v[136:137] op_sel_hi:[1,0,1]
	v_pk_fma_f32 v[132:133], v[134:135], v[132:133], v[136:137] neg_lo:[0,0,1] neg_hi:[0,0,1]
	v_mov_b32_e32 v133, v139
	s_delay_alu instid0(VALU_DEP_1)
	v_pk_add_f32 v[128:129], v[128:129], v[132:133]
	s_and_not1_b32 exec_lo, exec_lo, s0
	s_cbranch_execnz .LBB61_442
; %bb.443:
	s_or_b32 exec_lo, exec_lo, s0
.LBB61_444:
	s_delay_alu instid0(SALU_CYCLE_1) | instskip(SKIP_4) | instid1(VALU_DEP_1)
	s_or_b32 exec_lo, exec_lo, s15
	v_mov_b32_e32 v130, 0
	ds_load_b64 v[130:131], v130 offset:136
	s_wait_dscnt 0x0
	v_pk_mul_f32 v[132:133], v[128:129], v[130:131] op_sel:[1,1] op_sel_hi:[0,1]
	v_pk_fma_f32 v[134:135], v[128:129], v[130:131], v[132:133] op_sel_hi:[1,0,1]
	v_pk_fma_f32 v[128:129], v[128:129], v[130:131], v[132:133] neg_lo:[0,0,1] neg_hi:[0,0,1]
	s_delay_alu instid0(VALU_DEP_2)
	v_mov_b32_e32 v129, v135
	scratch_store_b64 off, v[128:129], off offset:136
.LBB61_445:
	s_wait_xcnt 0x0
	s_or_b32 exec_lo, exec_lo, s14
	scratch_load_b64 v[128:129], off, off offset:128
	v_cmp_lt_u32_e64 s0, 16, v0
	s_wait_loadcnt 0x0
	ds_store_b64 v1, v[128:129]
	s_wait_storecnt_dscnt 0x0
	s_barrier_signal -1
	s_barrier_wait -1
	s_wait_xcnt 0x0
	s_and_saveexec_b32 s13, s0
	s_cbranch_execz .LBB61_455
; %bb.446:
	s_and_not1_b32 vcc_lo, exec_lo, s3
	s_cbranch_vccnz .LBB61_448
; %bb.447:
	scratch_load_b64 v[128:129], v51, off
	ds_load_b64 v[130:131], v1
	s_wait_loadcnt_dscnt 0x0
	v_pk_mul_f32 v[132:133], v[130:131], v[128:129] op_sel:[1,1] op_sel_hi:[0,1]
	s_delay_alu instid0(VALU_DEP_1) | instskip(SKIP_1) | instid1(VALU_DEP_2)
	v_pk_fma_f32 v[134:135], v[130:131], v[128:129], v[132:133] op_sel_hi:[1,0,1]
	v_pk_fma_f32 v[128:129], v[130:131], v[128:129], v[132:133] neg_lo:[0,0,1] neg_hi:[0,0,1]
	v_mov_b32_e32 v129, v135
	s_cbranch_execz .LBB61_449
	s_branch .LBB61_450
.LBB61_448:
                                        ; implicit-def: $vgpr128_vgpr129
.LBB61_449:
	ds_load_b64 v[128:129], v1
.LBB61_450:
	s_and_saveexec_b32 s14, s1
	s_cbranch_execz .LBB61_454
; %bb.451:
	v_subrev_nc_u32_e32 v130, 17, v0
	s_movk_i32 s1, 0x88
	s_movk_i32 s16, 0x278
	s_mov_b32 s15, 0
.LBB61_452:                             ; =>This Inner Loop Header: Depth=1
	scratch_load_b64 v[132:133], off, s1
	v_dual_mov_b32 v131, s16 :: v_dual_add_nc_u32 v130, -1, v130
	s_add_co_i32 s16, s16, 8
	s_wait_xcnt 0x0
	s_add_co_i32 s1, s1, 8
	ds_load_b64 v[134:135], v131
	v_cmp_eq_u32_e32 vcc_lo, 0, v130
	s_or_b32 s15, vcc_lo, s15
	s_wait_loadcnt_dscnt 0x0
	v_pk_mul_f32 v[136:137], v[134:135], v[132:133] op_sel:[1,1] op_sel_hi:[0,1]
	s_delay_alu instid0(VALU_DEP_1) | instskip(SKIP_1) | instid1(VALU_DEP_2)
	v_pk_fma_f32 v[138:139], v[134:135], v[132:133], v[136:137] op_sel_hi:[1,0,1]
	v_pk_fma_f32 v[132:133], v[134:135], v[132:133], v[136:137] neg_lo:[0,0,1] neg_hi:[0,0,1]
	v_mov_b32_e32 v133, v139
	s_delay_alu instid0(VALU_DEP_1)
	v_pk_add_f32 v[128:129], v[128:129], v[132:133]
	s_and_not1_b32 exec_lo, exec_lo, s15
	s_cbranch_execnz .LBB61_452
; %bb.453:
	s_or_b32 exec_lo, exec_lo, s15
.LBB61_454:
	s_delay_alu instid0(SALU_CYCLE_1) | instskip(SKIP_4) | instid1(VALU_DEP_1)
	s_or_b32 exec_lo, exec_lo, s14
	v_mov_b32_e32 v130, 0
	ds_load_b64 v[130:131], v130 offset:128
	s_wait_dscnt 0x0
	v_pk_mul_f32 v[132:133], v[128:129], v[130:131] op_sel:[1,1] op_sel_hi:[0,1]
	v_pk_fma_f32 v[134:135], v[128:129], v[130:131], v[132:133] op_sel_hi:[1,0,1]
	v_pk_fma_f32 v[128:129], v[128:129], v[130:131], v[132:133] neg_lo:[0,0,1] neg_hi:[0,0,1]
	s_delay_alu instid0(VALU_DEP_2)
	v_mov_b32_e32 v129, v135
	scratch_store_b64 off, v[128:129], off offset:128
.LBB61_455:
	s_wait_xcnt 0x0
	s_or_b32 exec_lo, exec_lo, s13
	scratch_load_b64 v[128:129], off, off offset:120
	v_cmp_lt_u32_e64 s1, 15, v0
	s_wait_loadcnt 0x0
	ds_store_b64 v1, v[128:129]
	s_wait_storecnt_dscnt 0x0
	s_barrier_signal -1
	s_barrier_wait -1
	s_wait_xcnt 0x0
	s_and_saveexec_b32 s13, s1
	s_cbranch_execz .LBB61_465
; %bb.456:
	s_and_not1_b32 vcc_lo, exec_lo, s3
	s_cbranch_vccnz .LBB61_458
; %bb.457:
	scratch_load_b64 v[128:129], v51, off
	ds_load_b64 v[130:131], v1
	s_wait_loadcnt_dscnt 0x0
	v_pk_mul_f32 v[132:133], v[130:131], v[128:129] op_sel:[1,1] op_sel_hi:[0,1]
	s_delay_alu instid0(VALU_DEP_1) | instskip(SKIP_1) | instid1(VALU_DEP_2)
	v_pk_fma_f32 v[134:135], v[130:131], v[128:129], v[132:133] op_sel_hi:[1,0,1]
	v_pk_fma_f32 v[128:129], v[130:131], v[128:129], v[132:133] neg_lo:[0,0,1] neg_hi:[0,0,1]
	v_mov_b32_e32 v129, v135
	s_cbranch_execz .LBB61_459
	s_branch .LBB61_460
.LBB61_458:
                                        ; implicit-def: $vgpr128_vgpr129
.LBB61_459:
	ds_load_b64 v[128:129], v1
.LBB61_460:
	s_and_saveexec_b32 s14, s0
	s_cbranch_execz .LBB61_464
; %bb.461:
	v_add_nc_u32_e32 v130, -16, v0
	s_movk_i32 s15, 0x270
	s_mov_b32 s0, 0
.LBB61_462:                             ; =>This Inner Loop Header: Depth=1
	scratch_load_b64 v[132:133], off, s12
	v_dual_mov_b32 v131, s15 :: v_dual_add_nc_u32 v130, -1, v130
	s_add_co_i32 s15, s15, 8
	s_wait_xcnt 0x0
	s_add_co_i32 s12, s12, 8
	ds_load_b64 v[134:135], v131
	v_cmp_eq_u32_e32 vcc_lo, 0, v130
	s_or_b32 s0, vcc_lo, s0
	s_wait_loadcnt_dscnt 0x0
	v_pk_mul_f32 v[136:137], v[134:135], v[132:133] op_sel:[1,1] op_sel_hi:[0,1]
	s_delay_alu instid0(VALU_DEP_1) | instskip(SKIP_1) | instid1(VALU_DEP_2)
	v_pk_fma_f32 v[138:139], v[134:135], v[132:133], v[136:137] op_sel_hi:[1,0,1]
	v_pk_fma_f32 v[132:133], v[134:135], v[132:133], v[136:137] neg_lo:[0,0,1] neg_hi:[0,0,1]
	v_mov_b32_e32 v133, v139
	s_delay_alu instid0(VALU_DEP_1)
	v_pk_add_f32 v[128:129], v[128:129], v[132:133]
	s_and_not1_b32 exec_lo, exec_lo, s0
	s_cbranch_execnz .LBB61_462
; %bb.463:
	s_or_b32 exec_lo, exec_lo, s0
.LBB61_464:
	s_delay_alu instid0(SALU_CYCLE_1) | instskip(SKIP_4) | instid1(VALU_DEP_1)
	s_or_b32 exec_lo, exec_lo, s14
	v_mov_b32_e32 v130, 0
	ds_load_b64 v[130:131], v130 offset:120
	s_wait_dscnt 0x0
	v_pk_mul_f32 v[132:133], v[128:129], v[130:131] op_sel:[1,1] op_sel_hi:[0,1]
	v_pk_fma_f32 v[134:135], v[128:129], v[130:131], v[132:133] op_sel_hi:[1,0,1]
	v_pk_fma_f32 v[128:129], v[128:129], v[130:131], v[132:133] neg_lo:[0,0,1] neg_hi:[0,0,1]
	s_delay_alu instid0(VALU_DEP_2)
	v_mov_b32_e32 v129, v135
	scratch_store_b64 off, v[128:129], off offset:120
.LBB61_465:
	s_wait_xcnt 0x0
	s_or_b32 exec_lo, exec_lo, s13
	scratch_load_b64 v[128:129], off, off offset:112
	v_cmp_lt_u32_e64 s0, 14, v0
	s_wait_loadcnt 0x0
	ds_store_b64 v1, v[128:129]
	s_wait_storecnt_dscnt 0x0
	s_barrier_signal -1
	s_barrier_wait -1
	s_wait_xcnt 0x0
	s_and_saveexec_b32 s12, s0
	s_cbranch_execz .LBB61_475
; %bb.466:
	s_and_not1_b32 vcc_lo, exec_lo, s3
	s_cbranch_vccnz .LBB61_468
; %bb.467:
	scratch_load_b64 v[128:129], v51, off
	ds_load_b64 v[130:131], v1
	s_wait_loadcnt_dscnt 0x0
	v_pk_mul_f32 v[132:133], v[130:131], v[128:129] op_sel:[1,1] op_sel_hi:[0,1]
	s_delay_alu instid0(VALU_DEP_1) | instskip(SKIP_1) | instid1(VALU_DEP_2)
	v_pk_fma_f32 v[134:135], v[130:131], v[128:129], v[132:133] op_sel_hi:[1,0,1]
	v_pk_fma_f32 v[128:129], v[130:131], v[128:129], v[132:133] neg_lo:[0,0,1] neg_hi:[0,0,1]
	v_mov_b32_e32 v129, v135
	s_cbranch_execz .LBB61_469
	s_branch .LBB61_470
.LBB61_468:
                                        ; implicit-def: $vgpr128_vgpr129
.LBB61_469:
	ds_load_b64 v[128:129], v1
.LBB61_470:
	s_and_saveexec_b32 s13, s1
	s_cbranch_execz .LBB61_474
; %bb.471:
	v_add_nc_u32_e32 v130, -15, v0
	s_movk_i32 s1, 0x78
	s_movk_i32 s15, 0x268
	s_mov_b32 s14, 0
.LBB61_472:                             ; =>This Inner Loop Header: Depth=1
	scratch_load_b64 v[132:133], off, s1
	v_dual_mov_b32 v131, s15 :: v_dual_add_nc_u32 v130, -1, v130
	s_add_co_i32 s15, s15, 8
	s_wait_xcnt 0x0
	s_add_co_i32 s1, s1, 8
	ds_load_b64 v[134:135], v131
	v_cmp_eq_u32_e32 vcc_lo, 0, v130
	s_or_b32 s14, vcc_lo, s14
	s_wait_loadcnt_dscnt 0x0
	v_pk_mul_f32 v[136:137], v[134:135], v[132:133] op_sel:[1,1] op_sel_hi:[0,1]
	s_delay_alu instid0(VALU_DEP_1) | instskip(SKIP_1) | instid1(VALU_DEP_2)
	v_pk_fma_f32 v[138:139], v[134:135], v[132:133], v[136:137] op_sel_hi:[1,0,1]
	v_pk_fma_f32 v[132:133], v[134:135], v[132:133], v[136:137] neg_lo:[0,0,1] neg_hi:[0,0,1]
	v_mov_b32_e32 v133, v139
	s_delay_alu instid0(VALU_DEP_1)
	v_pk_add_f32 v[128:129], v[128:129], v[132:133]
	s_and_not1_b32 exec_lo, exec_lo, s14
	s_cbranch_execnz .LBB61_472
; %bb.473:
	s_or_b32 exec_lo, exec_lo, s14
.LBB61_474:
	s_delay_alu instid0(SALU_CYCLE_1) | instskip(SKIP_4) | instid1(VALU_DEP_1)
	s_or_b32 exec_lo, exec_lo, s13
	v_mov_b32_e32 v130, 0
	ds_load_b64 v[130:131], v130 offset:112
	s_wait_dscnt 0x0
	v_pk_mul_f32 v[132:133], v[128:129], v[130:131] op_sel:[1,1] op_sel_hi:[0,1]
	v_pk_fma_f32 v[134:135], v[128:129], v[130:131], v[132:133] op_sel_hi:[1,0,1]
	v_pk_fma_f32 v[128:129], v[128:129], v[130:131], v[132:133] neg_lo:[0,0,1] neg_hi:[0,0,1]
	s_delay_alu instid0(VALU_DEP_2)
	v_mov_b32_e32 v129, v135
	scratch_store_b64 off, v[128:129], off offset:112
.LBB61_475:
	s_wait_xcnt 0x0
	s_or_b32 exec_lo, exec_lo, s12
	scratch_load_b64 v[128:129], off, off offset:104
	v_cmp_lt_u32_e64 s1, 13, v0
	s_wait_loadcnt 0x0
	ds_store_b64 v1, v[128:129]
	s_wait_storecnt_dscnt 0x0
	s_barrier_signal -1
	s_barrier_wait -1
	s_wait_xcnt 0x0
	s_and_saveexec_b32 s12, s1
	s_cbranch_execz .LBB61_485
; %bb.476:
	s_and_not1_b32 vcc_lo, exec_lo, s3
	s_cbranch_vccnz .LBB61_478
; %bb.477:
	scratch_load_b64 v[128:129], v51, off
	ds_load_b64 v[130:131], v1
	s_wait_loadcnt_dscnt 0x0
	v_pk_mul_f32 v[132:133], v[130:131], v[128:129] op_sel:[1,1] op_sel_hi:[0,1]
	s_delay_alu instid0(VALU_DEP_1) | instskip(SKIP_1) | instid1(VALU_DEP_2)
	v_pk_fma_f32 v[134:135], v[130:131], v[128:129], v[132:133] op_sel_hi:[1,0,1]
	v_pk_fma_f32 v[128:129], v[130:131], v[128:129], v[132:133] neg_lo:[0,0,1] neg_hi:[0,0,1]
	v_mov_b32_e32 v129, v135
	s_cbranch_execz .LBB61_479
	s_branch .LBB61_480
.LBB61_478:
                                        ; implicit-def: $vgpr128_vgpr129
.LBB61_479:
	ds_load_b64 v[128:129], v1
.LBB61_480:
	s_and_saveexec_b32 s13, s0
	s_cbranch_execz .LBB61_484
; %bb.481:
	v_add_nc_u32_e32 v130, -14, v0
	s_movk_i32 s14, 0x260
	s_mov_b32 s0, 0
.LBB61_482:                             ; =>This Inner Loop Header: Depth=1
	scratch_load_b64 v[132:133], off, s11
	v_dual_mov_b32 v131, s14 :: v_dual_add_nc_u32 v130, -1, v130
	s_add_co_i32 s14, s14, 8
	s_wait_xcnt 0x0
	s_add_co_i32 s11, s11, 8
	ds_load_b64 v[134:135], v131
	v_cmp_eq_u32_e32 vcc_lo, 0, v130
	s_or_b32 s0, vcc_lo, s0
	s_wait_loadcnt_dscnt 0x0
	v_pk_mul_f32 v[136:137], v[134:135], v[132:133] op_sel:[1,1] op_sel_hi:[0,1]
	s_delay_alu instid0(VALU_DEP_1) | instskip(SKIP_1) | instid1(VALU_DEP_2)
	v_pk_fma_f32 v[138:139], v[134:135], v[132:133], v[136:137] op_sel_hi:[1,0,1]
	v_pk_fma_f32 v[132:133], v[134:135], v[132:133], v[136:137] neg_lo:[0,0,1] neg_hi:[0,0,1]
	v_mov_b32_e32 v133, v139
	s_delay_alu instid0(VALU_DEP_1)
	v_pk_add_f32 v[128:129], v[128:129], v[132:133]
	s_and_not1_b32 exec_lo, exec_lo, s0
	s_cbranch_execnz .LBB61_482
; %bb.483:
	s_or_b32 exec_lo, exec_lo, s0
.LBB61_484:
	s_delay_alu instid0(SALU_CYCLE_1) | instskip(SKIP_4) | instid1(VALU_DEP_1)
	s_or_b32 exec_lo, exec_lo, s13
	v_mov_b32_e32 v130, 0
	ds_load_b64 v[130:131], v130 offset:104
	s_wait_dscnt 0x0
	v_pk_mul_f32 v[132:133], v[128:129], v[130:131] op_sel:[1,1] op_sel_hi:[0,1]
	v_pk_fma_f32 v[134:135], v[128:129], v[130:131], v[132:133] op_sel_hi:[1,0,1]
	v_pk_fma_f32 v[128:129], v[128:129], v[130:131], v[132:133] neg_lo:[0,0,1] neg_hi:[0,0,1]
	s_delay_alu instid0(VALU_DEP_2)
	v_mov_b32_e32 v129, v135
	scratch_store_b64 off, v[128:129], off offset:104
.LBB61_485:
	s_wait_xcnt 0x0
	s_or_b32 exec_lo, exec_lo, s12
	scratch_load_b64 v[128:129], off, off offset:96
	v_cmp_lt_u32_e64 s0, 12, v0
	s_wait_loadcnt 0x0
	ds_store_b64 v1, v[128:129]
	s_wait_storecnt_dscnt 0x0
	s_barrier_signal -1
	s_barrier_wait -1
	s_wait_xcnt 0x0
	s_and_saveexec_b32 s11, s0
	s_cbranch_execz .LBB61_495
; %bb.486:
	s_and_not1_b32 vcc_lo, exec_lo, s3
	s_cbranch_vccnz .LBB61_488
; %bb.487:
	scratch_load_b64 v[128:129], v51, off
	ds_load_b64 v[130:131], v1
	s_wait_loadcnt_dscnt 0x0
	v_pk_mul_f32 v[132:133], v[130:131], v[128:129] op_sel:[1,1] op_sel_hi:[0,1]
	s_delay_alu instid0(VALU_DEP_1) | instskip(SKIP_1) | instid1(VALU_DEP_2)
	v_pk_fma_f32 v[134:135], v[130:131], v[128:129], v[132:133] op_sel_hi:[1,0,1]
	v_pk_fma_f32 v[128:129], v[130:131], v[128:129], v[132:133] neg_lo:[0,0,1] neg_hi:[0,0,1]
	v_mov_b32_e32 v129, v135
	s_cbranch_execz .LBB61_489
	s_branch .LBB61_490
.LBB61_488:
                                        ; implicit-def: $vgpr128_vgpr129
.LBB61_489:
	ds_load_b64 v[128:129], v1
.LBB61_490:
	s_and_saveexec_b32 s12, s1
	s_cbranch_execz .LBB61_494
; %bb.491:
	v_add_nc_u32_e32 v130, -13, v0
	s_movk_i32 s1, 0x68
	s_movk_i32 s14, 0x258
	s_mov_b32 s13, 0
.LBB61_492:                             ; =>This Inner Loop Header: Depth=1
	scratch_load_b64 v[132:133], off, s1
	v_dual_mov_b32 v131, s14 :: v_dual_add_nc_u32 v130, -1, v130
	s_add_co_i32 s14, s14, 8
	s_wait_xcnt 0x0
	s_add_co_i32 s1, s1, 8
	ds_load_b64 v[134:135], v131
	v_cmp_eq_u32_e32 vcc_lo, 0, v130
	s_or_b32 s13, vcc_lo, s13
	s_wait_loadcnt_dscnt 0x0
	v_pk_mul_f32 v[136:137], v[134:135], v[132:133] op_sel:[1,1] op_sel_hi:[0,1]
	s_delay_alu instid0(VALU_DEP_1) | instskip(SKIP_1) | instid1(VALU_DEP_2)
	v_pk_fma_f32 v[138:139], v[134:135], v[132:133], v[136:137] op_sel_hi:[1,0,1]
	v_pk_fma_f32 v[132:133], v[134:135], v[132:133], v[136:137] neg_lo:[0,0,1] neg_hi:[0,0,1]
	v_mov_b32_e32 v133, v139
	s_delay_alu instid0(VALU_DEP_1)
	v_pk_add_f32 v[128:129], v[128:129], v[132:133]
	s_and_not1_b32 exec_lo, exec_lo, s13
	s_cbranch_execnz .LBB61_492
; %bb.493:
	s_or_b32 exec_lo, exec_lo, s13
.LBB61_494:
	s_delay_alu instid0(SALU_CYCLE_1) | instskip(SKIP_4) | instid1(VALU_DEP_1)
	s_or_b32 exec_lo, exec_lo, s12
	v_mov_b32_e32 v130, 0
	ds_load_b64 v[130:131], v130 offset:96
	s_wait_dscnt 0x0
	v_pk_mul_f32 v[132:133], v[128:129], v[130:131] op_sel:[1,1] op_sel_hi:[0,1]
	v_pk_fma_f32 v[134:135], v[128:129], v[130:131], v[132:133] op_sel_hi:[1,0,1]
	v_pk_fma_f32 v[128:129], v[128:129], v[130:131], v[132:133] neg_lo:[0,0,1] neg_hi:[0,0,1]
	s_delay_alu instid0(VALU_DEP_2)
	v_mov_b32_e32 v129, v135
	scratch_store_b64 off, v[128:129], off offset:96
.LBB61_495:
	s_wait_xcnt 0x0
	s_or_b32 exec_lo, exec_lo, s11
	scratch_load_b64 v[128:129], off, off offset:88
	v_cmp_lt_u32_e64 s1, 11, v0
	s_wait_loadcnt 0x0
	ds_store_b64 v1, v[128:129]
	s_wait_storecnt_dscnt 0x0
	s_barrier_signal -1
	s_barrier_wait -1
	s_wait_xcnt 0x0
	s_and_saveexec_b32 s11, s1
	s_cbranch_execz .LBB61_505
; %bb.496:
	s_and_not1_b32 vcc_lo, exec_lo, s3
	s_cbranch_vccnz .LBB61_498
; %bb.497:
	scratch_load_b64 v[128:129], v51, off
	ds_load_b64 v[130:131], v1
	s_wait_loadcnt_dscnt 0x0
	v_pk_mul_f32 v[132:133], v[130:131], v[128:129] op_sel:[1,1] op_sel_hi:[0,1]
	s_delay_alu instid0(VALU_DEP_1) | instskip(SKIP_1) | instid1(VALU_DEP_2)
	v_pk_fma_f32 v[134:135], v[130:131], v[128:129], v[132:133] op_sel_hi:[1,0,1]
	v_pk_fma_f32 v[128:129], v[130:131], v[128:129], v[132:133] neg_lo:[0,0,1] neg_hi:[0,0,1]
	v_mov_b32_e32 v129, v135
	s_cbranch_execz .LBB61_499
	s_branch .LBB61_500
.LBB61_498:
                                        ; implicit-def: $vgpr128_vgpr129
.LBB61_499:
	ds_load_b64 v[128:129], v1
.LBB61_500:
	s_and_saveexec_b32 s12, s0
	s_cbranch_execz .LBB61_504
; %bb.501:
	v_add_nc_u32_e32 v130, -12, v0
	s_movk_i32 s13, 0x250
	s_mov_b32 s0, 0
.LBB61_502:                             ; =>This Inner Loop Header: Depth=1
	scratch_load_b64 v[132:133], off, s10
	v_dual_mov_b32 v131, s13 :: v_dual_add_nc_u32 v130, -1, v130
	s_add_co_i32 s13, s13, 8
	s_wait_xcnt 0x0
	s_add_co_i32 s10, s10, 8
	ds_load_b64 v[134:135], v131
	v_cmp_eq_u32_e32 vcc_lo, 0, v130
	s_or_b32 s0, vcc_lo, s0
	s_wait_loadcnt_dscnt 0x0
	v_pk_mul_f32 v[136:137], v[134:135], v[132:133] op_sel:[1,1] op_sel_hi:[0,1]
	s_delay_alu instid0(VALU_DEP_1) | instskip(SKIP_1) | instid1(VALU_DEP_2)
	v_pk_fma_f32 v[138:139], v[134:135], v[132:133], v[136:137] op_sel_hi:[1,0,1]
	v_pk_fma_f32 v[132:133], v[134:135], v[132:133], v[136:137] neg_lo:[0,0,1] neg_hi:[0,0,1]
	v_mov_b32_e32 v133, v139
	s_delay_alu instid0(VALU_DEP_1)
	v_pk_add_f32 v[128:129], v[128:129], v[132:133]
	s_and_not1_b32 exec_lo, exec_lo, s0
	s_cbranch_execnz .LBB61_502
; %bb.503:
	s_or_b32 exec_lo, exec_lo, s0
.LBB61_504:
	s_delay_alu instid0(SALU_CYCLE_1) | instskip(SKIP_4) | instid1(VALU_DEP_1)
	s_or_b32 exec_lo, exec_lo, s12
	v_mov_b32_e32 v130, 0
	ds_load_b64 v[130:131], v130 offset:88
	s_wait_dscnt 0x0
	v_pk_mul_f32 v[132:133], v[128:129], v[130:131] op_sel:[1,1] op_sel_hi:[0,1]
	v_pk_fma_f32 v[134:135], v[128:129], v[130:131], v[132:133] op_sel_hi:[1,0,1]
	v_pk_fma_f32 v[128:129], v[128:129], v[130:131], v[132:133] neg_lo:[0,0,1] neg_hi:[0,0,1]
	s_delay_alu instid0(VALU_DEP_2)
	v_mov_b32_e32 v129, v135
	scratch_store_b64 off, v[128:129], off offset:88
.LBB61_505:
	s_wait_xcnt 0x0
	s_or_b32 exec_lo, exec_lo, s11
	scratch_load_b64 v[128:129], off, off offset:80
	v_cmp_lt_u32_e64 s0, 10, v0
	s_wait_loadcnt 0x0
	ds_store_b64 v1, v[128:129]
	s_wait_storecnt_dscnt 0x0
	s_barrier_signal -1
	s_barrier_wait -1
	s_wait_xcnt 0x0
	s_and_saveexec_b32 s10, s0
	s_cbranch_execz .LBB61_515
; %bb.506:
	s_and_not1_b32 vcc_lo, exec_lo, s3
	s_cbranch_vccnz .LBB61_508
; %bb.507:
	scratch_load_b64 v[128:129], v51, off
	ds_load_b64 v[130:131], v1
	s_wait_loadcnt_dscnt 0x0
	v_pk_mul_f32 v[132:133], v[130:131], v[128:129] op_sel:[1,1] op_sel_hi:[0,1]
	s_delay_alu instid0(VALU_DEP_1) | instskip(SKIP_1) | instid1(VALU_DEP_2)
	v_pk_fma_f32 v[134:135], v[130:131], v[128:129], v[132:133] op_sel_hi:[1,0,1]
	v_pk_fma_f32 v[128:129], v[130:131], v[128:129], v[132:133] neg_lo:[0,0,1] neg_hi:[0,0,1]
	v_mov_b32_e32 v129, v135
	s_cbranch_execz .LBB61_509
	s_branch .LBB61_510
.LBB61_508:
                                        ; implicit-def: $vgpr128_vgpr129
.LBB61_509:
	ds_load_b64 v[128:129], v1
.LBB61_510:
	s_and_saveexec_b32 s11, s1
	s_cbranch_execz .LBB61_514
; %bb.511:
	v_add_nc_u32_e32 v130, -11, v0
	s_movk_i32 s1, 0x58
	s_movk_i32 s13, 0x248
	s_mov_b32 s12, 0
.LBB61_512:                             ; =>This Inner Loop Header: Depth=1
	scratch_load_b64 v[132:133], off, s1
	v_dual_mov_b32 v131, s13 :: v_dual_add_nc_u32 v130, -1, v130
	s_add_co_i32 s13, s13, 8
	s_wait_xcnt 0x0
	s_add_co_i32 s1, s1, 8
	ds_load_b64 v[134:135], v131
	v_cmp_eq_u32_e32 vcc_lo, 0, v130
	s_or_b32 s12, vcc_lo, s12
	s_wait_loadcnt_dscnt 0x0
	v_pk_mul_f32 v[136:137], v[134:135], v[132:133] op_sel:[1,1] op_sel_hi:[0,1]
	s_delay_alu instid0(VALU_DEP_1) | instskip(SKIP_1) | instid1(VALU_DEP_2)
	v_pk_fma_f32 v[138:139], v[134:135], v[132:133], v[136:137] op_sel_hi:[1,0,1]
	v_pk_fma_f32 v[132:133], v[134:135], v[132:133], v[136:137] neg_lo:[0,0,1] neg_hi:[0,0,1]
	v_mov_b32_e32 v133, v139
	s_delay_alu instid0(VALU_DEP_1)
	v_pk_add_f32 v[128:129], v[128:129], v[132:133]
	s_and_not1_b32 exec_lo, exec_lo, s12
	s_cbranch_execnz .LBB61_512
; %bb.513:
	s_or_b32 exec_lo, exec_lo, s12
.LBB61_514:
	s_delay_alu instid0(SALU_CYCLE_1) | instskip(SKIP_4) | instid1(VALU_DEP_1)
	s_or_b32 exec_lo, exec_lo, s11
	v_mov_b32_e32 v130, 0
	ds_load_b64 v[130:131], v130 offset:80
	s_wait_dscnt 0x0
	v_pk_mul_f32 v[132:133], v[128:129], v[130:131] op_sel:[1,1] op_sel_hi:[0,1]
	v_pk_fma_f32 v[134:135], v[128:129], v[130:131], v[132:133] op_sel_hi:[1,0,1]
	v_pk_fma_f32 v[128:129], v[128:129], v[130:131], v[132:133] neg_lo:[0,0,1] neg_hi:[0,0,1]
	s_delay_alu instid0(VALU_DEP_2)
	v_mov_b32_e32 v129, v135
	scratch_store_b64 off, v[128:129], off offset:80
.LBB61_515:
	s_wait_xcnt 0x0
	s_or_b32 exec_lo, exec_lo, s10
	scratch_load_b64 v[128:129], off, off offset:72
	v_cmp_lt_u32_e64 s1, 9, v0
	s_wait_loadcnt 0x0
	ds_store_b64 v1, v[128:129]
	s_wait_storecnt_dscnt 0x0
	s_barrier_signal -1
	s_barrier_wait -1
	s_wait_xcnt 0x0
	s_and_saveexec_b32 s10, s1
	s_cbranch_execz .LBB61_525
; %bb.516:
	s_and_not1_b32 vcc_lo, exec_lo, s3
	s_cbranch_vccnz .LBB61_518
; %bb.517:
	scratch_load_b64 v[128:129], v51, off
	ds_load_b64 v[130:131], v1
	s_wait_loadcnt_dscnt 0x0
	v_pk_mul_f32 v[132:133], v[130:131], v[128:129] op_sel:[1,1] op_sel_hi:[0,1]
	s_delay_alu instid0(VALU_DEP_1) | instskip(SKIP_1) | instid1(VALU_DEP_2)
	v_pk_fma_f32 v[134:135], v[130:131], v[128:129], v[132:133] op_sel_hi:[1,0,1]
	v_pk_fma_f32 v[128:129], v[130:131], v[128:129], v[132:133] neg_lo:[0,0,1] neg_hi:[0,0,1]
	v_mov_b32_e32 v129, v135
	s_cbranch_execz .LBB61_519
	s_branch .LBB61_520
.LBB61_518:
                                        ; implicit-def: $vgpr128_vgpr129
.LBB61_519:
	ds_load_b64 v[128:129], v1
.LBB61_520:
	s_and_saveexec_b32 s11, s0
	s_cbranch_execz .LBB61_524
; %bb.521:
	v_add_nc_u32_e32 v130, -10, v0
	s_movk_i32 s12, 0x240
	s_mov_b32 s0, 0
.LBB61_522:                             ; =>This Inner Loop Header: Depth=1
	scratch_load_b64 v[132:133], off, s9
	v_dual_mov_b32 v131, s12 :: v_dual_add_nc_u32 v130, -1, v130
	s_add_co_i32 s12, s12, 8
	s_wait_xcnt 0x0
	s_add_co_i32 s9, s9, 8
	ds_load_b64 v[134:135], v131
	v_cmp_eq_u32_e32 vcc_lo, 0, v130
	s_or_b32 s0, vcc_lo, s0
	s_wait_loadcnt_dscnt 0x0
	v_pk_mul_f32 v[136:137], v[134:135], v[132:133] op_sel:[1,1] op_sel_hi:[0,1]
	s_delay_alu instid0(VALU_DEP_1) | instskip(SKIP_1) | instid1(VALU_DEP_2)
	v_pk_fma_f32 v[138:139], v[134:135], v[132:133], v[136:137] op_sel_hi:[1,0,1]
	v_pk_fma_f32 v[132:133], v[134:135], v[132:133], v[136:137] neg_lo:[0,0,1] neg_hi:[0,0,1]
	v_mov_b32_e32 v133, v139
	s_delay_alu instid0(VALU_DEP_1)
	v_pk_add_f32 v[128:129], v[128:129], v[132:133]
	s_and_not1_b32 exec_lo, exec_lo, s0
	s_cbranch_execnz .LBB61_522
; %bb.523:
	s_or_b32 exec_lo, exec_lo, s0
.LBB61_524:
	s_delay_alu instid0(SALU_CYCLE_1) | instskip(SKIP_4) | instid1(VALU_DEP_1)
	s_or_b32 exec_lo, exec_lo, s11
	v_mov_b32_e32 v130, 0
	ds_load_b64 v[130:131], v130 offset:72
	s_wait_dscnt 0x0
	v_pk_mul_f32 v[132:133], v[128:129], v[130:131] op_sel:[1,1] op_sel_hi:[0,1]
	v_pk_fma_f32 v[134:135], v[128:129], v[130:131], v[132:133] op_sel_hi:[1,0,1]
	v_pk_fma_f32 v[128:129], v[128:129], v[130:131], v[132:133] neg_lo:[0,0,1] neg_hi:[0,0,1]
	s_delay_alu instid0(VALU_DEP_2)
	v_mov_b32_e32 v129, v135
	scratch_store_b64 off, v[128:129], off offset:72
.LBB61_525:
	s_wait_xcnt 0x0
	s_or_b32 exec_lo, exec_lo, s10
	scratch_load_b64 v[128:129], off, off offset:64
	v_cmp_lt_u32_e64 s0, 8, v0
	s_wait_loadcnt 0x0
	ds_store_b64 v1, v[128:129]
	s_wait_storecnt_dscnt 0x0
	s_barrier_signal -1
	s_barrier_wait -1
	s_wait_xcnt 0x0
	s_and_saveexec_b32 s9, s0
	s_cbranch_execz .LBB61_535
; %bb.526:
	s_and_not1_b32 vcc_lo, exec_lo, s3
	s_cbranch_vccnz .LBB61_528
; %bb.527:
	scratch_load_b64 v[128:129], v51, off
	ds_load_b64 v[130:131], v1
	s_wait_loadcnt_dscnt 0x0
	v_pk_mul_f32 v[132:133], v[130:131], v[128:129] op_sel:[1,1] op_sel_hi:[0,1]
	s_delay_alu instid0(VALU_DEP_1) | instskip(SKIP_1) | instid1(VALU_DEP_2)
	v_pk_fma_f32 v[134:135], v[130:131], v[128:129], v[132:133] op_sel_hi:[1,0,1]
	v_pk_fma_f32 v[128:129], v[130:131], v[128:129], v[132:133] neg_lo:[0,0,1] neg_hi:[0,0,1]
	v_mov_b32_e32 v129, v135
	s_cbranch_execz .LBB61_529
	s_branch .LBB61_530
.LBB61_528:
                                        ; implicit-def: $vgpr128_vgpr129
.LBB61_529:
	ds_load_b64 v[128:129], v1
.LBB61_530:
	s_and_saveexec_b32 s10, s1
	s_cbranch_execz .LBB61_534
; %bb.531:
	v_add_nc_u32_e32 v130, -9, v0
	s_movk_i32 s1, 0x48
	s_movk_i32 s12, 0x238
	s_mov_b32 s11, 0
.LBB61_532:                             ; =>This Inner Loop Header: Depth=1
	scratch_load_b64 v[132:133], off, s1
	v_dual_mov_b32 v131, s12 :: v_dual_add_nc_u32 v130, -1, v130
	s_add_co_i32 s12, s12, 8
	s_wait_xcnt 0x0
	s_add_co_i32 s1, s1, 8
	ds_load_b64 v[134:135], v131
	v_cmp_eq_u32_e32 vcc_lo, 0, v130
	s_or_b32 s11, vcc_lo, s11
	s_wait_loadcnt_dscnt 0x0
	v_pk_mul_f32 v[136:137], v[134:135], v[132:133] op_sel:[1,1] op_sel_hi:[0,1]
	s_delay_alu instid0(VALU_DEP_1) | instskip(SKIP_1) | instid1(VALU_DEP_2)
	v_pk_fma_f32 v[138:139], v[134:135], v[132:133], v[136:137] op_sel_hi:[1,0,1]
	v_pk_fma_f32 v[132:133], v[134:135], v[132:133], v[136:137] neg_lo:[0,0,1] neg_hi:[0,0,1]
	v_mov_b32_e32 v133, v139
	s_delay_alu instid0(VALU_DEP_1)
	v_pk_add_f32 v[128:129], v[128:129], v[132:133]
	s_and_not1_b32 exec_lo, exec_lo, s11
	s_cbranch_execnz .LBB61_532
; %bb.533:
	s_or_b32 exec_lo, exec_lo, s11
.LBB61_534:
	s_delay_alu instid0(SALU_CYCLE_1) | instskip(SKIP_4) | instid1(VALU_DEP_1)
	s_or_b32 exec_lo, exec_lo, s10
	v_mov_b32_e32 v130, 0
	ds_load_b64 v[130:131], v130 offset:64
	s_wait_dscnt 0x0
	v_pk_mul_f32 v[132:133], v[128:129], v[130:131] op_sel:[1,1] op_sel_hi:[0,1]
	v_pk_fma_f32 v[134:135], v[128:129], v[130:131], v[132:133] op_sel_hi:[1,0,1]
	v_pk_fma_f32 v[128:129], v[128:129], v[130:131], v[132:133] neg_lo:[0,0,1] neg_hi:[0,0,1]
	s_delay_alu instid0(VALU_DEP_2)
	v_mov_b32_e32 v129, v135
	scratch_store_b64 off, v[128:129], off offset:64
.LBB61_535:
	s_wait_xcnt 0x0
	s_or_b32 exec_lo, exec_lo, s9
	scratch_load_b64 v[128:129], off, off offset:56
	v_cmp_lt_u32_e64 s1, 7, v0
	s_wait_loadcnt 0x0
	ds_store_b64 v1, v[128:129]
	s_wait_storecnt_dscnt 0x0
	s_barrier_signal -1
	s_barrier_wait -1
	s_wait_xcnt 0x0
	s_and_saveexec_b32 s9, s1
	s_cbranch_execz .LBB61_545
; %bb.536:
	s_and_not1_b32 vcc_lo, exec_lo, s3
	s_cbranch_vccnz .LBB61_538
; %bb.537:
	scratch_load_b64 v[128:129], v51, off
	ds_load_b64 v[130:131], v1
	s_wait_loadcnt_dscnt 0x0
	v_pk_mul_f32 v[132:133], v[130:131], v[128:129] op_sel:[1,1] op_sel_hi:[0,1]
	s_delay_alu instid0(VALU_DEP_1) | instskip(SKIP_1) | instid1(VALU_DEP_2)
	v_pk_fma_f32 v[134:135], v[130:131], v[128:129], v[132:133] op_sel_hi:[1,0,1]
	v_pk_fma_f32 v[128:129], v[130:131], v[128:129], v[132:133] neg_lo:[0,0,1] neg_hi:[0,0,1]
	v_mov_b32_e32 v129, v135
	s_cbranch_execz .LBB61_539
	s_branch .LBB61_540
.LBB61_538:
                                        ; implicit-def: $vgpr128_vgpr129
.LBB61_539:
	ds_load_b64 v[128:129], v1
.LBB61_540:
	s_and_saveexec_b32 s10, s0
	s_cbranch_execz .LBB61_544
; %bb.541:
	v_add_nc_u32_e32 v130, -8, v0
	s_movk_i32 s11, 0x230
	s_mov_b32 s0, 0
.LBB61_542:                             ; =>This Inner Loop Header: Depth=1
	scratch_load_b64 v[132:133], off, s8
	v_dual_mov_b32 v131, s11 :: v_dual_add_nc_u32 v130, -1, v130
	s_add_co_i32 s11, s11, 8
	s_wait_xcnt 0x0
	s_add_co_i32 s8, s8, 8
	ds_load_b64 v[134:135], v131
	v_cmp_eq_u32_e32 vcc_lo, 0, v130
	s_or_b32 s0, vcc_lo, s0
	s_wait_loadcnt_dscnt 0x0
	v_pk_mul_f32 v[136:137], v[134:135], v[132:133] op_sel:[1,1] op_sel_hi:[0,1]
	s_delay_alu instid0(VALU_DEP_1) | instskip(SKIP_1) | instid1(VALU_DEP_2)
	v_pk_fma_f32 v[138:139], v[134:135], v[132:133], v[136:137] op_sel_hi:[1,0,1]
	v_pk_fma_f32 v[132:133], v[134:135], v[132:133], v[136:137] neg_lo:[0,0,1] neg_hi:[0,0,1]
	v_mov_b32_e32 v133, v139
	s_delay_alu instid0(VALU_DEP_1)
	v_pk_add_f32 v[128:129], v[128:129], v[132:133]
	s_and_not1_b32 exec_lo, exec_lo, s0
	s_cbranch_execnz .LBB61_542
; %bb.543:
	s_or_b32 exec_lo, exec_lo, s0
.LBB61_544:
	s_delay_alu instid0(SALU_CYCLE_1) | instskip(SKIP_4) | instid1(VALU_DEP_1)
	s_or_b32 exec_lo, exec_lo, s10
	v_mov_b32_e32 v130, 0
	ds_load_b64 v[130:131], v130 offset:56
	s_wait_dscnt 0x0
	v_pk_mul_f32 v[132:133], v[128:129], v[130:131] op_sel:[1,1] op_sel_hi:[0,1]
	v_pk_fma_f32 v[134:135], v[128:129], v[130:131], v[132:133] op_sel_hi:[1,0,1]
	v_pk_fma_f32 v[128:129], v[128:129], v[130:131], v[132:133] neg_lo:[0,0,1] neg_hi:[0,0,1]
	s_delay_alu instid0(VALU_DEP_2)
	v_mov_b32_e32 v129, v135
	scratch_store_b64 off, v[128:129], off offset:56
.LBB61_545:
	s_wait_xcnt 0x0
	s_or_b32 exec_lo, exec_lo, s9
	scratch_load_b64 v[128:129], off, off offset:48
	v_cmp_lt_u32_e64 s0, 6, v0
	s_wait_loadcnt 0x0
	ds_store_b64 v1, v[128:129]
	s_wait_storecnt_dscnt 0x0
	s_barrier_signal -1
	s_barrier_wait -1
	s_wait_xcnt 0x0
	s_and_saveexec_b32 s8, s0
	s_cbranch_execz .LBB61_555
; %bb.546:
	s_and_not1_b32 vcc_lo, exec_lo, s3
	s_cbranch_vccnz .LBB61_548
; %bb.547:
	scratch_load_b64 v[128:129], v51, off
	ds_load_b64 v[130:131], v1
	s_wait_loadcnt_dscnt 0x0
	v_pk_mul_f32 v[132:133], v[130:131], v[128:129] op_sel:[1,1] op_sel_hi:[0,1]
	s_delay_alu instid0(VALU_DEP_1) | instskip(SKIP_1) | instid1(VALU_DEP_2)
	v_pk_fma_f32 v[134:135], v[130:131], v[128:129], v[132:133] op_sel_hi:[1,0,1]
	v_pk_fma_f32 v[128:129], v[130:131], v[128:129], v[132:133] neg_lo:[0,0,1] neg_hi:[0,0,1]
	v_mov_b32_e32 v129, v135
	s_cbranch_execz .LBB61_549
	s_branch .LBB61_550
.LBB61_548:
                                        ; implicit-def: $vgpr128_vgpr129
.LBB61_549:
	ds_load_b64 v[128:129], v1
.LBB61_550:
	s_and_saveexec_b32 s9, s1
	s_cbranch_execz .LBB61_554
; %bb.551:
	v_add_nc_u32_e32 v130, -7, v0
	s_mov_b32 s1, 56
	s_movk_i32 s11, 0x228
	s_mov_b32 s10, 0
.LBB61_552:                             ; =>This Inner Loop Header: Depth=1
	scratch_load_b64 v[132:133], off, s1
	v_dual_mov_b32 v131, s11 :: v_dual_add_nc_u32 v130, -1, v130
	s_add_co_i32 s11, s11, 8
	s_wait_xcnt 0x0
	s_add_co_i32 s1, s1, 8
	ds_load_b64 v[134:135], v131
	v_cmp_eq_u32_e32 vcc_lo, 0, v130
	s_or_b32 s10, vcc_lo, s10
	s_wait_loadcnt_dscnt 0x0
	v_pk_mul_f32 v[136:137], v[134:135], v[132:133] op_sel:[1,1] op_sel_hi:[0,1]
	s_delay_alu instid0(VALU_DEP_1) | instskip(SKIP_1) | instid1(VALU_DEP_2)
	v_pk_fma_f32 v[138:139], v[134:135], v[132:133], v[136:137] op_sel_hi:[1,0,1]
	v_pk_fma_f32 v[132:133], v[134:135], v[132:133], v[136:137] neg_lo:[0,0,1] neg_hi:[0,0,1]
	v_mov_b32_e32 v133, v139
	s_delay_alu instid0(VALU_DEP_1)
	v_pk_add_f32 v[128:129], v[128:129], v[132:133]
	s_and_not1_b32 exec_lo, exec_lo, s10
	s_cbranch_execnz .LBB61_552
; %bb.553:
	s_or_b32 exec_lo, exec_lo, s10
.LBB61_554:
	s_delay_alu instid0(SALU_CYCLE_1) | instskip(SKIP_4) | instid1(VALU_DEP_1)
	s_or_b32 exec_lo, exec_lo, s9
	v_mov_b32_e32 v130, 0
	ds_load_b64 v[130:131], v130 offset:48
	s_wait_dscnt 0x0
	v_pk_mul_f32 v[132:133], v[128:129], v[130:131] op_sel:[1,1] op_sel_hi:[0,1]
	v_pk_fma_f32 v[134:135], v[128:129], v[130:131], v[132:133] op_sel_hi:[1,0,1]
	v_pk_fma_f32 v[128:129], v[128:129], v[130:131], v[132:133] neg_lo:[0,0,1] neg_hi:[0,0,1]
	s_delay_alu instid0(VALU_DEP_2)
	v_mov_b32_e32 v129, v135
	scratch_store_b64 off, v[128:129], off offset:48
.LBB61_555:
	s_wait_xcnt 0x0
	s_or_b32 exec_lo, exec_lo, s8
	scratch_load_b64 v[128:129], off, off offset:40
	v_cmp_lt_u32_e64 s1, 5, v0
	s_wait_loadcnt 0x0
	ds_store_b64 v1, v[128:129]
	s_wait_storecnt_dscnt 0x0
	s_barrier_signal -1
	s_barrier_wait -1
	s_wait_xcnt 0x0
	s_and_saveexec_b32 s8, s1
	s_cbranch_execz .LBB61_565
; %bb.556:
	s_and_not1_b32 vcc_lo, exec_lo, s3
	s_cbranch_vccnz .LBB61_558
; %bb.557:
	scratch_load_b64 v[128:129], v51, off
	ds_load_b64 v[130:131], v1
	s_wait_loadcnt_dscnt 0x0
	v_pk_mul_f32 v[132:133], v[130:131], v[128:129] op_sel:[1,1] op_sel_hi:[0,1]
	s_delay_alu instid0(VALU_DEP_1) | instskip(SKIP_1) | instid1(VALU_DEP_2)
	v_pk_fma_f32 v[134:135], v[130:131], v[128:129], v[132:133] op_sel_hi:[1,0,1]
	v_pk_fma_f32 v[128:129], v[130:131], v[128:129], v[132:133] neg_lo:[0,0,1] neg_hi:[0,0,1]
	v_mov_b32_e32 v129, v135
	s_cbranch_execz .LBB61_559
	s_branch .LBB61_560
.LBB61_558:
                                        ; implicit-def: $vgpr128_vgpr129
.LBB61_559:
	ds_load_b64 v[128:129], v1
.LBB61_560:
	s_and_saveexec_b32 s9, s0
	s_cbranch_execz .LBB61_564
; %bb.561:
	v_add_nc_u32_e32 v130, -6, v0
	s_movk_i32 s10, 0x220
	s_mov_b32 s0, 0
.LBB61_562:                             ; =>This Inner Loop Header: Depth=1
	scratch_load_b64 v[132:133], off, s2
	v_dual_mov_b32 v131, s10 :: v_dual_add_nc_u32 v130, -1, v130
	s_add_co_i32 s10, s10, 8
	s_wait_xcnt 0x0
	s_add_co_i32 s2, s2, 8
	ds_load_b64 v[134:135], v131
	v_cmp_eq_u32_e32 vcc_lo, 0, v130
	s_or_b32 s0, vcc_lo, s0
	s_wait_loadcnt_dscnt 0x0
	v_pk_mul_f32 v[136:137], v[134:135], v[132:133] op_sel:[1,1] op_sel_hi:[0,1]
	s_delay_alu instid0(VALU_DEP_1) | instskip(SKIP_1) | instid1(VALU_DEP_2)
	v_pk_fma_f32 v[138:139], v[134:135], v[132:133], v[136:137] op_sel_hi:[1,0,1]
	v_pk_fma_f32 v[132:133], v[134:135], v[132:133], v[136:137] neg_lo:[0,0,1] neg_hi:[0,0,1]
	v_mov_b32_e32 v133, v139
	s_delay_alu instid0(VALU_DEP_1)
	v_pk_add_f32 v[128:129], v[128:129], v[132:133]
	s_and_not1_b32 exec_lo, exec_lo, s0
	s_cbranch_execnz .LBB61_562
; %bb.563:
	s_or_b32 exec_lo, exec_lo, s0
.LBB61_564:
	s_delay_alu instid0(SALU_CYCLE_1) | instskip(SKIP_4) | instid1(VALU_DEP_1)
	s_or_b32 exec_lo, exec_lo, s9
	v_mov_b32_e32 v130, 0
	ds_load_b64 v[130:131], v130 offset:40
	s_wait_dscnt 0x0
	v_pk_mul_f32 v[132:133], v[128:129], v[130:131] op_sel:[1,1] op_sel_hi:[0,1]
	v_pk_fma_f32 v[134:135], v[128:129], v[130:131], v[132:133] op_sel_hi:[1,0,1]
	v_pk_fma_f32 v[128:129], v[128:129], v[130:131], v[132:133] neg_lo:[0,0,1] neg_hi:[0,0,1]
	s_delay_alu instid0(VALU_DEP_2)
	v_mov_b32_e32 v129, v135
	scratch_store_b64 off, v[128:129], off offset:40
.LBB61_565:
	s_wait_xcnt 0x0
	s_or_b32 exec_lo, exec_lo, s8
	scratch_load_b64 v[128:129], off, off offset:32
	v_cmp_lt_u32_e64 s0, 4, v0
	s_wait_loadcnt 0x0
	ds_store_b64 v1, v[128:129]
	s_wait_storecnt_dscnt 0x0
	s_barrier_signal -1
	s_barrier_wait -1
	s_wait_xcnt 0x0
	s_and_saveexec_b32 s2, s0
	s_cbranch_execz .LBB61_575
; %bb.566:
	s_and_not1_b32 vcc_lo, exec_lo, s3
	s_cbranch_vccnz .LBB61_568
; %bb.567:
	scratch_load_b64 v[128:129], v51, off
	ds_load_b64 v[130:131], v1
	s_wait_loadcnt_dscnt 0x0
	v_pk_mul_f32 v[132:133], v[130:131], v[128:129] op_sel:[1,1] op_sel_hi:[0,1]
	s_delay_alu instid0(VALU_DEP_1) | instskip(SKIP_1) | instid1(VALU_DEP_2)
	v_pk_fma_f32 v[134:135], v[130:131], v[128:129], v[132:133] op_sel_hi:[1,0,1]
	v_pk_fma_f32 v[128:129], v[130:131], v[128:129], v[132:133] neg_lo:[0,0,1] neg_hi:[0,0,1]
	v_mov_b32_e32 v129, v135
	s_cbranch_execz .LBB61_569
	s_branch .LBB61_570
.LBB61_568:
                                        ; implicit-def: $vgpr128_vgpr129
.LBB61_569:
	ds_load_b64 v[128:129], v1
.LBB61_570:
	s_and_saveexec_b32 s8, s1
	s_cbranch_execz .LBB61_574
; %bb.571:
	v_add_nc_u32_e32 v130, -5, v0
	s_mov_b32 s1, 40
	s_movk_i32 s10, 0x218
	s_mov_b32 s9, 0
.LBB61_572:                             ; =>This Inner Loop Header: Depth=1
	scratch_load_b64 v[132:133], off, s1
	v_dual_mov_b32 v131, s10 :: v_dual_add_nc_u32 v130, -1, v130
	s_add_co_i32 s10, s10, 8
	s_wait_xcnt 0x0
	s_add_co_i32 s1, s1, 8
	ds_load_b64 v[134:135], v131
	v_cmp_eq_u32_e32 vcc_lo, 0, v130
	s_or_b32 s9, vcc_lo, s9
	s_wait_loadcnt_dscnt 0x0
	v_pk_mul_f32 v[136:137], v[134:135], v[132:133] op_sel:[1,1] op_sel_hi:[0,1]
	s_delay_alu instid0(VALU_DEP_1) | instskip(SKIP_1) | instid1(VALU_DEP_2)
	v_pk_fma_f32 v[138:139], v[134:135], v[132:133], v[136:137] op_sel_hi:[1,0,1]
	v_pk_fma_f32 v[132:133], v[134:135], v[132:133], v[136:137] neg_lo:[0,0,1] neg_hi:[0,0,1]
	v_mov_b32_e32 v133, v139
	s_delay_alu instid0(VALU_DEP_1)
	v_pk_add_f32 v[128:129], v[128:129], v[132:133]
	s_and_not1_b32 exec_lo, exec_lo, s9
	s_cbranch_execnz .LBB61_572
; %bb.573:
	s_or_b32 exec_lo, exec_lo, s9
.LBB61_574:
	s_delay_alu instid0(SALU_CYCLE_1) | instskip(SKIP_4) | instid1(VALU_DEP_1)
	s_or_b32 exec_lo, exec_lo, s8
	v_mov_b32_e32 v130, 0
	ds_load_b64 v[130:131], v130 offset:32
	s_wait_dscnt 0x0
	v_pk_mul_f32 v[132:133], v[128:129], v[130:131] op_sel:[1,1] op_sel_hi:[0,1]
	v_pk_fma_f32 v[134:135], v[128:129], v[130:131], v[132:133] op_sel_hi:[1,0,1]
	v_pk_fma_f32 v[128:129], v[128:129], v[130:131], v[132:133] neg_lo:[0,0,1] neg_hi:[0,0,1]
	s_delay_alu instid0(VALU_DEP_2)
	v_mov_b32_e32 v129, v135
	scratch_store_b64 off, v[128:129], off offset:32
.LBB61_575:
	s_wait_xcnt 0x0
	s_or_b32 exec_lo, exec_lo, s2
	scratch_load_b64 v[128:129], off, off offset:24
	v_cmp_lt_u32_e64 s2, 3, v0
	s_wait_loadcnt 0x0
	ds_store_b64 v1, v[128:129]
	s_wait_storecnt_dscnt 0x0
	s_barrier_signal -1
	s_barrier_wait -1
	s_wait_xcnt 0x0
	s_and_saveexec_b32 s1, s2
	s_cbranch_execz .LBB61_585
; %bb.576:
	s_and_not1_b32 vcc_lo, exec_lo, s3
	s_cbranch_vccnz .LBB61_578
; %bb.577:
	scratch_load_b64 v[128:129], v51, off
	ds_load_b64 v[130:131], v1
	s_wait_loadcnt_dscnt 0x0
	v_pk_mul_f32 v[132:133], v[130:131], v[128:129] op_sel:[1,1] op_sel_hi:[0,1]
	s_delay_alu instid0(VALU_DEP_1) | instskip(SKIP_1) | instid1(VALU_DEP_2)
	v_pk_fma_f32 v[134:135], v[130:131], v[128:129], v[132:133] op_sel_hi:[1,0,1]
	v_pk_fma_f32 v[128:129], v[130:131], v[128:129], v[132:133] neg_lo:[0,0,1] neg_hi:[0,0,1]
	v_mov_b32_e32 v129, v135
	s_cbranch_execz .LBB61_579
	s_branch .LBB61_580
.LBB61_578:
                                        ; implicit-def: $vgpr128_vgpr129
.LBB61_579:
	ds_load_b64 v[128:129], v1
.LBB61_580:
	s_and_saveexec_b32 s8, s0
	s_cbranch_execz .LBB61_584
; %bb.581:
	v_add_nc_u32_e32 v130, -4, v0
	s_movk_i32 s9, 0x210
	s_mov_b32 s0, 0
.LBB61_582:                             ; =>This Inner Loop Header: Depth=1
	scratch_load_b64 v[132:133], off, s5
	v_dual_mov_b32 v131, s9 :: v_dual_add_nc_u32 v130, -1, v130
	s_add_co_i32 s9, s9, 8
	s_wait_xcnt 0x0
	s_add_co_i32 s5, s5, 8
	ds_load_b64 v[134:135], v131
	v_cmp_eq_u32_e32 vcc_lo, 0, v130
	s_or_b32 s0, vcc_lo, s0
	s_wait_loadcnt_dscnt 0x0
	v_pk_mul_f32 v[136:137], v[134:135], v[132:133] op_sel:[1,1] op_sel_hi:[0,1]
	s_delay_alu instid0(VALU_DEP_1) | instskip(SKIP_1) | instid1(VALU_DEP_2)
	v_pk_fma_f32 v[138:139], v[134:135], v[132:133], v[136:137] op_sel_hi:[1,0,1]
	v_pk_fma_f32 v[132:133], v[134:135], v[132:133], v[136:137] neg_lo:[0,0,1] neg_hi:[0,0,1]
	v_mov_b32_e32 v133, v139
	s_delay_alu instid0(VALU_DEP_1)
	v_pk_add_f32 v[128:129], v[128:129], v[132:133]
	s_and_not1_b32 exec_lo, exec_lo, s0
	s_cbranch_execnz .LBB61_582
; %bb.583:
	s_or_b32 exec_lo, exec_lo, s0
.LBB61_584:
	s_delay_alu instid0(SALU_CYCLE_1) | instskip(SKIP_4) | instid1(VALU_DEP_1)
	s_or_b32 exec_lo, exec_lo, s8
	v_mov_b32_e32 v130, 0
	ds_load_b64 v[130:131], v130 offset:24
	s_wait_dscnt 0x0
	v_pk_mul_f32 v[132:133], v[128:129], v[130:131] op_sel:[1,1] op_sel_hi:[0,1]
	v_pk_fma_f32 v[134:135], v[128:129], v[130:131], v[132:133] op_sel_hi:[1,0,1]
	v_pk_fma_f32 v[128:129], v[128:129], v[130:131], v[132:133] neg_lo:[0,0,1] neg_hi:[0,0,1]
	s_delay_alu instid0(VALU_DEP_2)
	v_mov_b32_e32 v129, v135
	scratch_store_b64 off, v[128:129], off offset:24
.LBB61_585:
	s_wait_xcnt 0x0
	s_or_b32 exec_lo, exec_lo, s1
	scratch_load_b64 v[128:129], off, off offset:16
	v_cmp_lt_u32_e64 s1, 2, v0
	s_wait_loadcnt 0x0
	ds_store_b64 v1, v[128:129]
	s_wait_storecnt_dscnt 0x0
	s_barrier_signal -1
	s_barrier_wait -1
	s_wait_xcnt 0x0
	s_and_saveexec_b32 s0, s1
	s_cbranch_execz .LBB61_595
; %bb.586:
	s_and_not1_b32 vcc_lo, exec_lo, s3
	s_cbranch_vccnz .LBB61_588
; %bb.587:
	scratch_load_b64 v[128:129], v51, off
	ds_load_b64 v[130:131], v1
	s_wait_loadcnt_dscnt 0x0
	v_pk_mul_f32 v[132:133], v[130:131], v[128:129] op_sel:[1,1] op_sel_hi:[0,1]
	s_delay_alu instid0(VALU_DEP_1) | instskip(SKIP_1) | instid1(VALU_DEP_2)
	v_pk_fma_f32 v[134:135], v[130:131], v[128:129], v[132:133] op_sel_hi:[1,0,1]
	v_pk_fma_f32 v[128:129], v[130:131], v[128:129], v[132:133] neg_lo:[0,0,1] neg_hi:[0,0,1]
	v_mov_b32_e32 v129, v135
	s_cbranch_execz .LBB61_589
	s_branch .LBB61_590
.LBB61_588:
                                        ; implicit-def: $vgpr128_vgpr129
.LBB61_589:
	ds_load_b64 v[128:129], v1
.LBB61_590:
	s_and_saveexec_b32 s5, s2
	s_cbranch_execz .LBB61_594
; %bb.591:
	v_add_nc_u32_e32 v130, -3, v0
	s_mov_b32 s2, 24
	s_movk_i32 s9, 0x208
	s_mov_b32 s8, 0
.LBB61_592:                             ; =>This Inner Loop Header: Depth=1
	scratch_load_b64 v[132:133], off, s2
	v_dual_mov_b32 v131, s9 :: v_dual_add_nc_u32 v130, -1, v130
	s_add_co_i32 s9, s9, 8
	s_wait_xcnt 0x0
	s_add_co_i32 s2, s2, 8
	ds_load_b64 v[134:135], v131
	v_cmp_eq_u32_e32 vcc_lo, 0, v130
	s_or_b32 s8, vcc_lo, s8
	s_wait_loadcnt_dscnt 0x0
	v_pk_mul_f32 v[136:137], v[134:135], v[132:133] op_sel:[1,1] op_sel_hi:[0,1]
	s_delay_alu instid0(VALU_DEP_1) | instskip(SKIP_1) | instid1(VALU_DEP_2)
	v_pk_fma_f32 v[138:139], v[134:135], v[132:133], v[136:137] op_sel_hi:[1,0,1]
	v_pk_fma_f32 v[132:133], v[134:135], v[132:133], v[136:137] neg_lo:[0,0,1] neg_hi:[0,0,1]
	v_mov_b32_e32 v133, v139
	s_delay_alu instid0(VALU_DEP_1)
	v_pk_add_f32 v[128:129], v[128:129], v[132:133]
	s_and_not1_b32 exec_lo, exec_lo, s8
	s_cbranch_execnz .LBB61_592
; %bb.593:
	s_or_b32 exec_lo, exec_lo, s8
.LBB61_594:
	s_delay_alu instid0(SALU_CYCLE_1) | instskip(SKIP_4) | instid1(VALU_DEP_1)
	s_or_b32 exec_lo, exec_lo, s5
	v_mov_b32_e32 v130, 0
	ds_load_b64 v[130:131], v130 offset:16
	s_wait_dscnt 0x0
	v_pk_mul_f32 v[132:133], v[128:129], v[130:131] op_sel:[1,1] op_sel_hi:[0,1]
	v_pk_fma_f32 v[134:135], v[128:129], v[130:131], v[132:133] op_sel_hi:[1,0,1]
	v_pk_fma_f32 v[128:129], v[128:129], v[130:131], v[132:133] neg_lo:[0,0,1] neg_hi:[0,0,1]
	s_delay_alu instid0(VALU_DEP_2)
	v_mov_b32_e32 v129, v135
	scratch_store_b64 off, v[128:129], off offset:16
.LBB61_595:
	s_wait_xcnt 0x0
	s_or_b32 exec_lo, exec_lo, s0
	scratch_load_b64 v[128:129], off, off offset:8
	v_cmp_lt_u32_e64 s0, 1, v0
	s_wait_loadcnt 0x0
	ds_store_b64 v1, v[128:129]
	s_wait_storecnt_dscnt 0x0
	s_barrier_signal -1
	s_barrier_wait -1
	s_wait_xcnt 0x0
	s_and_saveexec_b32 s2, s0
	s_cbranch_execz .LBB61_605
; %bb.596:
	s_and_not1_b32 vcc_lo, exec_lo, s3
	s_cbranch_vccnz .LBB61_598
; %bb.597:
	scratch_load_b64 v[128:129], v51, off
	ds_load_b64 v[130:131], v1
	s_wait_loadcnt_dscnt 0x0
	v_pk_mul_f32 v[132:133], v[130:131], v[128:129] op_sel:[1,1] op_sel_hi:[0,1]
	s_delay_alu instid0(VALU_DEP_1) | instskip(SKIP_1) | instid1(VALU_DEP_2)
	v_pk_fma_f32 v[134:135], v[130:131], v[128:129], v[132:133] op_sel_hi:[1,0,1]
	v_pk_fma_f32 v[128:129], v[130:131], v[128:129], v[132:133] neg_lo:[0,0,1] neg_hi:[0,0,1]
	v_mov_b32_e32 v129, v135
	s_cbranch_execz .LBB61_599
	s_branch .LBB61_600
.LBB61_598:
                                        ; implicit-def: $vgpr128_vgpr129
.LBB61_599:
	ds_load_b64 v[128:129], v1
.LBB61_600:
	s_and_saveexec_b32 s5, s1
	s_cbranch_execz .LBB61_604
; %bb.601:
	v_add_nc_u32_e32 v130, -2, v0
	s_movk_i32 s8, 0x200
	s_mov_b32 s1, 0
.LBB61_602:                             ; =>This Inner Loop Header: Depth=1
	scratch_load_b64 v[132:133], off, s4
	v_dual_mov_b32 v131, s8 :: v_dual_add_nc_u32 v130, -1, v130
	s_add_co_i32 s8, s8, 8
	s_wait_xcnt 0x0
	s_add_co_i32 s4, s4, 8
	ds_load_b64 v[134:135], v131
	v_cmp_eq_u32_e32 vcc_lo, 0, v130
	s_or_b32 s1, vcc_lo, s1
	s_wait_loadcnt_dscnt 0x0
	v_pk_mul_f32 v[136:137], v[134:135], v[132:133] op_sel:[1,1] op_sel_hi:[0,1]
	s_delay_alu instid0(VALU_DEP_1) | instskip(SKIP_1) | instid1(VALU_DEP_2)
	v_pk_fma_f32 v[138:139], v[134:135], v[132:133], v[136:137] op_sel_hi:[1,0,1]
	v_pk_fma_f32 v[132:133], v[134:135], v[132:133], v[136:137] neg_lo:[0,0,1] neg_hi:[0,0,1]
	v_mov_b32_e32 v133, v139
	s_delay_alu instid0(VALU_DEP_1)
	v_pk_add_f32 v[128:129], v[128:129], v[132:133]
	s_and_not1_b32 exec_lo, exec_lo, s1
	s_cbranch_execnz .LBB61_602
; %bb.603:
	s_or_b32 exec_lo, exec_lo, s1
.LBB61_604:
	s_delay_alu instid0(SALU_CYCLE_1) | instskip(SKIP_4) | instid1(VALU_DEP_1)
	s_or_b32 exec_lo, exec_lo, s5
	v_mov_b32_e32 v130, 0
	ds_load_b64 v[130:131], v130 offset:8
	s_wait_dscnt 0x0
	v_pk_mul_f32 v[132:133], v[128:129], v[130:131] op_sel:[1,1] op_sel_hi:[0,1]
	v_pk_fma_f32 v[134:135], v[128:129], v[130:131], v[132:133] op_sel_hi:[1,0,1]
	v_pk_fma_f32 v[128:129], v[128:129], v[130:131], v[132:133] neg_lo:[0,0,1] neg_hi:[0,0,1]
	s_delay_alu instid0(VALU_DEP_2)
	v_mov_b32_e32 v129, v135
	scratch_store_b64 off, v[128:129], off offset:8
.LBB61_605:
	s_wait_xcnt 0x0
	s_or_b32 exec_lo, exec_lo, s2
	scratch_load_b64 v[128:129], off, off
	s_mov_b32 s2, 0
	s_mov_b32 s1, 0
	s_mov_b32 s5, exec_lo
                                        ; implicit-def: $vgpr180
                                        ; implicit-def: $sgpr4
	s_wait_loadcnt 0x0
	ds_store_b64 v1, v[128:129]
	s_wait_storecnt_dscnt 0x0
	s_barrier_signal -1
	s_barrier_wait -1
	s_wait_xcnt 0x0
	v_cmpx_ne_u32_e32 0, v0
	s_cbranch_execz .LBB61_615
; %bb.606:
	s_and_not1_b32 vcc_lo, exec_lo, s3
	s_cbranch_vccnz .LBB61_608
; %bb.607:
	scratch_load_b64 v[130:131], v51, off
	ds_load_b64 v[132:133], v1
	s_wait_loadcnt_dscnt 0x0
	v_dual_mul_f32 v128, v133, v131 :: v_dual_mul_f32 v129, v132, v131
	s_delay_alu instid0(VALU_DEP_1)
	v_dual_fma_f32 v128, v132, v130, -v128 :: v_dual_fmac_f32 v129, v133, v130
	s_and_not1_b32 vcc_lo, exec_lo, s1
	s_cbranch_vccz .LBB61_609
	s_branch .LBB61_610
.LBB61_608:
                                        ; implicit-def: $vgpr128
.LBB61_609:
	ds_load_b64 v[128:129], v1
.LBB61_610:
	s_and_saveexec_b32 s1, s0
	s_cbranch_execz .LBB61_614
; %bb.611:
	v_add_nc_u32_e32 v130, -1, v0
	s_or_b32 s0, 0, 8
	s_movk_i32 s8, 0x1f8
	s_mov_b32 s4, 0
.LBB61_612:                             ; =>This Inner Loop Header: Depth=1
	scratch_load_b64 v[132:133], off, s0
	v_mov_b32_e32 v131, s8
	s_add_co_i32 s8, s8, 8
	s_wait_xcnt 0x0
	s_add_co_i32 s0, s0, 8
	v_add_nc_u32_e32 v130, -1, v130
	ds_load_b64 v[134:135], v131
	v_cmp_eq_u32_e32 vcc_lo, 0, v130
	s_or_b32 s4, vcc_lo, s4
	s_wait_loadcnt_dscnt 0x0
	v_dual_mul_f32 v131, v135, v133 :: v_dual_mul_f32 v133, v134, v133
	s_delay_alu instid0(VALU_DEP_1) | instskip(NEXT) | instid1(VALU_DEP_1)
	v_dual_fma_f32 v131, v134, v132, -v131 :: v_dual_fmac_f32 v133, v135, v132
	v_dual_add_f32 v128, v128, v131 :: v_dual_add_f32 v129, v129, v133
	s_and_not1_b32 exec_lo, exec_lo, s4
	s_cbranch_execnz .LBB61_612
; %bb.613:
	s_or_b32 exec_lo, exec_lo, s4
.LBB61_614:
	s_delay_alu instid0(SALU_CYCLE_1)
	s_or_b32 exec_lo, exec_lo, s1
	v_mov_b32_e32 v130, 0
	s_mov_b32 s1, exec_lo
	s_or_b32 s4, 0, 4
	ds_load_b64 v[130:131], v130
	s_wait_dscnt 0x0
	v_dual_mul_f32 v132, v129, v131 :: v_dual_mul_f32 v180, v128, v131
	s_delay_alu instid0(VALU_DEP_1) | instskip(NEXT) | instid1(VALU_DEP_2)
	v_fma_f32 v128, v128, v130, -v132
	v_fmac_f32_e32 v180, v129, v130
	scratch_store_b32 off, v128, off
.LBB61_615:
	s_wait_xcnt 0x0
	s_or_b32 exec_lo, exec_lo, s5
	s_delay_alu instid0(SALU_CYCLE_1)
	s_and_b32 vcc_lo, exec_lo, s2
	s_cbranch_vccz .LBB61_1221
.LBB61_616:
	scratch_load_b64 v[128:129], off, off offset:8
	v_cmp_eq_u32_e64 s0, 0, v0
	s_wait_loadcnt 0x0
	ds_store_b64 v1, v[128:129]
	s_wait_storecnt_dscnt 0x0
	s_barrier_signal -1
	s_barrier_wait -1
	s_wait_xcnt 0x0
	s_and_saveexec_b32 s2, s0
	s_cbranch_execz .LBB61_622
; %bb.617:
	s_and_b32 vcc_lo, exec_lo, s3
	s_cbranch_vccz .LBB61_619
; %bb.618:
	scratch_load_b64 v[128:129], v51, off
	ds_load_b64 v[130:131], v1
	s_wait_loadcnt_dscnt 0x0
	v_pk_mul_f32 v[132:133], v[130:131], v[128:129] op_sel:[1,1] op_sel_hi:[0,1]
	v_pk_mul_f32 v[134:135], v[130:131], v[128:129] op_sel_hi:[1,0]
	s_delay_alu instid0(VALU_DEP_2) | instskip(NEXT) | instid1(VALU_DEP_2)
	v_pk_fma_f32 v[128:129], v[130:131], v[128:129], v[132:133] op_sel_hi:[1,0,1]
	v_sub_f32_e32 v128, v134, v132
	s_cbranch_execz .LBB61_620
	s_branch .LBB61_621
.LBB61_619:
                                        ; implicit-def: $vgpr129
.LBB61_620:
	ds_load_b64 v[128:129], v1
.LBB61_621:
	s_wait_dscnt 0x0
	v_dual_mov_b32 v130, 0 :: v_dual_mov_b32 v132, v129
	v_mov_b32_e32 v133, v128
	ds_load_b64 v[130:131], v130 offset:8
	s_wait_dscnt 0x0
	v_pk_mul_f32 v[132:133], v[132:133], v[130:131] op_sel:[0,1]
	s_delay_alu instid0(VALU_DEP_1) | instskip(SKIP_1) | instid1(VALU_DEP_2)
	v_pk_fma_f32 v[134:135], v[128:129], v[130:131], v[132:133] op_sel_hi:[1,0,1]
	v_pk_fma_f32 v[128:129], v[128:129], v[130:131], v[132:133] neg_lo:[0,0,1] neg_hi:[0,0,1]
	v_mov_b32_e32 v129, v135
	scratch_store_b64 off, v[128:129], off offset:8
.LBB61_622:
	s_wait_xcnt 0x0
	s_or_b32 exec_lo, exec_lo, s2
	scratch_load_b64 v[128:129], off, off offset:16
	v_cndmask_b32_e64 v130, 0, 1, s3
	s_mov_b32 s2, exec_lo
	s_wait_loadcnt 0x0
	ds_store_b64 v1, v[128:129]
	s_wait_storecnt_dscnt 0x0
	s_barrier_signal -1
	s_barrier_wait -1
	s_wait_xcnt 0x0
	v_cmpx_gt_u32_e32 2, v0
	s_cbranch_execz .LBB61_630
; %bb.623:
	s_and_not1_b32 vcc_lo, exec_lo, s3
	s_cbranch_vccnz .LBB61_625
; %bb.624:
	scratch_load_b64 v[128:129], v51, off
	ds_load_b64 v[132:133], v1
	s_wait_loadcnt_dscnt 0x0
	v_pk_mul_f32 v[134:135], v[132:133], v[128:129] op_sel:[1,1] op_sel_hi:[0,1]
	s_delay_alu instid0(VALU_DEP_1) | instskip(SKIP_1) | instid1(VALU_DEP_2)
	v_pk_fma_f32 v[136:137], v[132:133], v[128:129], v[134:135] op_sel_hi:[1,0,1]
	v_pk_fma_f32 v[128:129], v[132:133], v[128:129], v[134:135] neg_lo:[0,0,1] neg_hi:[0,0,1]
	v_mov_b32_e32 v129, v137
	s_cbranch_execz .LBB61_626
	s_branch .LBB61_627
.LBB61_625:
                                        ; implicit-def: $vgpr128_vgpr129
.LBB61_626:
	ds_load_b64 v[128:129], v1
.LBB61_627:
	s_and_saveexec_b32 s3, s0
	s_cbranch_execz .LBB61_629
; %bb.628:
	scratch_load_b64 v[132:133], off, off offset:8
	v_mov_b32_e32 v131, 0
	ds_load_b64 v[134:135], v131 offset:504
	s_wait_loadcnt_dscnt 0x0
	v_pk_mul_f32 v[136:137], v[134:135], v[132:133] op_sel:[1,1] op_sel_hi:[0,1]
	s_delay_alu instid0(VALU_DEP_1) | instskip(SKIP_1) | instid1(VALU_DEP_2)
	v_pk_fma_f32 v[138:139], v[134:135], v[132:133], v[136:137] op_sel_hi:[1,0,1]
	v_pk_fma_f32 v[132:133], v[134:135], v[132:133], v[136:137] neg_lo:[0,0,1] neg_hi:[0,0,1]
	v_mov_b32_e32 v133, v139
	s_delay_alu instid0(VALU_DEP_1)
	v_pk_add_f32 v[128:129], v[128:129], v[132:133]
.LBB61_629:
	s_or_b32 exec_lo, exec_lo, s3
	v_mov_b32_e32 v131, 0
	ds_load_b64 v[132:133], v131 offset:16
	s_wait_dscnt 0x0
	v_pk_mul_f32 v[134:135], v[128:129], v[132:133] op_sel:[1,1] op_sel_hi:[0,1]
	s_delay_alu instid0(VALU_DEP_1) | instskip(SKIP_1) | instid1(VALU_DEP_2)
	v_pk_fma_f32 v[136:137], v[128:129], v[132:133], v[134:135] op_sel_hi:[1,0,1]
	v_pk_fma_f32 v[128:129], v[128:129], v[132:133], v[134:135] neg_lo:[0,0,1] neg_hi:[0,0,1]
	v_mov_b32_e32 v129, v137
	scratch_store_b64 off, v[128:129], off offset:16
.LBB61_630:
	s_wait_xcnt 0x0
	s_or_b32 exec_lo, exec_lo, s2
	scratch_load_b64 v[128:129], off, off offset:24
	s_mov_b32 s2, exec_lo
	s_wait_loadcnt 0x0
	ds_store_b64 v1, v[128:129]
	s_wait_storecnt_dscnt 0x0
	s_barrier_signal -1
	s_barrier_wait -1
	s_wait_xcnt 0x0
	v_cmpx_gt_u32_e32 3, v0
	s_cbranch_execz .LBB61_640
; %bb.631:
	v_cmp_ne_u32_e32 vcc_lo, 1, v130
	s_cbranch_vccnz .LBB61_633
; %bb.632:
	scratch_load_b64 v[128:129], v51, off
	ds_load_b64 v[132:133], v1
	s_wait_loadcnt_dscnt 0x0
	v_pk_mul_f32 v[134:135], v[132:133], v[128:129] op_sel:[1,1] op_sel_hi:[0,1]
	s_delay_alu instid0(VALU_DEP_1) | instskip(SKIP_1) | instid1(VALU_DEP_2)
	v_pk_fma_f32 v[136:137], v[132:133], v[128:129], v[134:135] op_sel_hi:[1,0,1]
	v_pk_fma_f32 v[128:129], v[132:133], v[128:129], v[134:135] neg_lo:[0,0,1] neg_hi:[0,0,1]
	v_mov_b32_e32 v129, v137
	s_cbranch_execz .LBB61_634
	s_branch .LBB61_635
.LBB61_633:
                                        ; implicit-def: $vgpr128_vgpr129
.LBB61_634:
	ds_load_b64 v[128:129], v1
.LBB61_635:
	s_mov_b32 s3, exec_lo
	v_cmpx_ne_u32_e32 2, v0
	s_cbranch_execz .LBB61_639
; %bb.636:
	scratch_load_b64 v[132:133], v51, off offset:8
	ds_load_b64 v[134:135], v1 offset:8
	s_wait_loadcnt_dscnt 0x0
	v_pk_mul_f32 v[136:137], v[134:135], v[132:133] op_sel:[1,1] op_sel_hi:[0,1]
	s_delay_alu instid0(VALU_DEP_1) | instskip(SKIP_1) | instid1(VALU_DEP_2)
	v_pk_fma_f32 v[138:139], v[134:135], v[132:133], v[136:137] op_sel_hi:[1,0,1]
	v_pk_fma_f32 v[132:133], v[134:135], v[132:133], v[136:137] neg_lo:[0,0,1] neg_hi:[0,0,1]
	v_mov_b32_e32 v133, v139
	s_delay_alu instid0(VALU_DEP_1)
	v_pk_add_f32 v[128:129], v[128:129], v[132:133]
	s_and_saveexec_b32 s4, s0
	s_cbranch_execz .LBB61_638
; %bb.637:
	scratch_load_b64 v[132:133], off, off offset:16
	v_mov_b32_e32 v131, 0
	ds_load_b64 v[134:135], v131 offset:512
	s_wait_loadcnt_dscnt 0x0
	v_pk_mul_f32 v[136:137], v[134:135], v[132:133] op_sel:[1,1] op_sel_hi:[0,1]
	s_delay_alu instid0(VALU_DEP_1) | instskip(SKIP_1) | instid1(VALU_DEP_2)
	v_pk_fma_f32 v[138:139], v[134:135], v[132:133], v[136:137] op_sel_hi:[1,0,1]
	v_pk_fma_f32 v[132:133], v[134:135], v[132:133], v[136:137] neg_lo:[0,0,1] neg_hi:[0,0,1]
	v_mov_b32_e32 v133, v139
	s_delay_alu instid0(VALU_DEP_1)
	v_pk_add_f32 v[128:129], v[128:129], v[132:133]
.LBB61_638:
	s_or_b32 exec_lo, exec_lo, s4
.LBB61_639:
	s_delay_alu instid0(SALU_CYCLE_1) | instskip(SKIP_4) | instid1(VALU_DEP_1)
	s_or_b32 exec_lo, exec_lo, s3
	v_mov_b32_e32 v131, 0
	ds_load_b64 v[132:133], v131 offset:24
	s_wait_dscnt 0x0
	v_pk_mul_f32 v[134:135], v[128:129], v[132:133] op_sel:[1,1] op_sel_hi:[0,1]
	v_pk_fma_f32 v[136:137], v[128:129], v[132:133], v[134:135] op_sel_hi:[1,0,1]
	v_pk_fma_f32 v[128:129], v[128:129], v[132:133], v[134:135] neg_lo:[0,0,1] neg_hi:[0,0,1]
	s_delay_alu instid0(VALU_DEP_2)
	v_mov_b32_e32 v129, v137
	scratch_store_b64 off, v[128:129], off offset:24
.LBB61_640:
	s_wait_xcnt 0x0
	s_or_b32 exec_lo, exec_lo, s2
	scratch_load_b64 v[128:129], off, off offset:32
	s_mov_b32 s0, exec_lo
	s_wait_loadcnt 0x0
	ds_store_b64 v1, v[128:129]
	s_wait_storecnt_dscnt 0x0
	s_barrier_signal -1
	s_barrier_wait -1
	s_wait_xcnt 0x0
	v_cmpx_gt_u32_e32 4, v0
	s_cbranch_execz .LBB61_650
; %bb.641:
	v_cmp_ne_u32_e32 vcc_lo, 1, v130
	s_cbranch_vccnz .LBB61_643
; %bb.642:
	scratch_load_b64 v[128:129], v51, off
	ds_load_b64 v[132:133], v1
	s_wait_loadcnt_dscnt 0x0
	v_pk_mul_f32 v[134:135], v[132:133], v[128:129] op_sel:[1,1] op_sel_hi:[0,1]
	s_delay_alu instid0(VALU_DEP_1) | instskip(SKIP_1) | instid1(VALU_DEP_2)
	v_pk_fma_f32 v[136:137], v[132:133], v[128:129], v[134:135] op_sel_hi:[1,0,1]
	v_pk_fma_f32 v[128:129], v[132:133], v[128:129], v[134:135] neg_lo:[0,0,1] neg_hi:[0,0,1]
	v_mov_b32_e32 v129, v137
	s_cbranch_execz .LBB61_644
	s_branch .LBB61_645
.LBB61_643:
                                        ; implicit-def: $vgpr128_vgpr129
.LBB61_644:
	ds_load_b64 v[128:129], v1
.LBB61_645:
	s_mov_b32 s2, exec_lo
	v_cmpx_ne_u32_e32 3, v0
	s_cbranch_execz .LBB61_649
; %bb.646:
	v_add_nc_u32_e32 v131, 0x1f8, v50
	v_add3_u32 v132, 0, v50, 8
	v_mov_b32_e32 v133, v0
	s_mov_b32 s3, 0
.LBB61_647:                             ; =>This Inner Loop Header: Depth=1
	scratch_load_b64 v[134:135], v132, off
	ds_load_b64 v[136:137], v131
	s_wait_xcnt 0x0
	v_dual_add_nc_u32 v131, 8, v131 :: v_dual_add_nc_u32 v132, 8, v132
	s_wait_loadcnt_dscnt 0x0
	v_pk_mul_f32 v[138:139], v[136:137], v[134:135] op_sel:[1,1] op_sel_hi:[0,1]
	s_delay_alu instid0(VALU_DEP_1) | instskip(SKIP_2) | instid1(VALU_DEP_3)
	v_pk_fma_f32 v[140:141], v[136:137], v[134:135], v[138:139] op_sel_hi:[1,0,1]
	v_add_nc_u32_e32 v133, 1, v133
	v_pk_fma_f32 v[134:135], v[136:137], v[134:135], v[138:139] neg_lo:[0,0,1] neg_hi:[0,0,1]
	v_mov_b32_e32 v135, v141
	s_delay_alu instid0(VALU_DEP_3) | instskip(NEXT) | instid1(VALU_DEP_2)
	v_cmp_lt_u32_e32 vcc_lo, 2, v133
	v_pk_add_f32 v[128:129], v[128:129], v[134:135]
	s_or_b32 s3, vcc_lo, s3
	s_delay_alu instid0(SALU_CYCLE_1)
	s_and_not1_b32 exec_lo, exec_lo, s3
	s_cbranch_execnz .LBB61_647
; %bb.648:
	s_or_b32 exec_lo, exec_lo, s3
.LBB61_649:
	s_delay_alu instid0(SALU_CYCLE_1) | instskip(SKIP_4) | instid1(VALU_DEP_1)
	s_or_b32 exec_lo, exec_lo, s2
	v_mov_b32_e32 v131, 0
	ds_load_b64 v[132:133], v131 offset:32
	s_wait_dscnt 0x0
	v_pk_mul_f32 v[134:135], v[128:129], v[132:133] op_sel:[1,1] op_sel_hi:[0,1]
	v_pk_fma_f32 v[136:137], v[128:129], v[132:133], v[134:135] op_sel_hi:[1,0,1]
	v_pk_fma_f32 v[128:129], v[128:129], v[132:133], v[134:135] neg_lo:[0,0,1] neg_hi:[0,0,1]
	s_delay_alu instid0(VALU_DEP_2)
	v_mov_b32_e32 v129, v137
	scratch_store_b64 off, v[128:129], off offset:32
.LBB61_650:
	s_wait_xcnt 0x0
	s_or_b32 exec_lo, exec_lo, s0
	scratch_load_b64 v[128:129], off, off offset:40
	s_mov_b32 s0, exec_lo
	s_wait_loadcnt 0x0
	ds_store_b64 v1, v[128:129]
	s_wait_storecnt_dscnt 0x0
	s_barrier_signal -1
	s_barrier_wait -1
	s_wait_xcnt 0x0
	v_cmpx_gt_u32_e32 5, v0
	s_cbranch_execz .LBB61_660
; %bb.651:
	v_cmp_ne_u32_e32 vcc_lo, 1, v130
	s_cbranch_vccnz .LBB61_653
; %bb.652:
	scratch_load_b64 v[128:129], v51, off
	ds_load_b64 v[132:133], v1
	s_wait_loadcnt_dscnt 0x0
	v_pk_mul_f32 v[134:135], v[132:133], v[128:129] op_sel:[1,1] op_sel_hi:[0,1]
	s_delay_alu instid0(VALU_DEP_1) | instskip(SKIP_1) | instid1(VALU_DEP_2)
	v_pk_fma_f32 v[136:137], v[132:133], v[128:129], v[134:135] op_sel_hi:[1,0,1]
	v_pk_fma_f32 v[128:129], v[132:133], v[128:129], v[134:135] neg_lo:[0,0,1] neg_hi:[0,0,1]
	v_mov_b32_e32 v129, v137
	s_cbranch_execz .LBB61_654
	s_branch .LBB61_655
.LBB61_653:
                                        ; implicit-def: $vgpr128_vgpr129
.LBB61_654:
	ds_load_b64 v[128:129], v1
.LBB61_655:
	s_mov_b32 s2, exec_lo
	v_cmpx_ne_u32_e32 4, v0
	s_cbranch_execz .LBB61_659
; %bb.656:
	v_add_nc_u32_e32 v131, 0x1f8, v50
	v_add3_u32 v132, 0, v50, 8
	v_mov_b32_e32 v133, v0
	s_mov_b32 s3, 0
.LBB61_657:                             ; =>This Inner Loop Header: Depth=1
	scratch_load_b64 v[134:135], v132, off
	ds_load_b64 v[136:137], v131
	s_wait_xcnt 0x0
	v_dual_add_nc_u32 v131, 8, v131 :: v_dual_add_nc_u32 v132, 8, v132
	s_wait_loadcnt_dscnt 0x0
	v_pk_mul_f32 v[138:139], v[136:137], v[134:135] op_sel:[1,1] op_sel_hi:[0,1]
	s_delay_alu instid0(VALU_DEP_1) | instskip(SKIP_2) | instid1(VALU_DEP_3)
	v_pk_fma_f32 v[140:141], v[136:137], v[134:135], v[138:139] op_sel_hi:[1,0,1]
	v_add_nc_u32_e32 v133, 1, v133
	v_pk_fma_f32 v[134:135], v[136:137], v[134:135], v[138:139] neg_lo:[0,0,1] neg_hi:[0,0,1]
	v_mov_b32_e32 v135, v141
	s_delay_alu instid0(VALU_DEP_3) | instskip(NEXT) | instid1(VALU_DEP_2)
	v_cmp_lt_u32_e32 vcc_lo, 3, v133
	v_pk_add_f32 v[128:129], v[128:129], v[134:135]
	s_or_b32 s3, vcc_lo, s3
	s_delay_alu instid0(SALU_CYCLE_1)
	s_and_not1_b32 exec_lo, exec_lo, s3
	s_cbranch_execnz .LBB61_657
; %bb.658:
	s_or_b32 exec_lo, exec_lo, s3
.LBB61_659:
	s_delay_alu instid0(SALU_CYCLE_1) | instskip(SKIP_4) | instid1(VALU_DEP_1)
	s_or_b32 exec_lo, exec_lo, s2
	v_mov_b32_e32 v131, 0
	ds_load_b64 v[132:133], v131 offset:40
	s_wait_dscnt 0x0
	v_pk_mul_f32 v[134:135], v[128:129], v[132:133] op_sel:[1,1] op_sel_hi:[0,1]
	v_pk_fma_f32 v[136:137], v[128:129], v[132:133], v[134:135] op_sel_hi:[1,0,1]
	v_pk_fma_f32 v[128:129], v[128:129], v[132:133], v[134:135] neg_lo:[0,0,1] neg_hi:[0,0,1]
	s_delay_alu instid0(VALU_DEP_2)
	v_mov_b32_e32 v129, v137
	scratch_store_b64 off, v[128:129], off offset:40
.LBB61_660:
	s_wait_xcnt 0x0
	s_or_b32 exec_lo, exec_lo, s0
	scratch_load_b64 v[128:129], off, off offset:48
	s_mov_b32 s0, exec_lo
	s_wait_loadcnt 0x0
	ds_store_b64 v1, v[128:129]
	s_wait_storecnt_dscnt 0x0
	s_barrier_signal -1
	s_barrier_wait -1
	s_wait_xcnt 0x0
	v_cmpx_gt_u32_e32 6, v0
	s_cbranch_execz .LBB61_670
; %bb.661:
	v_cmp_ne_u32_e32 vcc_lo, 1, v130
	s_cbranch_vccnz .LBB61_663
; %bb.662:
	scratch_load_b64 v[128:129], v51, off
	ds_load_b64 v[132:133], v1
	s_wait_loadcnt_dscnt 0x0
	v_pk_mul_f32 v[134:135], v[132:133], v[128:129] op_sel:[1,1] op_sel_hi:[0,1]
	s_delay_alu instid0(VALU_DEP_1) | instskip(SKIP_1) | instid1(VALU_DEP_2)
	v_pk_fma_f32 v[136:137], v[132:133], v[128:129], v[134:135] op_sel_hi:[1,0,1]
	v_pk_fma_f32 v[128:129], v[132:133], v[128:129], v[134:135] neg_lo:[0,0,1] neg_hi:[0,0,1]
	v_mov_b32_e32 v129, v137
	s_cbranch_execz .LBB61_664
	s_branch .LBB61_665
.LBB61_663:
                                        ; implicit-def: $vgpr128_vgpr129
.LBB61_664:
	ds_load_b64 v[128:129], v1
.LBB61_665:
	s_mov_b32 s2, exec_lo
	v_cmpx_ne_u32_e32 5, v0
	s_cbranch_execz .LBB61_669
; %bb.666:
	v_add_nc_u32_e32 v131, 0x1f8, v50
	v_add3_u32 v132, 0, v50, 8
	v_mov_b32_e32 v133, v0
	s_mov_b32 s3, 0
.LBB61_667:                             ; =>This Inner Loop Header: Depth=1
	scratch_load_b64 v[134:135], v132, off
	ds_load_b64 v[136:137], v131
	s_wait_xcnt 0x0
	v_dual_add_nc_u32 v131, 8, v131 :: v_dual_add_nc_u32 v132, 8, v132
	s_wait_loadcnt_dscnt 0x0
	v_pk_mul_f32 v[138:139], v[136:137], v[134:135] op_sel:[1,1] op_sel_hi:[0,1]
	s_delay_alu instid0(VALU_DEP_1) | instskip(SKIP_2) | instid1(VALU_DEP_3)
	v_pk_fma_f32 v[140:141], v[136:137], v[134:135], v[138:139] op_sel_hi:[1,0,1]
	v_add_nc_u32_e32 v133, 1, v133
	v_pk_fma_f32 v[134:135], v[136:137], v[134:135], v[138:139] neg_lo:[0,0,1] neg_hi:[0,0,1]
	v_mov_b32_e32 v135, v141
	s_delay_alu instid0(VALU_DEP_3) | instskip(NEXT) | instid1(VALU_DEP_2)
	v_cmp_lt_u32_e32 vcc_lo, 4, v133
	v_pk_add_f32 v[128:129], v[128:129], v[134:135]
	s_or_b32 s3, vcc_lo, s3
	s_delay_alu instid0(SALU_CYCLE_1)
	s_and_not1_b32 exec_lo, exec_lo, s3
	s_cbranch_execnz .LBB61_667
; %bb.668:
	s_or_b32 exec_lo, exec_lo, s3
.LBB61_669:
	s_delay_alu instid0(SALU_CYCLE_1) | instskip(SKIP_4) | instid1(VALU_DEP_1)
	s_or_b32 exec_lo, exec_lo, s2
	v_mov_b32_e32 v131, 0
	ds_load_b64 v[132:133], v131 offset:48
	s_wait_dscnt 0x0
	v_pk_mul_f32 v[134:135], v[128:129], v[132:133] op_sel:[1,1] op_sel_hi:[0,1]
	v_pk_fma_f32 v[136:137], v[128:129], v[132:133], v[134:135] op_sel_hi:[1,0,1]
	v_pk_fma_f32 v[128:129], v[128:129], v[132:133], v[134:135] neg_lo:[0,0,1] neg_hi:[0,0,1]
	s_delay_alu instid0(VALU_DEP_2)
	v_mov_b32_e32 v129, v137
	scratch_store_b64 off, v[128:129], off offset:48
.LBB61_670:
	s_wait_xcnt 0x0
	s_or_b32 exec_lo, exec_lo, s0
	scratch_load_b64 v[128:129], off, off offset:56
	s_mov_b32 s0, exec_lo
	s_wait_loadcnt 0x0
	ds_store_b64 v1, v[128:129]
	s_wait_storecnt_dscnt 0x0
	s_barrier_signal -1
	s_barrier_wait -1
	s_wait_xcnt 0x0
	v_cmpx_gt_u32_e32 7, v0
	s_cbranch_execz .LBB61_680
; %bb.671:
	v_cmp_ne_u32_e32 vcc_lo, 1, v130
	s_cbranch_vccnz .LBB61_673
; %bb.672:
	scratch_load_b64 v[128:129], v51, off
	ds_load_b64 v[132:133], v1
	s_wait_loadcnt_dscnt 0x0
	v_pk_mul_f32 v[134:135], v[132:133], v[128:129] op_sel:[1,1] op_sel_hi:[0,1]
	s_delay_alu instid0(VALU_DEP_1) | instskip(SKIP_1) | instid1(VALU_DEP_2)
	v_pk_fma_f32 v[136:137], v[132:133], v[128:129], v[134:135] op_sel_hi:[1,0,1]
	v_pk_fma_f32 v[128:129], v[132:133], v[128:129], v[134:135] neg_lo:[0,0,1] neg_hi:[0,0,1]
	v_mov_b32_e32 v129, v137
	s_cbranch_execz .LBB61_674
	s_branch .LBB61_675
.LBB61_673:
                                        ; implicit-def: $vgpr128_vgpr129
.LBB61_674:
	ds_load_b64 v[128:129], v1
.LBB61_675:
	s_mov_b32 s2, exec_lo
	v_cmpx_ne_u32_e32 6, v0
	s_cbranch_execz .LBB61_679
; %bb.676:
	v_add_nc_u32_e32 v131, 0x1f8, v50
	v_add3_u32 v132, 0, v50, 8
	v_mov_b32_e32 v133, v0
	s_mov_b32 s3, 0
.LBB61_677:                             ; =>This Inner Loop Header: Depth=1
	scratch_load_b64 v[134:135], v132, off
	ds_load_b64 v[136:137], v131
	s_wait_xcnt 0x0
	v_dual_add_nc_u32 v131, 8, v131 :: v_dual_add_nc_u32 v132, 8, v132
	s_wait_loadcnt_dscnt 0x0
	v_pk_mul_f32 v[138:139], v[136:137], v[134:135] op_sel:[1,1] op_sel_hi:[0,1]
	s_delay_alu instid0(VALU_DEP_1) | instskip(SKIP_2) | instid1(VALU_DEP_3)
	v_pk_fma_f32 v[140:141], v[136:137], v[134:135], v[138:139] op_sel_hi:[1,0,1]
	v_add_nc_u32_e32 v133, 1, v133
	v_pk_fma_f32 v[134:135], v[136:137], v[134:135], v[138:139] neg_lo:[0,0,1] neg_hi:[0,0,1]
	v_mov_b32_e32 v135, v141
	s_delay_alu instid0(VALU_DEP_3) | instskip(NEXT) | instid1(VALU_DEP_2)
	v_cmp_lt_u32_e32 vcc_lo, 5, v133
	v_pk_add_f32 v[128:129], v[128:129], v[134:135]
	s_or_b32 s3, vcc_lo, s3
	s_delay_alu instid0(SALU_CYCLE_1)
	s_and_not1_b32 exec_lo, exec_lo, s3
	s_cbranch_execnz .LBB61_677
; %bb.678:
	s_or_b32 exec_lo, exec_lo, s3
.LBB61_679:
	s_delay_alu instid0(SALU_CYCLE_1) | instskip(SKIP_4) | instid1(VALU_DEP_1)
	s_or_b32 exec_lo, exec_lo, s2
	v_mov_b32_e32 v131, 0
	ds_load_b64 v[132:133], v131 offset:56
	s_wait_dscnt 0x0
	v_pk_mul_f32 v[134:135], v[128:129], v[132:133] op_sel:[1,1] op_sel_hi:[0,1]
	v_pk_fma_f32 v[136:137], v[128:129], v[132:133], v[134:135] op_sel_hi:[1,0,1]
	v_pk_fma_f32 v[128:129], v[128:129], v[132:133], v[134:135] neg_lo:[0,0,1] neg_hi:[0,0,1]
	s_delay_alu instid0(VALU_DEP_2)
	v_mov_b32_e32 v129, v137
	scratch_store_b64 off, v[128:129], off offset:56
.LBB61_680:
	s_wait_xcnt 0x0
	s_or_b32 exec_lo, exec_lo, s0
	scratch_load_b64 v[128:129], off, off offset:64
	s_mov_b32 s0, exec_lo
	s_wait_loadcnt 0x0
	ds_store_b64 v1, v[128:129]
	s_wait_storecnt_dscnt 0x0
	s_barrier_signal -1
	s_barrier_wait -1
	s_wait_xcnt 0x0
	v_cmpx_gt_u32_e32 8, v0
	s_cbranch_execz .LBB61_690
; %bb.681:
	v_cmp_ne_u32_e32 vcc_lo, 1, v130
	s_cbranch_vccnz .LBB61_683
; %bb.682:
	scratch_load_b64 v[128:129], v51, off
	ds_load_b64 v[132:133], v1
	s_wait_loadcnt_dscnt 0x0
	v_pk_mul_f32 v[134:135], v[132:133], v[128:129] op_sel:[1,1] op_sel_hi:[0,1]
	s_delay_alu instid0(VALU_DEP_1) | instskip(SKIP_1) | instid1(VALU_DEP_2)
	v_pk_fma_f32 v[136:137], v[132:133], v[128:129], v[134:135] op_sel_hi:[1,0,1]
	v_pk_fma_f32 v[128:129], v[132:133], v[128:129], v[134:135] neg_lo:[0,0,1] neg_hi:[0,0,1]
	v_mov_b32_e32 v129, v137
	s_cbranch_execz .LBB61_684
	s_branch .LBB61_685
.LBB61_683:
                                        ; implicit-def: $vgpr128_vgpr129
.LBB61_684:
	ds_load_b64 v[128:129], v1
.LBB61_685:
	s_mov_b32 s2, exec_lo
	v_cmpx_ne_u32_e32 7, v0
	s_cbranch_execz .LBB61_689
; %bb.686:
	v_add_nc_u32_e32 v131, 0x1f8, v50
	v_add3_u32 v132, 0, v50, 8
	v_mov_b32_e32 v133, v0
	s_mov_b32 s3, 0
.LBB61_687:                             ; =>This Inner Loop Header: Depth=1
	scratch_load_b64 v[134:135], v132, off
	ds_load_b64 v[136:137], v131
	s_wait_xcnt 0x0
	v_dual_add_nc_u32 v131, 8, v131 :: v_dual_add_nc_u32 v132, 8, v132
	s_wait_loadcnt_dscnt 0x0
	v_pk_mul_f32 v[138:139], v[136:137], v[134:135] op_sel:[1,1] op_sel_hi:[0,1]
	s_delay_alu instid0(VALU_DEP_1) | instskip(SKIP_2) | instid1(VALU_DEP_3)
	v_pk_fma_f32 v[140:141], v[136:137], v[134:135], v[138:139] op_sel_hi:[1,0,1]
	v_add_nc_u32_e32 v133, 1, v133
	v_pk_fma_f32 v[134:135], v[136:137], v[134:135], v[138:139] neg_lo:[0,0,1] neg_hi:[0,0,1]
	v_mov_b32_e32 v135, v141
	s_delay_alu instid0(VALU_DEP_3) | instskip(NEXT) | instid1(VALU_DEP_2)
	v_cmp_lt_u32_e32 vcc_lo, 6, v133
	v_pk_add_f32 v[128:129], v[128:129], v[134:135]
	s_or_b32 s3, vcc_lo, s3
	s_delay_alu instid0(SALU_CYCLE_1)
	s_and_not1_b32 exec_lo, exec_lo, s3
	s_cbranch_execnz .LBB61_687
; %bb.688:
	s_or_b32 exec_lo, exec_lo, s3
.LBB61_689:
	s_delay_alu instid0(SALU_CYCLE_1) | instskip(SKIP_4) | instid1(VALU_DEP_1)
	s_or_b32 exec_lo, exec_lo, s2
	v_mov_b32_e32 v131, 0
	ds_load_b64 v[132:133], v131 offset:64
	s_wait_dscnt 0x0
	v_pk_mul_f32 v[134:135], v[128:129], v[132:133] op_sel:[1,1] op_sel_hi:[0,1]
	v_pk_fma_f32 v[136:137], v[128:129], v[132:133], v[134:135] op_sel_hi:[1,0,1]
	v_pk_fma_f32 v[128:129], v[128:129], v[132:133], v[134:135] neg_lo:[0,0,1] neg_hi:[0,0,1]
	s_delay_alu instid0(VALU_DEP_2)
	v_mov_b32_e32 v129, v137
	scratch_store_b64 off, v[128:129], off offset:64
.LBB61_690:
	s_wait_xcnt 0x0
	s_or_b32 exec_lo, exec_lo, s0
	scratch_load_b64 v[128:129], off, off offset:72
	s_mov_b32 s0, exec_lo
	s_wait_loadcnt 0x0
	ds_store_b64 v1, v[128:129]
	s_wait_storecnt_dscnt 0x0
	s_barrier_signal -1
	s_barrier_wait -1
	s_wait_xcnt 0x0
	v_cmpx_gt_u32_e32 9, v0
	s_cbranch_execz .LBB61_700
; %bb.691:
	v_cmp_ne_u32_e32 vcc_lo, 1, v130
	s_cbranch_vccnz .LBB61_693
; %bb.692:
	scratch_load_b64 v[128:129], v51, off
	ds_load_b64 v[132:133], v1
	s_wait_loadcnt_dscnt 0x0
	v_pk_mul_f32 v[134:135], v[132:133], v[128:129] op_sel:[1,1] op_sel_hi:[0,1]
	s_delay_alu instid0(VALU_DEP_1) | instskip(SKIP_1) | instid1(VALU_DEP_2)
	v_pk_fma_f32 v[136:137], v[132:133], v[128:129], v[134:135] op_sel_hi:[1,0,1]
	v_pk_fma_f32 v[128:129], v[132:133], v[128:129], v[134:135] neg_lo:[0,0,1] neg_hi:[0,0,1]
	v_mov_b32_e32 v129, v137
	s_cbranch_execz .LBB61_694
	s_branch .LBB61_695
.LBB61_693:
                                        ; implicit-def: $vgpr128_vgpr129
.LBB61_694:
	ds_load_b64 v[128:129], v1
.LBB61_695:
	s_mov_b32 s2, exec_lo
	v_cmpx_ne_u32_e32 8, v0
	s_cbranch_execz .LBB61_699
; %bb.696:
	v_add_nc_u32_e32 v131, 0x1f8, v50
	v_add3_u32 v132, 0, v50, 8
	v_mov_b32_e32 v133, v0
	s_mov_b32 s3, 0
.LBB61_697:                             ; =>This Inner Loop Header: Depth=1
	scratch_load_b64 v[134:135], v132, off
	ds_load_b64 v[136:137], v131
	s_wait_xcnt 0x0
	v_dual_add_nc_u32 v131, 8, v131 :: v_dual_add_nc_u32 v132, 8, v132
	s_wait_loadcnt_dscnt 0x0
	v_pk_mul_f32 v[138:139], v[136:137], v[134:135] op_sel:[1,1] op_sel_hi:[0,1]
	s_delay_alu instid0(VALU_DEP_1) | instskip(SKIP_2) | instid1(VALU_DEP_3)
	v_pk_fma_f32 v[140:141], v[136:137], v[134:135], v[138:139] op_sel_hi:[1,0,1]
	v_add_nc_u32_e32 v133, 1, v133
	v_pk_fma_f32 v[134:135], v[136:137], v[134:135], v[138:139] neg_lo:[0,0,1] neg_hi:[0,0,1]
	v_mov_b32_e32 v135, v141
	s_delay_alu instid0(VALU_DEP_3) | instskip(NEXT) | instid1(VALU_DEP_2)
	v_cmp_lt_u32_e32 vcc_lo, 7, v133
	v_pk_add_f32 v[128:129], v[128:129], v[134:135]
	s_or_b32 s3, vcc_lo, s3
	s_delay_alu instid0(SALU_CYCLE_1)
	s_and_not1_b32 exec_lo, exec_lo, s3
	s_cbranch_execnz .LBB61_697
; %bb.698:
	s_or_b32 exec_lo, exec_lo, s3
.LBB61_699:
	s_delay_alu instid0(SALU_CYCLE_1) | instskip(SKIP_4) | instid1(VALU_DEP_1)
	s_or_b32 exec_lo, exec_lo, s2
	v_mov_b32_e32 v131, 0
	ds_load_b64 v[132:133], v131 offset:72
	s_wait_dscnt 0x0
	v_pk_mul_f32 v[134:135], v[128:129], v[132:133] op_sel:[1,1] op_sel_hi:[0,1]
	v_pk_fma_f32 v[136:137], v[128:129], v[132:133], v[134:135] op_sel_hi:[1,0,1]
	v_pk_fma_f32 v[128:129], v[128:129], v[132:133], v[134:135] neg_lo:[0,0,1] neg_hi:[0,0,1]
	s_delay_alu instid0(VALU_DEP_2)
	v_mov_b32_e32 v129, v137
	scratch_store_b64 off, v[128:129], off offset:72
.LBB61_700:
	s_wait_xcnt 0x0
	s_or_b32 exec_lo, exec_lo, s0
	scratch_load_b64 v[128:129], off, off offset:80
	s_mov_b32 s0, exec_lo
	s_wait_loadcnt 0x0
	ds_store_b64 v1, v[128:129]
	s_wait_storecnt_dscnt 0x0
	s_barrier_signal -1
	s_barrier_wait -1
	s_wait_xcnt 0x0
	v_cmpx_gt_u32_e32 10, v0
	s_cbranch_execz .LBB61_710
; %bb.701:
	v_cmp_ne_u32_e32 vcc_lo, 1, v130
	s_cbranch_vccnz .LBB61_703
; %bb.702:
	scratch_load_b64 v[128:129], v51, off
	ds_load_b64 v[132:133], v1
	s_wait_loadcnt_dscnt 0x0
	v_pk_mul_f32 v[134:135], v[132:133], v[128:129] op_sel:[1,1] op_sel_hi:[0,1]
	s_delay_alu instid0(VALU_DEP_1) | instskip(SKIP_1) | instid1(VALU_DEP_2)
	v_pk_fma_f32 v[136:137], v[132:133], v[128:129], v[134:135] op_sel_hi:[1,0,1]
	v_pk_fma_f32 v[128:129], v[132:133], v[128:129], v[134:135] neg_lo:[0,0,1] neg_hi:[0,0,1]
	v_mov_b32_e32 v129, v137
	s_cbranch_execz .LBB61_704
	s_branch .LBB61_705
.LBB61_703:
                                        ; implicit-def: $vgpr128_vgpr129
.LBB61_704:
	ds_load_b64 v[128:129], v1
.LBB61_705:
	s_mov_b32 s2, exec_lo
	v_cmpx_ne_u32_e32 9, v0
	s_cbranch_execz .LBB61_709
; %bb.706:
	v_add_nc_u32_e32 v131, 0x1f8, v50
	v_add3_u32 v132, 0, v50, 8
	v_mov_b32_e32 v133, v0
	s_mov_b32 s3, 0
.LBB61_707:                             ; =>This Inner Loop Header: Depth=1
	scratch_load_b64 v[134:135], v132, off
	ds_load_b64 v[136:137], v131
	s_wait_xcnt 0x0
	v_dual_add_nc_u32 v131, 8, v131 :: v_dual_add_nc_u32 v132, 8, v132
	s_wait_loadcnt_dscnt 0x0
	v_pk_mul_f32 v[138:139], v[136:137], v[134:135] op_sel:[1,1] op_sel_hi:[0,1]
	s_delay_alu instid0(VALU_DEP_1) | instskip(SKIP_2) | instid1(VALU_DEP_3)
	v_pk_fma_f32 v[140:141], v[136:137], v[134:135], v[138:139] op_sel_hi:[1,0,1]
	v_add_nc_u32_e32 v133, 1, v133
	v_pk_fma_f32 v[134:135], v[136:137], v[134:135], v[138:139] neg_lo:[0,0,1] neg_hi:[0,0,1]
	v_mov_b32_e32 v135, v141
	s_delay_alu instid0(VALU_DEP_3) | instskip(NEXT) | instid1(VALU_DEP_2)
	v_cmp_lt_u32_e32 vcc_lo, 8, v133
	v_pk_add_f32 v[128:129], v[128:129], v[134:135]
	s_or_b32 s3, vcc_lo, s3
	s_delay_alu instid0(SALU_CYCLE_1)
	s_and_not1_b32 exec_lo, exec_lo, s3
	s_cbranch_execnz .LBB61_707
; %bb.708:
	s_or_b32 exec_lo, exec_lo, s3
.LBB61_709:
	s_delay_alu instid0(SALU_CYCLE_1) | instskip(SKIP_4) | instid1(VALU_DEP_1)
	s_or_b32 exec_lo, exec_lo, s2
	v_mov_b32_e32 v131, 0
	ds_load_b64 v[132:133], v131 offset:80
	s_wait_dscnt 0x0
	v_pk_mul_f32 v[134:135], v[128:129], v[132:133] op_sel:[1,1] op_sel_hi:[0,1]
	v_pk_fma_f32 v[136:137], v[128:129], v[132:133], v[134:135] op_sel_hi:[1,0,1]
	v_pk_fma_f32 v[128:129], v[128:129], v[132:133], v[134:135] neg_lo:[0,0,1] neg_hi:[0,0,1]
	s_delay_alu instid0(VALU_DEP_2)
	v_mov_b32_e32 v129, v137
	scratch_store_b64 off, v[128:129], off offset:80
.LBB61_710:
	s_wait_xcnt 0x0
	s_or_b32 exec_lo, exec_lo, s0
	scratch_load_b64 v[128:129], off, off offset:88
	s_mov_b32 s0, exec_lo
	s_wait_loadcnt 0x0
	ds_store_b64 v1, v[128:129]
	s_wait_storecnt_dscnt 0x0
	s_barrier_signal -1
	s_barrier_wait -1
	s_wait_xcnt 0x0
	v_cmpx_gt_u32_e32 11, v0
	s_cbranch_execz .LBB61_720
; %bb.711:
	v_cmp_ne_u32_e32 vcc_lo, 1, v130
	s_cbranch_vccnz .LBB61_713
; %bb.712:
	scratch_load_b64 v[128:129], v51, off
	ds_load_b64 v[132:133], v1
	s_wait_loadcnt_dscnt 0x0
	v_pk_mul_f32 v[134:135], v[132:133], v[128:129] op_sel:[1,1] op_sel_hi:[0,1]
	s_delay_alu instid0(VALU_DEP_1) | instskip(SKIP_1) | instid1(VALU_DEP_2)
	v_pk_fma_f32 v[136:137], v[132:133], v[128:129], v[134:135] op_sel_hi:[1,0,1]
	v_pk_fma_f32 v[128:129], v[132:133], v[128:129], v[134:135] neg_lo:[0,0,1] neg_hi:[0,0,1]
	v_mov_b32_e32 v129, v137
	s_cbranch_execz .LBB61_714
	s_branch .LBB61_715
.LBB61_713:
                                        ; implicit-def: $vgpr128_vgpr129
.LBB61_714:
	ds_load_b64 v[128:129], v1
.LBB61_715:
	s_mov_b32 s2, exec_lo
	v_cmpx_ne_u32_e32 10, v0
	s_cbranch_execz .LBB61_719
; %bb.716:
	v_add_nc_u32_e32 v131, 0x1f8, v50
	v_add3_u32 v132, 0, v50, 8
	v_mov_b32_e32 v133, v0
	s_mov_b32 s3, 0
.LBB61_717:                             ; =>This Inner Loop Header: Depth=1
	scratch_load_b64 v[134:135], v132, off
	ds_load_b64 v[136:137], v131
	s_wait_xcnt 0x0
	v_dual_add_nc_u32 v131, 8, v131 :: v_dual_add_nc_u32 v132, 8, v132
	s_wait_loadcnt_dscnt 0x0
	v_pk_mul_f32 v[138:139], v[136:137], v[134:135] op_sel:[1,1] op_sel_hi:[0,1]
	s_delay_alu instid0(VALU_DEP_1) | instskip(SKIP_2) | instid1(VALU_DEP_3)
	v_pk_fma_f32 v[140:141], v[136:137], v[134:135], v[138:139] op_sel_hi:[1,0,1]
	v_add_nc_u32_e32 v133, 1, v133
	v_pk_fma_f32 v[134:135], v[136:137], v[134:135], v[138:139] neg_lo:[0,0,1] neg_hi:[0,0,1]
	v_mov_b32_e32 v135, v141
	s_delay_alu instid0(VALU_DEP_3) | instskip(NEXT) | instid1(VALU_DEP_2)
	v_cmp_lt_u32_e32 vcc_lo, 9, v133
	v_pk_add_f32 v[128:129], v[128:129], v[134:135]
	s_or_b32 s3, vcc_lo, s3
	s_delay_alu instid0(SALU_CYCLE_1)
	s_and_not1_b32 exec_lo, exec_lo, s3
	s_cbranch_execnz .LBB61_717
; %bb.718:
	s_or_b32 exec_lo, exec_lo, s3
.LBB61_719:
	s_delay_alu instid0(SALU_CYCLE_1) | instskip(SKIP_4) | instid1(VALU_DEP_1)
	s_or_b32 exec_lo, exec_lo, s2
	v_mov_b32_e32 v131, 0
	ds_load_b64 v[132:133], v131 offset:88
	s_wait_dscnt 0x0
	v_pk_mul_f32 v[134:135], v[128:129], v[132:133] op_sel:[1,1] op_sel_hi:[0,1]
	v_pk_fma_f32 v[136:137], v[128:129], v[132:133], v[134:135] op_sel_hi:[1,0,1]
	v_pk_fma_f32 v[128:129], v[128:129], v[132:133], v[134:135] neg_lo:[0,0,1] neg_hi:[0,0,1]
	s_delay_alu instid0(VALU_DEP_2)
	v_mov_b32_e32 v129, v137
	scratch_store_b64 off, v[128:129], off offset:88
.LBB61_720:
	s_wait_xcnt 0x0
	s_or_b32 exec_lo, exec_lo, s0
	scratch_load_b64 v[128:129], off, off offset:96
	s_mov_b32 s0, exec_lo
	s_wait_loadcnt 0x0
	ds_store_b64 v1, v[128:129]
	s_wait_storecnt_dscnt 0x0
	s_barrier_signal -1
	s_barrier_wait -1
	s_wait_xcnt 0x0
	v_cmpx_gt_u32_e32 12, v0
	s_cbranch_execz .LBB61_730
; %bb.721:
	v_cmp_ne_u32_e32 vcc_lo, 1, v130
	s_cbranch_vccnz .LBB61_723
; %bb.722:
	scratch_load_b64 v[128:129], v51, off
	ds_load_b64 v[132:133], v1
	s_wait_loadcnt_dscnt 0x0
	v_pk_mul_f32 v[134:135], v[132:133], v[128:129] op_sel:[1,1] op_sel_hi:[0,1]
	s_delay_alu instid0(VALU_DEP_1) | instskip(SKIP_1) | instid1(VALU_DEP_2)
	v_pk_fma_f32 v[136:137], v[132:133], v[128:129], v[134:135] op_sel_hi:[1,0,1]
	v_pk_fma_f32 v[128:129], v[132:133], v[128:129], v[134:135] neg_lo:[0,0,1] neg_hi:[0,0,1]
	v_mov_b32_e32 v129, v137
	s_cbranch_execz .LBB61_724
	s_branch .LBB61_725
.LBB61_723:
                                        ; implicit-def: $vgpr128_vgpr129
.LBB61_724:
	ds_load_b64 v[128:129], v1
.LBB61_725:
	s_mov_b32 s2, exec_lo
	v_cmpx_ne_u32_e32 11, v0
	s_cbranch_execz .LBB61_729
; %bb.726:
	v_add_nc_u32_e32 v131, 0x1f8, v50
	v_add3_u32 v132, 0, v50, 8
	v_mov_b32_e32 v133, v0
	s_mov_b32 s3, 0
.LBB61_727:                             ; =>This Inner Loop Header: Depth=1
	scratch_load_b64 v[134:135], v132, off
	ds_load_b64 v[136:137], v131
	s_wait_xcnt 0x0
	v_dual_add_nc_u32 v131, 8, v131 :: v_dual_add_nc_u32 v132, 8, v132
	s_wait_loadcnt_dscnt 0x0
	v_pk_mul_f32 v[138:139], v[136:137], v[134:135] op_sel:[1,1] op_sel_hi:[0,1]
	s_delay_alu instid0(VALU_DEP_1) | instskip(SKIP_2) | instid1(VALU_DEP_3)
	v_pk_fma_f32 v[140:141], v[136:137], v[134:135], v[138:139] op_sel_hi:[1,0,1]
	v_add_nc_u32_e32 v133, 1, v133
	v_pk_fma_f32 v[134:135], v[136:137], v[134:135], v[138:139] neg_lo:[0,0,1] neg_hi:[0,0,1]
	v_mov_b32_e32 v135, v141
	s_delay_alu instid0(VALU_DEP_3) | instskip(NEXT) | instid1(VALU_DEP_2)
	v_cmp_lt_u32_e32 vcc_lo, 10, v133
	v_pk_add_f32 v[128:129], v[128:129], v[134:135]
	s_or_b32 s3, vcc_lo, s3
	s_delay_alu instid0(SALU_CYCLE_1)
	s_and_not1_b32 exec_lo, exec_lo, s3
	s_cbranch_execnz .LBB61_727
; %bb.728:
	s_or_b32 exec_lo, exec_lo, s3
.LBB61_729:
	s_delay_alu instid0(SALU_CYCLE_1) | instskip(SKIP_4) | instid1(VALU_DEP_1)
	s_or_b32 exec_lo, exec_lo, s2
	v_mov_b32_e32 v131, 0
	ds_load_b64 v[132:133], v131 offset:96
	s_wait_dscnt 0x0
	v_pk_mul_f32 v[134:135], v[128:129], v[132:133] op_sel:[1,1] op_sel_hi:[0,1]
	v_pk_fma_f32 v[136:137], v[128:129], v[132:133], v[134:135] op_sel_hi:[1,0,1]
	v_pk_fma_f32 v[128:129], v[128:129], v[132:133], v[134:135] neg_lo:[0,0,1] neg_hi:[0,0,1]
	s_delay_alu instid0(VALU_DEP_2)
	v_mov_b32_e32 v129, v137
	scratch_store_b64 off, v[128:129], off offset:96
.LBB61_730:
	s_wait_xcnt 0x0
	s_or_b32 exec_lo, exec_lo, s0
	scratch_load_b64 v[128:129], off, off offset:104
	s_mov_b32 s0, exec_lo
	s_wait_loadcnt 0x0
	ds_store_b64 v1, v[128:129]
	s_wait_storecnt_dscnt 0x0
	s_barrier_signal -1
	s_barrier_wait -1
	s_wait_xcnt 0x0
	v_cmpx_gt_u32_e32 13, v0
	s_cbranch_execz .LBB61_740
; %bb.731:
	v_cmp_ne_u32_e32 vcc_lo, 1, v130
	s_cbranch_vccnz .LBB61_733
; %bb.732:
	scratch_load_b64 v[128:129], v51, off
	ds_load_b64 v[132:133], v1
	s_wait_loadcnt_dscnt 0x0
	v_pk_mul_f32 v[134:135], v[132:133], v[128:129] op_sel:[1,1] op_sel_hi:[0,1]
	s_delay_alu instid0(VALU_DEP_1) | instskip(SKIP_1) | instid1(VALU_DEP_2)
	v_pk_fma_f32 v[136:137], v[132:133], v[128:129], v[134:135] op_sel_hi:[1,0,1]
	v_pk_fma_f32 v[128:129], v[132:133], v[128:129], v[134:135] neg_lo:[0,0,1] neg_hi:[0,0,1]
	v_mov_b32_e32 v129, v137
	s_cbranch_execz .LBB61_734
	s_branch .LBB61_735
.LBB61_733:
                                        ; implicit-def: $vgpr128_vgpr129
.LBB61_734:
	ds_load_b64 v[128:129], v1
.LBB61_735:
	s_mov_b32 s2, exec_lo
	v_cmpx_ne_u32_e32 12, v0
	s_cbranch_execz .LBB61_739
; %bb.736:
	v_add_nc_u32_e32 v131, 0x1f8, v50
	v_add3_u32 v132, 0, v50, 8
	v_mov_b32_e32 v133, v0
	s_mov_b32 s3, 0
.LBB61_737:                             ; =>This Inner Loop Header: Depth=1
	scratch_load_b64 v[134:135], v132, off
	ds_load_b64 v[136:137], v131
	s_wait_xcnt 0x0
	v_dual_add_nc_u32 v131, 8, v131 :: v_dual_add_nc_u32 v132, 8, v132
	s_wait_loadcnt_dscnt 0x0
	v_pk_mul_f32 v[138:139], v[136:137], v[134:135] op_sel:[1,1] op_sel_hi:[0,1]
	s_delay_alu instid0(VALU_DEP_1) | instskip(SKIP_2) | instid1(VALU_DEP_3)
	v_pk_fma_f32 v[140:141], v[136:137], v[134:135], v[138:139] op_sel_hi:[1,0,1]
	v_add_nc_u32_e32 v133, 1, v133
	v_pk_fma_f32 v[134:135], v[136:137], v[134:135], v[138:139] neg_lo:[0,0,1] neg_hi:[0,0,1]
	v_mov_b32_e32 v135, v141
	s_delay_alu instid0(VALU_DEP_3) | instskip(NEXT) | instid1(VALU_DEP_2)
	v_cmp_lt_u32_e32 vcc_lo, 11, v133
	v_pk_add_f32 v[128:129], v[128:129], v[134:135]
	s_or_b32 s3, vcc_lo, s3
	s_delay_alu instid0(SALU_CYCLE_1)
	s_and_not1_b32 exec_lo, exec_lo, s3
	s_cbranch_execnz .LBB61_737
; %bb.738:
	s_or_b32 exec_lo, exec_lo, s3
.LBB61_739:
	s_delay_alu instid0(SALU_CYCLE_1) | instskip(SKIP_4) | instid1(VALU_DEP_1)
	s_or_b32 exec_lo, exec_lo, s2
	v_mov_b32_e32 v131, 0
	ds_load_b64 v[132:133], v131 offset:104
	s_wait_dscnt 0x0
	v_pk_mul_f32 v[134:135], v[128:129], v[132:133] op_sel:[1,1] op_sel_hi:[0,1]
	v_pk_fma_f32 v[136:137], v[128:129], v[132:133], v[134:135] op_sel_hi:[1,0,1]
	v_pk_fma_f32 v[128:129], v[128:129], v[132:133], v[134:135] neg_lo:[0,0,1] neg_hi:[0,0,1]
	s_delay_alu instid0(VALU_DEP_2)
	v_mov_b32_e32 v129, v137
	scratch_store_b64 off, v[128:129], off offset:104
.LBB61_740:
	s_wait_xcnt 0x0
	s_or_b32 exec_lo, exec_lo, s0
	scratch_load_b64 v[128:129], off, off offset:112
	s_mov_b32 s0, exec_lo
	s_wait_loadcnt 0x0
	ds_store_b64 v1, v[128:129]
	s_wait_storecnt_dscnt 0x0
	s_barrier_signal -1
	s_barrier_wait -1
	s_wait_xcnt 0x0
	v_cmpx_gt_u32_e32 14, v0
	s_cbranch_execz .LBB61_750
; %bb.741:
	v_cmp_ne_u32_e32 vcc_lo, 1, v130
	s_cbranch_vccnz .LBB61_743
; %bb.742:
	scratch_load_b64 v[128:129], v51, off
	ds_load_b64 v[132:133], v1
	s_wait_loadcnt_dscnt 0x0
	v_pk_mul_f32 v[134:135], v[132:133], v[128:129] op_sel:[1,1] op_sel_hi:[0,1]
	s_delay_alu instid0(VALU_DEP_1) | instskip(SKIP_1) | instid1(VALU_DEP_2)
	v_pk_fma_f32 v[136:137], v[132:133], v[128:129], v[134:135] op_sel_hi:[1,0,1]
	v_pk_fma_f32 v[128:129], v[132:133], v[128:129], v[134:135] neg_lo:[0,0,1] neg_hi:[0,0,1]
	v_mov_b32_e32 v129, v137
	s_cbranch_execz .LBB61_744
	s_branch .LBB61_745
.LBB61_743:
                                        ; implicit-def: $vgpr128_vgpr129
.LBB61_744:
	ds_load_b64 v[128:129], v1
.LBB61_745:
	s_mov_b32 s2, exec_lo
	v_cmpx_ne_u32_e32 13, v0
	s_cbranch_execz .LBB61_749
; %bb.746:
	v_add_nc_u32_e32 v131, 0x1f8, v50
	v_add3_u32 v132, 0, v50, 8
	v_mov_b32_e32 v133, v0
	s_mov_b32 s3, 0
.LBB61_747:                             ; =>This Inner Loop Header: Depth=1
	scratch_load_b64 v[134:135], v132, off
	ds_load_b64 v[136:137], v131
	s_wait_xcnt 0x0
	v_dual_add_nc_u32 v131, 8, v131 :: v_dual_add_nc_u32 v132, 8, v132
	s_wait_loadcnt_dscnt 0x0
	v_pk_mul_f32 v[138:139], v[136:137], v[134:135] op_sel:[1,1] op_sel_hi:[0,1]
	s_delay_alu instid0(VALU_DEP_1) | instskip(SKIP_2) | instid1(VALU_DEP_3)
	v_pk_fma_f32 v[140:141], v[136:137], v[134:135], v[138:139] op_sel_hi:[1,0,1]
	v_add_nc_u32_e32 v133, 1, v133
	v_pk_fma_f32 v[134:135], v[136:137], v[134:135], v[138:139] neg_lo:[0,0,1] neg_hi:[0,0,1]
	v_mov_b32_e32 v135, v141
	s_delay_alu instid0(VALU_DEP_3) | instskip(NEXT) | instid1(VALU_DEP_2)
	v_cmp_lt_u32_e32 vcc_lo, 12, v133
	v_pk_add_f32 v[128:129], v[128:129], v[134:135]
	s_or_b32 s3, vcc_lo, s3
	s_delay_alu instid0(SALU_CYCLE_1)
	s_and_not1_b32 exec_lo, exec_lo, s3
	s_cbranch_execnz .LBB61_747
; %bb.748:
	s_or_b32 exec_lo, exec_lo, s3
.LBB61_749:
	s_delay_alu instid0(SALU_CYCLE_1) | instskip(SKIP_4) | instid1(VALU_DEP_1)
	s_or_b32 exec_lo, exec_lo, s2
	v_mov_b32_e32 v131, 0
	ds_load_b64 v[132:133], v131 offset:112
	s_wait_dscnt 0x0
	v_pk_mul_f32 v[134:135], v[128:129], v[132:133] op_sel:[1,1] op_sel_hi:[0,1]
	v_pk_fma_f32 v[136:137], v[128:129], v[132:133], v[134:135] op_sel_hi:[1,0,1]
	v_pk_fma_f32 v[128:129], v[128:129], v[132:133], v[134:135] neg_lo:[0,0,1] neg_hi:[0,0,1]
	s_delay_alu instid0(VALU_DEP_2)
	v_mov_b32_e32 v129, v137
	scratch_store_b64 off, v[128:129], off offset:112
.LBB61_750:
	s_wait_xcnt 0x0
	s_or_b32 exec_lo, exec_lo, s0
	scratch_load_b64 v[128:129], off, off offset:120
	s_mov_b32 s0, exec_lo
	s_wait_loadcnt 0x0
	ds_store_b64 v1, v[128:129]
	s_wait_storecnt_dscnt 0x0
	s_barrier_signal -1
	s_barrier_wait -1
	s_wait_xcnt 0x0
	v_cmpx_gt_u32_e32 15, v0
	s_cbranch_execz .LBB61_760
; %bb.751:
	v_cmp_ne_u32_e32 vcc_lo, 1, v130
	s_cbranch_vccnz .LBB61_753
; %bb.752:
	scratch_load_b64 v[128:129], v51, off
	ds_load_b64 v[132:133], v1
	s_wait_loadcnt_dscnt 0x0
	v_pk_mul_f32 v[134:135], v[132:133], v[128:129] op_sel:[1,1] op_sel_hi:[0,1]
	s_delay_alu instid0(VALU_DEP_1) | instskip(SKIP_1) | instid1(VALU_DEP_2)
	v_pk_fma_f32 v[136:137], v[132:133], v[128:129], v[134:135] op_sel_hi:[1,0,1]
	v_pk_fma_f32 v[128:129], v[132:133], v[128:129], v[134:135] neg_lo:[0,0,1] neg_hi:[0,0,1]
	v_mov_b32_e32 v129, v137
	s_cbranch_execz .LBB61_754
	s_branch .LBB61_755
.LBB61_753:
                                        ; implicit-def: $vgpr128_vgpr129
.LBB61_754:
	ds_load_b64 v[128:129], v1
.LBB61_755:
	s_mov_b32 s2, exec_lo
	v_cmpx_ne_u32_e32 14, v0
	s_cbranch_execz .LBB61_759
; %bb.756:
	v_add_nc_u32_e32 v131, 0x1f8, v50
	v_add3_u32 v132, 0, v50, 8
	v_mov_b32_e32 v133, v0
	s_mov_b32 s3, 0
.LBB61_757:                             ; =>This Inner Loop Header: Depth=1
	scratch_load_b64 v[134:135], v132, off
	ds_load_b64 v[136:137], v131
	s_wait_xcnt 0x0
	v_dual_add_nc_u32 v131, 8, v131 :: v_dual_add_nc_u32 v132, 8, v132
	s_wait_loadcnt_dscnt 0x0
	v_pk_mul_f32 v[138:139], v[136:137], v[134:135] op_sel:[1,1] op_sel_hi:[0,1]
	s_delay_alu instid0(VALU_DEP_1) | instskip(SKIP_2) | instid1(VALU_DEP_3)
	v_pk_fma_f32 v[140:141], v[136:137], v[134:135], v[138:139] op_sel_hi:[1,0,1]
	v_add_nc_u32_e32 v133, 1, v133
	v_pk_fma_f32 v[134:135], v[136:137], v[134:135], v[138:139] neg_lo:[0,0,1] neg_hi:[0,0,1]
	v_mov_b32_e32 v135, v141
	s_delay_alu instid0(VALU_DEP_3) | instskip(NEXT) | instid1(VALU_DEP_2)
	v_cmp_lt_u32_e32 vcc_lo, 13, v133
	v_pk_add_f32 v[128:129], v[128:129], v[134:135]
	s_or_b32 s3, vcc_lo, s3
	s_delay_alu instid0(SALU_CYCLE_1)
	s_and_not1_b32 exec_lo, exec_lo, s3
	s_cbranch_execnz .LBB61_757
; %bb.758:
	s_or_b32 exec_lo, exec_lo, s3
.LBB61_759:
	s_delay_alu instid0(SALU_CYCLE_1) | instskip(SKIP_4) | instid1(VALU_DEP_1)
	s_or_b32 exec_lo, exec_lo, s2
	v_mov_b32_e32 v131, 0
	ds_load_b64 v[132:133], v131 offset:120
	s_wait_dscnt 0x0
	v_pk_mul_f32 v[134:135], v[128:129], v[132:133] op_sel:[1,1] op_sel_hi:[0,1]
	v_pk_fma_f32 v[136:137], v[128:129], v[132:133], v[134:135] op_sel_hi:[1,0,1]
	v_pk_fma_f32 v[128:129], v[128:129], v[132:133], v[134:135] neg_lo:[0,0,1] neg_hi:[0,0,1]
	s_delay_alu instid0(VALU_DEP_2)
	v_mov_b32_e32 v129, v137
	scratch_store_b64 off, v[128:129], off offset:120
.LBB61_760:
	s_wait_xcnt 0x0
	s_or_b32 exec_lo, exec_lo, s0
	scratch_load_b64 v[128:129], off, off offset:128
	s_mov_b32 s0, exec_lo
	s_wait_loadcnt 0x0
	ds_store_b64 v1, v[128:129]
	s_wait_storecnt_dscnt 0x0
	s_barrier_signal -1
	s_barrier_wait -1
	s_wait_xcnt 0x0
	v_cmpx_gt_u32_e32 16, v0
	s_cbranch_execz .LBB61_770
; %bb.761:
	v_cmp_ne_u32_e32 vcc_lo, 1, v130
	s_cbranch_vccnz .LBB61_763
; %bb.762:
	scratch_load_b64 v[128:129], v51, off
	ds_load_b64 v[132:133], v1
	s_wait_loadcnt_dscnt 0x0
	v_pk_mul_f32 v[134:135], v[132:133], v[128:129] op_sel:[1,1] op_sel_hi:[0,1]
	s_delay_alu instid0(VALU_DEP_1) | instskip(SKIP_1) | instid1(VALU_DEP_2)
	v_pk_fma_f32 v[136:137], v[132:133], v[128:129], v[134:135] op_sel_hi:[1,0,1]
	v_pk_fma_f32 v[128:129], v[132:133], v[128:129], v[134:135] neg_lo:[0,0,1] neg_hi:[0,0,1]
	v_mov_b32_e32 v129, v137
	s_cbranch_execz .LBB61_764
	s_branch .LBB61_765
.LBB61_763:
                                        ; implicit-def: $vgpr128_vgpr129
.LBB61_764:
	ds_load_b64 v[128:129], v1
.LBB61_765:
	s_mov_b32 s2, exec_lo
	v_cmpx_ne_u32_e32 15, v0
	s_cbranch_execz .LBB61_769
; %bb.766:
	v_add_nc_u32_e32 v131, 0x1f8, v50
	v_add3_u32 v132, 0, v50, 8
	v_mov_b32_e32 v133, v0
	s_mov_b32 s3, 0
.LBB61_767:                             ; =>This Inner Loop Header: Depth=1
	scratch_load_b64 v[134:135], v132, off
	ds_load_b64 v[136:137], v131
	s_wait_xcnt 0x0
	v_dual_add_nc_u32 v131, 8, v131 :: v_dual_add_nc_u32 v132, 8, v132
	s_wait_loadcnt_dscnt 0x0
	v_pk_mul_f32 v[138:139], v[136:137], v[134:135] op_sel:[1,1] op_sel_hi:[0,1]
	s_delay_alu instid0(VALU_DEP_1) | instskip(SKIP_2) | instid1(VALU_DEP_3)
	v_pk_fma_f32 v[140:141], v[136:137], v[134:135], v[138:139] op_sel_hi:[1,0,1]
	v_add_nc_u32_e32 v133, 1, v133
	v_pk_fma_f32 v[134:135], v[136:137], v[134:135], v[138:139] neg_lo:[0,0,1] neg_hi:[0,0,1]
	v_mov_b32_e32 v135, v141
	s_delay_alu instid0(VALU_DEP_3) | instskip(NEXT) | instid1(VALU_DEP_2)
	v_cmp_lt_u32_e32 vcc_lo, 14, v133
	v_pk_add_f32 v[128:129], v[128:129], v[134:135]
	s_or_b32 s3, vcc_lo, s3
	s_delay_alu instid0(SALU_CYCLE_1)
	s_and_not1_b32 exec_lo, exec_lo, s3
	s_cbranch_execnz .LBB61_767
; %bb.768:
	s_or_b32 exec_lo, exec_lo, s3
.LBB61_769:
	s_delay_alu instid0(SALU_CYCLE_1) | instskip(SKIP_4) | instid1(VALU_DEP_1)
	s_or_b32 exec_lo, exec_lo, s2
	v_mov_b32_e32 v131, 0
	ds_load_b64 v[132:133], v131 offset:128
	s_wait_dscnt 0x0
	v_pk_mul_f32 v[134:135], v[128:129], v[132:133] op_sel:[1,1] op_sel_hi:[0,1]
	v_pk_fma_f32 v[136:137], v[128:129], v[132:133], v[134:135] op_sel_hi:[1,0,1]
	v_pk_fma_f32 v[128:129], v[128:129], v[132:133], v[134:135] neg_lo:[0,0,1] neg_hi:[0,0,1]
	s_delay_alu instid0(VALU_DEP_2)
	v_mov_b32_e32 v129, v137
	scratch_store_b64 off, v[128:129], off offset:128
.LBB61_770:
	s_wait_xcnt 0x0
	s_or_b32 exec_lo, exec_lo, s0
	scratch_load_b64 v[128:129], off, off offset:136
	s_mov_b32 s0, exec_lo
	s_wait_loadcnt 0x0
	ds_store_b64 v1, v[128:129]
	s_wait_storecnt_dscnt 0x0
	s_barrier_signal -1
	s_barrier_wait -1
	s_wait_xcnt 0x0
	v_cmpx_gt_u32_e32 17, v0
	s_cbranch_execz .LBB61_780
; %bb.771:
	v_cmp_ne_u32_e32 vcc_lo, 1, v130
	s_cbranch_vccnz .LBB61_773
; %bb.772:
	scratch_load_b64 v[128:129], v51, off
	ds_load_b64 v[132:133], v1
	s_wait_loadcnt_dscnt 0x0
	v_pk_mul_f32 v[134:135], v[132:133], v[128:129] op_sel:[1,1] op_sel_hi:[0,1]
	s_delay_alu instid0(VALU_DEP_1) | instskip(SKIP_1) | instid1(VALU_DEP_2)
	v_pk_fma_f32 v[136:137], v[132:133], v[128:129], v[134:135] op_sel_hi:[1,0,1]
	v_pk_fma_f32 v[128:129], v[132:133], v[128:129], v[134:135] neg_lo:[0,0,1] neg_hi:[0,0,1]
	v_mov_b32_e32 v129, v137
	s_cbranch_execz .LBB61_774
	s_branch .LBB61_775
.LBB61_773:
                                        ; implicit-def: $vgpr128_vgpr129
.LBB61_774:
	ds_load_b64 v[128:129], v1
.LBB61_775:
	s_mov_b32 s2, exec_lo
	v_cmpx_ne_u32_e32 16, v0
	s_cbranch_execz .LBB61_779
; %bb.776:
	v_add_nc_u32_e32 v131, 0x1f8, v50
	v_add3_u32 v132, 0, v50, 8
	v_mov_b32_e32 v133, v0
	s_mov_b32 s3, 0
.LBB61_777:                             ; =>This Inner Loop Header: Depth=1
	scratch_load_b64 v[134:135], v132, off
	ds_load_b64 v[136:137], v131
	s_wait_xcnt 0x0
	v_dual_add_nc_u32 v131, 8, v131 :: v_dual_add_nc_u32 v132, 8, v132
	s_wait_loadcnt_dscnt 0x0
	v_pk_mul_f32 v[138:139], v[136:137], v[134:135] op_sel:[1,1] op_sel_hi:[0,1]
	s_delay_alu instid0(VALU_DEP_1) | instskip(SKIP_2) | instid1(VALU_DEP_3)
	v_pk_fma_f32 v[140:141], v[136:137], v[134:135], v[138:139] op_sel_hi:[1,0,1]
	v_add_nc_u32_e32 v133, 1, v133
	v_pk_fma_f32 v[134:135], v[136:137], v[134:135], v[138:139] neg_lo:[0,0,1] neg_hi:[0,0,1]
	v_mov_b32_e32 v135, v141
	s_delay_alu instid0(VALU_DEP_3) | instskip(NEXT) | instid1(VALU_DEP_2)
	v_cmp_lt_u32_e32 vcc_lo, 15, v133
	v_pk_add_f32 v[128:129], v[128:129], v[134:135]
	s_or_b32 s3, vcc_lo, s3
	s_delay_alu instid0(SALU_CYCLE_1)
	s_and_not1_b32 exec_lo, exec_lo, s3
	s_cbranch_execnz .LBB61_777
; %bb.778:
	s_or_b32 exec_lo, exec_lo, s3
.LBB61_779:
	s_delay_alu instid0(SALU_CYCLE_1) | instskip(SKIP_4) | instid1(VALU_DEP_1)
	s_or_b32 exec_lo, exec_lo, s2
	v_mov_b32_e32 v131, 0
	ds_load_b64 v[132:133], v131 offset:136
	s_wait_dscnt 0x0
	v_pk_mul_f32 v[134:135], v[128:129], v[132:133] op_sel:[1,1] op_sel_hi:[0,1]
	v_pk_fma_f32 v[136:137], v[128:129], v[132:133], v[134:135] op_sel_hi:[1,0,1]
	v_pk_fma_f32 v[128:129], v[128:129], v[132:133], v[134:135] neg_lo:[0,0,1] neg_hi:[0,0,1]
	s_delay_alu instid0(VALU_DEP_2)
	v_mov_b32_e32 v129, v137
	scratch_store_b64 off, v[128:129], off offset:136
.LBB61_780:
	s_wait_xcnt 0x0
	s_or_b32 exec_lo, exec_lo, s0
	scratch_load_b64 v[128:129], off, off offset:144
	s_mov_b32 s0, exec_lo
	s_wait_loadcnt 0x0
	ds_store_b64 v1, v[128:129]
	s_wait_storecnt_dscnt 0x0
	s_barrier_signal -1
	s_barrier_wait -1
	s_wait_xcnt 0x0
	v_cmpx_gt_u32_e32 18, v0
	s_cbranch_execz .LBB61_790
; %bb.781:
	v_cmp_ne_u32_e32 vcc_lo, 1, v130
	s_cbranch_vccnz .LBB61_783
; %bb.782:
	scratch_load_b64 v[128:129], v51, off
	ds_load_b64 v[132:133], v1
	s_wait_loadcnt_dscnt 0x0
	v_pk_mul_f32 v[134:135], v[132:133], v[128:129] op_sel:[1,1] op_sel_hi:[0,1]
	s_delay_alu instid0(VALU_DEP_1) | instskip(SKIP_1) | instid1(VALU_DEP_2)
	v_pk_fma_f32 v[136:137], v[132:133], v[128:129], v[134:135] op_sel_hi:[1,0,1]
	v_pk_fma_f32 v[128:129], v[132:133], v[128:129], v[134:135] neg_lo:[0,0,1] neg_hi:[0,0,1]
	v_mov_b32_e32 v129, v137
	s_cbranch_execz .LBB61_784
	s_branch .LBB61_785
.LBB61_783:
                                        ; implicit-def: $vgpr128_vgpr129
.LBB61_784:
	ds_load_b64 v[128:129], v1
.LBB61_785:
	s_mov_b32 s2, exec_lo
	v_cmpx_ne_u32_e32 17, v0
	s_cbranch_execz .LBB61_789
; %bb.786:
	v_add_nc_u32_e32 v131, 0x1f8, v50
	v_add3_u32 v132, 0, v50, 8
	v_mov_b32_e32 v133, v0
	s_mov_b32 s3, 0
.LBB61_787:                             ; =>This Inner Loop Header: Depth=1
	scratch_load_b64 v[134:135], v132, off
	ds_load_b64 v[136:137], v131
	s_wait_xcnt 0x0
	v_dual_add_nc_u32 v131, 8, v131 :: v_dual_add_nc_u32 v132, 8, v132
	s_wait_loadcnt_dscnt 0x0
	v_pk_mul_f32 v[138:139], v[136:137], v[134:135] op_sel:[1,1] op_sel_hi:[0,1]
	s_delay_alu instid0(VALU_DEP_1) | instskip(SKIP_2) | instid1(VALU_DEP_3)
	v_pk_fma_f32 v[140:141], v[136:137], v[134:135], v[138:139] op_sel_hi:[1,0,1]
	v_add_nc_u32_e32 v133, 1, v133
	v_pk_fma_f32 v[134:135], v[136:137], v[134:135], v[138:139] neg_lo:[0,0,1] neg_hi:[0,0,1]
	v_mov_b32_e32 v135, v141
	s_delay_alu instid0(VALU_DEP_3) | instskip(NEXT) | instid1(VALU_DEP_2)
	v_cmp_lt_u32_e32 vcc_lo, 16, v133
	v_pk_add_f32 v[128:129], v[128:129], v[134:135]
	s_or_b32 s3, vcc_lo, s3
	s_delay_alu instid0(SALU_CYCLE_1)
	s_and_not1_b32 exec_lo, exec_lo, s3
	s_cbranch_execnz .LBB61_787
; %bb.788:
	s_or_b32 exec_lo, exec_lo, s3
.LBB61_789:
	s_delay_alu instid0(SALU_CYCLE_1) | instskip(SKIP_4) | instid1(VALU_DEP_1)
	s_or_b32 exec_lo, exec_lo, s2
	v_mov_b32_e32 v131, 0
	ds_load_b64 v[132:133], v131 offset:144
	s_wait_dscnt 0x0
	v_pk_mul_f32 v[134:135], v[128:129], v[132:133] op_sel:[1,1] op_sel_hi:[0,1]
	v_pk_fma_f32 v[136:137], v[128:129], v[132:133], v[134:135] op_sel_hi:[1,0,1]
	v_pk_fma_f32 v[128:129], v[128:129], v[132:133], v[134:135] neg_lo:[0,0,1] neg_hi:[0,0,1]
	s_delay_alu instid0(VALU_DEP_2)
	v_mov_b32_e32 v129, v137
	scratch_store_b64 off, v[128:129], off offset:144
.LBB61_790:
	s_wait_xcnt 0x0
	s_or_b32 exec_lo, exec_lo, s0
	scratch_load_b64 v[128:129], off, off offset:152
	s_mov_b32 s0, exec_lo
	s_wait_loadcnt 0x0
	ds_store_b64 v1, v[128:129]
	s_wait_storecnt_dscnt 0x0
	s_barrier_signal -1
	s_barrier_wait -1
	s_wait_xcnt 0x0
	v_cmpx_gt_u32_e32 19, v0
	s_cbranch_execz .LBB61_800
; %bb.791:
	v_cmp_ne_u32_e32 vcc_lo, 1, v130
	s_cbranch_vccnz .LBB61_793
; %bb.792:
	scratch_load_b64 v[128:129], v51, off
	ds_load_b64 v[132:133], v1
	s_wait_loadcnt_dscnt 0x0
	v_pk_mul_f32 v[134:135], v[132:133], v[128:129] op_sel:[1,1] op_sel_hi:[0,1]
	s_delay_alu instid0(VALU_DEP_1) | instskip(SKIP_1) | instid1(VALU_DEP_2)
	v_pk_fma_f32 v[136:137], v[132:133], v[128:129], v[134:135] op_sel_hi:[1,0,1]
	v_pk_fma_f32 v[128:129], v[132:133], v[128:129], v[134:135] neg_lo:[0,0,1] neg_hi:[0,0,1]
	v_mov_b32_e32 v129, v137
	s_cbranch_execz .LBB61_794
	s_branch .LBB61_795
.LBB61_793:
                                        ; implicit-def: $vgpr128_vgpr129
.LBB61_794:
	ds_load_b64 v[128:129], v1
.LBB61_795:
	s_mov_b32 s2, exec_lo
	v_cmpx_ne_u32_e32 18, v0
	s_cbranch_execz .LBB61_799
; %bb.796:
	v_add_nc_u32_e32 v131, 0x1f8, v50
	v_add3_u32 v132, 0, v50, 8
	v_mov_b32_e32 v133, v0
	s_mov_b32 s3, 0
.LBB61_797:                             ; =>This Inner Loop Header: Depth=1
	scratch_load_b64 v[134:135], v132, off
	ds_load_b64 v[136:137], v131
	s_wait_xcnt 0x0
	v_dual_add_nc_u32 v131, 8, v131 :: v_dual_add_nc_u32 v132, 8, v132
	s_wait_loadcnt_dscnt 0x0
	v_pk_mul_f32 v[138:139], v[136:137], v[134:135] op_sel:[1,1] op_sel_hi:[0,1]
	s_delay_alu instid0(VALU_DEP_1) | instskip(SKIP_2) | instid1(VALU_DEP_3)
	v_pk_fma_f32 v[140:141], v[136:137], v[134:135], v[138:139] op_sel_hi:[1,0,1]
	v_add_nc_u32_e32 v133, 1, v133
	v_pk_fma_f32 v[134:135], v[136:137], v[134:135], v[138:139] neg_lo:[0,0,1] neg_hi:[0,0,1]
	v_mov_b32_e32 v135, v141
	s_delay_alu instid0(VALU_DEP_3) | instskip(NEXT) | instid1(VALU_DEP_2)
	v_cmp_lt_u32_e32 vcc_lo, 17, v133
	v_pk_add_f32 v[128:129], v[128:129], v[134:135]
	s_or_b32 s3, vcc_lo, s3
	s_delay_alu instid0(SALU_CYCLE_1)
	s_and_not1_b32 exec_lo, exec_lo, s3
	s_cbranch_execnz .LBB61_797
; %bb.798:
	s_or_b32 exec_lo, exec_lo, s3
.LBB61_799:
	s_delay_alu instid0(SALU_CYCLE_1) | instskip(SKIP_4) | instid1(VALU_DEP_1)
	s_or_b32 exec_lo, exec_lo, s2
	v_mov_b32_e32 v131, 0
	ds_load_b64 v[132:133], v131 offset:152
	s_wait_dscnt 0x0
	v_pk_mul_f32 v[134:135], v[128:129], v[132:133] op_sel:[1,1] op_sel_hi:[0,1]
	v_pk_fma_f32 v[136:137], v[128:129], v[132:133], v[134:135] op_sel_hi:[1,0,1]
	v_pk_fma_f32 v[128:129], v[128:129], v[132:133], v[134:135] neg_lo:[0,0,1] neg_hi:[0,0,1]
	s_delay_alu instid0(VALU_DEP_2)
	v_mov_b32_e32 v129, v137
	scratch_store_b64 off, v[128:129], off offset:152
.LBB61_800:
	s_wait_xcnt 0x0
	s_or_b32 exec_lo, exec_lo, s0
	scratch_load_b64 v[128:129], off, off offset:160
	s_mov_b32 s0, exec_lo
	s_wait_loadcnt 0x0
	ds_store_b64 v1, v[128:129]
	s_wait_storecnt_dscnt 0x0
	s_barrier_signal -1
	s_barrier_wait -1
	s_wait_xcnt 0x0
	v_cmpx_gt_u32_e32 20, v0
	s_cbranch_execz .LBB61_810
; %bb.801:
	v_cmp_ne_u32_e32 vcc_lo, 1, v130
	s_cbranch_vccnz .LBB61_803
; %bb.802:
	scratch_load_b64 v[128:129], v51, off
	ds_load_b64 v[132:133], v1
	s_wait_loadcnt_dscnt 0x0
	v_pk_mul_f32 v[134:135], v[132:133], v[128:129] op_sel:[1,1] op_sel_hi:[0,1]
	s_delay_alu instid0(VALU_DEP_1) | instskip(SKIP_1) | instid1(VALU_DEP_2)
	v_pk_fma_f32 v[136:137], v[132:133], v[128:129], v[134:135] op_sel_hi:[1,0,1]
	v_pk_fma_f32 v[128:129], v[132:133], v[128:129], v[134:135] neg_lo:[0,0,1] neg_hi:[0,0,1]
	v_mov_b32_e32 v129, v137
	s_cbranch_execz .LBB61_804
	s_branch .LBB61_805
.LBB61_803:
                                        ; implicit-def: $vgpr128_vgpr129
.LBB61_804:
	ds_load_b64 v[128:129], v1
.LBB61_805:
	s_mov_b32 s2, exec_lo
	v_cmpx_ne_u32_e32 19, v0
	s_cbranch_execz .LBB61_809
; %bb.806:
	v_add_nc_u32_e32 v131, 0x1f8, v50
	v_add3_u32 v132, 0, v50, 8
	v_mov_b32_e32 v133, v0
	s_mov_b32 s3, 0
.LBB61_807:                             ; =>This Inner Loop Header: Depth=1
	scratch_load_b64 v[134:135], v132, off
	ds_load_b64 v[136:137], v131
	s_wait_xcnt 0x0
	v_dual_add_nc_u32 v131, 8, v131 :: v_dual_add_nc_u32 v132, 8, v132
	s_wait_loadcnt_dscnt 0x0
	v_pk_mul_f32 v[138:139], v[136:137], v[134:135] op_sel:[1,1] op_sel_hi:[0,1]
	s_delay_alu instid0(VALU_DEP_1) | instskip(SKIP_2) | instid1(VALU_DEP_3)
	v_pk_fma_f32 v[140:141], v[136:137], v[134:135], v[138:139] op_sel_hi:[1,0,1]
	v_add_nc_u32_e32 v133, 1, v133
	v_pk_fma_f32 v[134:135], v[136:137], v[134:135], v[138:139] neg_lo:[0,0,1] neg_hi:[0,0,1]
	v_mov_b32_e32 v135, v141
	s_delay_alu instid0(VALU_DEP_3) | instskip(NEXT) | instid1(VALU_DEP_2)
	v_cmp_lt_u32_e32 vcc_lo, 18, v133
	v_pk_add_f32 v[128:129], v[128:129], v[134:135]
	s_or_b32 s3, vcc_lo, s3
	s_delay_alu instid0(SALU_CYCLE_1)
	s_and_not1_b32 exec_lo, exec_lo, s3
	s_cbranch_execnz .LBB61_807
; %bb.808:
	s_or_b32 exec_lo, exec_lo, s3
.LBB61_809:
	s_delay_alu instid0(SALU_CYCLE_1) | instskip(SKIP_4) | instid1(VALU_DEP_1)
	s_or_b32 exec_lo, exec_lo, s2
	v_mov_b32_e32 v131, 0
	ds_load_b64 v[132:133], v131 offset:160
	s_wait_dscnt 0x0
	v_pk_mul_f32 v[134:135], v[128:129], v[132:133] op_sel:[1,1] op_sel_hi:[0,1]
	v_pk_fma_f32 v[136:137], v[128:129], v[132:133], v[134:135] op_sel_hi:[1,0,1]
	v_pk_fma_f32 v[128:129], v[128:129], v[132:133], v[134:135] neg_lo:[0,0,1] neg_hi:[0,0,1]
	s_delay_alu instid0(VALU_DEP_2)
	v_mov_b32_e32 v129, v137
	scratch_store_b64 off, v[128:129], off offset:160
.LBB61_810:
	s_wait_xcnt 0x0
	s_or_b32 exec_lo, exec_lo, s0
	scratch_load_b64 v[128:129], off, off offset:168
	s_mov_b32 s0, exec_lo
	s_wait_loadcnt 0x0
	ds_store_b64 v1, v[128:129]
	s_wait_storecnt_dscnt 0x0
	s_barrier_signal -1
	s_barrier_wait -1
	s_wait_xcnt 0x0
	v_cmpx_gt_u32_e32 21, v0
	s_cbranch_execz .LBB61_820
; %bb.811:
	v_cmp_ne_u32_e32 vcc_lo, 1, v130
	s_cbranch_vccnz .LBB61_813
; %bb.812:
	scratch_load_b64 v[128:129], v51, off
	ds_load_b64 v[132:133], v1
	s_wait_loadcnt_dscnt 0x0
	v_pk_mul_f32 v[134:135], v[132:133], v[128:129] op_sel:[1,1] op_sel_hi:[0,1]
	s_delay_alu instid0(VALU_DEP_1) | instskip(SKIP_1) | instid1(VALU_DEP_2)
	v_pk_fma_f32 v[136:137], v[132:133], v[128:129], v[134:135] op_sel_hi:[1,0,1]
	v_pk_fma_f32 v[128:129], v[132:133], v[128:129], v[134:135] neg_lo:[0,0,1] neg_hi:[0,0,1]
	v_mov_b32_e32 v129, v137
	s_cbranch_execz .LBB61_814
	s_branch .LBB61_815
.LBB61_813:
                                        ; implicit-def: $vgpr128_vgpr129
.LBB61_814:
	ds_load_b64 v[128:129], v1
.LBB61_815:
	s_mov_b32 s2, exec_lo
	v_cmpx_ne_u32_e32 20, v0
	s_cbranch_execz .LBB61_819
; %bb.816:
	v_add_nc_u32_e32 v131, 0x1f8, v50
	v_add3_u32 v132, 0, v50, 8
	v_mov_b32_e32 v133, v0
	s_mov_b32 s3, 0
.LBB61_817:                             ; =>This Inner Loop Header: Depth=1
	scratch_load_b64 v[134:135], v132, off
	ds_load_b64 v[136:137], v131
	s_wait_xcnt 0x0
	v_dual_add_nc_u32 v131, 8, v131 :: v_dual_add_nc_u32 v132, 8, v132
	s_wait_loadcnt_dscnt 0x0
	v_pk_mul_f32 v[138:139], v[136:137], v[134:135] op_sel:[1,1] op_sel_hi:[0,1]
	s_delay_alu instid0(VALU_DEP_1) | instskip(SKIP_2) | instid1(VALU_DEP_3)
	v_pk_fma_f32 v[140:141], v[136:137], v[134:135], v[138:139] op_sel_hi:[1,0,1]
	v_add_nc_u32_e32 v133, 1, v133
	v_pk_fma_f32 v[134:135], v[136:137], v[134:135], v[138:139] neg_lo:[0,0,1] neg_hi:[0,0,1]
	v_mov_b32_e32 v135, v141
	s_delay_alu instid0(VALU_DEP_3) | instskip(NEXT) | instid1(VALU_DEP_2)
	v_cmp_lt_u32_e32 vcc_lo, 19, v133
	v_pk_add_f32 v[128:129], v[128:129], v[134:135]
	s_or_b32 s3, vcc_lo, s3
	s_delay_alu instid0(SALU_CYCLE_1)
	s_and_not1_b32 exec_lo, exec_lo, s3
	s_cbranch_execnz .LBB61_817
; %bb.818:
	s_or_b32 exec_lo, exec_lo, s3
.LBB61_819:
	s_delay_alu instid0(SALU_CYCLE_1) | instskip(SKIP_4) | instid1(VALU_DEP_1)
	s_or_b32 exec_lo, exec_lo, s2
	v_mov_b32_e32 v131, 0
	ds_load_b64 v[132:133], v131 offset:168
	s_wait_dscnt 0x0
	v_pk_mul_f32 v[134:135], v[128:129], v[132:133] op_sel:[1,1] op_sel_hi:[0,1]
	v_pk_fma_f32 v[136:137], v[128:129], v[132:133], v[134:135] op_sel_hi:[1,0,1]
	v_pk_fma_f32 v[128:129], v[128:129], v[132:133], v[134:135] neg_lo:[0,0,1] neg_hi:[0,0,1]
	s_delay_alu instid0(VALU_DEP_2)
	v_mov_b32_e32 v129, v137
	scratch_store_b64 off, v[128:129], off offset:168
.LBB61_820:
	s_wait_xcnt 0x0
	s_or_b32 exec_lo, exec_lo, s0
	scratch_load_b64 v[128:129], off, off offset:176
	s_mov_b32 s0, exec_lo
	s_wait_loadcnt 0x0
	ds_store_b64 v1, v[128:129]
	s_wait_storecnt_dscnt 0x0
	s_barrier_signal -1
	s_barrier_wait -1
	s_wait_xcnt 0x0
	v_cmpx_gt_u32_e32 22, v0
	s_cbranch_execz .LBB61_830
; %bb.821:
	v_cmp_ne_u32_e32 vcc_lo, 1, v130
	s_cbranch_vccnz .LBB61_823
; %bb.822:
	scratch_load_b64 v[128:129], v51, off
	ds_load_b64 v[132:133], v1
	s_wait_loadcnt_dscnt 0x0
	v_pk_mul_f32 v[134:135], v[132:133], v[128:129] op_sel:[1,1] op_sel_hi:[0,1]
	s_delay_alu instid0(VALU_DEP_1) | instskip(SKIP_1) | instid1(VALU_DEP_2)
	v_pk_fma_f32 v[136:137], v[132:133], v[128:129], v[134:135] op_sel_hi:[1,0,1]
	v_pk_fma_f32 v[128:129], v[132:133], v[128:129], v[134:135] neg_lo:[0,0,1] neg_hi:[0,0,1]
	v_mov_b32_e32 v129, v137
	s_cbranch_execz .LBB61_824
	s_branch .LBB61_825
.LBB61_823:
                                        ; implicit-def: $vgpr128_vgpr129
.LBB61_824:
	ds_load_b64 v[128:129], v1
.LBB61_825:
	s_mov_b32 s2, exec_lo
	v_cmpx_ne_u32_e32 21, v0
	s_cbranch_execz .LBB61_829
; %bb.826:
	v_add_nc_u32_e32 v131, 0x1f8, v50
	v_add3_u32 v132, 0, v50, 8
	v_mov_b32_e32 v133, v0
	s_mov_b32 s3, 0
.LBB61_827:                             ; =>This Inner Loop Header: Depth=1
	scratch_load_b64 v[134:135], v132, off
	ds_load_b64 v[136:137], v131
	s_wait_xcnt 0x0
	v_dual_add_nc_u32 v131, 8, v131 :: v_dual_add_nc_u32 v132, 8, v132
	s_wait_loadcnt_dscnt 0x0
	v_pk_mul_f32 v[138:139], v[136:137], v[134:135] op_sel:[1,1] op_sel_hi:[0,1]
	s_delay_alu instid0(VALU_DEP_1) | instskip(SKIP_2) | instid1(VALU_DEP_3)
	v_pk_fma_f32 v[140:141], v[136:137], v[134:135], v[138:139] op_sel_hi:[1,0,1]
	v_add_nc_u32_e32 v133, 1, v133
	v_pk_fma_f32 v[134:135], v[136:137], v[134:135], v[138:139] neg_lo:[0,0,1] neg_hi:[0,0,1]
	v_mov_b32_e32 v135, v141
	s_delay_alu instid0(VALU_DEP_3) | instskip(NEXT) | instid1(VALU_DEP_2)
	v_cmp_lt_u32_e32 vcc_lo, 20, v133
	v_pk_add_f32 v[128:129], v[128:129], v[134:135]
	s_or_b32 s3, vcc_lo, s3
	s_delay_alu instid0(SALU_CYCLE_1)
	s_and_not1_b32 exec_lo, exec_lo, s3
	s_cbranch_execnz .LBB61_827
; %bb.828:
	s_or_b32 exec_lo, exec_lo, s3
.LBB61_829:
	s_delay_alu instid0(SALU_CYCLE_1) | instskip(SKIP_4) | instid1(VALU_DEP_1)
	s_or_b32 exec_lo, exec_lo, s2
	v_mov_b32_e32 v131, 0
	ds_load_b64 v[132:133], v131 offset:176
	s_wait_dscnt 0x0
	v_pk_mul_f32 v[134:135], v[128:129], v[132:133] op_sel:[1,1] op_sel_hi:[0,1]
	v_pk_fma_f32 v[136:137], v[128:129], v[132:133], v[134:135] op_sel_hi:[1,0,1]
	v_pk_fma_f32 v[128:129], v[128:129], v[132:133], v[134:135] neg_lo:[0,0,1] neg_hi:[0,0,1]
	s_delay_alu instid0(VALU_DEP_2)
	v_mov_b32_e32 v129, v137
	scratch_store_b64 off, v[128:129], off offset:176
.LBB61_830:
	s_wait_xcnt 0x0
	s_or_b32 exec_lo, exec_lo, s0
	scratch_load_b64 v[128:129], off, off offset:184
	s_mov_b32 s0, exec_lo
	s_wait_loadcnt 0x0
	ds_store_b64 v1, v[128:129]
	s_wait_storecnt_dscnt 0x0
	s_barrier_signal -1
	s_barrier_wait -1
	s_wait_xcnt 0x0
	v_cmpx_gt_u32_e32 23, v0
	s_cbranch_execz .LBB61_840
; %bb.831:
	v_cmp_ne_u32_e32 vcc_lo, 1, v130
	s_cbranch_vccnz .LBB61_833
; %bb.832:
	scratch_load_b64 v[128:129], v51, off
	ds_load_b64 v[132:133], v1
	s_wait_loadcnt_dscnt 0x0
	v_pk_mul_f32 v[134:135], v[132:133], v[128:129] op_sel:[1,1] op_sel_hi:[0,1]
	s_delay_alu instid0(VALU_DEP_1) | instskip(SKIP_1) | instid1(VALU_DEP_2)
	v_pk_fma_f32 v[136:137], v[132:133], v[128:129], v[134:135] op_sel_hi:[1,0,1]
	v_pk_fma_f32 v[128:129], v[132:133], v[128:129], v[134:135] neg_lo:[0,0,1] neg_hi:[0,0,1]
	v_mov_b32_e32 v129, v137
	s_cbranch_execz .LBB61_834
	s_branch .LBB61_835
.LBB61_833:
                                        ; implicit-def: $vgpr128_vgpr129
.LBB61_834:
	ds_load_b64 v[128:129], v1
.LBB61_835:
	s_mov_b32 s2, exec_lo
	v_cmpx_ne_u32_e32 22, v0
	s_cbranch_execz .LBB61_839
; %bb.836:
	v_add_nc_u32_e32 v131, 0x1f8, v50
	v_add3_u32 v132, 0, v50, 8
	v_mov_b32_e32 v133, v0
	s_mov_b32 s3, 0
.LBB61_837:                             ; =>This Inner Loop Header: Depth=1
	scratch_load_b64 v[134:135], v132, off
	ds_load_b64 v[136:137], v131
	s_wait_xcnt 0x0
	v_dual_add_nc_u32 v131, 8, v131 :: v_dual_add_nc_u32 v132, 8, v132
	s_wait_loadcnt_dscnt 0x0
	v_pk_mul_f32 v[138:139], v[136:137], v[134:135] op_sel:[1,1] op_sel_hi:[0,1]
	s_delay_alu instid0(VALU_DEP_1) | instskip(SKIP_2) | instid1(VALU_DEP_3)
	v_pk_fma_f32 v[140:141], v[136:137], v[134:135], v[138:139] op_sel_hi:[1,0,1]
	v_add_nc_u32_e32 v133, 1, v133
	v_pk_fma_f32 v[134:135], v[136:137], v[134:135], v[138:139] neg_lo:[0,0,1] neg_hi:[0,0,1]
	v_mov_b32_e32 v135, v141
	s_delay_alu instid0(VALU_DEP_3) | instskip(NEXT) | instid1(VALU_DEP_2)
	v_cmp_lt_u32_e32 vcc_lo, 21, v133
	v_pk_add_f32 v[128:129], v[128:129], v[134:135]
	s_or_b32 s3, vcc_lo, s3
	s_delay_alu instid0(SALU_CYCLE_1)
	s_and_not1_b32 exec_lo, exec_lo, s3
	s_cbranch_execnz .LBB61_837
; %bb.838:
	s_or_b32 exec_lo, exec_lo, s3
.LBB61_839:
	s_delay_alu instid0(SALU_CYCLE_1) | instskip(SKIP_4) | instid1(VALU_DEP_1)
	s_or_b32 exec_lo, exec_lo, s2
	v_mov_b32_e32 v131, 0
	ds_load_b64 v[132:133], v131 offset:184
	s_wait_dscnt 0x0
	v_pk_mul_f32 v[134:135], v[128:129], v[132:133] op_sel:[1,1] op_sel_hi:[0,1]
	v_pk_fma_f32 v[136:137], v[128:129], v[132:133], v[134:135] op_sel_hi:[1,0,1]
	v_pk_fma_f32 v[128:129], v[128:129], v[132:133], v[134:135] neg_lo:[0,0,1] neg_hi:[0,0,1]
	s_delay_alu instid0(VALU_DEP_2)
	v_mov_b32_e32 v129, v137
	scratch_store_b64 off, v[128:129], off offset:184
.LBB61_840:
	s_wait_xcnt 0x0
	s_or_b32 exec_lo, exec_lo, s0
	scratch_load_b64 v[128:129], off, off offset:192
	s_mov_b32 s0, exec_lo
	s_wait_loadcnt 0x0
	ds_store_b64 v1, v[128:129]
	s_wait_storecnt_dscnt 0x0
	s_barrier_signal -1
	s_barrier_wait -1
	s_wait_xcnt 0x0
	v_cmpx_gt_u32_e32 24, v0
	s_cbranch_execz .LBB61_850
; %bb.841:
	v_cmp_ne_u32_e32 vcc_lo, 1, v130
	s_cbranch_vccnz .LBB61_843
; %bb.842:
	scratch_load_b64 v[128:129], v51, off
	ds_load_b64 v[132:133], v1
	s_wait_loadcnt_dscnt 0x0
	v_pk_mul_f32 v[134:135], v[132:133], v[128:129] op_sel:[1,1] op_sel_hi:[0,1]
	s_delay_alu instid0(VALU_DEP_1) | instskip(SKIP_1) | instid1(VALU_DEP_2)
	v_pk_fma_f32 v[136:137], v[132:133], v[128:129], v[134:135] op_sel_hi:[1,0,1]
	v_pk_fma_f32 v[128:129], v[132:133], v[128:129], v[134:135] neg_lo:[0,0,1] neg_hi:[0,0,1]
	v_mov_b32_e32 v129, v137
	s_cbranch_execz .LBB61_844
	s_branch .LBB61_845
.LBB61_843:
                                        ; implicit-def: $vgpr128_vgpr129
.LBB61_844:
	ds_load_b64 v[128:129], v1
.LBB61_845:
	s_mov_b32 s2, exec_lo
	v_cmpx_ne_u32_e32 23, v0
	s_cbranch_execz .LBB61_849
; %bb.846:
	v_add_nc_u32_e32 v131, 0x1f8, v50
	v_add3_u32 v132, 0, v50, 8
	v_mov_b32_e32 v133, v0
	s_mov_b32 s3, 0
.LBB61_847:                             ; =>This Inner Loop Header: Depth=1
	scratch_load_b64 v[134:135], v132, off
	ds_load_b64 v[136:137], v131
	s_wait_xcnt 0x0
	v_dual_add_nc_u32 v131, 8, v131 :: v_dual_add_nc_u32 v132, 8, v132
	s_wait_loadcnt_dscnt 0x0
	v_pk_mul_f32 v[138:139], v[136:137], v[134:135] op_sel:[1,1] op_sel_hi:[0,1]
	s_delay_alu instid0(VALU_DEP_1) | instskip(SKIP_2) | instid1(VALU_DEP_3)
	v_pk_fma_f32 v[140:141], v[136:137], v[134:135], v[138:139] op_sel_hi:[1,0,1]
	v_add_nc_u32_e32 v133, 1, v133
	v_pk_fma_f32 v[134:135], v[136:137], v[134:135], v[138:139] neg_lo:[0,0,1] neg_hi:[0,0,1]
	v_mov_b32_e32 v135, v141
	s_delay_alu instid0(VALU_DEP_3) | instskip(NEXT) | instid1(VALU_DEP_2)
	v_cmp_lt_u32_e32 vcc_lo, 22, v133
	v_pk_add_f32 v[128:129], v[128:129], v[134:135]
	s_or_b32 s3, vcc_lo, s3
	s_delay_alu instid0(SALU_CYCLE_1)
	s_and_not1_b32 exec_lo, exec_lo, s3
	s_cbranch_execnz .LBB61_847
; %bb.848:
	s_or_b32 exec_lo, exec_lo, s3
.LBB61_849:
	s_delay_alu instid0(SALU_CYCLE_1) | instskip(SKIP_4) | instid1(VALU_DEP_1)
	s_or_b32 exec_lo, exec_lo, s2
	v_mov_b32_e32 v131, 0
	ds_load_b64 v[132:133], v131 offset:192
	s_wait_dscnt 0x0
	v_pk_mul_f32 v[134:135], v[128:129], v[132:133] op_sel:[1,1] op_sel_hi:[0,1]
	v_pk_fma_f32 v[136:137], v[128:129], v[132:133], v[134:135] op_sel_hi:[1,0,1]
	v_pk_fma_f32 v[128:129], v[128:129], v[132:133], v[134:135] neg_lo:[0,0,1] neg_hi:[0,0,1]
	s_delay_alu instid0(VALU_DEP_2)
	v_mov_b32_e32 v129, v137
	scratch_store_b64 off, v[128:129], off offset:192
.LBB61_850:
	s_wait_xcnt 0x0
	s_or_b32 exec_lo, exec_lo, s0
	scratch_load_b64 v[128:129], off, off offset:200
	s_mov_b32 s0, exec_lo
	s_wait_loadcnt 0x0
	ds_store_b64 v1, v[128:129]
	s_wait_storecnt_dscnt 0x0
	s_barrier_signal -1
	s_barrier_wait -1
	s_wait_xcnt 0x0
	v_cmpx_gt_u32_e32 25, v0
	s_cbranch_execz .LBB61_860
; %bb.851:
	v_cmp_ne_u32_e32 vcc_lo, 1, v130
	s_cbranch_vccnz .LBB61_853
; %bb.852:
	scratch_load_b64 v[128:129], v51, off
	ds_load_b64 v[132:133], v1
	s_wait_loadcnt_dscnt 0x0
	v_pk_mul_f32 v[134:135], v[132:133], v[128:129] op_sel:[1,1] op_sel_hi:[0,1]
	s_delay_alu instid0(VALU_DEP_1) | instskip(SKIP_1) | instid1(VALU_DEP_2)
	v_pk_fma_f32 v[136:137], v[132:133], v[128:129], v[134:135] op_sel_hi:[1,0,1]
	v_pk_fma_f32 v[128:129], v[132:133], v[128:129], v[134:135] neg_lo:[0,0,1] neg_hi:[0,0,1]
	v_mov_b32_e32 v129, v137
	s_cbranch_execz .LBB61_854
	s_branch .LBB61_855
.LBB61_853:
                                        ; implicit-def: $vgpr128_vgpr129
.LBB61_854:
	ds_load_b64 v[128:129], v1
.LBB61_855:
	s_mov_b32 s2, exec_lo
	v_cmpx_ne_u32_e32 24, v0
	s_cbranch_execz .LBB61_859
; %bb.856:
	v_add_nc_u32_e32 v131, 0x1f8, v50
	v_add3_u32 v132, 0, v50, 8
	v_mov_b32_e32 v133, v0
	s_mov_b32 s3, 0
.LBB61_857:                             ; =>This Inner Loop Header: Depth=1
	scratch_load_b64 v[134:135], v132, off
	ds_load_b64 v[136:137], v131
	s_wait_xcnt 0x0
	v_dual_add_nc_u32 v131, 8, v131 :: v_dual_add_nc_u32 v132, 8, v132
	s_wait_loadcnt_dscnt 0x0
	v_pk_mul_f32 v[138:139], v[136:137], v[134:135] op_sel:[1,1] op_sel_hi:[0,1]
	s_delay_alu instid0(VALU_DEP_1) | instskip(SKIP_2) | instid1(VALU_DEP_3)
	v_pk_fma_f32 v[140:141], v[136:137], v[134:135], v[138:139] op_sel_hi:[1,0,1]
	v_add_nc_u32_e32 v133, 1, v133
	v_pk_fma_f32 v[134:135], v[136:137], v[134:135], v[138:139] neg_lo:[0,0,1] neg_hi:[0,0,1]
	v_mov_b32_e32 v135, v141
	s_delay_alu instid0(VALU_DEP_3) | instskip(NEXT) | instid1(VALU_DEP_2)
	v_cmp_lt_u32_e32 vcc_lo, 23, v133
	v_pk_add_f32 v[128:129], v[128:129], v[134:135]
	s_or_b32 s3, vcc_lo, s3
	s_delay_alu instid0(SALU_CYCLE_1)
	s_and_not1_b32 exec_lo, exec_lo, s3
	s_cbranch_execnz .LBB61_857
; %bb.858:
	s_or_b32 exec_lo, exec_lo, s3
.LBB61_859:
	s_delay_alu instid0(SALU_CYCLE_1) | instskip(SKIP_4) | instid1(VALU_DEP_1)
	s_or_b32 exec_lo, exec_lo, s2
	v_mov_b32_e32 v131, 0
	ds_load_b64 v[132:133], v131 offset:200
	s_wait_dscnt 0x0
	v_pk_mul_f32 v[134:135], v[128:129], v[132:133] op_sel:[1,1] op_sel_hi:[0,1]
	v_pk_fma_f32 v[136:137], v[128:129], v[132:133], v[134:135] op_sel_hi:[1,0,1]
	v_pk_fma_f32 v[128:129], v[128:129], v[132:133], v[134:135] neg_lo:[0,0,1] neg_hi:[0,0,1]
	s_delay_alu instid0(VALU_DEP_2)
	v_mov_b32_e32 v129, v137
	scratch_store_b64 off, v[128:129], off offset:200
.LBB61_860:
	s_wait_xcnt 0x0
	s_or_b32 exec_lo, exec_lo, s0
	scratch_load_b64 v[128:129], off, off offset:208
	s_mov_b32 s0, exec_lo
	s_wait_loadcnt 0x0
	ds_store_b64 v1, v[128:129]
	s_wait_storecnt_dscnt 0x0
	s_barrier_signal -1
	s_barrier_wait -1
	s_wait_xcnt 0x0
	v_cmpx_gt_u32_e32 26, v0
	s_cbranch_execz .LBB61_870
; %bb.861:
	v_cmp_ne_u32_e32 vcc_lo, 1, v130
	s_cbranch_vccnz .LBB61_863
; %bb.862:
	scratch_load_b64 v[128:129], v51, off
	ds_load_b64 v[132:133], v1
	s_wait_loadcnt_dscnt 0x0
	v_pk_mul_f32 v[134:135], v[132:133], v[128:129] op_sel:[1,1] op_sel_hi:[0,1]
	s_delay_alu instid0(VALU_DEP_1) | instskip(SKIP_1) | instid1(VALU_DEP_2)
	v_pk_fma_f32 v[136:137], v[132:133], v[128:129], v[134:135] op_sel_hi:[1,0,1]
	v_pk_fma_f32 v[128:129], v[132:133], v[128:129], v[134:135] neg_lo:[0,0,1] neg_hi:[0,0,1]
	v_mov_b32_e32 v129, v137
	s_cbranch_execz .LBB61_864
	s_branch .LBB61_865
.LBB61_863:
                                        ; implicit-def: $vgpr128_vgpr129
.LBB61_864:
	ds_load_b64 v[128:129], v1
.LBB61_865:
	s_mov_b32 s2, exec_lo
	v_cmpx_ne_u32_e32 25, v0
	s_cbranch_execz .LBB61_869
; %bb.866:
	v_add_nc_u32_e32 v131, 0x1f8, v50
	v_add3_u32 v132, 0, v50, 8
	v_mov_b32_e32 v133, v0
	s_mov_b32 s3, 0
.LBB61_867:                             ; =>This Inner Loop Header: Depth=1
	scratch_load_b64 v[134:135], v132, off
	ds_load_b64 v[136:137], v131
	s_wait_xcnt 0x0
	v_dual_add_nc_u32 v131, 8, v131 :: v_dual_add_nc_u32 v132, 8, v132
	s_wait_loadcnt_dscnt 0x0
	v_pk_mul_f32 v[138:139], v[136:137], v[134:135] op_sel:[1,1] op_sel_hi:[0,1]
	s_delay_alu instid0(VALU_DEP_1) | instskip(SKIP_2) | instid1(VALU_DEP_3)
	v_pk_fma_f32 v[140:141], v[136:137], v[134:135], v[138:139] op_sel_hi:[1,0,1]
	v_add_nc_u32_e32 v133, 1, v133
	v_pk_fma_f32 v[134:135], v[136:137], v[134:135], v[138:139] neg_lo:[0,0,1] neg_hi:[0,0,1]
	v_mov_b32_e32 v135, v141
	s_delay_alu instid0(VALU_DEP_3) | instskip(NEXT) | instid1(VALU_DEP_2)
	v_cmp_lt_u32_e32 vcc_lo, 24, v133
	v_pk_add_f32 v[128:129], v[128:129], v[134:135]
	s_or_b32 s3, vcc_lo, s3
	s_delay_alu instid0(SALU_CYCLE_1)
	s_and_not1_b32 exec_lo, exec_lo, s3
	s_cbranch_execnz .LBB61_867
; %bb.868:
	s_or_b32 exec_lo, exec_lo, s3
.LBB61_869:
	s_delay_alu instid0(SALU_CYCLE_1) | instskip(SKIP_4) | instid1(VALU_DEP_1)
	s_or_b32 exec_lo, exec_lo, s2
	v_mov_b32_e32 v131, 0
	ds_load_b64 v[132:133], v131 offset:208
	s_wait_dscnt 0x0
	v_pk_mul_f32 v[134:135], v[128:129], v[132:133] op_sel:[1,1] op_sel_hi:[0,1]
	v_pk_fma_f32 v[136:137], v[128:129], v[132:133], v[134:135] op_sel_hi:[1,0,1]
	v_pk_fma_f32 v[128:129], v[128:129], v[132:133], v[134:135] neg_lo:[0,0,1] neg_hi:[0,0,1]
	s_delay_alu instid0(VALU_DEP_2)
	v_mov_b32_e32 v129, v137
	scratch_store_b64 off, v[128:129], off offset:208
.LBB61_870:
	s_wait_xcnt 0x0
	s_or_b32 exec_lo, exec_lo, s0
	scratch_load_b64 v[128:129], off, off offset:216
	s_mov_b32 s0, exec_lo
	s_wait_loadcnt 0x0
	ds_store_b64 v1, v[128:129]
	s_wait_storecnt_dscnt 0x0
	s_barrier_signal -1
	s_barrier_wait -1
	s_wait_xcnt 0x0
	v_cmpx_gt_u32_e32 27, v0
	s_cbranch_execz .LBB61_880
; %bb.871:
	v_cmp_ne_u32_e32 vcc_lo, 1, v130
	s_cbranch_vccnz .LBB61_873
; %bb.872:
	scratch_load_b64 v[128:129], v51, off
	ds_load_b64 v[132:133], v1
	s_wait_loadcnt_dscnt 0x0
	v_pk_mul_f32 v[134:135], v[132:133], v[128:129] op_sel:[1,1] op_sel_hi:[0,1]
	s_delay_alu instid0(VALU_DEP_1) | instskip(SKIP_1) | instid1(VALU_DEP_2)
	v_pk_fma_f32 v[136:137], v[132:133], v[128:129], v[134:135] op_sel_hi:[1,0,1]
	v_pk_fma_f32 v[128:129], v[132:133], v[128:129], v[134:135] neg_lo:[0,0,1] neg_hi:[0,0,1]
	v_mov_b32_e32 v129, v137
	s_cbranch_execz .LBB61_874
	s_branch .LBB61_875
.LBB61_873:
                                        ; implicit-def: $vgpr128_vgpr129
.LBB61_874:
	ds_load_b64 v[128:129], v1
.LBB61_875:
	s_mov_b32 s2, exec_lo
	v_cmpx_ne_u32_e32 26, v0
	s_cbranch_execz .LBB61_879
; %bb.876:
	v_add_nc_u32_e32 v131, 0x1f8, v50
	v_add3_u32 v132, 0, v50, 8
	v_mov_b32_e32 v133, v0
	s_mov_b32 s3, 0
.LBB61_877:                             ; =>This Inner Loop Header: Depth=1
	scratch_load_b64 v[134:135], v132, off
	ds_load_b64 v[136:137], v131
	s_wait_xcnt 0x0
	v_dual_add_nc_u32 v131, 8, v131 :: v_dual_add_nc_u32 v132, 8, v132
	s_wait_loadcnt_dscnt 0x0
	v_pk_mul_f32 v[138:139], v[136:137], v[134:135] op_sel:[1,1] op_sel_hi:[0,1]
	s_delay_alu instid0(VALU_DEP_1) | instskip(SKIP_2) | instid1(VALU_DEP_3)
	v_pk_fma_f32 v[140:141], v[136:137], v[134:135], v[138:139] op_sel_hi:[1,0,1]
	v_add_nc_u32_e32 v133, 1, v133
	v_pk_fma_f32 v[134:135], v[136:137], v[134:135], v[138:139] neg_lo:[0,0,1] neg_hi:[0,0,1]
	v_mov_b32_e32 v135, v141
	s_delay_alu instid0(VALU_DEP_3) | instskip(NEXT) | instid1(VALU_DEP_2)
	v_cmp_lt_u32_e32 vcc_lo, 25, v133
	v_pk_add_f32 v[128:129], v[128:129], v[134:135]
	s_or_b32 s3, vcc_lo, s3
	s_delay_alu instid0(SALU_CYCLE_1)
	s_and_not1_b32 exec_lo, exec_lo, s3
	s_cbranch_execnz .LBB61_877
; %bb.878:
	s_or_b32 exec_lo, exec_lo, s3
.LBB61_879:
	s_delay_alu instid0(SALU_CYCLE_1) | instskip(SKIP_4) | instid1(VALU_DEP_1)
	s_or_b32 exec_lo, exec_lo, s2
	v_mov_b32_e32 v131, 0
	ds_load_b64 v[132:133], v131 offset:216
	s_wait_dscnt 0x0
	v_pk_mul_f32 v[134:135], v[128:129], v[132:133] op_sel:[1,1] op_sel_hi:[0,1]
	v_pk_fma_f32 v[136:137], v[128:129], v[132:133], v[134:135] op_sel_hi:[1,0,1]
	v_pk_fma_f32 v[128:129], v[128:129], v[132:133], v[134:135] neg_lo:[0,0,1] neg_hi:[0,0,1]
	s_delay_alu instid0(VALU_DEP_2)
	v_mov_b32_e32 v129, v137
	scratch_store_b64 off, v[128:129], off offset:216
.LBB61_880:
	s_wait_xcnt 0x0
	s_or_b32 exec_lo, exec_lo, s0
	scratch_load_b64 v[128:129], off, off offset:224
	s_mov_b32 s0, exec_lo
	s_wait_loadcnt 0x0
	ds_store_b64 v1, v[128:129]
	s_wait_storecnt_dscnt 0x0
	s_barrier_signal -1
	s_barrier_wait -1
	s_wait_xcnt 0x0
	v_cmpx_gt_u32_e32 28, v0
	s_cbranch_execz .LBB61_890
; %bb.881:
	v_cmp_ne_u32_e32 vcc_lo, 1, v130
	s_cbranch_vccnz .LBB61_883
; %bb.882:
	scratch_load_b64 v[128:129], v51, off
	ds_load_b64 v[132:133], v1
	s_wait_loadcnt_dscnt 0x0
	v_pk_mul_f32 v[134:135], v[132:133], v[128:129] op_sel:[1,1] op_sel_hi:[0,1]
	s_delay_alu instid0(VALU_DEP_1) | instskip(SKIP_1) | instid1(VALU_DEP_2)
	v_pk_fma_f32 v[136:137], v[132:133], v[128:129], v[134:135] op_sel_hi:[1,0,1]
	v_pk_fma_f32 v[128:129], v[132:133], v[128:129], v[134:135] neg_lo:[0,0,1] neg_hi:[0,0,1]
	v_mov_b32_e32 v129, v137
	s_cbranch_execz .LBB61_884
	s_branch .LBB61_885
.LBB61_883:
                                        ; implicit-def: $vgpr128_vgpr129
.LBB61_884:
	ds_load_b64 v[128:129], v1
.LBB61_885:
	s_mov_b32 s2, exec_lo
	v_cmpx_ne_u32_e32 27, v0
	s_cbranch_execz .LBB61_889
; %bb.886:
	v_add_nc_u32_e32 v131, 0x1f8, v50
	v_add3_u32 v132, 0, v50, 8
	v_mov_b32_e32 v133, v0
	s_mov_b32 s3, 0
.LBB61_887:                             ; =>This Inner Loop Header: Depth=1
	scratch_load_b64 v[134:135], v132, off
	ds_load_b64 v[136:137], v131
	s_wait_xcnt 0x0
	v_dual_add_nc_u32 v131, 8, v131 :: v_dual_add_nc_u32 v132, 8, v132
	s_wait_loadcnt_dscnt 0x0
	v_pk_mul_f32 v[138:139], v[136:137], v[134:135] op_sel:[1,1] op_sel_hi:[0,1]
	s_delay_alu instid0(VALU_DEP_1) | instskip(SKIP_2) | instid1(VALU_DEP_3)
	v_pk_fma_f32 v[140:141], v[136:137], v[134:135], v[138:139] op_sel_hi:[1,0,1]
	v_add_nc_u32_e32 v133, 1, v133
	v_pk_fma_f32 v[134:135], v[136:137], v[134:135], v[138:139] neg_lo:[0,0,1] neg_hi:[0,0,1]
	v_mov_b32_e32 v135, v141
	s_delay_alu instid0(VALU_DEP_3) | instskip(NEXT) | instid1(VALU_DEP_2)
	v_cmp_lt_u32_e32 vcc_lo, 26, v133
	v_pk_add_f32 v[128:129], v[128:129], v[134:135]
	s_or_b32 s3, vcc_lo, s3
	s_delay_alu instid0(SALU_CYCLE_1)
	s_and_not1_b32 exec_lo, exec_lo, s3
	s_cbranch_execnz .LBB61_887
; %bb.888:
	s_or_b32 exec_lo, exec_lo, s3
.LBB61_889:
	s_delay_alu instid0(SALU_CYCLE_1) | instskip(SKIP_4) | instid1(VALU_DEP_1)
	s_or_b32 exec_lo, exec_lo, s2
	v_mov_b32_e32 v131, 0
	ds_load_b64 v[132:133], v131 offset:224
	s_wait_dscnt 0x0
	v_pk_mul_f32 v[134:135], v[128:129], v[132:133] op_sel:[1,1] op_sel_hi:[0,1]
	v_pk_fma_f32 v[136:137], v[128:129], v[132:133], v[134:135] op_sel_hi:[1,0,1]
	v_pk_fma_f32 v[128:129], v[128:129], v[132:133], v[134:135] neg_lo:[0,0,1] neg_hi:[0,0,1]
	s_delay_alu instid0(VALU_DEP_2)
	v_mov_b32_e32 v129, v137
	scratch_store_b64 off, v[128:129], off offset:224
.LBB61_890:
	s_wait_xcnt 0x0
	s_or_b32 exec_lo, exec_lo, s0
	scratch_load_b64 v[128:129], off, off offset:232
	s_mov_b32 s0, exec_lo
	s_wait_loadcnt 0x0
	ds_store_b64 v1, v[128:129]
	s_wait_storecnt_dscnt 0x0
	s_barrier_signal -1
	s_barrier_wait -1
	s_wait_xcnt 0x0
	v_cmpx_gt_u32_e32 29, v0
	s_cbranch_execz .LBB61_900
; %bb.891:
	v_cmp_ne_u32_e32 vcc_lo, 1, v130
	s_cbranch_vccnz .LBB61_893
; %bb.892:
	scratch_load_b64 v[128:129], v51, off
	ds_load_b64 v[132:133], v1
	s_wait_loadcnt_dscnt 0x0
	v_pk_mul_f32 v[134:135], v[132:133], v[128:129] op_sel:[1,1] op_sel_hi:[0,1]
	s_delay_alu instid0(VALU_DEP_1) | instskip(SKIP_1) | instid1(VALU_DEP_2)
	v_pk_fma_f32 v[136:137], v[132:133], v[128:129], v[134:135] op_sel_hi:[1,0,1]
	v_pk_fma_f32 v[128:129], v[132:133], v[128:129], v[134:135] neg_lo:[0,0,1] neg_hi:[0,0,1]
	v_mov_b32_e32 v129, v137
	s_cbranch_execz .LBB61_894
	s_branch .LBB61_895
.LBB61_893:
                                        ; implicit-def: $vgpr128_vgpr129
.LBB61_894:
	ds_load_b64 v[128:129], v1
.LBB61_895:
	s_mov_b32 s2, exec_lo
	v_cmpx_ne_u32_e32 28, v0
	s_cbranch_execz .LBB61_899
; %bb.896:
	v_add_nc_u32_e32 v131, 0x1f8, v50
	v_add3_u32 v132, 0, v50, 8
	v_mov_b32_e32 v133, v0
	s_mov_b32 s3, 0
.LBB61_897:                             ; =>This Inner Loop Header: Depth=1
	scratch_load_b64 v[134:135], v132, off
	ds_load_b64 v[136:137], v131
	s_wait_xcnt 0x0
	v_dual_add_nc_u32 v131, 8, v131 :: v_dual_add_nc_u32 v132, 8, v132
	s_wait_loadcnt_dscnt 0x0
	v_pk_mul_f32 v[138:139], v[136:137], v[134:135] op_sel:[1,1] op_sel_hi:[0,1]
	s_delay_alu instid0(VALU_DEP_1) | instskip(SKIP_2) | instid1(VALU_DEP_3)
	v_pk_fma_f32 v[140:141], v[136:137], v[134:135], v[138:139] op_sel_hi:[1,0,1]
	v_add_nc_u32_e32 v133, 1, v133
	v_pk_fma_f32 v[134:135], v[136:137], v[134:135], v[138:139] neg_lo:[0,0,1] neg_hi:[0,0,1]
	v_mov_b32_e32 v135, v141
	s_delay_alu instid0(VALU_DEP_3) | instskip(NEXT) | instid1(VALU_DEP_2)
	v_cmp_lt_u32_e32 vcc_lo, 27, v133
	v_pk_add_f32 v[128:129], v[128:129], v[134:135]
	s_or_b32 s3, vcc_lo, s3
	s_delay_alu instid0(SALU_CYCLE_1)
	s_and_not1_b32 exec_lo, exec_lo, s3
	s_cbranch_execnz .LBB61_897
; %bb.898:
	s_or_b32 exec_lo, exec_lo, s3
.LBB61_899:
	s_delay_alu instid0(SALU_CYCLE_1) | instskip(SKIP_4) | instid1(VALU_DEP_1)
	s_or_b32 exec_lo, exec_lo, s2
	v_mov_b32_e32 v131, 0
	ds_load_b64 v[132:133], v131 offset:232
	s_wait_dscnt 0x0
	v_pk_mul_f32 v[134:135], v[128:129], v[132:133] op_sel:[1,1] op_sel_hi:[0,1]
	v_pk_fma_f32 v[136:137], v[128:129], v[132:133], v[134:135] op_sel_hi:[1,0,1]
	v_pk_fma_f32 v[128:129], v[128:129], v[132:133], v[134:135] neg_lo:[0,0,1] neg_hi:[0,0,1]
	s_delay_alu instid0(VALU_DEP_2)
	v_mov_b32_e32 v129, v137
	scratch_store_b64 off, v[128:129], off offset:232
.LBB61_900:
	s_wait_xcnt 0x0
	s_or_b32 exec_lo, exec_lo, s0
	scratch_load_b64 v[128:129], off, off offset:240
	s_mov_b32 s0, exec_lo
	s_wait_loadcnt 0x0
	ds_store_b64 v1, v[128:129]
	s_wait_storecnt_dscnt 0x0
	s_barrier_signal -1
	s_barrier_wait -1
	s_wait_xcnt 0x0
	v_cmpx_gt_u32_e32 30, v0
	s_cbranch_execz .LBB61_910
; %bb.901:
	v_cmp_ne_u32_e32 vcc_lo, 1, v130
	s_cbranch_vccnz .LBB61_903
; %bb.902:
	scratch_load_b64 v[128:129], v51, off
	ds_load_b64 v[132:133], v1
	s_wait_loadcnt_dscnt 0x0
	v_pk_mul_f32 v[134:135], v[132:133], v[128:129] op_sel:[1,1] op_sel_hi:[0,1]
	s_delay_alu instid0(VALU_DEP_1) | instskip(SKIP_1) | instid1(VALU_DEP_2)
	v_pk_fma_f32 v[136:137], v[132:133], v[128:129], v[134:135] op_sel_hi:[1,0,1]
	v_pk_fma_f32 v[128:129], v[132:133], v[128:129], v[134:135] neg_lo:[0,0,1] neg_hi:[0,0,1]
	v_mov_b32_e32 v129, v137
	s_cbranch_execz .LBB61_904
	s_branch .LBB61_905
.LBB61_903:
                                        ; implicit-def: $vgpr128_vgpr129
.LBB61_904:
	ds_load_b64 v[128:129], v1
.LBB61_905:
	s_mov_b32 s2, exec_lo
	v_cmpx_ne_u32_e32 29, v0
	s_cbranch_execz .LBB61_909
; %bb.906:
	v_add_nc_u32_e32 v131, 0x1f8, v50
	v_add3_u32 v132, 0, v50, 8
	v_mov_b32_e32 v133, v0
	s_mov_b32 s3, 0
.LBB61_907:                             ; =>This Inner Loop Header: Depth=1
	scratch_load_b64 v[134:135], v132, off
	ds_load_b64 v[136:137], v131
	s_wait_xcnt 0x0
	v_dual_add_nc_u32 v131, 8, v131 :: v_dual_add_nc_u32 v132, 8, v132
	s_wait_loadcnt_dscnt 0x0
	v_pk_mul_f32 v[138:139], v[136:137], v[134:135] op_sel:[1,1] op_sel_hi:[0,1]
	s_delay_alu instid0(VALU_DEP_1) | instskip(SKIP_2) | instid1(VALU_DEP_3)
	v_pk_fma_f32 v[140:141], v[136:137], v[134:135], v[138:139] op_sel_hi:[1,0,1]
	v_add_nc_u32_e32 v133, 1, v133
	v_pk_fma_f32 v[134:135], v[136:137], v[134:135], v[138:139] neg_lo:[0,0,1] neg_hi:[0,0,1]
	v_mov_b32_e32 v135, v141
	s_delay_alu instid0(VALU_DEP_3) | instskip(NEXT) | instid1(VALU_DEP_2)
	v_cmp_lt_u32_e32 vcc_lo, 28, v133
	v_pk_add_f32 v[128:129], v[128:129], v[134:135]
	s_or_b32 s3, vcc_lo, s3
	s_delay_alu instid0(SALU_CYCLE_1)
	s_and_not1_b32 exec_lo, exec_lo, s3
	s_cbranch_execnz .LBB61_907
; %bb.908:
	s_or_b32 exec_lo, exec_lo, s3
.LBB61_909:
	s_delay_alu instid0(SALU_CYCLE_1) | instskip(SKIP_4) | instid1(VALU_DEP_1)
	s_or_b32 exec_lo, exec_lo, s2
	v_mov_b32_e32 v131, 0
	ds_load_b64 v[132:133], v131 offset:240
	s_wait_dscnt 0x0
	v_pk_mul_f32 v[134:135], v[128:129], v[132:133] op_sel:[1,1] op_sel_hi:[0,1]
	v_pk_fma_f32 v[136:137], v[128:129], v[132:133], v[134:135] op_sel_hi:[1,0,1]
	v_pk_fma_f32 v[128:129], v[128:129], v[132:133], v[134:135] neg_lo:[0,0,1] neg_hi:[0,0,1]
	s_delay_alu instid0(VALU_DEP_2)
	v_mov_b32_e32 v129, v137
	scratch_store_b64 off, v[128:129], off offset:240
.LBB61_910:
	s_wait_xcnt 0x0
	s_or_b32 exec_lo, exec_lo, s0
	scratch_load_b64 v[128:129], off, off offset:248
	s_mov_b32 s0, exec_lo
	s_wait_loadcnt 0x0
	ds_store_b64 v1, v[128:129]
	s_wait_storecnt_dscnt 0x0
	s_barrier_signal -1
	s_barrier_wait -1
	s_wait_xcnt 0x0
	v_cmpx_gt_u32_e32 31, v0
	s_cbranch_execz .LBB61_920
; %bb.911:
	v_cmp_ne_u32_e32 vcc_lo, 1, v130
	s_cbranch_vccnz .LBB61_913
; %bb.912:
	scratch_load_b64 v[128:129], v51, off
	ds_load_b64 v[132:133], v1
	s_wait_loadcnt_dscnt 0x0
	v_pk_mul_f32 v[134:135], v[132:133], v[128:129] op_sel:[1,1] op_sel_hi:[0,1]
	s_delay_alu instid0(VALU_DEP_1) | instskip(SKIP_1) | instid1(VALU_DEP_2)
	v_pk_fma_f32 v[136:137], v[132:133], v[128:129], v[134:135] op_sel_hi:[1,0,1]
	v_pk_fma_f32 v[128:129], v[132:133], v[128:129], v[134:135] neg_lo:[0,0,1] neg_hi:[0,0,1]
	v_mov_b32_e32 v129, v137
	s_cbranch_execz .LBB61_914
	s_branch .LBB61_915
.LBB61_913:
                                        ; implicit-def: $vgpr128_vgpr129
.LBB61_914:
	ds_load_b64 v[128:129], v1
.LBB61_915:
	s_mov_b32 s2, exec_lo
	v_cmpx_ne_u32_e32 30, v0
	s_cbranch_execz .LBB61_919
; %bb.916:
	v_add_nc_u32_e32 v131, 0x1f8, v50
	v_add3_u32 v132, 0, v50, 8
	v_mov_b32_e32 v133, v0
	s_mov_b32 s3, 0
.LBB61_917:                             ; =>This Inner Loop Header: Depth=1
	scratch_load_b64 v[134:135], v132, off
	ds_load_b64 v[136:137], v131
	s_wait_xcnt 0x0
	v_dual_add_nc_u32 v131, 8, v131 :: v_dual_add_nc_u32 v132, 8, v132
	s_wait_loadcnt_dscnt 0x0
	v_pk_mul_f32 v[138:139], v[136:137], v[134:135] op_sel:[1,1] op_sel_hi:[0,1]
	s_delay_alu instid0(VALU_DEP_1) | instskip(SKIP_2) | instid1(VALU_DEP_3)
	v_pk_fma_f32 v[140:141], v[136:137], v[134:135], v[138:139] op_sel_hi:[1,0,1]
	v_add_nc_u32_e32 v133, 1, v133
	v_pk_fma_f32 v[134:135], v[136:137], v[134:135], v[138:139] neg_lo:[0,0,1] neg_hi:[0,0,1]
	v_mov_b32_e32 v135, v141
	s_delay_alu instid0(VALU_DEP_3) | instskip(NEXT) | instid1(VALU_DEP_2)
	v_cmp_lt_u32_e32 vcc_lo, 29, v133
	v_pk_add_f32 v[128:129], v[128:129], v[134:135]
	s_or_b32 s3, vcc_lo, s3
	s_delay_alu instid0(SALU_CYCLE_1)
	s_and_not1_b32 exec_lo, exec_lo, s3
	s_cbranch_execnz .LBB61_917
; %bb.918:
	s_or_b32 exec_lo, exec_lo, s3
.LBB61_919:
	s_delay_alu instid0(SALU_CYCLE_1) | instskip(SKIP_4) | instid1(VALU_DEP_1)
	s_or_b32 exec_lo, exec_lo, s2
	v_mov_b32_e32 v131, 0
	ds_load_b64 v[132:133], v131 offset:248
	s_wait_dscnt 0x0
	v_pk_mul_f32 v[134:135], v[128:129], v[132:133] op_sel:[1,1] op_sel_hi:[0,1]
	v_pk_fma_f32 v[136:137], v[128:129], v[132:133], v[134:135] op_sel_hi:[1,0,1]
	v_pk_fma_f32 v[128:129], v[128:129], v[132:133], v[134:135] neg_lo:[0,0,1] neg_hi:[0,0,1]
	s_delay_alu instid0(VALU_DEP_2)
	v_mov_b32_e32 v129, v137
	scratch_store_b64 off, v[128:129], off offset:248
.LBB61_920:
	s_wait_xcnt 0x0
	s_or_b32 exec_lo, exec_lo, s0
	scratch_load_b64 v[128:129], off, off offset:256
	s_mov_b32 s0, exec_lo
	s_wait_loadcnt 0x0
	ds_store_b64 v1, v[128:129]
	s_wait_storecnt_dscnt 0x0
	s_barrier_signal -1
	s_barrier_wait -1
	s_wait_xcnt 0x0
	v_cmpx_gt_u32_e32 32, v0
	s_cbranch_execz .LBB61_930
; %bb.921:
	v_cmp_ne_u32_e32 vcc_lo, 1, v130
	s_cbranch_vccnz .LBB61_923
; %bb.922:
	scratch_load_b64 v[128:129], v51, off
	ds_load_b64 v[132:133], v1
	s_wait_loadcnt_dscnt 0x0
	v_pk_mul_f32 v[134:135], v[132:133], v[128:129] op_sel:[1,1] op_sel_hi:[0,1]
	s_delay_alu instid0(VALU_DEP_1) | instskip(SKIP_1) | instid1(VALU_DEP_2)
	v_pk_fma_f32 v[136:137], v[132:133], v[128:129], v[134:135] op_sel_hi:[1,0,1]
	v_pk_fma_f32 v[128:129], v[132:133], v[128:129], v[134:135] neg_lo:[0,0,1] neg_hi:[0,0,1]
	v_mov_b32_e32 v129, v137
	s_cbranch_execz .LBB61_924
	s_branch .LBB61_925
.LBB61_923:
                                        ; implicit-def: $vgpr128_vgpr129
.LBB61_924:
	ds_load_b64 v[128:129], v1
.LBB61_925:
	s_mov_b32 s2, exec_lo
	v_cmpx_ne_u32_e32 31, v0
	s_cbranch_execz .LBB61_929
; %bb.926:
	v_add_nc_u32_e32 v131, 0x1f8, v50
	v_add3_u32 v132, 0, v50, 8
	v_mov_b32_e32 v133, v0
	s_mov_b32 s3, 0
.LBB61_927:                             ; =>This Inner Loop Header: Depth=1
	scratch_load_b64 v[134:135], v132, off
	ds_load_b64 v[136:137], v131
	s_wait_xcnt 0x0
	v_dual_add_nc_u32 v131, 8, v131 :: v_dual_add_nc_u32 v132, 8, v132
	s_wait_loadcnt_dscnt 0x0
	v_pk_mul_f32 v[138:139], v[136:137], v[134:135] op_sel:[1,1] op_sel_hi:[0,1]
	s_delay_alu instid0(VALU_DEP_1) | instskip(SKIP_2) | instid1(VALU_DEP_3)
	v_pk_fma_f32 v[140:141], v[136:137], v[134:135], v[138:139] op_sel_hi:[1,0,1]
	v_add_nc_u32_e32 v133, 1, v133
	v_pk_fma_f32 v[134:135], v[136:137], v[134:135], v[138:139] neg_lo:[0,0,1] neg_hi:[0,0,1]
	v_mov_b32_e32 v135, v141
	s_delay_alu instid0(VALU_DEP_3) | instskip(NEXT) | instid1(VALU_DEP_2)
	v_cmp_lt_u32_e32 vcc_lo, 30, v133
	v_pk_add_f32 v[128:129], v[128:129], v[134:135]
	s_or_b32 s3, vcc_lo, s3
	s_delay_alu instid0(SALU_CYCLE_1)
	s_and_not1_b32 exec_lo, exec_lo, s3
	s_cbranch_execnz .LBB61_927
; %bb.928:
	s_or_b32 exec_lo, exec_lo, s3
.LBB61_929:
	s_delay_alu instid0(SALU_CYCLE_1) | instskip(SKIP_4) | instid1(VALU_DEP_1)
	s_or_b32 exec_lo, exec_lo, s2
	v_mov_b32_e32 v131, 0
	ds_load_b64 v[132:133], v131 offset:256
	s_wait_dscnt 0x0
	v_pk_mul_f32 v[134:135], v[128:129], v[132:133] op_sel:[1,1] op_sel_hi:[0,1]
	v_pk_fma_f32 v[136:137], v[128:129], v[132:133], v[134:135] op_sel_hi:[1,0,1]
	v_pk_fma_f32 v[128:129], v[128:129], v[132:133], v[134:135] neg_lo:[0,0,1] neg_hi:[0,0,1]
	s_delay_alu instid0(VALU_DEP_2)
	v_mov_b32_e32 v129, v137
	scratch_store_b64 off, v[128:129], off offset:256
.LBB61_930:
	s_wait_xcnt 0x0
	s_or_b32 exec_lo, exec_lo, s0
	scratch_load_b64 v[128:129], off, off offset:264
	s_mov_b32 s0, exec_lo
	s_wait_loadcnt 0x0
	ds_store_b64 v1, v[128:129]
	s_wait_storecnt_dscnt 0x0
	s_barrier_signal -1
	s_barrier_wait -1
	s_wait_xcnt 0x0
	v_cmpx_gt_u32_e32 33, v0
	s_cbranch_execz .LBB61_940
; %bb.931:
	v_cmp_ne_u32_e32 vcc_lo, 1, v130
	s_cbranch_vccnz .LBB61_933
; %bb.932:
	scratch_load_b64 v[128:129], v51, off
	ds_load_b64 v[132:133], v1
	s_wait_loadcnt_dscnt 0x0
	v_pk_mul_f32 v[134:135], v[132:133], v[128:129] op_sel:[1,1] op_sel_hi:[0,1]
	s_delay_alu instid0(VALU_DEP_1) | instskip(SKIP_1) | instid1(VALU_DEP_2)
	v_pk_fma_f32 v[136:137], v[132:133], v[128:129], v[134:135] op_sel_hi:[1,0,1]
	v_pk_fma_f32 v[128:129], v[132:133], v[128:129], v[134:135] neg_lo:[0,0,1] neg_hi:[0,0,1]
	v_mov_b32_e32 v129, v137
	s_cbranch_execz .LBB61_934
	s_branch .LBB61_935
.LBB61_933:
                                        ; implicit-def: $vgpr128_vgpr129
.LBB61_934:
	ds_load_b64 v[128:129], v1
.LBB61_935:
	s_mov_b32 s2, exec_lo
	v_cmpx_ne_u32_e32 32, v0
	s_cbranch_execz .LBB61_939
; %bb.936:
	v_add_nc_u32_e32 v131, 0x1f8, v50
	v_add3_u32 v132, 0, v50, 8
	v_mov_b32_e32 v133, v0
	s_mov_b32 s3, 0
.LBB61_937:                             ; =>This Inner Loop Header: Depth=1
	scratch_load_b64 v[134:135], v132, off
	ds_load_b64 v[136:137], v131
	s_wait_xcnt 0x0
	v_dual_add_nc_u32 v131, 8, v131 :: v_dual_add_nc_u32 v132, 8, v132
	s_wait_loadcnt_dscnt 0x0
	v_pk_mul_f32 v[138:139], v[136:137], v[134:135] op_sel:[1,1] op_sel_hi:[0,1]
	s_delay_alu instid0(VALU_DEP_1) | instskip(SKIP_2) | instid1(VALU_DEP_3)
	v_pk_fma_f32 v[140:141], v[136:137], v[134:135], v[138:139] op_sel_hi:[1,0,1]
	v_add_nc_u32_e32 v133, 1, v133
	v_pk_fma_f32 v[134:135], v[136:137], v[134:135], v[138:139] neg_lo:[0,0,1] neg_hi:[0,0,1]
	v_mov_b32_e32 v135, v141
	s_delay_alu instid0(VALU_DEP_3) | instskip(NEXT) | instid1(VALU_DEP_2)
	v_cmp_lt_u32_e32 vcc_lo, 31, v133
	v_pk_add_f32 v[128:129], v[128:129], v[134:135]
	s_or_b32 s3, vcc_lo, s3
	s_delay_alu instid0(SALU_CYCLE_1)
	s_and_not1_b32 exec_lo, exec_lo, s3
	s_cbranch_execnz .LBB61_937
; %bb.938:
	s_or_b32 exec_lo, exec_lo, s3
.LBB61_939:
	s_delay_alu instid0(SALU_CYCLE_1) | instskip(SKIP_4) | instid1(VALU_DEP_1)
	s_or_b32 exec_lo, exec_lo, s2
	v_mov_b32_e32 v131, 0
	ds_load_b64 v[132:133], v131 offset:264
	s_wait_dscnt 0x0
	v_pk_mul_f32 v[134:135], v[128:129], v[132:133] op_sel:[1,1] op_sel_hi:[0,1]
	v_pk_fma_f32 v[136:137], v[128:129], v[132:133], v[134:135] op_sel_hi:[1,0,1]
	v_pk_fma_f32 v[128:129], v[128:129], v[132:133], v[134:135] neg_lo:[0,0,1] neg_hi:[0,0,1]
	s_delay_alu instid0(VALU_DEP_2)
	v_mov_b32_e32 v129, v137
	scratch_store_b64 off, v[128:129], off offset:264
.LBB61_940:
	s_wait_xcnt 0x0
	s_or_b32 exec_lo, exec_lo, s0
	scratch_load_b64 v[128:129], off, off offset:272
	s_mov_b32 s0, exec_lo
	s_wait_loadcnt 0x0
	ds_store_b64 v1, v[128:129]
	s_wait_storecnt_dscnt 0x0
	s_barrier_signal -1
	s_barrier_wait -1
	s_wait_xcnt 0x0
	v_cmpx_gt_u32_e32 34, v0
	s_cbranch_execz .LBB61_950
; %bb.941:
	v_cmp_ne_u32_e32 vcc_lo, 1, v130
	s_cbranch_vccnz .LBB61_943
; %bb.942:
	scratch_load_b64 v[128:129], v51, off
	ds_load_b64 v[132:133], v1
	s_wait_loadcnt_dscnt 0x0
	v_pk_mul_f32 v[134:135], v[132:133], v[128:129] op_sel:[1,1] op_sel_hi:[0,1]
	s_delay_alu instid0(VALU_DEP_1) | instskip(SKIP_1) | instid1(VALU_DEP_2)
	v_pk_fma_f32 v[136:137], v[132:133], v[128:129], v[134:135] op_sel_hi:[1,0,1]
	v_pk_fma_f32 v[128:129], v[132:133], v[128:129], v[134:135] neg_lo:[0,0,1] neg_hi:[0,0,1]
	v_mov_b32_e32 v129, v137
	s_cbranch_execz .LBB61_944
	s_branch .LBB61_945
.LBB61_943:
                                        ; implicit-def: $vgpr128_vgpr129
.LBB61_944:
	ds_load_b64 v[128:129], v1
.LBB61_945:
	s_mov_b32 s2, exec_lo
	v_cmpx_ne_u32_e32 33, v0
	s_cbranch_execz .LBB61_949
; %bb.946:
	v_add_nc_u32_e32 v131, 0x1f8, v50
	v_add3_u32 v132, 0, v50, 8
	v_mov_b32_e32 v133, v0
	s_mov_b32 s3, 0
.LBB61_947:                             ; =>This Inner Loop Header: Depth=1
	scratch_load_b64 v[134:135], v132, off
	ds_load_b64 v[136:137], v131
	s_wait_xcnt 0x0
	v_dual_add_nc_u32 v131, 8, v131 :: v_dual_add_nc_u32 v132, 8, v132
	s_wait_loadcnt_dscnt 0x0
	v_pk_mul_f32 v[138:139], v[136:137], v[134:135] op_sel:[1,1] op_sel_hi:[0,1]
	s_delay_alu instid0(VALU_DEP_1) | instskip(SKIP_2) | instid1(VALU_DEP_3)
	v_pk_fma_f32 v[140:141], v[136:137], v[134:135], v[138:139] op_sel_hi:[1,0,1]
	v_add_nc_u32_e32 v133, 1, v133
	v_pk_fma_f32 v[134:135], v[136:137], v[134:135], v[138:139] neg_lo:[0,0,1] neg_hi:[0,0,1]
	v_mov_b32_e32 v135, v141
	s_delay_alu instid0(VALU_DEP_3) | instskip(NEXT) | instid1(VALU_DEP_2)
	v_cmp_lt_u32_e32 vcc_lo, 32, v133
	v_pk_add_f32 v[128:129], v[128:129], v[134:135]
	s_or_b32 s3, vcc_lo, s3
	s_delay_alu instid0(SALU_CYCLE_1)
	s_and_not1_b32 exec_lo, exec_lo, s3
	s_cbranch_execnz .LBB61_947
; %bb.948:
	s_or_b32 exec_lo, exec_lo, s3
.LBB61_949:
	s_delay_alu instid0(SALU_CYCLE_1) | instskip(SKIP_4) | instid1(VALU_DEP_1)
	s_or_b32 exec_lo, exec_lo, s2
	v_mov_b32_e32 v131, 0
	ds_load_b64 v[132:133], v131 offset:272
	s_wait_dscnt 0x0
	v_pk_mul_f32 v[134:135], v[128:129], v[132:133] op_sel:[1,1] op_sel_hi:[0,1]
	v_pk_fma_f32 v[136:137], v[128:129], v[132:133], v[134:135] op_sel_hi:[1,0,1]
	v_pk_fma_f32 v[128:129], v[128:129], v[132:133], v[134:135] neg_lo:[0,0,1] neg_hi:[0,0,1]
	s_delay_alu instid0(VALU_DEP_2)
	v_mov_b32_e32 v129, v137
	scratch_store_b64 off, v[128:129], off offset:272
.LBB61_950:
	s_wait_xcnt 0x0
	s_or_b32 exec_lo, exec_lo, s0
	scratch_load_b64 v[128:129], off, off offset:280
	s_mov_b32 s0, exec_lo
	s_wait_loadcnt 0x0
	ds_store_b64 v1, v[128:129]
	s_wait_storecnt_dscnt 0x0
	s_barrier_signal -1
	s_barrier_wait -1
	s_wait_xcnt 0x0
	v_cmpx_gt_u32_e32 35, v0
	s_cbranch_execz .LBB61_960
; %bb.951:
	v_cmp_ne_u32_e32 vcc_lo, 1, v130
	s_cbranch_vccnz .LBB61_953
; %bb.952:
	scratch_load_b64 v[128:129], v51, off
	ds_load_b64 v[132:133], v1
	s_wait_loadcnt_dscnt 0x0
	v_pk_mul_f32 v[134:135], v[132:133], v[128:129] op_sel:[1,1] op_sel_hi:[0,1]
	s_delay_alu instid0(VALU_DEP_1) | instskip(SKIP_1) | instid1(VALU_DEP_2)
	v_pk_fma_f32 v[136:137], v[132:133], v[128:129], v[134:135] op_sel_hi:[1,0,1]
	v_pk_fma_f32 v[128:129], v[132:133], v[128:129], v[134:135] neg_lo:[0,0,1] neg_hi:[0,0,1]
	v_mov_b32_e32 v129, v137
	s_cbranch_execz .LBB61_954
	s_branch .LBB61_955
.LBB61_953:
                                        ; implicit-def: $vgpr128_vgpr129
.LBB61_954:
	ds_load_b64 v[128:129], v1
.LBB61_955:
	s_mov_b32 s2, exec_lo
	v_cmpx_ne_u32_e32 34, v0
	s_cbranch_execz .LBB61_959
; %bb.956:
	v_add_nc_u32_e32 v131, 0x1f8, v50
	v_add3_u32 v132, 0, v50, 8
	v_mov_b32_e32 v133, v0
	s_mov_b32 s3, 0
.LBB61_957:                             ; =>This Inner Loop Header: Depth=1
	scratch_load_b64 v[134:135], v132, off
	ds_load_b64 v[136:137], v131
	s_wait_xcnt 0x0
	v_dual_add_nc_u32 v131, 8, v131 :: v_dual_add_nc_u32 v132, 8, v132
	s_wait_loadcnt_dscnt 0x0
	v_pk_mul_f32 v[138:139], v[136:137], v[134:135] op_sel:[1,1] op_sel_hi:[0,1]
	s_delay_alu instid0(VALU_DEP_1) | instskip(SKIP_2) | instid1(VALU_DEP_3)
	v_pk_fma_f32 v[140:141], v[136:137], v[134:135], v[138:139] op_sel_hi:[1,0,1]
	v_add_nc_u32_e32 v133, 1, v133
	v_pk_fma_f32 v[134:135], v[136:137], v[134:135], v[138:139] neg_lo:[0,0,1] neg_hi:[0,0,1]
	v_mov_b32_e32 v135, v141
	s_delay_alu instid0(VALU_DEP_3) | instskip(NEXT) | instid1(VALU_DEP_2)
	v_cmp_lt_u32_e32 vcc_lo, 33, v133
	v_pk_add_f32 v[128:129], v[128:129], v[134:135]
	s_or_b32 s3, vcc_lo, s3
	s_delay_alu instid0(SALU_CYCLE_1)
	s_and_not1_b32 exec_lo, exec_lo, s3
	s_cbranch_execnz .LBB61_957
; %bb.958:
	s_or_b32 exec_lo, exec_lo, s3
.LBB61_959:
	s_delay_alu instid0(SALU_CYCLE_1) | instskip(SKIP_4) | instid1(VALU_DEP_1)
	s_or_b32 exec_lo, exec_lo, s2
	v_mov_b32_e32 v131, 0
	ds_load_b64 v[132:133], v131 offset:280
	s_wait_dscnt 0x0
	v_pk_mul_f32 v[134:135], v[128:129], v[132:133] op_sel:[1,1] op_sel_hi:[0,1]
	v_pk_fma_f32 v[136:137], v[128:129], v[132:133], v[134:135] op_sel_hi:[1,0,1]
	v_pk_fma_f32 v[128:129], v[128:129], v[132:133], v[134:135] neg_lo:[0,0,1] neg_hi:[0,0,1]
	s_delay_alu instid0(VALU_DEP_2)
	v_mov_b32_e32 v129, v137
	scratch_store_b64 off, v[128:129], off offset:280
.LBB61_960:
	s_wait_xcnt 0x0
	s_or_b32 exec_lo, exec_lo, s0
	scratch_load_b64 v[128:129], off, off offset:288
	s_mov_b32 s0, exec_lo
	s_wait_loadcnt 0x0
	ds_store_b64 v1, v[128:129]
	s_wait_storecnt_dscnt 0x0
	s_barrier_signal -1
	s_barrier_wait -1
	s_wait_xcnt 0x0
	v_cmpx_gt_u32_e32 36, v0
	s_cbranch_execz .LBB61_970
; %bb.961:
	v_cmp_ne_u32_e32 vcc_lo, 1, v130
	s_cbranch_vccnz .LBB61_963
; %bb.962:
	scratch_load_b64 v[128:129], v51, off
	ds_load_b64 v[132:133], v1
	s_wait_loadcnt_dscnt 0x0
	v_pk_mul_f32 v[134:135], v[132:133], v[128:129] op_sel:[1,1] op_sel_hi:[0,1]
	s_delay_alu instid0(VALU_DEP_1) | instskip(SKIP_1) | instid1(VALU_DEP_2)
	v_pk_fma_f32 v[136:137], v[132:133], v[128:129], v[134:135] op_sel_hi:[1,0,1]
	v_pk_fma_f32 v[128:129], v[132:133], v[128:129], v[134:135] neg_lo:[0,0,1] neg_hi:[0,0,1]
	v_mov_b32_e32 v129, v137
	s_cbranch_execz .LBB61_964
	s_branch .LBB61_965
.LBB61_963:
                                        ; implicit-def: $vgpr128_vgpr129
.LBB61_964:
	ds_load_b64 v[128:129], v1
.LBB61_965:
	s_mov_b32 s2, exec_lo
	v_cmpx_ne_u32_e32 35, v0
	s_cbranch_execz .LBB61_969
; %bb.966:
	v_add_nc_u32_e32 v131, 0x1f8, v50
	v_add3_u32 v132, 0, v50, 8
	v_mov_b32_e32 v133, v0
	s_mov_b32 s3, 0
.LBB61_967:                             ; =>This Inner Loop Header: Depth=1
	scratch_load_b64 v[134:135], v132, off
	ds_load_b64 v[136:137], v131
	s_wait_xcnt 0x0
	v_dual_add_nc_u32 v131, 8, v131 :: v_dual_add_nc_u32 v132, 8, v132
	s_wait_loadcnt_dscnt 0x0
	v_pk_mul_f32 v[138:139], v[136:137], v[134:135] op_sel:[1,1] op_sel_hi:[0,1]
	s_delay_alu instid0(VALU_DEP_1) | instskip(SKIP_2) | instid1(VALU_DEP_3)
	v_pk_fma_f32 v[140:141], v[136:137], v[134:135], v[138:139] op_sel_hi:[1,0,1]
	v_add_nc_u32_e32 v133, 1, v133
	v_pk_fma_f32 v[134:135], v[136:137], v[134:135], v[138:139] neg_lo:[0,0,1] neg_hi:[0,0,1]
	v_mov_b32_e32 v135, v141
	s_delay_alu instid0(VALU_DEP_3) | instskip(NEXT) | instid1(VALU_DEP_2)
	v_cmp_lt_u32_e32 vcc_lo, 34, v133
	v_pk_add_f32 v[128:129], v[128:129], v[134:135]
	s_or_b32 s3, vcc_lo, s3
	s_delay_alu instid0(SALU_CYCLE_1)
	s_and_not1_b32 exec_lo, exec_lo, s3
	s_cbranch_execnz .LBB61_967
; %bb.968:
	s_or_b32 exec_lo, exec_lo, s3
.LBB61_969:
	s_delay_alu instid0(SALU_CYCLE_1) | instskip(SKIP_4) | instid1(VALU_DEP_1)
	s_or_b32 exec_lo, exec_lo, s2
	v_mov_b32_e32 v131, 0
	ds_load_b64 v[132:133], v131 offset:288
	s_wait_dscnt 0x0
	v_pk_mul_f32 v[134:135], v[128:129], v[132:133] op_sel:[1,1] op_sel_hi:[0,1]
	v_pk_fma_f32 v[136:137], v[128:129], v[132:133], v[134:135] op_sel_hi:[1,0,1]
	v_pk_fma_f32 v[128:129], v[128:129], v[132:133], v[134:135] neg_lo:[0,0,1] neg_hi:[0,0,1]
	s_delay_alu instid0(VALU_DEP_2)
	v_mov_b32_e32 v129, v137
	scratch_store_b64 off, v[128:129], off offset:288
.LBB61_970:
	s_wait_xcnt 0x0
	s_or_b32 exec_lo, exec_lo, s0
	scratch_load_b64 v[128:129], off, off offset:296
	s_mov_b32 s0, exec_lo
	s_wait_loadcnt 0x0
	ds_store_b64 v1, v[128:129]
	s_wait_storecnt_dscnt 0x0
	s_barrier_signal -1
	s_barrier_wait -1
	s_wait_xcnt 0x0
	v_cmpx_gt_u32_e32 37, v0
	s_cbranch_execz .LBB61_980
; %bb.971:
	v_cmp_ne_u32_e32 vcc_lo, 1, v130
	s_cbranch_vccnz .LBB61_973
; %bb.972:
	scratch_load_b64 v[128:129], v51, off
	ds_load_b64 v[132:133], v1
	s_wait_loadcnt_dscnt 0x0
	v_pk_mul_f32 v[134:135], v[132:133], v[128:129] op_sel:[1,1] op_sel_hi:[0,1]
	s_delay_alu instid0(VALU_DEP_1) | instskip(SKIP_1) | instid1(VALU_DEP_2)
	v_pk_fma_f32 v[136:137], v[132:133], v[128:129], v[134:135] op_sel_hi:[1,0,1]
	v_pk_fma_f32 v[128:129], v[132:133], v[128:129], v[134:135] neg_lo:[0,0,1] neg_hi:[0,0,1]
	v_mov_b32_e32 v129, v137
	s_cbranch_execz .LBB61_974
	s_branch .LBB61_975
.LBB61_973:
                                        ; implicit-def: $vgpr128_vgpr129
.LBB61_974:
	ds_load_b64 v[128:129], v1
.LBB61_975:
	s_mov_b32 s2, exec_lo
	v_cmpx_ne_u32_e32 36, v0
	s_cbranch_execz .LBB61_979
; %bb.976:
	v_add_nc_u32_e32 v131, 0x1f8, v50
	v_add3_u32 v132, 0, v50, 8
	v_mov_b32_e32 v133, v0
	s_mov_b32 s3, 0
.LBB61_977:                             ; =>This Inner Loop Header: Depth=1
	scratch_load_b64 v[134:135], v132, off
	ds_load_b64 v[136:137], v131
	s_wait_xcnt 0x0
	v_dual_add_nc_u32 v131, 8, v131 :: v_dual_add_nc_u32 v132, 8, v132
	s_wait_loadcnt_dscnt 0x0
	v_pk_mul_f32 v[138:139], v[136:137], v[134:135] op_sel:[1,1] op_sel_hi:[0,1]
	s_delay_alu instid0(VALU_DEP_1) | instskip(SKIP_2) | instid1(VALU_DEP_3)
	v_pk_fma_f32 v[140:141], v[136:137], v[134:135], v[138:139] op_sel_hi:[1,0,1]
	v_add_nc_u32_e32 v133, 1, v133
	v_pk_fma_f32 v[134:135], v[136:137], v[134:135], v[138:139] neg_lo:[0,0,1] neg_hi:[0,0,1]
	v_mov_b32_e32 v135, v141
	s_delay_alu instid0(VALU_DEP_3) | instskip(NEXT) | instid1(VALU_DEP_2)
	v_cmp_lt_u32_e32 vcc_lo, 35, v133
	v_pk_add_f32 v[128:129], v[128:129], v[134:135]
	s_or_b32 s3, vcc_lo, s3
	s_delay_alu instid0(SALU_CYCLE_1)
	s_and_not1_b32 exec_lo, exec_lo, s3
	s_cbranch_execnz .LBB61_977
; %bb.978:
	s_or_b32 exec_lo, exec_lo, s3
.LBB61_979:
	s_delay_alu instid0(SALU_CYCLE_1) | instskip(SKIP_4) | instid1(VALU_DEP_1)
	s_or_b32 exec_lo, exec_lo, s2
	v_mov_b32_e32 v131, 0
	ds_load_b64 v[132:133], v131 offset:296
	s_wait_dscnt 0x0
	v_pk_mul_f32 v[134:135], v[128:129], v[132:133] op_sel:[1,1] op_sel_hi:[0,1]
	v_pk_fma_f32 v[136:137], v[128:129], v[132:133], v[134:135] op_sel_hi:[1,0,1]
	v_pk_fma_f32 v[128:129], v[128:129], v[132:133], v[134:135] neg_lo:[0,0,1] neg_hi:[0,0,1]
	s_delay_alu instid0(VALU_DEP_2)
	v_mov_b32_e32 v129, v137
	scratch_store_b64 off, v[128:129], off offset:296
.LBB61_980:
	s_wait_xcnt 0x0
	s_or_b32 exec_lo, exec_lo, s0
	scratch_load_b64 v[128:129], off, off offset:304
	s_mov_b32 s0, exec_lo
	s_wait_loadcnt 0x0
	ds_store_b64 v1, v[128:129]
	s_wait_storecnt_dscnt 0x0
	s_barrier_signal -1
	s_barrier_wait -1
	s_wait_xcnt 0x0
	v_cmpx_gt_u32_e32 38, v0
	s_cbranch_execz .LBB61_990
; %bb.981:
	v_cmp_ne_u32_e32 vcc_lo, 1, v130
	s_cbranch_vccnz .LBB61_983
; %bb.982:
	scratch_load_b64 v[128:129], v51, off
	ds_load_b64 v[132:133], v1
	s_wait_loadcnt_dscnt 0x0
	v_pk_mul_f32 v[134:135], v[132:133], v[128:129] op_sel:[1,1] op_sel_hi:[0,1]
	s_delay_alu instid0(VALU_DEP_1) | instskip(SKIP_1) | instid1(VALU_DEP_2)
	v_pk_fma_f32 v[136:137], v[132:133], v[128:129], v[134:135] op_sel_hi:[1,0,1]
	v_pk_fma_f32 v[128:129], v[132:133], v[128:129], v[134:135] neg_lo:[0,0,1] neg_hi:[0,0,1]
	v_mov_b32_e32 v129, v137
	s_cbranch_execz .LBB61_984
	s_branch .LBB61_985
.LBB61_983:
                                        ; implicit-def: $vgpr128_vgpr129
.LBB61_984:
	ds_load_b64 v[128:129], v1
.LBB61_985:
	s_mov_b32 s2, exec_lo
	v_cmpx_ne_u32_e32 37, v0
	s_cbranch_execz .LBB61_989
; %bb.986:
	v_add_nc_u32_e32 v131, 0x1f8, v50
	v_add3_u32 v132, 0, v50, 8
	v_mov_b32_e32 v133, v0
	s_mov_b32 s3, 0
.LBB61_987:                             ; =>This Inner Loop Header: Depth=1
	scratch_load_b64 v[134:135], v132, off
	ds_load_b64 v[136:137], v131
	s_wait_xcnt 0x0
	v_dual_add_nc_u32 v131, 8, v131 :: v_dual_add_nc_u32 v132, 8, v132
	s_wait_loadcnt_dscnt 0x0
	v_pk_mul_f32 v[138:139], v[136:137], v[134:135] op_sel:[1,1] op_sel_hi:[0,1]
	s_delay_alu instid0(VALU_DEP_1) | instskip(SKIP_2) | instid1(VALU_DEP_3)
	v_pk_fma_f32 v[140:141], v[136:137], v[134:135], v[138:139] op_sel_hi:[1,0,1]
	v_add_nc_u32_e32 v133, 1, v133
	v_pk_fma_f32 v[134:135], v[136:137], v[134:135], v[138:139] neg_lo:[0,0,1] neg_hi:[0,0,1]
	v_mov_b32_e32 v135, v141
	s_delay_alu instid0(VALU_DEP_3) | instskip(NEXT) | instid1(VALU_DEP_2)
	v_cmp_lt_u32_e32 vcc_lo, 36, v133
	v_pk_add_f32 v[128:129], v[128:129], v[134:135]
	s_or_b32 s3, vcc_lo, s3
	s_delay_alu instid0(SALU_CYCLE_1)
	s_and_not1_b32 exec_lo, exec_lo, s3
	s_cbranch_execnz .LBB61_987
; %bb.988:
	s_or_b32 exec_lo, exec_lo, s3
.LBB61_989:
	s_delay_alu instid0(SALU_CYCLE_1) | instskip(SKIP_4) | instid1(VALU_DEP_1)
	s_or_b32 exec_lo, exec_lo, s2
	v_mov_b32_e32 v131, 0
	ds_load_b64 v[132:133], v131 offset:304
	s_wait_dscnt 0x0
	v_pk_mul_f32 v[134:135], v[128:129], v[132:133] op_sel:[1,1] op_sel_hi:[0,1]
	v_pk_fma_f32 v[136:137], v[128:129], v[132:133], v[134:135] op_sel_hi:[1,0,1]
	v_pk_fma_f32 v[128:129], v[128:129], v[132:133], v[134:135] neg_lo:[0,0,1] neg_hi:[0,0,1]
	s_delay_alu instid0(VALU_DEP_2)
	v_mov_b32_e32 v129, v137
	scratch_store_b64 off, v[128:129], off offset:304
.LBB61_990:
	s_wait_xcnt 0x0
	s_or_b32 exec_lo, exec_lo, s0
	scratch_load_b64 v[128:129], off, off offset:312
	s_mov_b32 s0, exec_lo
	s_wait_loadcnt 0x0
	ds_store_b64 v1, v[128:129]
	s_wait_storecnt_dscnt 0x0
	s_barrier_signal -1
	s_barrier_wait -1
	s_wait_xcnt 0x0
	v_cmpx_gt_u32_e32 39, v0
	s_cbranch_execz .LBB61_1000
; %bb.991:
	v_cmp_ne_u32_e32 vcc_lo, 1, v130
	s_cbranch_vccnz .LBB61_993
; %bb.992:
	scratch_load_b64 v[128:129], v51, off
	ds_load_b64 v[132:133], v1
	s_wait_loadcnt_dscnt 0x0
	v_pk_mul_f32 v[134:135], v[132:133], v[128:129] op_sel:[1,1] op_sel_hi:[0,1]
	s_delay_alu instid0(VALU_DEP_1) | instskip(SKIP_1) | instid1(VALU_DEP_2)
	v_pk_fma_f32 v[136:137], v[132:133], v[128:129], v[134:135] op_sel_hi:[1,0,1]
	v_pk_fma_f32 v[128:129], v[132:133], v[128:129], v[134:135] neg_lo:[0,0,1] neg_hi:[0,0,1]
	v_mov_b32_e32 v129, v137
	s_cbranch_execz .LBB61_994
	s_branch .LBB61_995
.LBB61_993:
                                        ; implicit-def: $vgpr128_vgpr129
.LBB61_994:
	ds_load_b64 v[128:129], v1
.LBB61_995:
	s_mov_b32 s2, exec_lo
	v_cmpx_ne_u32_e32 38, v0
	s_cbranch_execz .LBB61_999
; %bb.996:
	v_add_nc_u32_e32 v131, 0x1f8, v50
	v_add3_u32 v132, 0, v50, 8
	v_mov_b32_e32 v133, v0
	s_mov_b32 s3, 0
.LBB61_997:                             ; =>This Inner Loop Header: Depth=1
	scratch_load_b64 v[134:135], v132, off
	ds_load_b64 v[136:137], v131
	s_wait_xcnt 0x0
	v_dual_add_nc_u32 v131, 8, v131 :: v_dual_add_nc_u32 v132, 8, v132
	s_wait_loadcnt_dscnt 0x0
	v_pk_mul_f32 v[138:139], v[136:137], v[134:135] op_sel:[1,1] op_sel_hi:[0,1]
	s_delay_alu instid0(VALU_DEP_1) | instskip(SKIP_2) | instid1(VALU_DEP_3)
	v_pk_fma_f32 v[140:141], v[136:137], v[134:135], v[138:139] op_sel_hi:[1,0,1]
	v_add_nc_u32_e32 v133, 1, v133
	v_pk_fma_f32 v[134:135], v[136:137], v[134:135], v[138:139] neg_lo:[0,0,1] neg_hi:[0,0,1]
	v_mov_b32_e32 v135, v141
	s_delay_alu instid0(VALU_DEP_3) | instskip(NEXT) | instid1(VALU_DEP_2)
	v_cmp_lt_u32_e32 vcc_lo, 37, v133
	v_pk_add_f32 v[128:129], v[128:129], v[134:135]
	s_or_b32 s3, vcc_lo, s3
	s_delay_alu instid0(SALU_CYCLE_1)
	s_and_not1_b32 exec_lo, exec_lo, s3
	s_cbranch_execnz .LBB61_997
; %bb.998:
	s_or_b32 exec_lo, exec_lo, s3
.LBB61_999:
	s_delay_alu instid0(SALU_CYCLE_1) | instskip(SKIP_4) | instid1(VALU_DEP_1)
	s_or_b32 exec_lo, exec_lo, s2
	v_mov_b32_e32 v131, 0
	ds_load_b64 v[132:133], v131 offset:312
	s_wait_dscnt 0x0
	v_pk_mul_f32 v[134:135], v[128:129], v[132:133] op_sel:[1,1] op_sel_hi:[0,1]
	v_pk_fma_f32 v[136:137], v[128:129], v[132:133], v[134:135] op_sel_hi:[1,0,1]
	v_pk_fma_f32 v[128:129], v[128:129], v[132:133], v[134:135] neg_lo:[0,0,1] neg_hi:[0,0,1]
	s_delay_alu instid0(VALU_DEP_2)
	v_mov_b32_e32 v129, v137
	scratch_store_b64 off, v[128:129], off offset:312
.LBB61_1000:
	s_wait_xcnt 0x0
	s_or_b32 exec_lo, exec_lo, s0
	scratch_load_b64 v[128:129], off, off offset:320
	s_mov_b32 s0, exec_lo
	s_wait_loadcnt 0x0
	ds_store_b64 v1, v[128:129]
	s_wait_storecnt_dscnt 0x0
	s_barrier_signal -1
	s_barrier_wait -1
	s_wait_xcnt 0x0
	v_cmpx_gt_u32_e32 40, v0
	s_cbranch_execz .LBB61_1010
; %bb.1001:
	v_cmp_ne_u32_e32 vcc_lo, 1, v130
	s_cbranch_vccnz .LBB61_1003
; %bb.1002:
	scratch_load_b64 v[128:129], v51, off
	ds_load_b64 v[132:133], v1
	s_wait_loadcnt_dscnt 0x0
	v_pk_mul_f32 v[134:135], v[132:133], v[128:129] op_sel:[1,1] op_sel_hi:[0,1]
	s_delay_alu instid0(VALU_DEP_1) | instskip(SKIP_1) | instid1(VALU_DEP_2)
	v_pk_fma_f32 v[136:137], v[132:133], v[128:129], v[134:135] op_sel_hi:[1,0,1]
	v_pk_fma_f32 v[128:129], v[132:133], v[128:129], v[134:135] neg_lo:[0,0,1] neg_hi:[0,0,1]
	v_mov_b32_e32 v129, v137
	s_cbranch_execz .LBB61_1004
	s_branch .LBB61_1005
.LBB61_1003:
                                        ; implicit-def: $vgpr128_vgpr129
.LBB61_1004:
	ds_load_b64 v[128:129], v1
.LBB61_1005:
	s_mov_b32 s2, exec_lo
	v_cmpx_ne_u32_e32 39, v0
	s_cbranch_execz .LBB61_1009
; %bb.1006:
	v_add_nc_u32_e32 v131, 0x1f8, v50
	v_add3_u32 v132, 0, v50, 8
	v_mov_b32_e32 v133, v0
	s_mov_b32 s3, 0
.LBB61_1007:                            ; =>This Inner Loop Header: Depth=1
	scratch_load_b64 v[134:135], v132, off
	ds_load_b64 v[136:137], v131
	s_wait_xcnt 0x0
	v_dual_add_nc_u32 v131, 8, v131 :: v_dual_add_nc_u32 v132, 8, v132
	s_wait_loadcnt_dscnt 0x0
	v_pk_mul_f32 v[138:139], v[136:137], v[134:135] op_sel:[1,1] op_sel_hi:[0,1]
	s_delay_alu instid0(VALU_DEP_1) | instskip(SKIP_2) | instid1(VALU_DEP_3)
	v_pk_fma_f32 v[140:141], v[136:137], v[134:135], v[138:139] op_sel_hi:[1,0,1]
	v_add_nc_u32_e32 v133, 1, v133
	v_pk_fma_f32 v[134:135], v[136:137], v[134:135], v[138:139] neg_lo:[0,0,1] neg_hi:[0,0,1]
	v_mov_b32_e32 v135, v141
	s_delay_alu instid0(VALU_DEP_3) | instskip(NEXT) | instid1(VALU_DEP_2)
	v_cmp_lt_u32_e32 vcc_lo, 38, v133
	v_pk_add_f32 v[128:129], v[128:129], v[134:135]
	s_or_b32 s3, vcc_lo, s3
	s_delay_alu instid0(SALU_CYCLE_1)
	s_and_not1_b32 exec_lo, exec_lo, s3
	s_cbranch_execnz .LBB61_1007
; %bb.1008:
	s_or_b32 exec_lo, exec_lo, s3
.LBB61_1009:
	s_delay_alu instid0(SALU_CYCLE_1) | instskip(SKIP_4) | instid1(VALU_DEP_1)
	s_or_b32 exec_lo, exec_lo, s2
	v_mov_b32_e32 v131, 0
	ds_load_b64 v[132:133], v131 offset:320
	s_wait_dscnt 0x0
	v_pk_mul_f32 v[134:135], v[128:129], v[132:133] op_sel:[1,1] op_sel_hi:[0,1]
	v_pk_fma_f32 v[136:137], v[128:129], v[132:133], v[134:135] op_sel_hi:[1,0,1]
	v_pk_fma_f32 v[128:129], v[128:129], v[132:133], v[134:135] neg_lo:[0,0,1] neg_hi:[0,0,1]
	s_delay_alu instid0(VALU_DEP_2)
	v_mov_b32_e32 v129, v137
	scratch_store_b64 off, v[128:129], off offset:320
.LBB61_1010:
	s_wait_xcnt 0x0
	s_or_b32 exec_lo, exec_lo, s0
	scratch_load_b64 v[128:129], off, off offset:328
	s_mov_b32 s0, exec_lo
	s_wait_loadcnt 0x0
	ds_store_b64 v1, v[128:129]
	s_wait_storecnt_dscnt 0x0
	s_barrier_signal -1
	s_barrier_wait -1
	s_wait_xcnt 0x0
	v_cmpx_gt_u32_e32 41, v0
	s_cbranch_execz .LBB61_1020
; %bb.1011:
	v_cmp_ne_u32_e32 vcc_lo, 1, v130
	s_cbranch_vccnz .LBB61_1013
; %bb.1012:
	scratch_load_b64 v[128:129], v51, off
	ds_load_b64 v[132:133], v1
	s_wait_loadcnt_dscnt 0x0
	v_pk_mul_f32 v[134:135], v[132:133], v[128:129] op_sel:[1,1] op_sel_hi:[0,1]
	s_delay_alu instid0(VALU_DEP_1) | instskip(SKIP_1) | instid1(VALU_DEP_2)
	v_pk_fma_f32 v[136:137], v[132:133], v[128:129], v[134:135] op_sel_hi:[1,0,1]
	v_pk_fma_f32 v[128:129], v[132:133], v[128:129], v[134:135] neg_lo:[0,0,1] neg_hi:[0,0,1]
	v_mov_b32_e32 v129, v137
	s_cbranch_execz .LBB61_1014
	s_branch .LBB61_1015
.LBB61_1013:
                                        ; implicit-def: $vgpr128_vgpr129
.LBB61_1014:
	ds_load_b64 v[128:129], v1
.LBB61_1015:
	s_mov_b32 s2, exec_lo
	v_cmpx_ne_u32_e32 40, v0
	s_cbranch_execz .LBB61_1019
; %bb.1016:
	v_add_nc_u32_e32 v131, 0x1f8, v50
	v_add3_u32 v132, 0, v50, 8
	v_mov_b32_e32 v133, v0
	s_mov_b32 s3, 0
.LBB61_1017:                            ; =>This Inner Loop Header: Depth=1
	scratch_load_b64 v[134:135], v132, off
	ds_load_b64 v[136:137], v131
	s_wait_xcnt 0x0
	v_dual_add_nc_u32 v131, 8, v131 :: v_dual_add_nc_u32 v132, 8, v132
	s_wait_loadcnt_dscnt 0x0
	v_pk_mul_f32 v[138:139], v[136:137], v[134:135] op_sel:[1,1] op_sel_hi:[0,1]
	s_delay_alu instid0(VALU_DEP_1) | instskip(SKIP_2) | instid1(VALU_DEP_3)
	v_pk_fma_f32 v[140:141], v[136:137], v[134:135], v[138:139] op_sel_hi:[1,0,1]
	v_add_nc_u32_e32 v133, 1, v133
	v_pk_fma_f32 v[134:135], v[136:137], v[134:135], v[138:139] neg_lo:[0,0,1] neg_hi:[0,0,1]
	v_mov_b32_e32 v135, v141
	s_delay_alu instid0(VALU_DEP_3) | instskip(NEXT) | instid1(VALU_DEP_2)
	v_cmp_lt_u32_e32 vcc_lo, 39, v133
	v_pk_add_f32 v[128:129], v[128:129], v[134:135]
	s_or_b32 s3, vcc_lo, s3
	s_delay_alu instid0(SALU_CYCLE_1)
	s_and_not1_b32 exec_lo, exec_lo, s3
	s_cbranch_execnz .LBB61_1017
; %bb.1018:
	s_or_b32 exec_lo, exec_lo, s3
.LBB61_1019:
	s_delay_alu instid0(SALU_CYCLE_1) | instskip(SKIP_4) | instid1(VALU_DEP_1)
	s_or_b32 exec_lo, exec_lo, s2
	v_mov_b32_e32 v131, 0
	ds_load_b64 v[132:133], v131 offset:328
	s_wait_dscnt 0x0
	v_pk_mul_f32 v[134:135], v[128:129], v[132:133] op_sel:[1,1] op_sel_hi:[0,1]
	v_pk_fma_f32 v[136:137], v[128:129], v[132:133], v[134:135] op_sel_hi:[1,0,1]
	v_pk_fma_f32 v[128:129], v[128:129], v[132:133], v[134:135] neg_lo:[0,0,1] neg_hi:[0,0,1]
	s_delay_alu instid0(VALU_DEP_2)
	v_mov_b32_e32 v129, v137
	scratch_store_b64 off, v[128:129], off offset:328
.LBB61_1020:
	s_wait_xcnt 0x0
	s_or_b32 exec_lo, exec_lo, s0
	scratch_load_b64 v[128:129], off, off offset:336
	s_mov_b32 s0, exec_lo
	s_wait_loadcnt 0x0
	ds_store_b64 v1, v[128:129]
	s_wait_storecnt_dscnt 0x0
	s_barrier_signal -1
	s_barrier_wait -1
	s_wait_xcnt 0x0
	v_cmpx_gt_u32_e32 42, v0
	s_cbranch_execz .LBB61_1030
; %bb.1021:
	v_cmp_ne_u32_e32 vcc_lo, 1, v130
	s_cbranch_vccnz .LBB61_1023
; %bb.1022:
	scratch_load_b64 v[128:129], v51, off
	ds_load_b64 v[132:133], v1
	s_wait_loadcnt_dscnt 0x0
	v_pk_mul_f32 v[134:135], v[132:133], v[128:129] op_sel:[1,1] op_sel_hi:[0,1]
	s_delay_alu instid0(VALU_DEP_1) | instskip(SKIP_1) | instid1(VALU_DEP_2)
	v_pk_fma_f32 v[136:137], v[132:133], v[128:129], v[134:135] op_sel_hi:[1,0,1]
	v_pk_fma_f32 v[128:129], v[132:133], v[128:129], v[134:135] neg_lo:[0,0,1] neg_hi:[0,0,1]
	v_mov_b32_e32 v129, v137
	s_cbranch_execz .LBB61_1024
	s_branch .LBB61_1025
.LBB61_1023:
                                        ; implicit-def: $vgpr128_vgpr129
.LBB61_1024:
	ds_load_b64 v[128:129], v1
.LBB61_1025:
	s_mov_b32 s2, exec_lo
	v_cmpx_ne_u32_e32 41, v0
	s_cbranch_execz .LBB61_1029
; %bb.1026:
	v_add_nc_u32_e32 v131, 0x1f8, v50
	v_add3_u32 v132, 0, v50, 8
	v_mov_b32_e32 v133, v0
	s_mov_b32 s3, 0
.LBB61_1027:                            ; =>This Inner Loop Header: Depth=1
	scratch_load_b64 v[134:135], v132, off
	ds_load_b64 v[136:137], v131
	s_wait_xcnt 0x0
	v_dual_add_nc_u32 v131, 8, v131 :: v_dual_add_nc_u32 v132, 8, v132
	s_wait_loadcnt_dscnt 0x0
	v_pk_mul_f32 v[138:139], v[136:137], v[134:135] op_sel:[1,1] op_sel_hi:[0,1]
	s_delay_alu instid0(VALU_DEP_1) | instskip(SKIP_2) | instid1(VALU_DEP_3)
	v_pk_fma_f32 v[140:141], v[136:137], v[134:135], v[138:139] op_sel_hi:[1,0,1]
	v_add_nc_u32_e32 v133, 1, v133
	v_pk_fma_f32 v[134:135], v[136:137], v[134:135], v[138:139] neg_lo:[0,0,1] neg_hi:[0,0,1]
	v_mov_b32_e32 v135, v141
	s_delay_alu instid0(VALU_DEP_3) | instskip(NEXT) | instid1(VALU_DEP_2)
	v_cmp_lt_u32_e32 vcc_lo, 40, v133
	v_pk_add_f32 v[128:129], v[128:129], v[134:135]
	s_or_b32 s3, vcc_lo, s3
	s_delay_alu instid0(SALU_CYCLE_1)
	s_and_not1_b32 exec_lo, exec_lo, s3
	s_cbranch_execnz .LBB61_1027
; %bb.1028:
	s_or_b32 exec_lo, exec_lo, s3
.LBB61_1029:
	s_delay_alu instid0(SALU_CYCLE_1) | instskip(SKIP_4) | instid1(VALU_DEP_1)
	s_or_b32 exec_lo, exec_lo, s2
	v_mov_b32_e32 v131, 0
	ds_load_b64 v[132:133], v131 offset:336
	s_wait_dscnt 0x0
	v_pk_mul_f32 v[134:135], v[128:129], v[132:133] op_sel:[1,1] op_sel_hi:[0,1]
	v_pk_fma_f32 v[136:137], v[128:129], v[132:133], v[134:135] op_sel_hi:[1,0,1]
	v_pk_fma_f32 v[128:129], v[128:129], v[132:133], v[134:135] neg_lo:[0,0,1] neg_hi:[0,0,1]
	s_delay_alu instid0(VALU_DEP_2)
	v_mov_b32_e32 v129, v137
	scratch_store_b64 off, v[128:129], off offset:336
.LBB61_1030:
	s_wait_xcnt 0x0
	s_or_b32 exec_lo, exec_lo, s0
	scratch_load_b64 v[128:129], off, off offset:344
	s_mov_b32 s0, exec_lo
	s_wait_loadcnt 0x0
	ds_store_b64 v1, v[128:129]
	s_wait_storecnt_dscnt 0x0
	s_barrier_signal -1
	s_barrier_wait -1
	s_wait_xcnt 0x0
	v_cmpx_gt_u32_e32 43, v0
	s_cbranch_execz .LBB61_1040
; %bb.1031:
	v_cmp_ne_u32_e32 vcc_lo, 1, v130
	s_cbranch_vccnz .LBB61_1033
; %bb.1032:
	scratch_load_b64 v[128:129], v51, off
	ds_load_b64 v[132:133], v1
	s_wait_loadcnt_dscnt 0x0
	v_pk_mul_f32 v[134:135], v[132:133], v[128:129] op_sel:[1,1] op_sel_hi:[0,1]
	s_delay_alu instid0(VALU_DEP_1) | instskip(SKIP_1) | instid1(VALU_DEP_2)
	v_pk_fma_f32 v[136:137], v[132:133], v[128:129], v[134:135] op_sel_hi:[1,0,1]
	v_pk_fma_f32 v[128:129], v[132:133], v[128:129], v[134:135] neg_lo:[0,0,1] neg_hi:[0,0,1]
	v_mov_b32_e32 v129, v137
	s_cbranch_execz .LBB61_1034
	s_branch .LBB61_1035
.LBB61_1033:
                                        ; implicit-def: $vgpr128_vgpr129
.LBB61_1034:
	ds_load_b64 v[128:129], v1
.LBB61_1035:
	s_mov_b32 s2, exec_lo
	v_cmpx_ne_u32_e32 42, v0
	s_cbranch_execz .LBB61_1039
; %bb.1036:
	v_add_nc_u32_e32 v131, 0x1f8, v50
	v_add3_u32 v132, 0, v50, 8
	v_mov_b32_e32 v133, v0
	s_mov_b32 s3, 0
.LBB61_1037:                            ; =>This Inner Loop Header: Depth=1
	scratch_load_b64 v[134:135], v132, off
	ds_load_b64 v[136:137], v131
	s_wait_xcnt 0x0
	v_dual_add_nc_u32 v131, 8, v131 :: v_dual_add_nc_u32 v132, 8, v132
	s_wait_loadcnt_dscnt 0x0
	v_pk_mul_f32 v[138:139], v[136:137], v[134:135] op_sel:[1,1] op_sel_hi:[0,1]
	s_delay_alu instid0(VALU_DEP_1) | instskip(SKIP_2) | instid1(VALU_DEP_3)
	v_pk_fma_f32 v[140:141], v[136:137], v[134:135], v[138:139] op_sel_hi:[1,0,1]
	v_add_nc_u32_e32 v133, 1, v133
	v_pk_fma_f32 v[134:135], v[136:137], v[134:135], v[138:139] neg_lo:[0,0,1] neg_hi:[0,0,1]
	v_mov_b32_e32 v135, v141
	s_delay_alu instid0(VALU_DEP_3) | instskip(NEXT) | instid1(VALU_DEP_2)
	v_cmp_lt_u32_e32 vcc_lo, 41, v133
	v_pk_add_f32 v[128:129], v[128:129], v[134:135]
	s_or_b32 s3, vcc_lo, s3
	s_delay_alu instid0(SALU_CYCLE_1)
	s_and_not1_b32 exec_lo, exec_lo, s3
	s_cbranch_execnz .LBB61_1037
; %bb.1038:
	s_or_b32 exec_lo, exec_lo, s3
.LBB61_1039:
	s_delay_alu instid0(SALU_CYCLE_1) | instskip(SKIP_4) | instid1(VALU_DEP_1)
	s_or_b32 exec_lo, exec_lo, s2
	v_mov_b32_e32 v131, 0
	ds_load_b64 v[132:133], v131 offset:344
	s_wait_dscnt 0x0
	v_pk_mul_f32 v[134:135], v[128:129], v[132:133] op_sel:[1,1] op_sel_hi:[0,1]
	v_pk_fma_f32 v[136:137], v[128:129], v[132:133], v[134:135] op_sel_hi:[1,0,1]
	v_pk_fma_f32 v[128:129], v[128:129], v[132:133], v[134:135] neg_lo:[0,0,1] neg_hi:[0,0,1]
	s_delay_alu instid0(VALU_DEP_2)
	v_mov_b32_e32 v129, v137
	scratch_store_b64 off, v[128:129], off offset:344
.LBB61_1040:
	s_wait_xcnt 0x0
	s_or_b32 exec_lo, exec_lo, s0
	scratch_load_b64 v[128:129], off, off offset:352
	s_mov_b32 s0, exec_lo
	s_wait_loadcnt 0x0
	ds_store_b64 v1, v[128:129]
	s_wait_storecnt_dscnt 0x0
	s_barrier_signal -1
	s_barrier_wait -1
	s_wait_xcnt 0x0
	v_cmpx_gt_u32_e32 44, v0
	s_cbranch_execz .LBB61_1050
; %bb.1041:
	v_cmp_ne_u32_e32 vcc_lo, 1, v130
	s_cbranch_vccnz .LBB61_1043
; %bb.1042:
	scratch_load_b64 v[128:129], v51, off
	ds_load_b64 v[132:133], v1
	s_wait_loadcnt_dscnt 0x0
	v_pk_mul_f32 v[134:135], v[132:133], v[128:129] op_sel:[1,1] op_sel_hi:[0,1]
	s_delay_alu instid0(VALU_DEP_1) | instskip(SKIP_1) | instid1(VALU_DEP_2)
	v_pk_fma_f32 v[136:137], v[132:133], v[128:129], v[134:135] op_sel_hi:[1,0,1]
	v_pk_fma_f32 v[128:129], v[132:133], v[128:129], v[134:135] neg_lo:[0,0,1] neg_hi:[0,0,1]
	v_mov_b32_e32 v129, v137
	s_cbranch_execz .LBB61_1044
	s_branch .LBB61_1045
.LBB61_1043:
                                        ; implicit-def: $vgpr128_vgpr129
.LBB61_1044:
	ds_load_b64 v[128:129], v1
.LBB61_1045:
	s_mov_b32 s2, exec_lo
	v_cmpx_ne_u32_e32 43, v0
	s_cbranch_execz .LBB61_1049
; %bb.1046:
	v_add_nc_u32_e32 v131, 0x1f8, v50
	v_add3_u32 v132, 0, v50, 8
	v_mov_b32_e32 v133, v0
	s_mov_b32 s3, 0
.LBB61_1047:                            ; =>This Inner Loop Header: Depth=1
	scratch_load_b64 v[134:135], v132, off
	ds_load_b64 v[136:137], v131
	s_wait_xcnt 0x0
	v_dual_add_nc_u32 v131, 8, v131 :: v_dual_add_nc_u32 v132, 8, v132
	s_wait_loadcnt_dscnt 0x0
	v_pk_mul_f32 v[138:139], v[136:137], v[134:135] op_sel:[1,1] op_sel_hi:[0,1]
	s_delay_alu instid0(VALU_DEP_1) | instskip(SKIP_2) | instid1(VALU_DEP_3)
	v_pk_fma_f32 v[140:141], v[136:137], v[134:135], v[138:139] op_sel_hi:[1,0,1]
	v_add_nc_u32_e32 v133, 1, v133
	v_pk_fma_f32 v[134:135], v[136:137], v[134:135], v[138:139] neg_lo:[0,0,1] neg_hi:[0,0,1]
	v_mov_b32_e32 v135, v141
	s_delay_alu instid0(VALU_DEP_3) | instskip(NEXT) | instid1(VALU_DEP_2)
	v_cmp_lt_u32_e32 vcc_lo, 42, v133
	v_pk_add_f32 v[128:129], v[128:129], v[134:135]
	s_or_b32 s3, vcc_lo, s3
	s_delay_alu instid0(SALU_CYCLE_1)
	s_and_not1_b32 exec_lo, exec_lo, s3
	s_cbranch_execnz .LBB61_1047
; %bb.1048:
	s_or_b32 exec_lo, exec_lo, s3
.LBB61_1049:
	s_delay_alu instid0(SALU_CYCLE_1) | instskip(SKIP_4) | instid1(VALU_DEP_1)
	s_or_b32 exec_lo, exec_lo, s2
	v_mov_b32_e32 v131, 0
	ds_load_b64 v[132:133], v131 offset:352
	s_wait_dscnt 0x0
	v_pk_mul_f32 v[134:135], v[128:129], v[132:133] op_sel:[1,1] op_sel_hi:[0,1]
	v_pk_fma_f32 v[136:137], v[128:129], v[132:133], v[134:135] op_sel_hi:[1,0,1]
	v_pk_fma_f32 v[128:129], v[128:129], v[132:133], v[134:135] neg_lo:[0,0,1] neg_hi:[0,0,1]
	s_delay_alu instid0(VALU_DEP_2)
	v_mov_b32_e32 v129, v137
	scratch_store_b64 off, v[128:129], off offset:352
.LBB61_1050:
	s_wait_xcnt 0x0
	s_or_b32 exec_lo, exec_lo, s0
	scratch_load_b64 v[128:129], off, off offset:360
	s_mov_b32 s0, exec_lo
	s_wait_loadcnt 0x0
	ds_store_b64 v1, v[128:129]
	s_wait_storecnt_dscnt 0x0
	s_barrier_signal -1
	s_barrier_wait -1
	s_wait_xcnt 0x0
	v_cmpx_gt_u32_e32 45, v0
	s_cbranch_execz .LBB61_1060
; %bb.1051:
	v_cmp_ne_u32_e32 vcc_lo, 1, v130
	s_cbranch_vccnz .LBB61_1053
; %bb.1052:
	scratch_load_b64 v[128:129], v51, off
	ds_load_b64 v[132:133], v1
	s_wait_loadcnt_dscnt 0x0
	v_pk_mul_f32 v[134:135], v[132:133], v[128:129] op_sel:[1,1] op_sel_hi:[0,1]
	s_delay_alu instid0(VALU_DEP_1) | instskip(SKIP_1) | instid1(VALU_DEP_2)
	v_pk_fma_f32 v[136:137], v[132:133], v[128:129], v[134:135] op_sel_hi:[1,0,1]
	v_pk_fma_f32 v[128:129], v[132:133], v[128:129], v[134:135] neg_lo:[0,0,1] neg_hi:[0,0,1]
	v_mov_b32_e32 v129, v137
	s_cbranch_execz .LBB61_1054
	s_branch .LBB61_1055
.LBB61_1053:
                                        ; implicit-def: $vgpr128_vgpr129
.LBB61_1054:
	ds_load_b64 v[128:129], v1
.LBB61_1055:
	s_mov_b32 s2, exec_lo
	v_cmpx_ne_u32_e32 44, v0
	s_cbranch_execz .LBB61_1059
; %bb.1056:
	v_add_nc_u32_e32 v131, 0x1f8, v50
	v_add3_u32 v132, 0, v50, 8
	v_mov_b32_e32 v133, v0
	s_mov_b32 s3, 0
.LBB61_1057:                            ; =>This Inner Loop Header: Depth=1
	scratch_load_b64 v[134:135], v132, off
	ds_load_b64 v[136:137], v131
	s_wait_xcnt 0x0
	v_dual_add_nc_u32 v131, 8, v131 :: v_dual_add_nc_u32 v132, 8, v132
	s_wait_loadcnt_dscnt 0x0
	v_pk_mul_f32 v[138:139], v[136:137], v[134:135] op_sel:[1,1] op_sel_hi:[0,1]
	s_delay_alu instid0(VALU_DEP_1) | instskip(SKIP_2) | instid1(VALU_DEP_3)
	v_pk_fma_f32 v[140:141], v[136:137], v[134:135], v[138:139] op_sel_hi:[1,0,1]
	v_add_nc_u32_e32 v133, 1, v133
	v_pk_fma_f32 v[134:135], v[136:137], v[134:135], v[138:139] neg_lo:[0,0,1] neg_hi:[0,0,1]
	v_mov_b32_e32 v135, v141
	s_delay_alu instid0(VALU_DEP_3) | instskip(NEXT) | instid1(VALU_DEP_2)
	v_cmp_lt_u32_e32 vcc_lo, 43, v133
	v_pk_add_f32 v[128:129], v[128:129], v[134:135]
	s_or_b32 s3, vcc_lo, s3
	s_delay_alu instid0(SALU_CYCLE_1)
	s_and_not1_b32 exec_lo, exec_lo, s3
	s_cbranch_execnz .LBB61_1057
; %bb.1058:
	s_or_b32 exec_lo, exec_lo, s3
.LBB61_1059:
	s_delay_alu instid0(SALU_CYCLE_1) | instskip(SKIP_4) | instid1(VALU_DEP_1)
	s_or_b32 exec_lo, exec_lo, s2
	v_mov_b32_e32 v131, 0
	ds_load_b64 v[132:133], v131 offset:360
	s_wait_dscnt 0x0
	v_pk_mul_f32 v[134:135], v[128:129], v[132:133] op_sel:[1,1] op_sel_hi:[0,1]
	v_pk_fma_f32 v[136:137], v[128:129], v[132:133], v[134:135] op_sel_hi:[1,0,1]
	v_pk_fma_f32 v[128:129], v[128:129], v[132:133], v[134:135] neg_lo:[0,0,1] neg_hi:[0,0,1]
	s_delay_alu instid0(VALU_DEP_2)
	v_mov_b32_e32 v129, v137
	scratch_store_b64 off, v[128:129], off offset:360
.LBB61_1060:
	s_wait_xcnt 0x0
	s_or_b32 exec_lo, exec_lo, s0
	scratch_load_b64 v[128:129], off, off offset:368
	s_mov_b32 s0, exec_lo
	s_wait_loadcnt 0x0
	ds_store_b64 v1, v[128:129]
	s_wait_storecnt_dscnt 0x0
	s_barrier_signal -1
	s_barrier_wait -1
	s_wait_xcnt 0x0
	v_cmpx_gt_u32_e32 46, v0
	s_cbranch_execz .LBB61_1070
; %bb.1061:
	v_cmp_ne_u32_e32 vcc_lo, 1, v130
	s_cbranch_vccnz .LBB61_1063
; %bb.1062:
	scratch_load_b64 v[128:129], v51, off
	ds_load_b64 v[132:133], v1
	s_wait_loadcnt_dscnt 0x0
	v_pk_mul_f32 v[134:135], v[132:133], v[128:129] op_sel:[1,1] op_sel_hi:[0,1]
	s_delay_alu instid0(VALU_DEP_1) | instskip(SKIP_1) | instid1(VALU_DEP_2)
	v_pk_fma_f32 v[136:137], v[132:133], v[128:129], v[134:135] op_sel_hi:[1,0,1]
	v_pk_fma_f32 v[128:129], v[132:133], v[128:129], v[134:135] neg_lo:[0,0,1] neg_hi:[0,0,1]
	v_mov_b32_e32 v129, v137
	s_cbranch_execz .LBB61_1064
	s_branch .LBB61_1065
.LBB61_1063:
                                        ; implicit-def: $vgpr128_vgpr129
.LBB61_1064:
	ds_load_b64 v[128:129], v1
.LBB61_1065:
	s_mov_b32 s2, exec_lo
	v_cmpx_ne_u32_e32 45, v0
	s_cbranch_execz .LBB61_1069
; %bb.1066:
	v_add_nc_u32_e32 v131, 0x1f8, v50
	v_add3_u32 v132, 0, v50, 8
	v_mov_b32_e32 v133, v0
	s_mov_b32 s3, 0
.LBB61_1067:                            ; =>This Inner Loop Header: Depth=1
	scratch_load_b64 v[134:135], v132, off
	ds_load_b64 v[136:137], v131
	s_wait_xcnt 0x0
	v_dual_add_nc_u32 v131, 8, v131 :: v_dual_add_nc_u32 v132, 8, v132
	s_wait_loadcnt_dscnt 0x0
	v_pk_mul_f32 v[138:139], v[136:137], v[134:135] op_sel:[1,1] op_sel_hi:[0,1]
	s_delay_alu instid0(VALU_DEP_1) | instskip(SKIP_2) | instid1(VALU_DEP_3)
	v_pk_fma_f32 v[140:141], v[136:137], v[134:135], v[138:139] op_sel_hi:[1,0,1]
	v_add_nc_u32_e32 v133, 1, v133
	v_pk_fma_f32 v[134:135], v[136:137], v[134:135], v[138:139] neg_lo:[0,0,1] neg_hi:[0,0,1]
	v_mov_b32_e32 v135, v141
	s_delay_alu instid0(VALU_DEP_3) | instskip(NEXT) | instid1(VALU_DEP_2)
	v_cmp_lt_u32_e32 vcc_lo, 44, v133
	v_pk_add_f32 v[128:129], v[128:129], v[134:135]
	s_or_b32 s3, vcc_lo, s3
	s_delay_alu instid0(SALU_CYCLE_1)
	s_and_not1_b32 exec_lo, exec_lo, s3
	s_cbranch_execnz .LBB61_1067
; %bb.1068:
	s_or_b32 exec_lo, exec_lo, s3
.LBB61_1069:
	s_delay_alu instid0(SALU_CYCLE_1) | instskip(SKIP_4) | instid1(VALU_DEP_1)
	s_or_b32 exec_lo, exec_lo, s2
	v_mov_b32_e32 v131, 0
	ds_load_b64 v[132:133], v131 offset:368
	s_wait_dscnt 0x0
	v_pk_mul_f32 v[134:135], v[128:129], v[132:133] op_sel:[1,1] op_sel_hi:[0,1]
	v_pk_fma_f32 v[136:137], v[128:129], v[132:133], v[134:135] op_sel_hi:[1,0,1]
	v_pk_fma_f32 v[128:129], v[128:129], v[132:133], v[134:135] neg_lo:[0,0,1] neg_hi:[0,0,1]
	s_delay_alu instid0(VALU_DEP_2)
	v_mov_b32_e32 v129, v137
	scratch_store_b64 off, v[128:129], off offset:368
.LBB61_1070:
	s_wait_xcnt 0x0
	s_or_b32 exec_lo, exec_lo, s0
	scratch_load_b64 v[128:129], off, off offset:376
	s_mov_b32 s0, exec_lo
	s_wait_loadcnt 0x0
	ds_store_b64 v1, v[128:129]
	s_wait_storecnt_dscnt 0x0
	s_barrier_signal -1
	s_barrier_wait -1
	s_wait_xcnt 0x0
	v_cmpx_gt_u32_e32 47, v0
	s_cbranch_execz .LBB61_1080
; %bb.1071:
	v_cmp_ne_u32_e32 vcc_lo, 1, v130
	s_cbranch_vccnz .LBB61_1073
; %bb.1072:
	scratch_load_b64 v[128:129], v51, off
	ds_load_b64 v[132:133], v1
	s_wait_loadcnt_dscnt 0x0
	v_pk_mul_f32 v[134:135], v[132:133], v[128:129] op_sel:[1,1] op_sel_hi:[0,1]
	s_delay_alu instid0(VALU_DEP_1) | instskip(SKIP_1) | instid1(VALU_DEP_2)
	v_pk_fma_f32 v[136:137], v[132:133], v[128:129], v[134:135] op_sel_hi:[1,0,1]
	v_pk_fma_f32 v[128:129], v[132:133], v[128:129], v[134:135] neg_lo:[0,0,1] neg_hi:[0,0,1]
	v_mov_b32_e32 v129, v137
	s_cbranch_execz .LBB61_1074
	s_branch .LBB61_1075
.LBB61_1073:
                                        ; implicit-def: $vgpr128_vgpr129
.LBB61_1074:
	ds_load_b64 v[128:129], v1
.LBB61_1075:
	s_mov_b32 s2, exec_lo
	v_cmpx_ne_u32_e32 46, v0
	s_cbranch_execz .LBB61_1079
; %bb.1076:
	v_add_nc_u32_e32 v131, 0x1f8, v50
	v_add3_u32 v132, 0, v50, 8
	v_mov_b32_e32 v133, v0
	s_mov_b32 s3, 0
.LBB61_1077:                            ; =>This Inner Loop Header: Depth=1
	scratch_load_b64 v[134:135], v132, off
	ds_load_b64 v[136:137], v131
	s_wait_xcnt 0x0
	v_dual_add_nc_u32 v131, 8, v131 :: v_dual_add_nc_u32 v132, 8, v132
	s_wait_loadcnt_dscnt 0x0
	v_pk_mul_f32 v[138:139], v[136:137], v[134:135] op_sel:[1,1] op_sel_hi:[0,1]
	s_delay_alu instid0(VALU_DEP_1) | instskip(SKIP_2) | instid1(VALU_DEP_3)
	v_pk_fma_f32 v[140:141], v[136:137], v[134:135], v[138:139] op_sel_hi:[1,0,1]
	v_add_nc_u32_e32 v133, 1, v133
	v_pk_fma_f32 v[134:135], v[136:137], v[134:135], v[138:139] neg_lo:[0,0,1] neg_hi:[0,0,1]
	v_mov_b32_e32 v135, v141
	s_delay_alu instid0(VALU_DEP_3) | instskip(NEXT) | instid1(VALU_DEP_2)
	v_cmp_lt_u32_e32 vcc_lo, 45, v133
	v_pk_add_f32 v[128:129], v[128:129], v[134:135]
	s_or_b32 s3, vcc_lo, s3
	s_delay_alu instid0(SALU_CYCLE_1)
	s_and_not1_b32 exec_lo, exec_lo, s3
	s_cbranch_execnz .LBB61_1077
; %bb.1078:
	s_or_b32 exec_lo, exec_lo, s3
.LBB61_1079:
	s_delay_alu instid0(SALU_CYCLE_1) | instskip(SKIP_4) | instid1(VALU_DEP_1)
	s_or_b32 exec_lo, exec_lo, s2
	v_mov_b32_e32 v131, 0
	ds_load_b64 v[132:133], v131 offset:376
	s_wait_dscnt 0x0
	v_pk_mul_f32 v[134:135], v[128:129], v[132:133] op_sel:[1,1] op_sel_hi:[0,1]
	v_pk_fma_f32 v[136:137], v[128:129], v[132:133], v[134:135] op_sel_hi:[1,0,1]
	v_pk_fma_f32 v[128:129], v[128:129], v[132:133], v[134:135] neg_lo:[0,0,1] neg_hi:[0,0,1]
	s_delay_alu instid0(VALU_DEP_2)
	v_mov_b32_e32 v129, v137
	scratch_store_b64 off, v[128:129], off offset:376
.LBB61_1080:
	s_wait_xcnt 0x0
	s_or_b32 exec_lo, exec_lo, s0
	scratch_load_b64 v[128:129], off, off offset:384
	s_mov_b32 s0, exec_lo
	s_wait_loadcnt 0x0
	ds_store_b64 v1, v[128:129]
	s_wait_storecnt_dscnt 0x0
	s_barrier_signal -1
	s_barrier_wait -1
	s_wait_xcnt 0x0
	v_cmpx_gt_u32_e32 48, v0
	s_cbranch_execz .LBB61_1090
; %bb.1081:
	v_cmp_ne_u32_e32 vcc_lo, 1, v130
	s_cbranch_vccnz .LBB61_1083
; %bb.1082:
	scratch_load_b64 v[128:129], v51, off
	ds_load_b64 v[132:133], v1
	s_wait_loadcnt_dscnt 0x0
	v_pk_mul_f32 v[134:135], v[132:133], v[128:129] op_sel:[1,1] op_sel_hi:[0,1]
	s_delay_alu instid0(VALU_DEP_1) | instskip(SKIP_1) | instid1(VALU_DEP_2)
	v_pk_fma_f32 v[136:137], v[132:133], v[128:129], v[134:135] op_sel_hi:[1,0,1]
	v_pk_fma_f32 v[128:129], v[132:133], v[128:129], v[134:135] neg_lo:[0,0,1] neg_hi:[0,0,1]
	v_mov_b32_e32 v129, v137
	s_cbranch_execz .LBB61_1084
	s_branch .LBB61_1085
.LBB61_1083:
                                        ; implicit-def: $vgpr128_vgpr129
.LBB61_1084:
	ds_load_b64 v[128:129], v1
.LBB61_1085:
	s_mov_b32 s2, exec_lo
	v_cmpx_ne_u32_e32 47, v0
	s_cbranch_execz .LBB61_1089
; %bb.1086:
	v_add_nc_u32_e32 v131, 0x1f8, v50
	v_add3_u32 v132, 0, v50, 8
	v_mov_b32_e32 v133, v0
	s_mov_b32 s3, 0
.LBB61_1087:                            ; =>This Inner Loop Header: Depth=1
	scratch_load_b64 v[134:135], v132, off
	ds_load_b64 v[136:137], v131
	s_wait_xcnt 0x0
	v_dual_add_nc_u32 v131, 8, v131 :: v_dual_add_nc_u32 v132, 8, v132
	s_wait_loadcnt_dscnt 0x0
	v_pk_mul_f32 v[138:139], v[136:137], v[134:135] op_sel:[1,1] op_sel_hi:[0,1]
	s_delay_alu instid0(VALU_DEP_1) | instskip(SKIP_2) | instid1(VALU_DEP_3)
	v_pk_fma_f32 v[140:141], v[136:137], v[134:135], v[138:139] op_sel_hi:[1,0,1]
	v_add_nc_u32_e32 v133, 1, v133
	v_pk_fma_f32 v[134:135], v[136:137], v[134:135], v[138:139] neg_lo:[0,0,1] neg_hi:[0,0,1]
	v_mov_b32_e32 v135, v141
	s_delay_alu instid0(VALU_DEP_3) | instskip(NEXT) | instid1(VALU_DEP_2)
	v_cmp_lt_u32_e32 vcc_lo, 46, v133
	v_pk_add_f32 v[128:129], v[128:129], v[134:135]
	s_or_b32 s3, vcc_lo, s3
	s_delay_alu instid0(SALU_CYCLE_1)
	s_and_not1_b32 exec_lo, exec_lo, s3
	s_cbranch_execnz .LBB61_1087
; %bb.1088:
	s_or_b32 exec_lo, exec_lo, s3
.LBB61_1089:
	s_delay_alu instid0(SALU_CYCLE_1) | instskip(SKIP_4) | instid1(VALU_DEP_1)
	s_or_b32 exec_lo, exec_lo, s2
	v_mov_b32_e32 v131, 0
	ds_load_b64 v[132:133], v131 offset:384
	s_wait_dscnt 0x0
	v_pk_mul_f32 v[134:135], v[128:129], v[132:133] op_sel:[1,1] op_sel_hi:[0,1]
	v_pk_fma_f32 v[136:137], v[128:129], v[132:133], v[134:135] op_sel_hi:[1,0,1]
	v_pk_fma_f32 v[128:129], v[128:129], v[132:133], v[134:135] neg_lo:[0,0,1] neg_hi:[0,0,1]
	s_delay_alu instid0(VALU_DEP_2)
	v_mov_b32_e32 v129, v137
	scratch_store_b64 off, v[128:129], off offset:384
.LBB61_1090:
	s_wait_xcnt 0x0
	s_or_b32 exec_lo, exec_lo, s0
	scratch_load_b64 v[128:129], off, off offset:392
	s_mov_b32 s0, exec_lo
	s_wait_loadcnt 0x0
	ds_store_b64 v1, v[128:129]
	s_wait_storecnt_dscnt 0x0
	s_barrier_signal -1
	s_barrier_wait -1
	s_wait_xcnt 0x0
	v_cmpx_gt_u32_e32 49, v0
	s_cbranch_execz .LBB61_1100
; %bb.1091:
	v_cmp_ne_u32_e32 vcc_lo, 1, v130
	s_cbranch_vccnz .LBB61_1093
; %bb.1092:
	scratch_load_b64 v[128:129], v51, off
	ds_load_b64 v[132:133], v1
	s_wait_loadcnt_dscnt 0x0
	v_pk_mul_f32 v[134:135], v[132:133], v[128:129] op_sel:[1,1] op_sel_hi:[0,1]
	s_delay_alu instid0(VALU_DEP_1) | instskip(SKIP_1) | instid1(VALU_DEP_2)
	v_pk_fma_f32 v[136:137], v[132:133], v[128:129], v[134:135] op_sel_hi:[1,0,1]
	v_pk_fma_f32 v[128:129], v[132:133], v[128:129], v[134:135] neg_lo:[0,0,1] neg_hi:[0,0,1]
	v_mov_b32_e32 v129, v137
	s_cbranch_execz .LBB61_1094
	s_branch .LBB61_1095
.LBB61_1093:
                                        ; implicit-def: $vgpr128_vgpr129
.LBB61_1094:
	ds_load_b64 v[128:129], v1
.LBB61_1095:
	s_mov_b32 s2, exec_lo
	v_cmpx_ne_u32_e32 48, v0
	s_cbranch_execz .LBB61_1099
; %bb.1096:
	v_add_nc_u32_e32 v131, 0x1f8, v50
	v_add3_u32 v132, 0, v50, 8
	v_mov_b32_e32 v133, v0
	s_mov_b32 s3, 0
.LBB61_1097:                            ; =>This Inner Loop Header: Depth=1
	scratch_load_b64 v[134:135], v132, off
	ds_load_b64 v[136:137], v131
	s_wait_xcnt 0x0
	v_dual_add_nc_u32 v131, 8, v131 :: v_dual_add_nc_u32 v132, 8, v132
	s_wait_loadcnt_dscnt 0x0
	v_pk_mul_f32 v[138:139], v[136:137], v[134:135] op_sel:[1,1] op_sel_hi:[0,1]
	s_delay_alu instid0(VALU_DEP_1) | instskip(SKIP_2) | instid1(VALU_DEP_3)
	v_pk_fma_f32 v[140:141], v[136:137], v[134:135], v[138:139] op_sel_hi:[1,0,1]
	v_add_nc_u32_e32 v133, 1, v133
	v_pk_fma_f32 v[134:135], v[136:137], v[134:135], v[138:139] neg_lo:[0,0,1] neg_hi:[0,0,1]
	v_mov_b32_e32 v135, v141
	s_delay_alu instid0(VALU_DEP_3) | instskip(NEXT) | instid1(VALU_DEP_2)
	v_cmp_lt_u32_e32 vcc_lo, 47, v133
	v_pk_add_f32 v[128:129], v[128:129], v[134:135]
	s_or_b32 s3, vcc_lo, s3
	s_delay_alu instid0(SALU_CYCLE_1)
	s_and_not1_b32 exec_lo, exec_lo, s3
	s_cbranch_execnz .LBB61_1097
; %bb.1098:
	s_or_b32 exec_lo, exec_lo, s3
.LBB61_1099:
	s_delay_alu instid0(SALU_CYCLE_1) | instskip(SKIP_4) | instid1(VALU_DEP_1)
	s_or_b32 exec_lo, exec_lo, s2
	v_mov_b32_e32 v131, 0
	ds_load_b64 v[132:133], v131 offset:392
	s_wait_dscnt 0x0
	v_pk_mul_f32 v[134:135], v[128:129], v[132:133] op_sel:[1,1] op_sel_hi:[0,1]
	v_pk_fma_f32 v[136:137], v[128:129], v[132:133], v[134:135] op_sel_hi:[1,0,1]
	v_pk_fma_f32 v[128:129], v[128:129], v[132:133], v[134:135] neg_lo:[0,0,1] neg_hi:[0,0,1]
	s_delay_alu instid0(VALU_DEP_2)
	v_mov_b32_e32 v129, v137
	scratch_store_b64 off, v[128:129], off offset:392
.LBB61_1100:
	s_wait_xcnt 0x0
	s_or_b32 exec_lo, exec_lo, s0
	scratch_load_b64 v[128:129], off, off offset:400
	s_mov_b32 s0, exec_lo
	s_wait_loadcnt 0x0
	ds_store_b64 v1, v[128:129]
	s_wait_storecnt_dscnt 0x0
	s_barrier_signal -1
	s_barrier_wait -1
	s_wait_xcnt 0x0
	v_cmpx_gt_u32_e32 50, v0
	s_cbranch_execz .LBB61_1110
; %bb.1101:
	v_cmp_ne_u32_e32 vcc_lo, 1, v130
	s_cbranch_vccnz .LBB61_1103
; %bb.1102:
	scratch_load_b64 v[128:129], v51, off
	ds_load_b64 v[132:133], v1
	s_wait_loadcnt_dscnt 0x0
	v_pk_mul_f32 v[134:135], v[132:133], v[128:129] op_sel:[1,1] op_sel_hi:[0,1]
	s_delay_alu instid0(VALU_DEP_1) | instskip(SKIP_1) | instid1(VALU_DEP_2)
	v_pk_fma_f32 v[136:137], v[132:133], v[128:129], v[134:135] op_sel_hi:[1,0,1]
	v_pk_fma_f32 v[128:129], v[132:133], v[128:129], v[134:135] neg_lo:[0,0,1] neg_hi:[0,0,1]
	v_mov_b32_e32 v129, v137
	s_cbranch_execz .LBB61_1104
	s_branch .LBB61_1105
.LBB61_1103:
                                        ; implicit-def: $vgpr128_vgpr129
.LBB61_1104:
	ds_load_b64 v[128:129], v1
.LBB61_1105:
	s_mov_b32 s2, exec_lo
	v_cmpx_ne_u32_e32 49, v0
	s_cbranch_execz .LBB61_1109
; %bb.1106:
	v_add_nc_u32_e32 v131, 0x1f8, v50
	v_add3_u32 v132, 0, v50, 8
	v_mov_b32_e32 v133, v0
	s_mov_b32 s3, 0
.LBB61_1107:                            ; =>This Inner Loop Header: Depth=1
	scratch_load_b64 v[134:135], v132, off
	ds_load_b64 v[136:137], v131
	s_wait_xcnt 0x0
	v_dual_add_nc_u32 v131, 8, v131 :: v_dual_add_nc_u32 v132, 8, v132
	s_wait_loadcnt_dscnt 0x0
	v_pk_mul_f32 v[138:139], v[136:137], v[134:135] op_sel:[1,1] op_sel_hi:[0,1]
	s_delay_alu instid0(VALU_DEP_1) | instskip(SKIP_2) | instid1(VALU_DEP_3)
	v_pk_fma_f32 v[140:141], v[136:137], v[134:135], v[138:139] op_sel_hi:[1,0,1]
	v_add_nc_u32_e32 v133, 1, v133
	v_pk_fma_f32 v[134:135], v[136:137], v[134:135], v[138:139] neg_lo:[0,0,1] neg_hi:[0,0,1]
	v_mov_b32_e32 v135, v141
	s_delay_alu instid0(VALU_DEP_3) | instskip(NEXT) | instid1(VALU_DEP_2)
	v_cmp_lt_u32_e32 vcc_lo, 48, v133
	v_pk_add_f32 v[128:129], v[128:129], v[134:135]
	s_or_b32 s3, vcc_lo, s3
	s_delay_alu instid0(SALU_CYCLE_1)
	s_and_not1_b32 exec_lo, exec_lo, s3
	s_cbranch_execnz .LBB61_1107
; %bb.1108:
	s_or_b32 exec_lo, exec_lo, s3
.LBB61_1109:
	s_delay_alu instid0(SALU_CYCLE_1) | instskip(SKIP_4) | instid1(VALU_DEP_1)
	s_or_b32 exec_lo, exec_lo, s2
	v_mov_b32_e32 v131, 0
	ds_load_b64 v[132:133], v131 offset:400
	s_wait_dscnt 0x0
	v_pk_mul_f32 v[134:135], v[128:129], v[132:133] op_sel:[1,1] op_sel_hi:[0,1]
	v_pk_fma_f32 v[136:137], v[128:129], v[132:133], v[134:135] op_sel_hi:[1,0,1]
	v_pk_fma_f32 v[128:129], v[128:129], v[132:133], v[134:135] neg_lo:[0,0,1] neg_hi:[0,0,1]
	s_delay_alu instid0(VALU_DEP_2)
	v_mov_b32_e32 v129, v137
	scratch_store_b64 off, v[128:129], off offset:400
.LBB61_1110:
	s_wait_xcnt 0x0
	s_or_b32 exec_lo, exec_lo, s0
	scratch_load_b64 v[128:129], off, off offset:408
	s_mov_b32 s0, exec_lo
	s_wait_loadcnt 0x0
	ds_store_b64 v1, v[128:129]
	s_wait_storecnt_dscnt 0x0
	s_barrier_signal -1
	s_barrier_wait -1
	s_wait_xcnt 0x0
	v_cmpx_gt_u32_e32 51, v0
	s_cbranch_execz .LBB61_1120
; %bb.1111:
	v_cmp_ne_u32_e32 vcc_lo, 1, v130
	s_cbranch_vccnz .LBB61_1113
; %bb.1112:
	scratch_load_b64 v[128:129], v51, off
	ds_load_b64 v[132:133], v1
	s_wait_loadcnt_dscnt 0x0
	v_pk_mul_f32 v[134:135], v[132:133], v[128:129] op_sel:[1,1] op_sel_hi:[0,1]
	s_delay_alu instid0(VALU_DEP_1) | instskip(SKIP_1) | instid1(VALU_DEP_2)
	v_pk_fma_f32 v[136:137], v[132:133], v[128:129], v[134:135] op_sel_hi:[1,0,1]
	v_pk_fma_f32 v[128:129], v[132:133], v[128:129], v[134:135] neg_lo:[0,0,1] neg_hi:[0,0,1]
	v_mov_b32_e32 v129, v137
	s_cbranch_execz .LBB61_1114
	s_branch .LBB61_1115
.LBB61_1113:
                                        ; implicit-def: $vgpr128_vgpr129
.LBB61_1114:
	ds_load_b64 v[128:129], v1
.LBB61_1115:
	s_mov_b32 s2, exec_lo
	v_cmpx_ne_u32_e32 50, v0
	s_cbranch_execz .LBB61_1119
; %bb.1116:
	v_add_nc_u32_e32 v131, 0x1f8, v50
	v_add3_u32 v132, 0, v50, 8
	v_mov_b32_e32 v133, v0
	s_mov_b32 s3, 0
.LBB61_1117:                            ; =>This Inner Loop Header: Depth=1
	scratch_load_b64 v[134:135], v132, off
	ds_load_b64 v[136:137], v131
	s_wait_xcnt 0x0
	v_dual_add_nc_u32 v131, 8, v131 :: v_dual_add_nc_u32 v132, 8, v132
	s_wait_loadcnt_dscnt 0x0
	v_pk_mul_f32 v[138:139], v[136:137], v[134:135] op_sel:[1,1] op_sel_hi:[0,1]
	s_delay_alu instid0(VALU_DEP_1) | instskip(SKIP_2) | instid1(VALU_DEP_3)
	v_pk_fma_f32 v[140:141], v[136:137], v[134:135], v[138:139] op_sel_hi:[1,0,1]
	v_add_nc_u32_e32 v133, 1, v133
	v_pk_fma_f32 v[134:135], v[136:137], v[134:135], v[138:139] neg_lo:[0,0,1] neg_hi:[0,0,1]
	v_mov_b32_e32 v135, v141
	s_delay_alu instid0(VALU_DEP_3) | instskip(NEXT) | instid1(VALU_DEP_2)
	v_cmp_lt_u32_e32 vcc_lo, 49, v133
	v_pk_add_f32 v[128:129], v[128:129], v[134:135]
	s_or_b32 s3, vcc_lo, s3
	s_delay_alu instid0(SALU_CYCLE_1)
	s_and_not1_b32 exec_lo, exec_lo, s3
	s_cbranch_execnz .LBB61_1117
; %bb.1118:
	s_or_b32 exec_lo, exec_lo, s3
.LBB61_1119:
	s_delay_alu instid0(SALU_CYCLE_1) | instskip(SKIP_4) | instid1(VALU_DEP_1)
	s_or_b32 exec_lo, exec_lo, s2
	v_mov_b32_e32 v131, 0
	ds_load_b64 v[132:133], v131 offset:408
	s_wait_dscnt 0x0
	v_pk_mul_f32 v[134:135], v[128:129], v[132:133] op_sel:[1,1] op_sel_hi:[0,1]
	v_pk_fma_f32 v[136:137], v[128:129], v[132:133], v[134:135] op_sel_hi:[1,0,1]
	v_pk_fma_f32 v[128:129], v[128:129], v[132:133], v[134:135] neg_lo:[0,0,1] neg_hi:[0,0,1]
	s_delay_alu instid0(VALU_DEP_2)
	v_mov_b32_e32 v129, v137
	scratch_store_b64 off, v[128:129], off offset:408
.LBB61_1120:
	s_wait_xcnt 0x0
	s_or_b32 exec_lo, exec_lo, s0
	scratch_load_b64 v[128:129], off, off offset:416
	s_mov_b32 s0, exec_lo
	s_wait_loadcnt 0x0
	ds_store_b64 v1, v[128:129]
	s_wait_storecnt_dscnt 0x0
	s_barrier_signal -1
	s_barrier_wait -1
	s_wait_xcnt 0x0
	v_cmpx_gt_u32_e32 52, v0
	s_cbranch_execz .LBB61_1130
; %bb.1121:
	v_cmp_ne_u32_e32 vcc_lo, 1, v130
	s_cbranch_vccnz .LBB61_1123
; %bb.1122:
	scratch_load_b64 v[128:129], v51, off
	ds_load_b64 v[132:133], v1
	s_wait_loadcnt_dscnt 0x0
	v_pk_mul_f32 v[134:135], v[132:133], v[128:129] op_sel:[1,1] op_sel_hi:[0,1]
	s_delay_alu instid0(VALU_DEP_1) | instskip(SKIP_1) | instid1(VALU_DEP_2)
	v_pk_fma_f32 v[136:137], v[132:133], v[128:129], v[134:135] op_sel_hi:[1,0,1]
	v_pk_fma_f32 v[128:129], v[132:133], v[128:129], v[134:135] neg_lo:[0,0,1] neg_hi:[0,0,1]
	v_mov_b32_e32 v129, v137
	s_cbranch_execz .LBB61_1124
	s_branch .LBB61_1125
.LBB61_1123:
                                        ; implicit-def: $vgpr128_vgpr129
.LBB61_1124:
	ds_load_b64 v[128:129], v1
.LBB61_1125:
	s_mov_b32 s2, exec_lo
	v_cmpx_ne_u32_e32 51, v0
	s_cbranch_execz .LBB61_1129
; %bb.1126:
	v_add_nc_u32_e32 v131, 0x1f8, v50
	v_add3_u32 v132, 0, v50, 8
	v_mov_b32_e32 v133, v0
	s_mov_b32 s3, 0
.LBB61_1127:                            ; =>This Inner Loop Header: Depth=1
	scratch_load_b64 v[134:135], v132, off
	ds_load_b64 v[136:137], v131
	s_wait_xcnt 0x0
	v_dual_add_nc_u32 v131, 8, v131 :: v_dual_add_nc_u32 v132, 8, v132
	s_wait_loadcnt_dscnt 0x0
	v_pk_mul_f32 v[138:139], v[136:137], v[134:135] op_sel:[1,1] op_sel_hi:[0,1]
	s_delay_alu instid0(VALU_DEP_1) | instskip(SKIP_2) | instid1(VALU_DEP_3)
	v_pk_fma_f32 v[140:141], v[136:137], v[134:135], v[138:139] op_sel_hi:[1,0,1]
	v_add_nc_u32_e32 v133, 1, v133
	v_pk_fma_f32 v[134:135], v[136:137], v[134:135], v[138:139] neg_lo:[0,0,1] neg_hi:[0,0,1]
	v_mov_b32_e32 v135, v141
	s_delay_alu instid0(VALU_DEP_3) | instskip(NEXT) | instid1(VALU_DEP_2)
	v_cmp_lt_u32_e32 vcc_lo, 50, v133
	v_pk_add_f32 v[128:129], v[128:129], v[134:135]
	s_or_b32 s3, vcc_lo, s3
	s_delay_alu instid0(SALU_CYCLE_1)
	s_and_not1_b32 exec_lo, exec_lo, s3
	s_cbranch_execnz .LBB61_1127
; %bb.1128:
	s_or_b32 exec_lo, exec_lo, s3
.LBB61_1129:
	s_delay_alu instid0(SALU_CYCLE_1) | instskip(SKIP_4) | instid1(VALU_DEP_1)
	s_or_b32 exec_lo, exec_lo, s2
	v_mov_b32_e32 v131, 0
	ds_load_b64 v[132:133], v131 offset:416
	s_wait_dscnt 0x0
	v_pk_mul_f32 v[134:135], v[128:129], v[132:133] op_sel:[1,1] op_sel_hi:[0,1]
	v_pk_fma_f32 v[136:137], v[128:129], v[132:133], v[134:135] op_sel_hi:[1,0,1]
	v_pk_fma_f32 v[128:129], v[128:129], v[132:133], v[134:135] neg_lo:[0,0,1] neg_hi:[0,0,1]
	s_delay_alu instid0(VALU_DEP_2)
	v_mov_b32_e32 v129, v137
	scratch_store_b64 off, v[128:129], off offset:416
.LBB61_1130:
	s_wait_xcnt 0x0
	s_or_b32 exec_lo, exec_lo, s0
	scratch_load_b64 v[128:129], off, off offset:424
	s_mov_b32 s0, exec_lo
	s_wait_loadcnt 0x0
	ds_store_b64 v1, v[128:129]
	s_wait_storecnt_dscnt 0x0
	s_barrier_signal -1
	s_barrier_wait -1
	s_wait_xcnt 0x0
	v_cmpx_gt_u32_e32 53, v0
	s_cbranch_execz .LBB61_1140
; %bb.1131:
	v_cmp_ne_u32_e32 vcc_lo, 1, v130
	s_cbranch_vccnz .LBB61_1133
; %bb.1132:
	scratch_load_b64 v[128:129], v51, off
	ds_load_b64 v[132:133], v1
	s_wait_loadcnt_dscnt 0x0
	v_pk_mul_f32 v[134:135], v[132:133], v[128:129] op_sel:[1,1] op_sel_hi:[0,1]
	s_delay_alu instid0(VALU_DEP_1) | instskip(SKIP_1) | instid1(VALU_DEP_2)
	v_pk_fma_f32 v[136:137], v[132:133], v[128:129], v[134:135] op_sel_hi:[1,0,1]
	v_pk_fma_f32 v[128:129], v[132:133], v[128:129], v[134:135] neg_lo:[0,0,1] neg_hi:[0,0,1]
	v_mov_b32_e32 v129, v137
	s_cbranch_execz .LBB61_1134
	s_branch .LBB61_1135
.LBB61_1133:
                                        ; implicit-def: $vgpr128_vgpr129
.LBB61_1134:
	ds_load_b64 v[128:129], v1
.LBB61_1135:
	s_mov_b32 s2, exec_lo
	v_cmpx_ne_u32_e32 52, v0
	s_cbranch_execz .LBB61_1139
; %bb.1136:
	v_add_nc_u32_e32 v131, 0x1f8, v50
	v_add3_u32 v132, 0, v50, 8
	v_mov_b32_e32 v133, v0
	s_mov_b32 s3, 0
.LBB61_1137:                            ; =>This Inner Loop Header: Depth=1
	scratch_load_b64 v[134:135], v132, off
	ds_load_b64 v[136:137], v131
	s_wait_xcnt 0x0
	v_dual_add_nc_u32 v131, 8, v131 :: v_dual_add_nc_u32 v132, 8, v132
	s_wait_loadcnt_dscnt 0x0
	v_pk_mul_f32 v[138:139], v[136:137], v[134:135] op_sel:[1,1] op_sel_hi:[0,1]
	s_delay_alu instid0(VALU_DEP_1) | instskip(SKIP_2) | instid1(VALU_DEP_3)
	v_pk_fma_f32 v[140:141], v[136:137], v[134:135], v[138:139] op_sel_hi:[1,0,1]
	v_add_nc_u32_e32 v133, 1, v133
	v_pk_fma_f32 v[134:135], v[136:137], v[134:135], v[138:139] neg_lo:[0,0,1] neg_hi:[0,0,1]
	v_mov_b32_e32 v135, v141
	s_delay_alu instid0(VALU_DEP_3) | instskip(NEXT) | instid1(VALU_DEP_2)
	v_cmp_lt_u32_e32 vcc_lo, 51, v133
	v_pk_add_f32 v[128:129], v[128:129], v[134:135]
	s_or_b32 s3, vcc_lo, s3
	s_delay_alu instid0(SALU_CYCLE_1)
	s_and_not1_b32 exec_lo, exec_lo, s3
	s_cbranch_execnz .LBB61_1137
; %bb.1138:
	s_or_b32 exec_lo, exec_lo, s3
.LBB61_1139:
	s_delay_alu instid0(SALU_CYCLE_1) | instskip(SKIP_4) | instid1(VALU_DEP_1)
	s_or_b32 exec_lo, exec_lo, s2
	v_mov_b32_e32 v131, 0
	ds_load_b64 v[132:133], v131 offset:424
	s_wait_dscnt 0x0
	v_pk_mul_f32 v[134:135], v[128:129], v[132:133] op_sel:[1,1] op_sel_hi:[0,1]
	v_pk_fma_f32 v[136:137], v[128:129], v[132:133], v[134:135] op_sel_hi:[1,0,1]
	v_pk_fma_f32 v[128:129], v[128:129], v[132:133], v[134:135] neg_lo:[0,0,1] neg_hi:[0,0,1]
	s_delay_alu instid0(VALU_DEP_2)
	v_mov_b32_e32 v129, v137
	scratch_store_b64 off, v[128:129], off offset:424
.LBB61_1140:
	s_wait_xcnt 0x0
	s_or_b32 exec_lo, exec_lo, s0
	scratch_load_b64 v[128:129], off, off offset:432
	s_mov_b32 s0, exec_lo
	s_wait_loadcnt 0x0
	ds_store_b64 v1, v[128:129]
	s_wait_storecnt_dscnt 0x0
	s_barrier_signal -1
	s_barrier_wait -1
	s_wait_xcnt 0x0
	v_cmpx_gt_u32_e32 54, v0
	s_cbranch_execz .LBB61_1150
; %bb.1141:
	v_cmp_ne_u32_e32 vcc_lo, 1, v130
	s_cbranch_vccnz .LBB61_1143
; %bb.1142:
	scratch_load_b64 v[128:129], v51, off
	ds_load_b64 v[132:133], v1
	s_wait_loadcnt_dscnt 0x0
	v_pk_mul_f32 v[134:135], v[132:133], v[128:129] op_sel:[1,1] op_sel_hi:[0,1]
	s_delay_alu instid0(VALU_DEP_1) | instskip(SKIP_1) | instid1(VALU_DEP_2)
	v_pk_fma_f32 v[136:137], v[132:133], v[128:129], v[134:135] op_sel_hi:[1,0,1]
	v_pk_fma_f32 v[128:129], v[132:133], v[128:129], v[134:135] neg_lo:[0,0,1] neg_hi:[0,0,1]
	v_mov_b32_e32 v129, v137
	s_cbranch_execz .LBB61_1144
	s_branch .LBB61_1145
.LBB61_1143:
                                        ; implicit-def: $vgpr128_vgpr129
.LBB61_1144:
	ds_load_b64 v[128:129], v1
.LBB61_1145:
	s_mov_b32 s2, exec_lo
	v_cmpx_ne_u32_e32 53, v0
	s_cbranch_execz .LBB61_1149
; %bb.1146:
	v_add_nc_u32_e32 v131, 0x1f8, v50
	v_add3_u32 v132, 0, v50, 8
	v_mov_b32_e32 v133, v0
	s_mov_b32 s3, 0
.LBB61_1147:                            ; =>This Inner Loop Header: Depth=1
	scratch_load_b64 v[134:135], v132, off
	ds_load_b64 v[136:137], v131
	s_wait_xcnt 0x0
	v_dual_add_nc_u32 v131, 8, v131 :: v_dual_add_nc_u32 v132, 8, v132
	s_wait_loadcnt_dscnt 0x0
	v_pk_mul_f32 v[138:139], v[136:137], v[134:135] op_sel:[1,1] op_sel_hi:[0,1]
	s_delay_alu instid0(VALU_DEP_1) | instskip(SKIP_2) | instid1(VALU_DEP_3)
	v_pk_fma_f32 v[140:141], v[136:137], v[134:135], v[138:139] op_sel_hi:[1,0,1]
	v_add_nc_u32_e32 v133, 1, v133
	v_pk_fma_f32 v[134:135], v[136:137], v[134:135], v[138:139] neg_lo:[0,0,1] neg_hi:[0,0,1]
	v_mov_b32_e32 v135, v141
	s_delay_alu instid0(VALU_DEP_3) | instskip(NEXT) | instid1(VALU_DEP_2)
	v_cmp_lt_u32_e32 vcc_lo, 52, v133
	v_pk_add_f32 v[128:129], v[128:129], v[134:135]
	s_or_b32 s3, vcc_lo, s3
	s_delay_alu instid0(SALU_CYCLE_1)
	s_and_not1_b32 exec_lo, exec_lo, s3
	s_cbranch_execnz .LBB61_1147
; %bb.1148:
	s_or_b32 exec_lo, exec_lo, s3
.LBB61_1149:
	s_delay_alu instid0(SALU_CYCLE_1) | instskip(SKIP_4) | instid1(VALU_DEP_1)
	s_or_b32 exec_lo, exec_lo, s2
	v_mov_b32_e32 v131, 0
	ds_load_b64 v[132:133], v131 offset:432
	s_wait_dscnt 0x0
	v_pk_mul_f32 v[134:135], v[128:129], v[132:133] op_sel:[1,1] op_sel_hi:[0,1]
	v_pk_fma_f32 v[136:137], v[128:129], v[132:133], v[134:135] op_sel_hi:[1,0,1]
	v_pk_fma_f32 v[128:129], v[128:129], v[132:133], v[134:135] neg_lo:[0,0,1] neg_hi:[0,0,1]
	s_delay_alu instid0(VALU_DEP_2)
	v_mov_b32_e32 v129, v137
	scratch_store_b64 off, v[128:129], off offset:432
.LBB61_1150:
	s_wait_xcnt 0x0
	s_or_b32 exec_lo, exec_lo, s0
	scratch_load_b64 v[128:129], off, off offset:440
	s_mov_b32 s0, exec_lo
	s_wait_loadcnt 0x0
	ds_store_b64 v1, v[128:129]
	s_wait_storecnt_dscnt 0x0
	s_barrier_signal -1
	s_barrier_wait -1
	s_wait_xcnt 0x0
	v_cmpx_gt_u32_e32 55, v0
	s_cbranch_execz .LBB61_1160
; %bb.1151:
	v_cmp_ne_u32_e32 vcc_lo, 1, v130
	s_cbranch_vccnz .LBB61_1153
; %bb.1152:
	scratch_load_b64 v[128:129], v51, off
	ds_load_b64 v[132:133], v1
	s_wait_loadcnt_dscnt 0x0
	v_pk_mul_f32 v[134:135], v[132:133], v[128:129] op_sel:[1,1] op_sel_hi:[0,1]
	s_delay_alu instid0(VALU_DEP_1) | instskip(SKIP_1) | instid1(VALU_DEP_2)
	v_pk_fma_f32 v[136:137], v[132:133], v[128:129], v[134:135] op_sel_hi:[1,0,1]
	v_pk_fma_f32 v[128:129], v[132:133], v[128:129], v[134:135] neg_lo:[0,0,1] neg_hi:[0,0,1]
	v_mov_b32_e32 v129, v137
	s_cbranch_execz .LBB61_1154
	s_branch .LBB61_1155
.LBB61_1153:
                                        ; implicit-def: $vgpr128_vgpr129
.LBB61_1154:
	ds_load_b64 v[128:129], v1
.LBB61_1155:
	s_mov_b32 s2, exec_lo
	v_cmpx_ne_u32_e32 54, v0
	s_cbranch_execz .LBB61_1159
; %bb.1156:
	v_add_nc_u32_e32 v131, 0x1f8, v50
	v_add3_u32 v132, 0, v50, 8
	v_mov_b32_e32 v133, v0
	s_mov_b32 s3, 0
.LBB61_1157:                            ; =>This Inner Loop Header: Depth=1
	scratch_load_b64 v[134:135], v132, off
	ds_load_b64 v[136:137], v131
	s_wait_xcnt 0x0
	v_dual_add_nc_u32 v131, 8, v131 :: v_dual_add_nc_u32 v132, 8, v132
	s_wait_loadcnt_dscnt 0x0
	v_pk_mul_f32 v[138:139], v[136:137], v[134:135] op_sel:[1,1] op_sel_hi:[0,1]
	s_delay_alu instid0(VALU_DEP_1) | instskip(SKIP_2) | instid1(VALU_DEP_3)
	v_pk_fma_f32 v[140:141], v[136:137], v[134:135], v[138:139] op_sel_hi:[1,0,1]
	v_add_nc_u32_e32 v133, 1, v133
	v_pk_fma_f32 v[134:135], v[136:137], v[134:135], v[138:139] neg_lo:[0,0,1] neg_hi:[0,0,1]
	v_mov_b32_e32 v135, v141
	s_delay_alu instid0(VALU_DEP_3) | instskip(NEXT) | instid1(VALU_DEP_2)
	v_cmp_lt_u32_e32 vcc_lo, 53, v133
	v_pk_add_f32 v[128:129], v[128:129], v[134:135]
	s_or_b32 s3, vcc_lo, s3
	s_delay_alu instid0(SALU_CYCLE_1)
	s_and_not1_b32 exec_lo, exec_lo, s3
	s_cbranch_execnz .LBB61_1157
; %bb.1158:
	s_or_b32 exec_lo, exec_lo, s3
.LBB61_1159:
	s_delay_alu instid0(SALU_CYCLE_1) | instskip(SKIP_4) | instid1(VALU_DEP_1)
	s_or_b32 exec_lo, exec_lo, s2
	v_mov_b32_e32 v131, 0
	ds_load_b64 v[132:133], v131 offset:440
	s_wait_dscnt 0x0
	v_pk_mul_f32 v[134:135], v[128:129], v[132:133] op_sel:[1,1] op_sel_hi:[0,1]
	v_pk_fma_f32 v[136:137], v[128:129], v[132:133], v[134:135] op_sel_hi:[1,0,1]
	v_pk_fma_f32 v[128:129], v[128:129], v[132:133], v[134:135] neg_lo:[0,0,1] neg_hi:[0,0,1]
	s_delay_alu instid0(VALU_DEP_2)
	v_mov_b32_e32 v129, v137
	scratch_store_b64 off, v[128:129], off offset:440
.LBB61_1160:
	s_wait_xcnt 0x0
	s_or_b32 exec_lo, exec_lo, s0
	scratch_load_b64 v[128:129], off, off offset:448
	s_mov_b32 s0, exec_lo
	s_wait_loadcnt 0x0
	ds_store_b64 v1, v[128:129]
	s_wait_storecnt_dscnt 0x0
	s_barrier_signal -1
	s_barrier_wait -1
	s_wait_xcnt 0x0
	v_cmpx_gt_u32_e32 56, v0
	s_cbranch_execz .LBB61_1170
; %bb.1161:
	v_cmp_ne_u32_e32 vcc_lo, 1, v130
	s_cbranch_vccnz .LBB61_1163
; %bb.1162:
	scratch_load_b64 v[128:129], v51, off
	ds_load_b64 v[132:133], v1
	s_wait_loadcnt_dscnt 0x0
	v_pk_mul_f32 v[134:135], v[132:133], v[128:129] op_sel:[1,1] op_sel_hi:[0,1]
	s_delay_alu instid0(VALU_DEP_1) | instskip(SKIP_1) | instid1(VALU_DEP_2)
	v_pk_fma_f32 v[136:137], v[132:133], v[128:129], v[134:135] op_sel_hi:[1,0,1]
	v_pk_fma_f32 v[128:129], v[132:133], v[128:129], v[134:135] neg_lo:[0,0,1] neg_hi:[0,0,1]
	v_mov_b32_e32 v129, v137
	s_cbranch_execz .LBB61_1164
	s_branch .LBB61_1165
.LBB61_1163:
                                        ; implicit-def: $vgpr128_vgpr129
.LBB61_1164:
	ds_load_b64 v[128:129], v1
.LBB61_1165:
	s_mov_b32 s2, exec_lo
	v_cmpx_ne_u32_e32 55, v0
	s_cbranch_execz .LBB61_1169
; %bb.1166:
	v_add_nc_u32_e32 v131, 0x1f8, v50
	v_add3_u32 v132, 0, v50, 8
	v_mov_b32_e32 v133, v0
	s_mov_b32 s3, 0
.LBB61_1167:                            ; =>This Inner Loop Header: Depth=1
	scratch_load_b64 v[134:135], v132, off
	ds_load_b64 v[136:137], v131
	s_wait_xcnt 0x0
	v_dual_add_nc_u32 v131, 8, v131 :: v_dual_add_nc_u32 v132, 8, v132
	s_wait_loadcnt_dscnt 0x0
	v_pk_mul_f32 v[138:139], v[136:137], v[134:135] op_sel:[1,1] op_sel_hi:[0,1]
	s_delay_alu instid0(VALU_DEP_1) | instskip(SKIP_2) | instid1(VALU_DEP_3)
	v_pk_fma_f32 v[140:141], v[136:137], v[134:135], v[138:139] op_sel_hi:[1,0,1]
	v_add_nc_u32_e32 v133, 1, v133
	v_pk_fma_f32 v[134:135], v[136:137], v[134:135], v[138:139] neg_lo:[0,0,1] neg_hi:[0,0,1]
	v_mov_b32_e32 v135, v141
	s_delay_alu instid0(VALU_DEP_3) | instskip(NEXT) | instid1(VALU_DEP_2)
	v_cmp_lt_u32_e32 vcc_lo, 54, v133
	v_pk_add_f32 v[128:129], v[128:129], v[134:135]
	s_or_b32 s3, vcc_lo, s3
	s_delay_alu instid0(SALU_CYCLE_1)
	s_and_not1_b32 exec_lo, exec_lo, s3
	s_cbranch_execnz .LBB61_1167
; %bb.1168:
	s_or_b32 exec_lo, exec_lo, s3
.LBB61_1169:
	s_delay_alu instid0(SALU_CYCLE_1) | instskip(SKIP_4) | instid1(VALU_DEP_1)
	s_or_b32 exec_lo, exec_lo, s2
	v_mov_b32_e32 v131, 0
	ds_load_b64 v[132:133], v131 offset:448
	s_wait_dscnt 0x0
	v_pk_mul_f32 v[134:135], v[128:129], v[132:133] op_sel:[1,1] op_sel_hi:[0,1]
	v_pk_fma_f32 v[136:137], v[128:129], v[132:133], v[134:135] op_sel_hi:[1,0,1]
	v_pk_fma_f32 v[128:129], v[128:129], v[132:133], v[134:135] neg_lo:[0,0,1] neg_hi:[0,0,1]
	s_delay_alu instid0(VALU_DEP_2)
	v_mov_b32_e32 v129, v137
	scratch_store_b64 off, v[128:129], off offset:448
.LBB61_1170:
	s_wait_xcnt 0x0
	s_or_b32 exec_lo, exec_lo, s0
	scratch_load_b64 v[128:129], off, off offset:456
	s_mov_b32 s0, exec_lo
	s_wait_loadcnt 0x0
	ds_store_b64 v1, v[128:129]
	s_wait_storecnt_dscnt 0x0
	s_barrier_signal -1
	s_barrier_wait -1
	s_wait_xcnt 0x0
	v_cmpx_gt_u32_e32 57, v0
	s_cbranch_execz .LBB61_1180
; %bb.1171:
	v_cmp_ne_u32_e32 vcc_lo, 1, v130
	s_cbranch_vccnz .LBB61_1173
; %bb.1172:
	scratch_load_b64 v[128:129], v51, off
	ds_load_b64 v[132:133], v1
	s_wait_loadcnt_dscnt 0x0
	v_pk_mul_f32 v[134:135], v[132:133], v[128:129] op_sel:[1,1] op_sel_hi:[0,1]
	s_delay_alu instid0(VALU_DEP_1) | instskip(SKIP_1) | instid1(VALU_DEP_2)
	v_pk_fma_f32 v[136:137], v[132:133], v[128:129], v[134:135] op_sel_hi:[1,0,1]
	v_pk_fma_f32 v[128:129], v[132:133], v[128:129], v[134:135] neg_lo:[0,0,1] neg_hi:[0,0,1]
	v_mov_b32_e32 v129, v137
	s_cbranch_execz .LBB61_1174
	s_branch .LBB61_1175
.LBB61_1173:
                                        ; implicit-def: $vgpr128_vgpr129
.LBB61_1174:
	ds_load_b64 v[128:129], v1
.LBB61_1175:
	s_mov_b32 s2, exec_lo
	v_cmpx_ne_u32_e32 56, v0
	s_cbranch_execz .LBB61_1179
; %bb.1176:
	v_add_nc_u32_e32 v131, 0x1f8, v50
	v_add3_u32 v132, 0, v50, 8
	v_mov_b32_e32 v133, v0
	s_mov_b32 s3, 0
.LBB61_1177:                            ; =>This Inner Loop Header: Depth=1
	scratch_load_b64 v[134:135], v132, off
	ds_load_b64 v[136:137], v131
	s_wait_xcnt 0x0
	v_dual_add_nc_u32 v131, 8, v131 :: v_dual_add_nc_u32 v132, 8, v132
	s_wait_loadcnt_dscnt 0x0
	v_pk_mul_f32 v[138:139], v[136:137], v[134:135] op_sel:[1,1] op_sel_hi:[0,1]
	s_delay_alu instid0(VALU_DEP_1) | instskip(SKIP_2) | instid1(VALU_DEP_3)
	v_pk_fma_f32 v[140:141], v[136:137], v[134:135], v[138:139] op_sel_hi:[1,0,1]
	v_add_nc_u32_e32 v133, 1, v133
	v_pk_fma_f32 v[134:135], v[136:137], v[134:135], v[138:139] neg_lo:[0,0,1] neg_hi:[0,0,1]
	v_mov_b32_e32 v135, v141
	s_delay_alu instid0(VALU_DEP_3) | instskip(NEXT) | instid1(VALU_DEP_2)
	v_cmp_lt_u32_e32 vcc_lo, 55, v133
	v_pk_add_f32 v[128:129], v[128:129], v[134:135]
	s_or_b32 s3, vcc_lo, s3
	s_delay_alu instid0(SALU_CYCLE_1)
	s_and_not1_b32 exec_lo, exec_lo, s3
	s_cbranch_execnz .LBB61_1177
; %bb.1178:
	s_or_b32 exec_lo, exec_lo, s3
.LBB61_1179:
	s_delay_alu instid0(SALU_CYCLE_1) | instskip(SKIP_4) | instid1(VALU_DEP_1)
	s_or_b32 exec_lo, exec_lo, s2
	v_mov_b32_e32 v131, 0
	ds_load_b64 v[132:133], v131 offset:456
	s_wait_dscnt 0x0
	v_pk_mul_f32 v[134:135], v[128:129], v[132:133] op_sel:[1,1] op_sel_hi:[0,1]
	v_pk_fma_f32 v[136:137], v[128:129], v[132:133], v[134:135] op_sel_hi:[1,0,1]
	v_pk_fma_f32 v[128:129], v[128:129], v[132:133], v[134:135] neg_lo:[0,0,1] neg_hi:[0,0,1]
	s_delay_alu instid0(VALU_DEP_2)
	v_mov_b32_e32 v129, v137
	scratch_store_b64 off, v[128:129], off offset:456
.LBB61_1180:
	s_wait_xcnt 0x0
	s_or_b32 exec_lo, exec_lo, s0
	scratch_load_b64 v[128:129], off, off offset:464
	s_mov_b32 s0, exec_lo
	s_wait_loadcnt 0x0
	ds_store_b64 v1, v[128:129]
	s_wait_storecnt_dscnt 0x0
	s_barrier_signal -1
	s_barrier_wait -1
	s_wait_xcnt 0x0
	v_cmpx_gt_u32_e32 58, v0
	s_cbranch_execz .LBB61_1190
; %bb.1181:
	v_cmp_ne_u32_e32 vcc_lo, 1, v130
	s_cbranch_vccnz .LBB61_1183
; %bb.1182:
	scratch_load_b64 v[128:129], v51, off
	ds_load_b64 v[132:133], v1
	s_wait_loadcnt_dscnt 0x0
	v_pk_mul_f32 v[134:135], v[132:133], v[128:129] op_sel:[1,1] op_sel_hi:[0,1]
	s_delay_alu instid0(VALU_DEP_1) | instskip(SKIP_1) | instid1(VALU_DEP_2)
	v_pk_fma_f32 v[136:137], v[132:133], v[128:129], v[134:135] op_sel_hi:[1,0,1]
	v_pk_fma_f32 v[128:129], v[132:133], v[128:129], v[134:135] neg_lo:[0,0,1] neg_hi:[0,0,1]
	v_mov_b32_e32 v129, v137
	s_cbranch_execz .LBB61_1184
	s_branch .LBB61_1185
.LBB61_1183:
                                        ; implicit-def: $vgpr128_vgpr129
.LBB61_1184:
	ds_load_b64 v[128:129], v1
.LBB61_1185:
	s_mov_b32 s2, exec_lo
	v_cmpx_ne_u32_e32 57, v0
	s_cbranch_execz .LBB61_1189
; %bb.1186:
	v_add_nc_u32_e32 v131, 0x1f8, v50
	v_add3_u32 v132, 0, v50, 8
	v_mov_b32_e32 v133, v0
	s_mov_b32 s3, 0
.LBB61_1187:                            ; =>This Inner Loop Header: Depth=1
	scratch_load_b64 v[134:135], v132, off
	ds_load_b64 v[136:137], v131
	s_wait_xcnt 0x0
	v_dual_add_nc_u32 v131, 8, v131 :: v_dual_add_nc_u32 v132, 8, v132
	s_wait_loadcnt_dscnt 0x0
	v_pk_mul_f32 v[138:139], v[136:137], v[134:135] op_sel:[1,1] op_sel_hi:[0,1]
	s_delay_alu instid0(VALU_DEP_1) | instskip(SKIP_2) | instid1(VALU_DEP_3)
	v_pk_fma_f32 v[140:141], v[136:137], v[134:135], v[138:139] op_sel_hi:[1,0,1]
	v_add_nc_u32_e32 v133, 1, v133
	v_pk_fma_f32 v[134:135], v[136:137], v[134:135], v[138:139] neg_lo:[0,0,1] neg_hi:[0,0,1]
	v_mov_b32_e32 v135, v141
	s_delay_alu instid0(VALU_DEP_3) | instskip(NEXT) | instid1(VALU_DEP_2)
	v_cmp_lt_u32_e32 vcc_lo, 56, v133
	v_pk_add_f32 v[128:129], v[128:129], v[134:135]
	s_or_b32 s3, vcc_lo, s3
	s_delay_alu instid0(SALU_CYCLE_1)
	s_and_not1_b32 exec_lo, exec_lo, s3
	s_cbranch_execnz .LBB61_1187
; %bb.1188:
	s_or_b32 exec_lo, exec_lo, s3
.LBB61_1189:
	s_delay_alu instid0(SALU_CYCLE_1) | instskip(SKIP_4) | instid1(VALU_DEP_1)
	s_or_b32 exec_lo, exec_lo, s2
	v_mov_b32_e32 v131, 0
	ds_load_b64 v[132:133], v131 offset:464
	s_wait_dscnt 0x0
	v_pk_mul_f32 v[134:135], v[128:129], v[132:133] op_sel:[1,1] op_sel_hi:[0,1]
	v_pk_fma_f32 v[136:137], v[128:129], v[132:133], v[134:135] op_sel_hi:[1,0,1]
	v_pk_fma_f32 v[128:129], v[128:129], v[132:133], v[134:135] neg_lo:[0,0,1] neg_hi:[0,0,1]
	s_delay_alu instid0(VALU_DEP_2)
	v_mov_b32_e32 v129, v137
	scratch_store_b64 off, v[128:129], off offset:464
.LBB61_1190:
	s_wait_xcnt 0x0
	s_or_b32 exec_lo, exec_lo, s0
	scratch_load_b64 v[128:129], off, off offset:472
	s_mov_b32 s0, exec_lo
	s_wait_loadcnt 0x0
	ds_store_b64 v1, v[128:129]
	s_wait_storecnt_dscnt 0x0
	s_barrier_signal -1
	s_barrier_wait -1
	s_wait_xcnt 0x0
	v_cmpx_gt_u32_e32 59, v0
	s_cbranch_execz .LBB61_1200
; %bb.1191:
	v_cmp_ne_u32_e32 vcc_lo, 1, v130
	s_cbranch_vccnz .LBB61_1193
; %bb.1192:
	scratch_load_b64 v[128:129], v51, off
	ds_load_b64 v[132:133], v1
	s_wait_loadcnt_dscnt 0x0
	v_pk_mul_f32 v[134:135], v[132:133], v[128:129] op_sel:[1,1] op_sel_hi:[0,1]
	s_delay_alu instid0(VALU_DEP_1) | instskip(SKIP_1) | instid1(VALU_DEP_2)
	v_pk_fma_f32 v[136:137], v[132:133], v[128:129], v[134:135] op_sel_hi:[1,0,1]
	v_pk_fma_f32 v[128:129], v[132:133], v[128:129], v[134:135] neg_lo:[0,0,1] neg_hi:[0,0,1]
	v_mov_b32_e32 v129, v137
	s_cbranch_execz .LBB61_1194
	s_branch .LBB61_1195
.LBB61_1193:
                                        ; implicit-def: $vgpr128_vgpr129
.LBB61_1194:
	ds_load_b64 v[128:129], v1
.LBB61_1195:
	s_mov_b32 s2, exec_lo
	v_cmpx_ne_u32_e32 58, v0
	s_cbranch_execz .LBB61_1199
; %bb.1196:
	v_add_nc_u32_e32 v131, 0x1f8, v50
	v_add3_u32 v132, 0, v50, 8
	v_mov_b32_e32 v133, v0
	s_mov_b32 s3, 0
.LBB61_1197:                            ; =>This Inner Loop Header: Depth=1
	scratch_load_b64 v[134:135], v132, off
	ds_load_b64 v[136:137], v131
	s_wait_xcnt 0x0
	v_dual_add_nc_u32 v131, 8, v131 :: v_dual_add_nc_u32 v132, 8, v132
	s_wait_loadcnt_dscnt 0x0
	v_pk_mul_f32 v[138:139], v[136:137], v[134:135] op_sel:[1,1] op_sel_hi:[0,1]
	s_delay_alu instid0(VALU_DEP_1) | instskip(SKIP_2) | instid1(VALU_DEP_3)
	v_pk_fma_f32 v[140:141], v[136:137], v[134:135], v[138:139] op_sel_hi:[1,0,1]
	v_add_nc_u32_e32 v133, 1, v133
	v_pk_fma_f32 v[134:135], v[136:137], v[134:135], v[138:139] neg_lo:[0,0,1] neg_hi:[0,0,1]
	v_mov_b32_e32 v135, v141
	s_delay_alu instid0(VALU_DEP_3) | instskip(NEXT) | instid1(VALU_DEP_2)
	v_cmp_lt_u32_e32 vcc_lo, 57, v133
	v_pk_add_f32 v[128:129], v[128:129], v[134:135]
	s_or_b32 s3, vcc_lo, s3
	s_delay_alu instid0(SALU_CYCLE_1)
	s_and_not1_b32 exec_lo, exec_lo, s3
	s_cbranch_execnz .LBB61_1197
; %bb.1198:
	s_or_b32 exec_lo, exec_lo, s3
.LBB61_1199:
	s_delay_alu instid0(SALU_CYCLE_1) | instskip(SKIP_4) | instid1(VALU_DEP_1)
	s_or_b32 exec_lo, exec_lo, s2
	v_mov_b32_e32 v131, 0
	ds_load_b64 v[132:133], v131 offset:472
	s_wait_dscnt 0x0
	v_pk_mul_f32 v[134:135], v[128:129], v[132:133] op_sel:[1,1] op_sel_hi:[0,1]
	v_pk_fma_f32 v[136:137], v[128:129], v[132:133], v[134:135] op_sel_hi:[1,0,1]
	v_pk_fma_f32 v[128:129], v[128:129], v[132:133], v[134:135] neg_lo:[0,0,1] neg_hi:[0,0,1]
	s_delay_alu instid0(VALU_DEP_2)
	v_mov_b32_e32 v129, v137
	scratch_store_b64 off, v[128:129], off offset:472
.LBB61_1200:
	s_wait_xcnt 0x0
	s_or_b32 exec_lo, exec_lo, s0
	scratch_load_b64 v[128:129], off, off offset:480
	v_cmp_gt_u32_e64 s0, 60, v0
	s_wait_loadcnt 0x0
	ds_store_b64 v1, v[128:129]
	s_wait_storecnt_dscnt 0x0
	s_barrier_signal -1
	s_barrier_wait -1
	s_wait_xcnt 0x0
	s_and_saveexec_b32 s2, s0
	s_cbranch_execz .LBB61_1210
; %bb.1201:
	v_cmp_ne_u32_e32 vcc_lo, 1, v130
	s_cbranch_vccnz .LBB61_1203
; %bb.1202:
	scratch_load_b64 v[128:129], v51, off
	ds_load_b64 v[132:133], v1
	s_wait_loadcnt_dscnt 0x0
	v_pk_mul_f32 v[134:135], v[132:133], v[128:129] op_sel:[1,1] op_sel_hi:[0,1]
	s_delay_alu instid0(VALU_DEP_1) | instskip(SKIP_1) | instid1(VALU_DEP_2)
	v_pk_fma_f32 v[136:137], v[132:133], v[128:129], v[134:135] op_sel_hi:[1,0,1]
	v_pk_fma_f32 v[128:129], v[132:133], v[128:129], v[134:135] neg_lo:[0,0,1] neg_hi:[0,0,1]
	v_mov_b32_e32 v129, v137
	s_cbranch_execz .LBB61_1204
	s_branch .LBB61_1205
.LBB61_1203:
                                        ; implicit-def: $vgpr128_vgpr129
.LBB61_1204:
	ds_load_b64 v[128:129], v1
.LBB61_1205:
	s_mov_b32 s3, exec_lo
	v_cmpx_ne_u32_e32 59, v0
	s_cbranch_execz .LBB61_1209
; %bb.1206:
	v_add_nc_u32_e32 v131, 0x1f8, v50
	v_add3_u32 v132, 0, v50, 8
	v_mov_b32_e32 v133, v0
	s_mov_b32 s4, 0
.LBB61_1207:                            ; =>This Inner Loop Header: Depth=1
	scratch_load_b64 v[134:135], v132, off
	ds_load_b64 v[136:137], v131
	s_wait_xcnt 0x0
	v_dual_add_nc_u32 v131, 8, v131 :: v_dual_add_nc_u32 v132, 8, v132
	s_wait_loadcnt_dscnt 0x0
	v_pk_mul_f32 v[138:139], v[136:137], v[134:135] op_sel:[1,1] op_sel_hi:[0,1]
	s_delay_alu instid0(VALU_DEP_1) | instskip(SKIP_2) | instid1(VALU_DEP_3)
	v_pk_fma_f32 v[140:141], v[136:137], v[134:135], v[138:139] op_sel_hi:[1,0,1]
	v_add_nc_u32_e32 v133, 1, v133
	v_pk_fma_f32 v[134:135], v[136:137], v[134:135], v[138:139] neg_lo:[0,0,1] neg_hi:[0,0,1]
	v_mov_b32_e32 v135, v141
	s_delay_alu instid0(VALU_DEP_3) | instskip(NEXT) | instid1(VALU_DEP_2)
	v_cmp_lt_u32_e32 vcc_lo, 58, v133
	v_pk_add_f32 v[128:129], v[128:129], v[134:135]
	s_or_b32 s4, vcc_lo, s4
	s_delay_alu instid0(SALU_CYCLE_1)
	s_and_not1_b32 exec_lo, exec_lo, s4
	s_cbranch_execnz .LBB61_1207
; %bb.1208:
	s_or_b32 exec_lo, exec_lo, s4
.LBB61_1209:
	s_delay_alu instid0(SALU_CYCLE_1) | instskip(SKIP_4) | instid1(VALU_DEP_1)
	s_or_b32 exec_lo, exec_lo, s3
	v_mov_b32_e32 v131, 0
	ds_load_b64 v[132:133], v131 offset:480
	s_wait_dscnt 0x0
	v_pk_mul_f32 v[134:135], v[128:129], v[132:133] op_sel:[1,1] op_sel_hi:[0,1]
	v_pk_fma_f32 v[136:137], v[128:129], v[132:133], v[134:135] op_sel_hi:[1,0,1]
	v_pk_fma_f32 v[128:129], v[128:129], v[132:133], v[134:135] neg_lo:[0,0,1] neg_hi:[0,0,1]
	s_delay_alu instid0(VALU_DEP_2)
	v_mov_b32_e32 v129, v137
	scratch_store_b64 off, v[128:129], off offset:480
.LBB61_1210:
	s_wait_xcnt 0x0
	s_or_b32 exec_lo, exec_lo, s2
	scratch_load_b64 v[128:129], off, off offset:488
	s_mov_b32 s2, exec_lo
                                        ; implicit-def: $vgpr180
                                        ; implicit-def: $sgpr4
	s_wait_loadcnt 0x0
	ds_store_b64 v1, v[128:129]
	s_wait_storecnt_dscnt 0x0
	s_barrier_signal -1
	s_barrier_wait -1
	s_wait_xcnt 0x0
	v_cmpx_ne_u32_e32 61, v0
	s_cbranch_execz .LBB61_1220
; %bb.1211:
	v_cmp_ne_u32_e32 vcc_lo, 1, v130
	s_cbranch_vccnz .LBB61_1213
; %bb.1212:
	scratch_load_b64 v[130:131], v51, off
	ds_load_b64 v[132:133], v1
	s_wait_loadcnt_dscnt 0x0
	v_dual_mul_f32 v51, v133, v131 :: v_dual_mul_f32 v129, v132, v131
	s_delay_alu instid0(VALU_DEP_1)
	v_dual_fma_f32 v128, v132, v130, -v51 :: v_dual_fmac_f32 v129, v133, v130
	s_cbranch_execz .LBB61_1214
	s_branch .LBB61_1215
.LBB61_1213:
                                        ; implicit-def: $vgpr129
.LBB61_1214:
	ds_load_b64 v[128:129], v1
.LBB61_1215:
	s_and_saveexec_b32 s3, s0
	s_cbranch_execz .LBB61_1219
; %bb.1216:
	v_add_nc_u32_e32 v1, 0x1f8, v50
	v_add3_u32 v50, 0, v50, 8
	s_mov_b32 s0, 0
.LBB61_1217:                            ; =>This Inner Loop Header: Depth=1
	scratch_load_b64 v[130:131], v50, off
	ds_load_b64 v[132:133], v1
	s_wait_loadcnt_dscnt 0x0
	v_dual_add_nc_u32 v1, 8, v1 :: v_dual_mul_f32 v51, v133, v131
	v_dual_mul_f32 v131, v132, v131 :: v_dual_add_nc_u32 v0, 1, v0
	s_delay_alu instid0(VALU_DEP_2) | instskip(NEXT) | instid1(VALU_DEP_2)
	v_fma_f32 v51, v132, v130, -v51
	v_fmac_f32_e32 v131, v133, v130
	s_delay_alu instid0(VALU_DEP_3) | instskip(NEXT) | instid1(VALU_DEP_3)
	v_cmp_lt_u32_e32 vcc_lo, 59, v0
	v_dual_add_nc_u32 v50, 8, v50 :: v_dual_add_f32 v128, v128, v51
	s_delay_alu instid0(VALU_DEP_3) | instskip(SKIP_1) | instid1(SALU_CYCLE_1)
	v_add_f32_e32 v129, v129, v131
	s_or_b32 s0, vcc_lo, s0
	s_and_not1_b32 exec_lo, exec_lo, s0
	s_cbranch_execnz .LBB61_1217
; %bb.1218:
	s_or_b32 exec_lo, exec_lo, s0
.LBB61_1219:
	s_delay_alu instid0(SALU_CYCLE_1)
	s_or_b32 exec_lo, exec_lo, s3
	v_mov_b32_e32 v0, 0
	s_movk_i32 s4, 0x1ec
	s_or_b32 s1, s1, exec_lo
	ds_load_b64 v[0:1], v0 offset:488
	s_wait_dscnt 0x0
	v_dual_mul_f32 v50, v129, v1 :: v_dual_mul_f32 v180, v128, v1
	s_delay_alu instid0(VALU_DEP_1)
	v_dual_fma_f32 v1, v128, v0, -v50 :: v_dual_fmac_f32 v180, v129, v0
	scratch_store_b32 off, v1, off offset:488
.LBB61_1220:
	s_wait_xcnt 0x0
	s_or_b32 exec_lo, exec_lo, s2
.LBB61_1221:
	v_lshl_add_u64 v[176:177], v[4:5], 3, s[6:7]
	v_lshl_add_u64 v[178:179], v[6:7], 3, s[6:7]
	;; [unrolled: 1-line block ×60, first 2 shown]
	s_and_saveexec_b32 s0, s1
	s_cbranch_execz .LBB61_1223
; %bb.1222:
	scratch_store_b32 off, v180, s4
.LBB61_1223:
	s_wait_xcnt 0x0
	s_or_b32 exec_lo, exec_lo, s0
	s_clause 0x3
	scratch_load_b128 v[72:75], off, off
	scratch_load_b128 v[76:79], off, off offset:16
	scratch_load_b128 v[80:83], off, off offset:32
	;; [unrolled: 1-line block ×3, first 2 shown]
	s_wait_loadcnt 0x3
	s_clause 0x1
	global_store_b64 v[2:3], v[72:73], off
	global_store_b64 v[8:9], v[74:75], off
	s_clause 0x1
	scratch_load_b128 v[72:75], off, off offset:64
	scratch_load_b128 v[88:91], off, off offset:80
	s_wait_loadcnt 0x4
	s_clause 0x1
	global_store_b64 v[176:177], v[76:77], off
	global_store_b64 v[178:179], v[78:79], off
	s_clause 0x1
	scratch_load_b128 v[76:79], off, off offset:96
	scratch_load_b128 v[92:95], off, off offset:112
	;; [unrolled: 7-line block ×13, first 2 shown]
	s_wait_loadcnt 0x10
	s_clause 0x1
	global_store_b64 v[128:129], v[104:105], off
	global_store_b64 v[130:131], v[106:107], off
	scratch_load_b128 v[104:107], off, off offset:480
	s_wait_loadcnt 0x10
	s_clause 0x1
	global_store_b64 v[6:7], v[88:89], off
	global_store_b64 v[10:11], v[90:91], off
	s_wait_loadcnt 0xf
	s_clause 0x1
	global_store_b64 v[12:13], v[108:109], off
	global_store_b64 v[14:15], v[110:111], off
	s_wait_loadcnt 0xe
	s_clause 0x1
	global_store_b64 v[16:17], v[76:77], off
	global_store_b64 v[18:19], v[78:79], off
	s_wait_loadcnt 0xd
	s_clause 0x1
	global_store_b64 v[20:21], v[112:113], off
	global_store_b64 v[22:23], v[114:115], off
	s_wait_loadcnt 0xc
	s_clause 0x1
	global_store_b64 v[24:25], v[92:93], off
	global_store_b64 v[26:27], v[94:95], off
	s_wait_loadcnt 0xb
	s_clause 0x1
	global_store_b64 v[28:29], v[116:117], off
	global_store_b64 v[30:31], v[118:119], off
	s_wait_loadcnt 0xa
	s_clause 0x1
	global_store_b64 v[32:33], v[80:81], off
	global_store_b64 v[34:35], v[82:83], off
	s_wait_loadcnt 0x9
	s_clause 0x1
	global_store_b64 v[36:37], v[120:121], off
	global_store_b64 v[38:39], v[122:123], off
	s_wait_loadcnt 0x8
	s_clause 0x1
	global_store_b64 v[40:41], v[96:97], off
	global_store_b64 v[42:43], v[98:99], off
	s_wait_loadcnt 0x7
	s_clause 0x1
	global_store_b64 v[44:45], v[124:125], off
	global_store_b64 v[46:47], v[126:127], off
	s_wait_loadcnt 0x6
	s_clause 0x1
	global_store_b64 v[48:49], v[84:85], off
	global_store_b64 v[50:51], v[86:87], off
	s_wait_loadcnt 0x5
	s_clause 0x1
	global_store_b64 v[52:53], v[140:141], off
	global_store_b64 v[54:55], v[142:143], off
	s_wait_loadcnt 0x4
	s_clause 0x1
	global_store_b64 v[56:57], v[100:101], off
	global_store_b64 v[58:59], v[102:103], off
	s_wait_loadcnt 0x3
	s_clause 0x1
	global_store_b64 v[60:61], v[136:137], off
	global_store_b64 v[62:63], v[138:139], off
	s_wait_loadcnt 0x2
	s_clause 0x1
	global_store_b64 v[64:65], v[72:73], off
	global_store_b64 v[66:67], v[74:75], off
	s_wait_loadcnt 0x1
	s_clause 0x1
	global_store_b64 v[68:69], v[132:133], off
	global_store_b64 v[70:71], v[134:135], off
	s_wait_loadcnt 0x0
	s_clause 0x1
	global_store_b64 v[0:1], v[104:105], off
	global_store_b64 v[4:5], v[106:107], off
.LBB61_1224:
	s_sendmsg sendmsg(MSG_DEALLOC_VGPRS)
	s_endpgm
	.section	.rodata,"a",@progbits
	.p2align	6, 0x0
	.amdhsa_kernel _ZN9rocsolver6v33100L18trti2_kernel_smallILi62E19rocblas_complex_numIfEPS3_EEv13rocblas_fill_17rocblas_diagonal_T1_iil
		.amdhsa_group_segment_fixed_size 992
		.amdhsa_private_segment_fixed_size 512
		.amdhsa_kernarg_size 32
		.amdhsa_user_sgpr_count 2
		.amdhsa_user_sgpr_dispatch_ptr 0
		.amdhsa_user_sgpr_queue_ptr 0
		.amdhsa_user_sgpr_kernarg_segment_ptr 1
		.amdhsa_user_sgpr_dispatch_id 0
		.amdhsa_user_sgpr_kernarg_preload_length 0
		.amdhsa_user_sgpr_kernarg_preload_offset 0
		.amdhsa_user_sgpr_private_segment_size 0
		.amdhsa_wavefront_size32 1
		.amdhsa_uses_dynamic_stack 0
		.amdhsa_enable_private_segment 1
		.amdhsa_system_sgpr_workgroup_id_x 1
		.amdhsa_system_sgpr_workgroup_id_y 0
		.amdhsa_system_sgpr_workgroup_id_z 0
		.amdhsa_system_sgpr_workgroup_info 0
		.amdhsa_system_vgpr_workitem_id 0
		.amdhsa_next_free_vgpr 181
		.amdhsa_next_free_sgpr 39
		.amdhsa_named_barrier_count 0
		.amdhsa_reserve_vcc 1
		.amdhsa_float_round_mode_32 0
		.amdhsa_float_round_mode_16_64 0
		.amdhsa_float_denorm_mode_32 3
		.amdhsa_float_denorm_mode_16_64 3
		.amdhsa_fp16_overflow 0
		.amdhsa_memory_ordered 1
		.amdhsa_forward_progress 1
		.amdhsa_inst_pref_size 255
		.amdhsa_round_robin_scheduling 0
		.amdhsa_exception_fp_ieee_invalid_op 0
		.amdhsa_exception_fp_denorm_src 0
		.amdhsa_exception_fp_ieee_div_zero 0
		.amdhsa_exception_fp_ieee_overflow 0
		.amdhsa_exception_fp_ieee_underflow 0
		.amdhsa_exception_fp_ieee_inexact 0
		.amdhsa_exception_int_div_zero 0
	.end_amdhsa_kernel
	.section	.text._ZN9rocsolver6v33100L18trti2_kernel_smallILi62E19rocblas_complex_numIfEPS3_EEv13rocblas_fill_17rocblas_diagonal_T1_iil,"axG",@progbits,_ZN9rocsolver6v33100L18trti2_kernel_smallILi62E19rocblas_complex_numIfEPS3_EEv13rocblas_fill_17rocblas_diagonal_T1_iil,comdat
.Lfunc_end61:
	.size	_ZN9rocsolver6v33100L18trti2_kernel_smallILi62E19rocblas_complex_numIfEPS3_EEv13rocblas_fill_17rocblas_diagonal_T1_iil, .Lfunc_end61-_ZN9rocsolver6v33100L18trti2_kernel_smallILi62E19rocblas_complex_numIfEPS3_EEv13rocblas_fill_17rocblas_diagonal_T1_iil
                                        ; -- End function
	.set _ZN9rocsolver6v33100L18trti2_kernel_smallILi62E19rocblas_complex_numIfEPS3_EEv13rocblas_fill_17rocblas_diagonal_T1_iil.num_vgpr, 181
	.set _ZN9rocsolver6v33100L18trti2_kernel_smallILi62E19rocblas_complex_numIfEPS3_EEv13rocblas_fill_17rocblas_diagonal_T1_iil.num_agpr, 0
	.set _ZN9rocsolver6v33100L18trti2_kernel_smallILi62E19rocblas_complex_numIfEPS3_EEv13rocblas_fill_17rocblas_diagonal_T1_iil.numbered_sgpr, 39
	.set _ZN9rocsolver6v33100L18trti2_kernel_smallILi62E19rocblas_complex_numIfEPS3_EEv13rocblas_fill_17rocblas_diagonal_T1_iil.num_named_barrier, 0
	.set _ZN9rocsolver6v33100L18trti2_kernel_smallILi62E19rocblas_complex_numIfEPS3_EEv13rocblas_fill_17rocblas_diagonal_T1_iil.private_seg_size, 512
	.set _ZN9rocsolver6v33100L18trti2_kernel_smallILi62E19rocblas_complex_numIfEPS3_EEv13rocblas_fill_17rocblas_diagonal_T1_iil.uses_vcc, 1
	.set _ZN9rocsolver6v33100L18trti2_kernel_smallILi62E19rocblas_complex_numIfEPS3_EEv13rocblas_fill_17rocblas_diagonal_T1_iil.uses_flat_scratch, 1
	.set _ZN9rocsolver6v33100L18trti2_kernel_smallILi62E19rocblas_complex_numIfEPS3_EEv13rocblas_fill_17rocblas_diagonal_T1_iil.has_dyn_sized_stack, 0
	.set _ZN9rocsolver6v33100L18trti2_kernel_smallILi62E19rocblas_complex_numIfEPS3_EEv13rocblas_fill_17rocblas_diagonal_T1_iil.has_recursion, 0
	.set _ZN9rocsolver6v33100L18trti2_kernel_smallILi62E19rocblas_complex_numIfEPS3_EEv13rocblas_fill_17rocblas_diagonal_T1_iil.has_indirect_call, 0
	.section	.AMDGPU.csdata,"",@progbits
; Kernel info:
; codeLenInByte = 47072
; TotalNumSgprs: 41
; NumVgprs: 181
; ScratchSize: 512
; MemoryBound: 0
; FloatMode: 240
; IeeeMode: 1
; LDSByteSize: 992 bytes/workgroup (compile time only)
; SGPRBlocks: 0
; VGPRBlocks: 11
; NumSGPRsForWavesPerEU: 41
; NumVGPRsForWavesPerEU: 181
; NamedBarCnt: 0
; Occupancy: 5
; WaveLimiterHint : 0
; COMPUTE_PGM_RSRC2:SCRATCH_EN: 1
; COMPUTE_PGM_RSRC2:USER_SGPR: 2
; COMPUTE_PGM_RSRC2:TRAP_HANDLER: 0
; COMPUTE_PGM_RSRC2:TGID_X_EN: 1
; COMPUTE_PGM_RSRC2:TGID_Y_EN: 0
; COMPUTE_PGM_RSRC2:TGID_Z_EN: 0
; COMPUTE_PGM_RSRC2:TIDIG_COMP_CNT: 0
	.section	.text._ZN9rocsolver6v33100L18trti2_kernel_smallILi63E19rocblas_complex_numIfEPS3_EEv13rocblas_fill_17rocblas_diagonal_T1_iil,"axG",@progbits,_ZN9rocsolver6v33100L18trti2_kernel_smallILi63E19rocblas_complex_numIfEPS3_EEv13rocblas_fill_17rocblas_diagonal_T1_iil,comdat
	.globl	_ZN9rocsolver6v33100L18trti2_kernel_smallILi63E19rocblas_complex_numIfEPS3_EEv13rocblas_fill_17rocblas_diagonal_T1_iil ; -- Begin function _ZN9rocsolver6v33100L18trti2_kernel_smallILi63E19rocblas_complex_numIfEPS3_EEv13rocblas_fill_17rocblas_diagonal_T1_iil
	.p2align	8
	.type	_ZN9rocsolver6v33100L18trti2_kernel_smallILi63E19rocblas_complex_numIfEPS3_EEv13rocblas_fill_17rocblas_diagonal_T1_iil,@function
_ZN9rocsolver6v33100L18trti2_kernel_smallILi63E19rocblas_complex_numIfEPS3_EEv13rocblas_fill_17rocblas_diagonal_T1_iil: ; @_ZN9rocsolver6v33100L18trti2_kernel_smallILi63E19rocblas_complex_numIfEPS3_EEv13rocblas_fill_17rocblas_diagonal_T1_iil
; %bb.0:
	s_mov_b32 s2, exec_lo
	v_cmpx_gt_u32_e32 63, v0
	s_cbranch_execz .LBB62_1244
; %bb.1:
	s_load_b256 s[4:11], s[0:1], 0x0
	s_wait_xcnt 0x0
	s_bfe_u32 s0, ttmp6, 0x4000c
	s_and_b32 s1, ttmp6, 15
	s_add_co_i32 s0, s0, 1
	s_getreg_b32 s2, hwreg(HW_REG_IB_STS2, 6, 4)
	s_mul_i32 s0, ttmp9, s0
	v_lshlrev_b32_e32 v54, 3, v0
	s_add_co_i32 s0, s1, s0
	v_mov_b32_e32 v55, 0
	s_wait_kmcnt 0x0
	v_add3_u32 v6, s9, s9, v0
	s_ashr_i32 s1, s8, 31
	s_cmp_eq_u32 s2, 0
	s_cselect_b32 s2, ttmp9, s0
	s_delay_alu instid0(VALU_DEP_1)
	v_add_nc_u32_e32 v8, s9, v6
	s_ashr_i32 s3, s2, 31
	s_mov_b32 s0, s8
	s_mul_u64 s[2:3], s[10:11], s[2:3]
	s_lshl_b64 s[0:1], s[0:1], 3
	v_add_nc_u32_e32 v10, s9, v8
	s_lshl_b64 s[2:3], s[2:3], 3
	s_delay_alu instid0(SALU_CYCLE_1) | instskip(NEXT) | instid1(VALU_DEP_1)
	s_add_nc_u64 s[2:3], s[6:7], s[2:3]
	v_add_nc_u32_e32 v12, s9, v10
	s_add_nc_u64 s[6:7], s[2:3], s[0:1]
	s_mov_b32 s0, s9
	s_ashr_i32 s1, s9, 31
	s_cmp_lg_u32 s5, 0x84
	v_add_nc_u32_e32 v14, s9, v12
	s_cselect_b32 s3, -1, 0
	v_add_nc_u64_e32 v[2:3], s[6:7], v[54:55]
	s_and_b32 vcc_lo, exec_lo, s3
	s_delay_alu instid0(VALU_DEP_2) | instskip(NEXT) | instid1(VALU_DEP_2)
	v_add_nc_u32_e32 v16, s9, v14
	v_lshl_add_u64 v[4:5], s[0:1], 3, v[2:3]
	s_delay_alu instid0(VALU_DEP_2)
	v_add_nc_u32_e32 v18, s9, v16
	s_clause 0x1
	global_load_b64 v[92:93], v10, s[6:7] scale_offset
	global_load_b64 v[94:95], v12, s[6:7] scale_offset
	s_mov_b32 s0, -1
	s_clause 0x5
	global_load_b64 v[96:97], v0, s[6:7] scale_offset
	global_load_b64 v[98:99], v[4:5], off
	global_load_b64 v[100:101], v6, s[6:7] scale_offset
	global_load_b64 v[102:103], v8, s[6:7] scale_offset
	;; [unrolled: 1-line block ×4, first 2 shown]
	v_add_nc_u32_e32 v20, s9, v18
	s_delay_alu instid0(VALU_DEP_1) | instskip(NEXT) | instid1(VALU_DEP_1)
	v_add_nc_u32_e32 v22, s9, v20
	v_add_nc_u32_e32 v24, s9, v22
	s_delay_alu instid0(VALU_DEP_1) | instskip(NEXT) | instid1(VALU_DEP_1)
	v_add_nc_u32_e32 v26, s9, v24
	v_add_nc_u32_e32 v28, s9, v26
	s_clause 0x3
	global_load_b64 v[108:109], v18, s[6:7] scale_offset
	global_load_b64 v[110:111], v20, s[6:7] scale_offset
	;; [unrolled: 1-line block ×4, first 2 shown]
	v_add_nc_u32_e32 v30, s9, v28
	s_delay_alu instid0(VALU_DEP_1) | instskip(NEXT) | instid1(VALU_DEP_1)
	v_add_nc_u32_e32 v32, s9, v30
	v_add_nc_u32_e32 v34, s9, v32
	s_delay_alu instid0(VALU_DEP_1) | instskip(NEXT) | instid1(VALU_DEP_1)
	v_add_nc_u32_e32 v36, s9, v34
	v_add_nc_u32_e32 v38, s9, v36
	s_clause 0x3
	global_load_b64 v[116:117], v26, s[6:7] scale_offset
	global_load_b64 v[118:119], v28, s[6:7] scale_offset
	;; [unrolled: 1-line block ×4, first 2 shown]
	v_add_nc_u32_e32 v40, s9, v38
	s_delay_alu instid0(VALU_DEP_1)
	v_add_nc_u32_e32 v42, s9, v40
	s_clause 0x3
	global_load_b64 v[124:125], v34, s[6:7] scale_offset
	global_load_b64 v[126:127], v36, s[6:7] scale_offset
	;; [unrolled: 1-line block ×4, first 2 shown]
	v_add_nc_u32_e32 v44, s9, v42
	s_delay_alu instid0(VALU_DEP_1) | instskip(NEXT) | instid1(VALU_DEP_1)
	v_add_nc_u32_e32 v46, s9, v44
	v_add_nc_u32_e32 v48, s9, v46
	s_delay_alu instid0(VALU_DEP_1) | instskip(SKIP_4) | instid1(VALU_DEP_1)
	v_add_nc_u32_e32 v50, s9, v48
	s_clause 0x1
	global_load_b64 v[132:133], v42, s[6:7] scale_offset
	global_load_b64 v[134:135], v44, s[6:7] scale_offset
	v_add_nc_u32_e32 v52, s9, v50
	v_add_nc_u32_e32 v56, s9, v52
	s_clause 0x3
	global_load_b64 v[136:137], v46, s[6:7] scale_offset
	global_load_b64 v[138:139], v48, s[6:7] scale_offset
	;; [unrolled: 1-line block ×4, first 2 shown]
	v_add_nc_u32_e32 v58, s9, v56
	s_delay_alu instid0(VALU_DEP_1) | instskip(NEXT) | instid1(VALU_DEP_1)
	v_add_nc_u32_e32 v60, s9, v58
	v_add_nc_u32_e32 v62, s9, v60
	s_delay_alu instid0(VALU_DEP_1) | instskip(SKIP_4) | instid1(VALU_DEP_1)
	v_add_nc_u32_e32 v64, s9, v62
	s_clause 0x1
	global_load_b64 v[144:145], v56, s[6:7] scale_offset
	global_load_b64 v[146:147], v58, s[6:7] scale_offset
	v_add_nc_u32_e32 v66, s9, v64
	v_add_nc_u32_e32 v68, s9, v66
	s_clause 0x3
	global_load_b64 v[148:149], v60, s[6:7] scale_offset
	global_load_b64 v[150:151], v62, s[6:7] scale_offset
	;; [unrolled: 1-line block ×4, first 2 shown]
	v_add_nc_u32_e32 v70, s9, v68
	s_delay_alu instid0(VALU_DEP_1) | instskip(NEXT) | instid1(VALU_DEP_1)
	v_add_nc_u32_e32 v72, s9, v70
	v_add_nc_u32_e32 v74, s9, v72
	s_delay_alu instid0(VALU_DEP_1) | instskip(NEXT) | instid1(VALU_DEP_1)
	v_add_nc_u32_e32 v76, s9, v74
	;; [unrolled: 3-line block ×5, first 2 shown]
	v_add_nc_u32_e32 v90, s9, v88
	s_wait_loadcnt 0x1e
	scratch_store_b128 off, v[92:95], off offset:32
	s_wait_xcnt 0x0
	v_add_nc_u32_e32 v92, s9, v90
	s_wait_loadcnt 0x1c
	scratch_store_b128 off, v[96:99], off
	s_wait_loadcnt 0x1a
	scratch_store_b128 off, v[100:103], off offset:16
	s_clause 0x3
	global_load_b64 v[156:157], v68, s[6:7] scale_offset
	global_load_b64 v[158:159], v70, s[6:7] scale_offset
	;; [unrolled: 1-line block ×4, first 2 shown]
	s_wait_loadcnt 0x1c
	scratch_store_b128 off, v[104:107], off offset:48
	s_wait_loadcnt 0x1a
	scratch_store_b128 off, v[108:111], off offset:64
	s_wait_loadcnt 0x18
	scratch_store_b128 off, v[112:115], off offset:80
	v_add_nc_u32_e32 v94, s9, v92
	s_clause 0x3
	global_load_b64 v[164:165], v76, s[6:7] scale_offset
	global_load_b64 v[166:167], v78, s[6:7] scale_offset
	;; [unrolled: 1-line block ×4, first 2 shown]
	s_wait_loadcnt 0x1a
	scratch_store_b128 off, v[116:119], off offset:96
	s_wait_loadcnt 0x18
	scratch_store_b128 off, v[120:123], off offset:112
	s_wait_xcnt 0xe
	v_add_nc_u32_e32 v96, s9, v94
	s_clause 0x3
	global_load_b64 v[172:173], v84, s[6:7] scale_offset
	global_load_b64 v[174:175], v86, s[6:7] scale_offset
	;; [unrolled: 1-line block ×4, first 2 shown]
	v_add_nc_u32_e32 v98, s9, v96
	s_wait_loadcnt 0x1a
	scratch_store_b128 off, v[124:127], off offset:128
	s_wait_loadcnt 0x18
	scratch_store_b128 off, v[128:131], off offset:144
	;; [unrolled: 2-line block ×3, first 2 shown]
	s_wait_xcnt 0x14
	v_add_nc_u32_e32 v100, s9, v98
	s_delay_alu instid0(VALU_DEP_1) | instskip(SKIP_1) | instid1(VALU_DEP_1)
	v_add_nc_u32_e32 v102, s9, v100
	s_wait_xcnt 0xf
	v_add_nc_u32_e32 v104, s9, v102
	s_clause 0x3
	global_load_b64 v[130:131], v92, s[6:7] scale_offset
	global_load_b64 v[132:133], v94, s[6:7] scale_offset
	global_load_b64 v[180:181], v96, s[6:7] scale_offset
	global_load_b64 v[182:183], v98, s[6:7] scale_offset
	s_wait_loadcnt 0x18
	scratch_store_b128 off, v[136:139], off offset:176
	s_clause 0x1
	global_load_b64 v[134:135], v100, s[6:7] scale_offset
	global_load_b64 v[136:137], v102, s[6:7] scale_offset
	s_wait_loadcnt 0x18
	scratch_store_b128 off, v[140:143], off offset:192
	v_add_nc_u32_e32 v106, s9, v104
	s_delay_alu instid0(VALU_DEP_1) | instskip(NEXT) | instid1(VALU_DEP_1)
	v_add_nc_u32_e32 v108, s9, v106
	v_add_nc_u32_e32 v110, s9, v108
	s_wait_loadcnt 0x16
	scratch_store_b128 off, v[144:147], off offset:208
	v_add_nc_u32_e32 v112, s9, v110
	s_delay_alu instid0(VALU_DEP_1)
	v_add_nc_u32_e32 v114, s9, v112
	s_wait_loadcnt 0x14
	scratch_store_b128 off, v[148:151], off offset:224
	s_wait_loadcnt 0x12
	scratch_store_b128 off, v[152:155], off offset:240
	v_add_nc_u32_e32 v116, s9, v114
	s_delay_alu instid0(VALU_DEP_1) | instskip(NEXT) | instid1(VALU_DEP_1)
	v_add_nc_u32_e32 v118, s9, v116
	v_add_nc_u32_e32 v120, s9, v118
	s_delay_alu instid0(VALU_DEP_1) | instskip(NEXT) | instid1(VALU_DEP_1)
	v_add_nc_u32_e32 v122, s9, v120
	;; [unrolled: 3-line block ×3, first 2 shown]
	v_add_nc_u32_e32 v128, s9, v126
	s_wait_loadcnt 0x10
	scratch_store_b128 off, v[156:159], off offset:256
	s_wait_loadcnt 0xe
	scratch_store_b128 off, v[160:163], off offset:272
	;; [unrolled: 2-line block ×3, first 2 shown]
	s_clause 0x1
	global_load_b64 v[138:139], v104, s[6:7] scale_offset
	global_load_b64 v[140:141], v106, s[6:7] scale_offset
	s_wait_loadcnt 0xc
	scratch_store_b128 off, v[168:171], off offset:304
	s_wait_loadcnt 0xa
	scratch_store_b128 off, v[172:175], off offset:320
	s_clause 0x3
	global_load_b64 v[142:143], v108, s[6:7] scale_offset
	global_load_b64 v[144:145], v110, s[6:7] scale_offset
	;; [unrolled: 1-line block ×4, first 2 shown]
	s_wait_loadcnt 0xc
	scratch_store_b128 off, v[176:179], off offset:336
	s_wait_loadcnt 0xa
	scratch_store_b128 off, v[130:133], off offset:352
	;; [unrolled: 2-line block ×3, first 2 shown]
	s_clause 0x3
	global_load_b64 v[130:131], v116, s[6:7] scale_offset
	global_load_b64 v[132:133], v118, s[6:7] scale_offset
	;; [unrolled: 1-line block ×4, first 2 shown]
	s_wait_loadcnt 0xa
	scratch_store_b128 off, v[134:137], off offset:384
	s_clause 0x2
	global_load_b64 v[134:135], v124, s[6:7] scale_offset
	global_load_b64 v[136:137], v126, s[6:7] scale_offset
	;; [unrolled: 1-line block ×3, first 2 shown]
	s_wait_loadcnt 0xb
	scratch_store_b128 off, v[138:141], off offset:400
	s_wait_loadcnt 0x9
	scratch_store_b128 off, v[142:145], off offset:416
	s_wait_loadcnt 0x7
	scratch_store_b128 off, v[146:149], off offset:432
	s_wait_loadcnt 0x5
	scratch_store_b128 off, v[130:133], off offset:448
	s_wait_loadcnt 0x3
	scratch_store_b128 off, v[150:153], off offset:464
	s_wait_loadcnt 0x1
	scratch_store_b128 off, v[134:137], off offset:480
	s_wait_loadcnt 0x0
	scratch_store_b64 off, v[154:155], off offset:496
	s_cbranch_vccz .LBB62_7
; %bb.2:
	scratch_load_b64 v[130:131], v0, off scale_offset
                                        ; implicit-def: $vgpr135
                                        ; implicit-def: $vgpr132
	s_wait_loadcnt 0x0
	v_cmp_ngt_f32_e64 s0, |v130|, |v131|
	s_wait_xcnt 0x0
	s_and_saveexec_b32 s1, s0
	s_delay_alu instid0(SALU_CYCLE_1)
	s_xor_b32 s0, exec_lo, s1
	s_cbranch_execz .LBB62_4
; %bb.3:
	v_div_scale_f32 v1, null, v131, v131, v130
	v_div_scale_f32 v11, vcc_lo, v130, v131, v130
	s_delay_alu instid0(VALU_DEP_2) | instskip(SKIP_1) | instid1(TRANS32_DEP_1)
	v_rcp_f32_e32 v7, v1
	v_nop
	v_fma_f32 v9, -v1, v7, 1.0
	s_delay_alu instid0(VALU_DEP_1) | instskip(NEXT) | instid1(VALU_DEP_1)
	v_fmac_f32_e32 v7, v9, v7
	v_mul_f32_e32 v9, v11, v7
	s_delay_alu instid0(VALU_DEP_1) | instskip(NEXT) | instid1(VALU_DEP_1)
	v_fma_f32 v13, -v1, v9, v11
	v_fmac_f32_e32 v9, v13, v7
	s_delay_alu instid0(VALU_DEP_1) | instskip(NEXT) | instid1(VALU_DEP_1)
	v_fma_f32 v1, -v1, v9, v11
	v_div_fmas_f32 v1, v1, v7, v9
	s_delay_alu instid0(VALU_DEP_1) | instskip(NEXT) | instid1(VALU_DEP_1)
	v_div_fixup_f32 v1, v1, v131, v130
	v_fmac_f32_e32 v131, v130, v1
	s_delay_alu instid0(VALU_DEP_1) | instskip(NEXT) | instid1(VALU_DEP_1)
	v_div_scale_f32 v7, null, v131, v131, -1.0
	v_rcp_f32_e32 v9, v7
	v_nop
	s_delay_alu instid0(TRANS32_DEP_1) | instskip(NEXT) | instid1(VALU_DEP_1)
	v_fma_f32 v11, -v7, v9, 1.0
	v_fmac_f32_e32 v9, v11, v9
	v_div_scale_f32 v11, vcc_lo, -1.0, v131, -1.0
	s_delay_alu instid0(VALU_DEP_1) | instskip(NEXT) | instid1(VALU_DEP_1)
	v_mul_f32_e32 v13, v11, v9
	v_fma_f32 v15, -v7, v13, v11
	s_delay_alu instid0(VALU_DEP_1) | instskip(NEXT) | instid1(VALU_DEP_1)
	v_fmac_f32_e32 v13, v15, v9
	v_fma_f32 v7, -v7, v13, v11
	s_delay_alu instid0(VALU_DEP_1) | instskip(NEXT) | instid1(VALU_DEP_1)
	v_div_fmas_f32 v7, v7, v9, v13
	v_div_fixup_f32 v135, v7, v131, -1.0
                                        ; implicit-def: $vgpr130_vgpr131
	s_delay_alu instid0(VALU_DEP_1) | instskip(NEXT) | instid1(VALU_DEP_1)
	v_mul_f32_e32 v132, v1, v135
	v_xor_b32_e32 v134, 0x80000000, v132
.LBB62_4:
	s_or_saveexec_b32 s0, s0
	v_lshl_add_u32 v1, v0, 3, 0
	s_xor_b32 exec_lo, exec_lo, s0
	s_cbranch_execz .LBB62_6
; %bb.5:
	v_div_scale_f32 v7, null, v130, v130, v131
	v_div_scale_f32 v13, vcc_lo, v131, v130, v131
	s_delay_alu instid0(VALU_DEP_2) | instskip(SKIP_1) | instid1(TRANS32_DEP_1)
	v_rcp_f32_e32 v9, v7
	v_nop
	v_fma_f32 v11, -v7, v9, 1.0
	s_delay_alu instid0(VALU_DEP_1) | instskip(NEXT) | instid1(VALU_DEP_1)
	v_fmac_f32_e32 v9, v11, v9
	v_mul_f32_e32 v11, v13, v9
	s_delay_alu instid0(VALU_DEP_1) | instskip(NEXT) | instid1(VALU_DEP_1)
	v_fma_f32 v15, -v7, v11, v13
	v_fmac_f32_e32 v11, v15, v9
	s_delay_alu instid0(VALU_DEP_1) | instskip(NEXT) | instid1(VALU_DEP_1)
	v_fma_f32 v7, -v7, v11, v13
	v_div_fmas_f32 v7, v7, v9, v11
	s_delay_alu instid0(VALU_DEP_1) | instskip(NEXT) | instid1(VALU_DEP_1)
	v_div_fixup_f32 v7, v7, v130, v131
	v_fmac_f32_e32 v130, v131, v7
	s_delay_alu instid0(VALU_DEP_1) | instskip(SKIP_1) | instid1(VALU_DEP_2)
	v_div_scale_f32 v9, null, v130, v130, 1.0
	v_div_scale_f32 v15, vcc_lo, 1.0, v130, 1.0
	v_rcp_f32_e32 v11, v9
	v_nop
	s_delay_alu instid0(TRANS32_DEP_1) | instskip(NEXT) | instid1(VALU_DEP_1)
	v_fma_f32 v13, -v9, v11, 1.0
	v_fmac_f32_e32 v11, v13, v11
	s_delay_alu instid0(VALU_DEP_1) | instskip(NEXT) | instid1(VALU_DEP_1)
	v_mul_f32_e32 v13, v15, v11
	v_fma_f32 v17, -v9, v13, v15
	s_delay_alu instid0(VALU_DEP_1) | instskip(NEXT) | instid1(VALU_DEP_1)
	v_fmac_f32_e32 v13, v17, v11
	v_fma_f32 v9, -v9, v13, v15
	s_delay_alu instid0(VALU_DEP_1) | instskip(NEXT) | instid1(VALU_DEP_1)
	v_div_fmas_f32 v9, v9, v11, v13
	v_div_fixup_f32 v134, v9, v130, 1.0
	s_delay_alu instid0(VALU_DEP_1)
	v_xor_b32_e32 v132, 0x80000000, v134
	v_mul_f32_e64 v135, v7, -v134
.LBB62_6:
	s_or_b32 exec_lo, exec_lo, s0
	s_delay_alu instid0(VALU_DEP_1)
	v_xor_b32_e32 v133, 0x80000000, v135
	s_mov_b32 s0, 0
	scratch_store_b64 v1, v[134:135], off
	ds_store_b64 v54, v[132:133]
.LBB62_7:
	s_and_b32 vcc_lo, exec_lo, s0
	s_cbranch_vccz .LBB62_9
; %bb.8:
	s_mov_b64 s[0:1], 0xbf800000
	s_wait_xcnt 0x3
	v_mov_b64_e32 v[130:131], s[0:1]
	ds_store_b64 v54, v[130:131]
.LBB62_9:
	v_dual_ashrrev_i32 v7, 31, v6 :: v_dual_ashrrev_i32 v9, 31, v8
	v_dual_ashrrev_i32 v11, 31, v10 :: v_dual_ashrrev_i32 v13, 31, v12
	;; [unrolled: 1-line block ×30, first 2 shown]
	v_dual_ashrrev_i32 v129, 31, v128 :: v_dual_mov_b32 v55, v54
	s_wait_xcnt 0x0
	v_or_b32_e32 v1, 0x200, v54
	s_cmp_eq_u32 s4, 0x79
	s_cbranch_scc1 .LBB62_13
; %bb.10:
	scratch_load_b64 v[130:131], off, off offset:488
	v_cmp_eq_u32_e64 s0, 62, v0
	s_movk_i32 s1, 0x50
	s_movk_i32 s2, 0x60
	;; [unrolled: 1-line block ×26, first 2 shown]
	s_wait_loadcnt 0x0
	ds_store_b64 v1, v[130:131]
	s_wait_storecnt_dscnt 0x0
	s_barrier_signal -1
	s_barrier_wait -1
	s_wait_xcnt 0x0
	s_and_saveexec_b32 s4, s0
	s_cbranch_execz .LBB62_17
; %bb.11:
	s_and_b32 vcc_lo, exec_lo, s3
	s_cbranch_vccz .LBB62_14
; %bb.12:
	scratch_load_b64 v[130:131], v55, off
	ds_load_b64 v[132:133], v1
	s_wait_loadcnt_dscnt 0x0
	v_pk_mul_f32 v[134:135], v[132:133], v[130:131] op_sel:[1,1] op_sel_hi:[0,1]
	v_pk_mul_f32 v[136:137], v[132:133], v[130:131] op_sel_hi:[1,0]
	s_delay_alu instid0(VALU_DEP_2) | instskip(NEXT) | instid1(VALU_DEP_2)
	v_pk_fma_f32 v[130:131], v[132:133], v[130:131], v[134:135] op_sel_hi:[1,0,1]
	v_sub_f32_e32 v130, v136, v134
	s_cbranch_execz .LBB62_15
	s_branch .LBB62_16
.LBB62_13:
	s_mov_b32 s1, 0
                                        ; implicit-def: $vgpr174
                                        ; implicit-def: $sgpr4
	s_cbranch_execnz .LBB62_626
	s_branch .LBB62_1241
.LBB62_14:
                                        ; implicit-def: $vgpr131
.LBB62_15:
	ds_load_b64 v[130:131], v1
.LBB62_16:
	s_wait_dscnt 0x0
	v_dual_mov_b32 v132, 0 :: v_dual_mov_b32 v134, v131
	v_mov_b32_e32 v135, v130
	ds_load_b64 v[132:133], v132 offset:488
	s_wait_dscnt 0x0
	v_pk_mul_f32 v[134:135], v[134:135], v[132:133] op_sel:[0,1]
	s_delay_alu instid0(VALU_DEP_1) | instskip(SKIP_1) | instid1(VALU_DEP_2)
	v_pk_fma_f32 v[136:137], v[130:131], v[132:133], v[134:135] op_sel_hi:[1,0,1]
	v_pk_fma_f32 v[130:131], v[130:131], v[132:133], v[134:135] neg_lo:[0,0,1] neg_hi:[0,0,1]
	v_mov_b32_e32 v131, v137
	scratch_store_b64 off, v[130:131], off offset:488
.LBB62_17:
	s_wait_xcnt 0x0
	s_or_b32 exec_lo, exec_lo, s4
	scratch_load_b64 v[130:131], off, off offset:480
	s_mov_b32 s11, s2
	v_cmp_lt_u32_e64 s2, 60, v0
	s_mov_b32 s4, 16
	s_mov_b32 s5, 32
	;; [unrolled: 1-line block ×5, first 2 shown]
	s_wait_loadcnt 0x0
	ds_store_b64 v1, v[130:131]
	s_wait_storecnt_dscnt 0x0
	s_barrier_signal -1
	s_barrier_wait -1
	s_wait_xcnt 0x0
	s_and_saveexec_b32 s1, s2
	s_cbranch_execz .LBB62_25
; %bb.18:
	s_and_not1_b32 vcc_lo, exec_lo, s3
	s_cbranch_vccnz .LBB62_20
; %bb.19:
	scratch_load_b64 v[130:131], v55, off
	ds_load_b64 v[132:133], v1
	s_wait_loadcnt_dscnt 0x0
	v_pk_mul_f32 v[134:135], v[132:133], v[130:131] op_sel:[1,1] op_sel_hi:[0,1]
	s_delay_alu instid0(VALU_DEP_1) | instskip(SKIP_1) | instid1(VALU_DEP_2)
	v_pk_fma_f32 v[136:137], v[132:133], v[130:131], v[134:135] op_sel_hi:[1,0,1]
	v_pk_fma_f32 v[130:131], v[132:133], v[130:131], v[134:135] neg_lo:[0,0,1] neg_hi:[0,0,1]
	v_mov_b32_e32 v131, v137
	s_cbranch_execz .LBB62_21
	s_branch .LBB62_22
.LBB62_20:
                                        ; implicit-def: $vgpr130_vgpr131
.LBB62_21:
	ds_load_b64 v[130:131], v1
.LBB62_22:
	s_and_saveexec_b32 s37, s0
	s_cbranch_execz .LBB62_24
; %bb.23:
	scratch_load_b64 v[132:133], off, off offset:488
	v_mov_b32_e32 v134, 0
	ds_load_b64 v[134:135], v134 offset:1000
	s_wait_loadcnt_dscnt 0x0
	v_pk_mul_f32 v[136:137], v[134:135], v[132:133] op_sel:[1,1] op_sel_hi:[0,1]
	s_delay_alu instid0(VALU_DEP_1) | instskip(SKIP_1) | instid1(VALU_DEP_2)
	v_pk_fma_f32 v[138:139], v[134:135], v[132:133], v[136:137] op_sel_hi:[1,0,1]
	v_pk_fma_f32 v[132:133], v[134:135], v[132:133], v[136:137] neg_lo:[0,0,1] neg_hi:[0,0,1]
	v_mov_b32_e32 v133, v139
	s_delay_alu instid0(VALU_DEP_1)
	v_pk_add_f32 v[130:131], v[130:131], v[132:133]
.LBB62_24:
	s_or_b32 exec_lo, exec_lo, s37
	v_mov_b32_e32 v132, 0
	ds_load_b64 v[132:133], v132 offset:480
	s_wait_dscnt 0x0
	v_pk_mul_f32 v[134:135], v[130:131], v[132:133] op_sel:[1,1] op_sel_hi:[0,1]
	s_delay_alu instid0(VALU_DEP_1) | instskip(SKIP_1) | instid1(VALU_DEP_2)
	v_pk_fma_f32 v[136:137], v[130:131], v[132:133], v[134:135] op_sel_hi:[1,0,1]
	v_pk_fma_f32 v[130:131], v[130:131], v[132:133], v[134:135] neg_lo:[0,0,1] neg_hi:[0,0,1]
	v_mov_b32_e32 v131, v137
	scratch_store_b64 off, v[130:131], off offset:480
.LBB62_25:
	s_wait_xcnt 0x0
	s_or_b32 exec_lo, exec_lo, s1
	scratch_load_b64 v[130:131], off, off offset:472
	v_cmp_lt_u32_e64 s1, 59, v0
	s_wait_loadcnt 0x0
	ds_store_b64 v1, v[130:131]
	s_wait_storecnt_dscnt 0x0
	s_barrier_signal -1
	s_barrier_wait -1
	s_wait_xcnt 0x0
	s_and_saveexec_b32 s0, s1
	s_cbranch_execz .LBB62_35
; %bb.26:
	s_and_not1_b32 vcc_lo, exec_lo, s3
	s_cbranch_vccnz .LBB62_28
; %bb.27:
	scratch_load_b64 v[130:131], v55, off
	ds_load_b64 v[132:133], v1
	s_wait_loadcnt_dscnt 0x0
	v_pk_mul_f32 v[134:135], v[132:133], v[130:131] op_sel:[1,1] op_sel_hi:[0,1]
	s_delay_alu instid0(VALU_DEP_1) | instskip(SKIP_1) | instid1(VALU_DEP_2)
	v_pk_fma_f32 v[136:137], v[132:133], v[130:131], v[134:135] op_sel_hi:[1,0,1]
	v_pk_fma_f32 v[130:131], v[132:133], v[130:131], v[134:135] neg_lo:[0,0,1] neg_hi:[0,0,1]
	v_mov_b32_e32 v131, v137
	s_cbranch_execz .LBB62_29
	s_branch .LBB62_30
.LBB62_28:
                                        ; implicit-def: $vgpr130_vgpr131
.LBB62_29:
	ds_load_b64 v[130:131], v1
.LBB62_30:
	s_and_saveexec_b32 s37, s2
	s_cbranch_execz .LBB62_34
; %bb.31:
	v_subrev_nc_u32_e32 v132, 60, v0
	s_movk_i32 s38, 0x3e0
	s_mov_b32 s2, 0
.LBB62_32:                              ; =>This Inner Loop Header: Depth=1
	scratch_load_b64 v[134:135], off, s36
	v_dual_mov_b32 v133, s38 :: v_dual_add_nc_u32 v132, -1, v132
	s_add_co_i32 s38, s38, 8
	s_wait_xcnt 0x0
	s_add_co_i32 s36, s36, 8
	ds_load_b64 v[136:137], v133
	v_cmp_eq_u32_e32 vcc_lo, 0, v132
	s_or_b32 s2, vcc_lo, s2
	s_wait_loadcnt_dscnt 0x0
	v_pk_mul_f32 v[138:139], v[136:137], v[134:135] op_sel:[1,1] op_sel_hi:[0,1]
	s_delay_alu instid0(VALU_DEP_1) | instskip(SKIP_1) | instid1(VALU_DEP_2)
	v_pk_fma_f32 v[140:141], v[136:137], v[134:135], v[138:139] op_sel_hi:[1,0,1]
	v_pk_fma_f32 v[134:135], v[136:137], v[134:135], v[138:139] neg_lo:[0,0,1] neg_hi:[0,0,1]
	v_mov_b32_e32 v135, v141
	s_delay_alu instid0(VALU_DEP_1)
	v_pk_add_f32 v[130:131], v[130:131], v[134:135]
	s_and_not1_b32 exec_lo, exec_lo, s2
	s_cbranch_execnz .LBB62_32
; %bb.33:
	s_or_b32 exec_lo, exec_lo, s2
.LBB62_34:
	s_delay_alu instid0(SALU_CYCLE_1) | instskip(SKIP_4) | instid1(VALU_DEP_1)
	s_or_b32 exec_lo, exec_lo, s37
	v_mov_b32_e32 v132, 0
	ds_load_b64 v[132:133], v132 offset:472
	s_wait_dscnt 0x0
	v_pk_mul_f32 v[134:135], v[130:131], v[132:133] op_sel:[1,1] op_sel_hi:[0,1]
	v_pk_fma_f32 v[136:137], v[130:131], v[132:133], v[134:135] op_sel_hi:[1,0,1]
	v_pk_fma_f32 v[130:131], v[130:131], v[132:133], v[134:135] neg_lo:[0,0,1] neg_hi:[0,0,1]
	s_delay_alu instid0(VALU_DEP_2)
	v_mov_b32_e32 v131, v137
	scratch_store_b64 off, v[130:131], off offset:472
.LBB62_35:
	s_wait_xcnt 0x0
	s_or_b32 exec_lo, exec_lo, s0
	scratch_load_b64 v[130:131], off, off offset:464
	v_cmp_lt_u32_e64 s0, 58, v0
	s_wait_loadcnt 0x0
	ds_store_b64 v1, v[130:131]
	s_wait_storecnt_dscnt 0x0
	s_barrier_signal -1
	s_barrier_wait -1
	s_wait_xcnt 0x0
	s_and_saveexec_b32 s2, s0
	s_cbranch_execz .LBB62_45
; %bb.36:
	s_and_not1_b32 vcc_lo, exec_lo, s3
	s_cbranch_vccnz .LBB62_38
; %bb.37:
	scratch_load_b64 v[130:131], v55, off
	ds_load_b64 v[132:133], v1
	s_wait_loadcnt_dscnt 0x0
	v_pk_mul_f32 v[134:135], v[132:133], v[130:131] op_sel:[1,1] op_sel_hi:[0,1]
	s_delay_alu instid0(VALU_DEP_1) | instskip(SKIP_1) | instid1(VALU_DEP_2)
	v_pk_fma_f32 v[136:137], v[132:133], v[130:131], v[134:135] op_sel_hi:[1,0,1]
	v_pk_fma_f32 v[130:131], v[132:133], v[130:131], v[134:135] neg_lo:[0,0,1] neg_hi:[0,0,1]
	v_mov_b32_e32 v131, v137
	s_cbranch_execz .LBB62_39
	s_branch .LBB62_40
.LBB62_38:
                                        ; implicit-def: $vgpr130_vgpr131
.LBB62_39:
	ds_load_b64 v[130:131], v1
.LBB62_40:
	s_and_saveexec_b32 s36, s1
	s_cbranch_execz .LBB62_44
; %bb.41:
	v_subrev_nc_u32_e32 v132, 59, v0
	s_movk_i32 s1, 0x1d8
	s_movk_i32 s38, 0x3d8
	s_mov_b32 s37, 0
.LBB62_42:                              ; =>This Inner Loop Header: Depth=1
	scratch_load_b64 v[134:135], off, s1
	v_dual_mov_b32 v133, s38 :: v_dual_add_nc_u32 v132, -1, v132
	s_add_co_i32 s38, s38, 8
	s_wait_xcnt 0x0
	s_add_co_i32 s1, s1, 8
	ds_load_b64 v[136:137], v133
	v_cmp_eq_u32_e32 vcc_lo, 0, v132
	s_or_b32 s37, vcc_lo, s37
	s_wait_loadcnt_dscnt 0x0
	v_pk_mul_f32 v[138:139], v[136:137], v[134:135] op_sel:[1,1] op_sel_hi:[0,1]
	s_delay_alu instid0(VALU_DEP_1) | instskip(SKIP_1) | instid1(VALU_DEP_2)
	v_pk_fma_f32 v[140:141], v[136:137], v[134:135], v[138:139] op_sel_hi:[1,0,1]
	v_pk_fma_f32 v[134:135], v[136:137], v[134:135], v[138:139] neg_lo:[0,0,1] neg_hi:[0,0,1]
	v_mov_b32_e32 v135, v141
	s_delay_alu instid0(VALU_DEP_1)
	v_pk_add_f32 v[130:131], v[130:131], v[134:135]
	s_and_not1_b32 exec_lo, exec_lo, s37
	s_cbranch_execnz .LBB62_42
; %bb.43:
	s_or_b32 exec_lo, exec_lo, s37
.LBB62_44:
	s_delay_alu instid0(SALU_CYCLE_1) | instskip(SKIP_4) | instid1(VALU_DEP_1)
	s_or_b32 exec_lo, exec_lo, s36
	v_mov_b32_e32 v132, 0
	ds_load_b64 v[132:133], v132 offset:464
	s_wait_dscnt 0x0
	v_pk_mul_f32 v[134:135], v[130:131], v[132:133] op_sel:[1,1] op_sel_hi:[0,1]
	v_pk_fma_f32 v[136:137], v[130:131], v[132:133], v[134:135] op_sel_hi:[1,0,1]
	v_pk_fma_f32 v[130:131], v[130:131], v[132:133], v[134:135] neg_lo:[0,0,1] neg_hi:[0,0,1]
	s_delay_alu instid0(VALU_DEP_2)
	v_mov_b32_e32 v131, v137
	scratch_store_b64 off, v[130:131], off offset:464
.LBB62_45:
	s_wait_xcnt 0x0
	s_or_b32 exec_lo, exec_lo, s2
	scratch_load_b64 v[130:131], off, off offset:456
	v_cmp_lt_u32_e64 s1, 57, v0
	s_wait_loadcnt 0x0
	ds_store_b64 v1, v[130:131]
	s_wait_storecnt_dscnt 0x0
	s_barrier_signal -1
	s_barrier_wait -1
	s_wait_xcnt 0x0
	s_and_saveexec_b32 s2, s1
	s_cbranch_execz .LBB62_55
; %bb.46:
	s_and_not1_b32 vcc_lo, exec_lo, s3
	s_cbranch_vccnz .LBB62_48
; %bb.47:
	scratch_load_b64 v[130:131], v55, off
	ds_load_b64 v[132:133], v1
	s_wait_loadcnt_dscnt 0x0
	v_pk_mul_f32 v[134:135], v[132:133], v[130:131] op_sel:[1,1] op_sel_hi:[0,1]
	s_delay_alu instid0(VALU_DEP_1) | instskip(SKIP_1) | instid1(VALU_DEP_2)
	v_pk_fma_f32 v[136:137], v[132:133], v[130:131], v[134:135] op_sel_hi:[1,0,1]
	v_pk_fma_f32 v[130:131], v[132:133], v[130:131], v[134:135] neg_lo:[0,0,1] neg_hi:[0,0,1]
	v_mov_b32_e32 v131, v137
	s_cbranch_execz .LBB62_49
	s_branch .LBB62_50
.LBB62_48:
                                        ; implicit-def: $vgpr130_vgpr131
.LBB62_49:
	ds_load_b64 v[130:131], v1
.LBB62_50:
	s_and_saveexec_b32 s36, s0
	s_cbranch_execz .LBB62_54
; %bb.51:
	v_subrev_nc_u32_e32 v132, 58, v0
	s_movk_i32 s37, 0x3d0
	s_mov_b32 s0, 0
.LBB62_52:                              ; =>This Inner Loop Header: Depth=1
	scratch_load_b64 v[134:135], off, s35
	v_dual_mov_b32 v133, s37 :: v_dual_add_nc_u32 v132, -1, v132
	s_add_co_i32 s37, s37, 8
	s_wait_xcnt 0x0
	s_add_co_i32 s35, s35, 8
	ds_load_b64 v[136:137], v133
	v_cmp_eq_u32_e32 vcc_lo, 0, v132
	s_or_b32 s0, vcc_lo, s0
	s_wait_loadcnt_dscnt 0x0
	v_pk_mul_f32 v[138:139], v[136:137], v[134:135] op_sel:[1,1] op_sel_hi:[0,1]
	s_delay_alu instid0(VALU_DEP_1) | instskip(SKIP_1) | instid1(VALU_DEP_2)
	v_pk_fma_f32 v[140:141], v[136:137], v[134:135], v[138:139] op_sel_hi:[1,0,1]
	v_pk_fma_f32 v[134:135], v[136:137], v[134:135], v[138:139] neg_lo:[0,0,1] neg_hi:[0,0,1]
	v_mov_b32_e32 v135, v141
	s_delay_alu instid0(VALU_DEP_1)
	v_pk_add_f32 v[130:131], v[130:131], v[134:135]
	s_and_not1_b32 exec_lo, exec_lo, s0
	s_cbranch_execnz .LBB62_52
; %bb.53:
	s_or_b32 exec_lo, exec_lo, s0
.LBB62_54:
	s_delay_alu instid0(SALU_CYCLE_1) | instskip(SKIP_4) | instid1(VALU_DEP_1)
	s_or_b32 exec_lo, exec_lo, s36
	v_mov_b32_e32 v132, 0
	ds_load_b64 v[132:133], v132 offset:456
	s_wait_dscnt 0x0
	v_pk_mul_f32 v[134:135], v[130:131], v[132:133] op_sel:[1,1] op_sel_hi:[0,1]
	v_pk_fma_f32 v[136:137], v[130:131], v[132:133], v[134:135] op_sel_hi:[1,0,1]
	v_pk_fma_f32 v[130:131], v[130:131], v[132:133], v[134:135] neg_lo:[0,0,1] neg_hi:[0,0,1]
	s_delay_alu instid0(VALU_DEP_2)
	v_mov_b32_e32 v131, v137
	scratch_store_b64 off, v[130:131], off offset:456
.LBB62_55:
	s_wait_xcnt 0x0
	s_or_b32 exec_lo, exec_lo, s2
	scratch_load_b64 v[130:131], off, off offset:448
	v_cmp_lt_u32_e64 s0, 56, v0
	s_wait_loadcnt 0x0
	ds_store_b64 v1, v[130:131]
	s_wait_storecnt_dscnt 0x0
	s_barrier_signal -1
	s_barrier_wait -1
	s_wait_xcnt 0x0
	s_and_saveexec_b32 s2, s0
	s_cbranch_execz .LBB62_65
; %bb.56:
	s_and_not1_b32 vcc_lo, exec_lo, s3
	s_cbranch_vccnz .LBB62_58
; %bb.57:
	scratch_load_b64 v[130:131], v55, off
	ds_load_b64 v[132:133], v1
	s_wait_loadcnt_dscnt 0x0
	v_pk_mul_f32 v[134:135], v[132:133], v[130:131] op_sel:[1,1] op_sel_hi:[0,1]
	s_delay_alu instid0(VALU_DEP_1) | instskip(SKIP_1) | instid1(VALU_DEP_2)
	v_pk_fma_f32 v[136:137], v[132:133], v[130:131], v[134:135] op_sel_hi:[1,0,1]
	v_pk_fma_f32 v[130:131], v[132:133], v[130:131], v[134:135] neg_lo:[0,0,1] neg_hi:[0,0,1]
	v_mov_b32_e32 v131, v137
	s_cbranch_execz .LBB62_59
	s_branch .LBB62_60
.LBB62_58:
                                        ; implicit-def: $vgpr130_vgpr131
.LBB62_59:
	ds_load_b64 v[130:131], v1
.LBB62_60:
	s_and_saveexec_b32 s35, s1
	s_cbranch_execz .LBB62_64
; %bb.61:
	v_subrev_nc_u32_e32 v132, 57, v0
	s_movk_i32 s1, 0x1c8
	s_movk_i32 s37, 0x3c8
	s_mov_b32 s36, 0
.LBB62_62:                              ; =>This Inner Loop Header: Depth=1
	scratch_load_b64 v[134:135], off, s1
	v_dual_mov_b32 v133, s37 :: v_dual_add_nc_u32 v132, -1, v132
	s_add_co_i32 s37, s37, 8
	s_wait_xcnt 0x0
	s_add_co_i32 s1, s1, 8
	ds_load_b64 v[136:137], v133
	v_cmp_eq_u32_e32 vcc_lo, 0, v132
	s_or_b32 s36, vcc_lo, s36
	s_wait_loadcnt_dscnt 0x0
	v_pk_mul_f32 v[138:139], v[136:137], v[134:135] op_sel:[1,1] op_sel_hi:[0,1]
	s_delay_alu instid0(VALU_DEP_1) | instskip(SKIP_1) | instid1(VALU_DEP_2)
	v_pk_fma_f32 v[140:141], v[136:137], v[134:135], v[138:139] op_sel_hi:[1,0,1]
	v_pk_fma_f32 v[134:135], v[136:137], v[134:135], v[138:139] neg_lo:[0,0,1] neg_hi:[0,0,1]
	v_mov_b32_e32 v135, v141
	s_delay_alu instid0(VALU_DEP_1)
	v_pk_add_f32 v[130:131], v[130:131], v[134:135]
	s_and_not1_b32 exec_lo, exec_lo, s36
	s_cbranch_execnz .LBB62_62
; %bb.63:
	s_or_b32 exec_lo, exec_lo, s36
.LBB62_64:
	s_delay_alu instid0(SALU_CYCLE_1) | instskip(SKIP_4) | instid1(VALU_DEP_1)
	s_or_b32 exec_lo, exec_lo, s35
	v_mov_b32_e32 v132, 0
	ds_load_b64 v[132:133], v132 offset:448
	s_wait_dscnt 0x0
	v_pk_mul_f32 v[134:135], v[130:131], v[132:133] op_sel:[1,1] op_sel_hi:[0,1]
	v_pk_fma_f32 v[136:137], v[130:131], v[132:133], v[134:135] op_sel_hi:[1,0,1]
	v_pk_fma_f32 v[130:131], v[130:131], v[132:133], v[134:135] neg_lo:[0,0,1] neg_hi:[0,0,1]
	s_delay_alu instid0(VALU_DEP_2)
	v_mov_b32_e32 v131, v137
	scratch_store_b64 off, v[130:131], off offset:448
.LBB62_65:
	s_wait_xcnt 0x0
	s_or_b32 exec_lo, exec_lo, s2
	scratch_load_b64 v[130:131], off, off offset:440
	v_cmp_lt_u32_e64 s1, 55, v0
	s_wait_loadcnt 0x0
	ds_store_b64 v1, v[130:131]
	s_wait_storecnt_dscnt 0x0
	s_barrier_signal -1
	s_barrier_wait -1
	s_wait_xcnt 0x0
	s_and_saveexec_b32 s2, s1
	s_cbranch_execz .LBB62_75
; %bb.66:
	s_and_not1_b32 vcc_lo, exec_lo, s3
	s_cbranch_vccnz .LBB62_68
; %bb.67:
	scratch_load_b64 v[130:131], v55, off
	ds_load_b64 v[132:133], v1
	s_wait_loadcnt_dscnt 0x0
	v_pk_mul_f32 v[134:135], v[132:133], v[130:131] op_sel:[1,1] op_sel_hi:[0,1]
	s_delay_alu instid0(VALU_DEP_1) | instskip(SKIP_1) | instid1(VALU_DEP_2)
	v_pk_fma_f32 v[136:137], v[132:133], v[130:131], v[134:135] op_sel_hi:[1,0,1]
	v_pk_fma_f32 v[130:131], v[132:133], v[130:131], v[134:135] neg_lo:[0,0,1] neg_hi:[0,0,1]
	v_mov_b32_e32 v131, v137
	s_cbranch_execz .LBB62_69
	s_branch .LBB62_70
.LBB62_68:
                                        ; implicit-def: $vgpr130_vgpr131
.LBB62_69:
	ds_load_b64 v[130:131], v1
.LBB62_70:
	s_and_saveexec_b32 s35, s0
	s_cbranch_execz .LBB62_74
; %bb.71:
	v_subrev_nc_u32_e32 v132, 56, v0
	s_movk_i32 s36, 0x3c0
	s_mov_b32 s0, 0
.LBB62_72:                              ; =>This Inner Loop Header: Depth=1
	scratch_load_b64 v[134:135], off, s34
	v_dual_mov_b32 v133, s36 :: v_dual_add_nc_u32 v132, -1, v132
	s_add_co_i32 s36, s36, 8
	s_wait_xcnt 0x0
	s_add_co_i32 s34, s34, 8
	ds_load_b64 v[136:137], v133
	v_cmp_eq_u32_e32 vcc_lo, 0, v132
	s_or_b32 s0, vcc_lo, s0
	s_wait_loadcnt_dscnt 0x0
	v_pk_mul_f32 v[138:139], v[136:137], v[134:135] op_sel:[1,1] op_sel_hi:[0,1]
	s_delay_alu instid0(VALU_DEP_1) | instskip(SKIP_1) | instid1(VALU_DEP_2)
	v_pk_fma_f32 v[140:141], v[136:137], v[134:135], v[138:139] op_sel_hi:[1,0,1]
	v_pk_fma_f32 v[134:135], v[136:137], v[134:135], v[138:139] neg_lo:[0,0,1] neg_hi:[0,0,1]
	v_mov_b32_e32 v135, v141
	s_delay_alu instid0(VALU_DEP_1)
	v_pk_add_f32 v[130:131], v[130:131], v[134:135]
	s_and_not1_b32 exec_lo, exec_lo, s0
	s_cbranch_execnz .LBB62_72
; %bb.73:
	s_or_b32 exec_lo, exec_lo, s0
.LBB62_74:
	s_delay_alu instid0(SALU_CYCLE_1) | instskip(SKIP_4) | instid1(VALU_DEP_1)
	s_or_b32 exec_lo, exec_lo, s35
	v_mov_b32_e32 v132, 0
	ds_load_b64 v[132:133], v132 offset:440
	s_wait_dscnt 0x0
	v_pk_mul_f32 v[134:135], v[130:131], v[132:133] op_sel:[1,1] op_sel_hi:[0,1]
	v_pk_fma_f32 v[136:137], v[130:131], v[132:133], v[134:135] op_sel_hi:[1,0,1]
	v_pk_fma_f32 v[130:131], v[130:131], v[132:133], v[134:135] neg_lo:[0,0,1] neg_hi:[0,0,1]
	s_delay_alu instid0(VALU_DEP_2)
	v_mov_b32_e32 v131, v137
	scratch_store_b64 off, v[130:131], off offset:440
.LBB62_75:
	s_wait_xcnt 0x0
	s_or_b32 exec_lo, exec_lo, s2
	scratch_load_b64 v[130:131], off, off offset:432
	v_cmp_lt_u32_e64 s0, 54, v0
	s_wait_loadcnt 0x0
	ds_store_b64 v1, v[130:131]
	s_wait_storecnt_dscnt 0x0
	s_barrier_signal -1
	s_barrier_wait -1
	s_wait_xcnt 0x0
	s_and_saveexec_b32 s2, s0
	s_cbranch_execz .LBB62_85
; %bb.76:
	s_and_not1_b32 vcc_lo, exec_lo, s3
	s_cbranch_vccnz .LBB62_78
; %bb.77:
	scratch_load_b64 v[130:131], v55, off
	ds_load_b64 v[132:133], v1
	s_wait_loadcnt_dscnt 0x0
	v_pk_mul_f32 v[134:135], v[132:133], v[130:131] op_sel:[1,1] op_sel_hi:[0,1]
	s_delay_alu instid0(VALU_DEP_1) | instskip(SKIP_1) | instid1(VALU_DEP_2)
	v_pk_fma_f32 v[136:137], v[132:133], v[130:131], v[134:135] op_sel_hi:[1,0,1]
	v_pk_fma_f32 v[130:131], v[132:133], v[130:131], v[134:135] neg_lo:[0,0,1] neg_hi:[0,0,1]
	v_mov_b32_e32 v131, v137
	s_cbranch_execz .LBB62_79
	s_branch .LBB62_80
.LBB62_78:
                                        ; implicit-def: $vgpr130_vgpr131
.LBB62_79:
	ds_load_b64 v[130:131], v1
.LBB62_80:
	s_and_saveexec_b32 s34, s1
	s_cbranch_execz .LBB62_84
; %bb.81:
	v_subrev_nc_u32_e32 v132, 55, v0
	s_movk_i32 s1, 0x1b8
	s_movk_i32 s36, 0x3b8
	s_mov_b32 s35, 0
.LBB62_82:                              ; =>This Inner Loop Header: Depth=1
	scratch_load_b64 v[134:135], off, s1
	v_dual_mov_b32 v133, s36 :: v_dual_add_nc_u32 v132, -1, v132
	s_add_co_i32 s36, s36, 8
	s_wait_xcnt 0x0
	s_add_co_i32 s1, s1, 8
	ds_load_b64 v[136:137], v133
	v_cmp_eq_u32_e32 vcc_lo, 0, v132
	s_or_b32 s35, vcc_lo, s35
	s_wait_loadcnt_dscnt 0x0
	v_pk_mul_f32 v[138:139], v[136:137], v[134:135] op_sel:[1,1] op_sel_hi:[0,1]
	s_delay_alu instid0(VALU_DEP_1) | instskip(SKIP_1) | instid1(VALU_DEP_2)
	v_pk_fma_f32 v[140:141], v[136:137], v[134:135], v[138:139] op_sel_hi:[1,0,1]
	v_pk_fma_f32 v[134:135], v[136:137], v[134:135], v[138:139] neg_lo:[0,0,1] neg_hi:[0,0,1]
	v_mov_b32_e32 v135, v141
	s_delay_alu instid0(VALU_DEP_1)
	v_pk_add_f32 v[130:131], v[130:131], v[134:135]
	s_and_not1_b32 exec_lo, exec_lo, s35
	s_cbranch_execnz .LBB62_82
; %bb.83:
	s_or_b32 exec_lo, exec_lo, s35
.LBB62_84:
	s_delay_alu instid0(SALU_CYCLE_1) | instskip(SKIP_4) | instid1(VALU_DEP_1)
	s_or_b32 exec_lo, exec_lo, s34
	v_mov_b32_e32 v132, 0
	ds_load_b64 v[132:133], v132 offset:432
	s_wait_dscnt 0x0
	v_pk_mul_f32 v[134:135], v[130:131], v[132:133] op_sel:[1,1] op_sel_hi:[0,1]
	v_pk_fma_f32 v[136:137], v[130:131], v[132:133], v[134:135] op_sel_hi:[1,0,1]
	v_pk_fma_f32 v[130:131], v[130:131], v[132:133], v[134:135] neg_lo:[0,0,1] neg_hi:[0,0,1]
	s_delay_alu instid0(VALU_DEP_2)
	v_mov_b32_e32 v131, v137
	scratch_store_b64 off, v[130:131], off offset:432
.LBB62_85:
	s_wait_xcnt 0x0
	s_or_b32 exec_lo, exec_lo, s2
	scratch_load_b64 v[130:131], off, off offset:424
	v_cmp_lt_u32_e64 s1, 53, v0
	s_wait_loadcnt 0x0
	ds_store_b64 v1, v[130:131]
	s_wait_storecnt_dscnt 0x0
	s_barrier_signal -1
	s_barrier_wait -1
	s_wait_xcnt 0x0
	s_and_saveexec_b32 s2, s1
	s_cbranch_execz .LBB62_95
; %bb.86:
	s_and_not1_b32 vcc_lo, exec_lo, s3
	s_cbranch_vccnz .LBB62_88
; %bb.87:
	scratch_load_b64 v[130:131], v55, off
	ds_load_b64 v[132:133], v1
	s_wait_loadcnt_dscnt 0x0
	v_pk_mul_f32 v[134:135], v[132:133], v[130:131] op_sel:[1,1] op_sel_hi:[0,1]
	s_delay_alu instid0(VALU_DEP_1) | instskip(SKIP_1) | instid1(VALU_DEP_2)
	v_pk_fma_f32 v[136:137], v[132:133], v[130:131], v[134:135] op_sel_hi:[1,0,1]
	v_pk_fma_f32 v[130:131], v[132:133], v[130:131], v[134:135] neg_lo:[0,0,1] neg_hi:[0,0,1]
	v_mov_b32_e32 v131, v137
	s_cbranch_execz .LBB62_89
	s_branch .LBB62_90
.LBB62_88:
                                        ; implicit-def: $vgpr130_vgpr131
.LBB62_89:
	ds_load_b64 v[130:131], v1
.LBB62_90:
	s_and_saveexec_b32 s34, s0
	s_cbranch_execz .LBB62_94
; %bb.91:
	v_subrev_nc_u32_e32 v132, 54, v0
	s_movk_i32 s35, 0x3b0
	s_mov_b32 s0, 0
.LBB62_92:                              ; =>This Inner Loop Header: Depth=1
	scratch_load_b64 v[134:135], off, s33
	v_dual_mov_b32 v133, s35 :: v_dual_add_nc_u32 v132, -1, v132
	s_add_co_i32 s35, s35, 8
	s_wait_xcnt 0x0
	s_add_co_i32 s33, s33, 8
	ds_load_b64 v[136:137], v133
	v_cmp_eq_u32_e32 vcc_lo, 0, v132
	s_or_b32 s0, vcc_lo, s0
	s_wait_loadcnt_dscnt 0x0
	v_pk_mul_f32 v[138:139], v[136:137], v[134:135] op_sel:[1,1] op_sel_hi:[0,1]
	s_delay_alu instid0(VALU_DEP_1) | instskip(SKIP_1) | instid1(VALU_DEP_2)
	v_pk_fma_f32 v[140:141], v[136:137], v[134:135], v[138:139] op_sel_hi:[1,0,1]
	v_pk_fma_f32 v[134:135], v[136:137], v[134:135], v[138:139] neg_lo:[0,0,1] neg_hi:[0,0,1]
	v_mov_b32_e32 v135, v141
	s_delay_alu instid0(VALU_DEP_1)
	v_pk_add_f32 v[130:131], v[130:131], v[134:135]
	s_and_not1_b32 exec_lo, exec_lo, s0
	s_cbranch_execnz .LBB62_92
; %bb.93:
	s_or_b32 exec_lo, exec_lo, s0
.LBB62_94:
	s_delay_alu instid0(SALU_CYCLE_1) | instskip(SKIP_4) | instid1(VALU_DEP_1)
	s_or_b32 exec_lo, exec_lo, s34
	v_mov_b32_e32 v132, 0
	ds_load_b64 v[132:133], v132 offset:424
	s_wait_dscnt 0x0
	v_pk_mul_f32 v[134:135], v[130:131], v[132:133] op_sel:[1,1] op_sel_hi:[0,1]
	v_pk_fma_f32 v[136:137], v[130:131], v[132:133], v[134:135] op_sel_hi:[1,0,1]
	v_pk_fma_f32 v[130:131], v[130:131], v[132:133], v[134:135] neg_lo:[0,0,1] neg_hi:[0,0,1]
	s_delay_alu instid0(VALU_DEP_2)
	v_mov_b32_e32 v131, v137
	scratch_store_b64 off, v[130:131], off offset:424
.LBB62_95:
	s_wait_xcnt 0x0
	s_or_b32 exec_lo, exec_lo, s2
	scratch_load_b64 v[130:131], off, off offset:416
	v_cmp_lt_u32_e64 s0, 52, v0
	s_wait_loadcnt 0x0
	ds_store_b64 v1, v[130:131]
	s_wait_storecnt_dscnt 0x0
	s_barrier_signal -1
	s_barrier_wait -1
	s_wait_xcnt 0x0
	s_and_saveexec_b32 s2, s0
	s_cbranch_execz .LBB62_105
; %bb.96:
	s_and_not1_b32 vcc_lo, exec_lo, s3
	s_cbranch_vccnz .LBB62_98
; %bb.97:
	scratch_load_b64 v[130:131], v55, off
	ds_load_b64 v[132:133], v1
	s_wait_loadcnt_dscnt 0x0
	v_pk_mul_f32 v[134:135], v[132:133], v[130:131] op_sel:[1,1] op_sel_hi:[0,1]
	s_delay_alu instid0(VALU_DEP_1) | instskip(SKIP_1) | instid1(VALU_DEP_2)
	v_pk_fma_f32 v[136:137], v[132:133], v[130:131], v[134:135] op_sel_hi:[1,0,1]
	v_pk_fma_f32 v[130:131], v[132:133], v[130:131], v[134:135] neg_lo:[0,0,1] neg_hi:[0,0,1]
	v_mov_b32_e32 v131, v137
	s_cbranch_execz .LBB62_99
	s_branch .LBB62_100
.LBB62_98:
                                        ; implicit-def: $vgpr130_vgpr131
.LBB62_99:
	ds_load_b64 v[130:131], v1
.LBB62_100:
	s_and_saveexec_b32 s33, s1
	s_cbranch_execz .LBB62_104
; %bb.101:
	v_subrev_nc_u32_e32 v132, 53, v0
	s_movk_i32 s1, 0x1a8
	s_movk_i32 s35, 0x3a8
	s_mov_b32 s34, 0
.LBB62_102:                             ; =>This Inner Loop Header: Depth=1
	scratch_load_b64 v[134:135], off, s1
	v_dual_mov_b32 v133, s35 :: v_dual_add_nc_u32 v132, -1, v132
	s_add_co_i32 s35, s35, 8
	s_wait_xcnt 0x0
	s_add_co_i32 s1, s1, 8
	ds_load_b64 v[136:137], v133
	v_cmp_eq_u32_e32 vcc_lo, 0, v132
	s_or_b32 s34, vcc_lo, s34
	s_wait_loadcnt_dscnt 0x0
	v_pk_mul_f32 v[138:139], v[136:137], v[134:135] op_sel:[1,1] op_sel_hi:[0,1]
	s_delay_alu instid0(VALU_DEP_1) | instskip(SKIP_1) | instid1(VALU_DEP_2)
	v_pk_fma_f32 v[140:141], v[136:137], v[134:135], v[138:139] op_sel_hi:[1,0,1]
	v_pk_fma_f32 v[134:135], v[136:137], v[134:135], v[138:139] neg_lo:[0,0,1] neg_hi:[0,0,1]
	v_mov_b32_e32 v135, v141
	s_delay_alu instid0(VALU_DEP_1)
	v_pk_add_f32 v[130:131], v[130:131], v[134:135]
	s_and_not1_b32 exec_lo, exec_lo, s34
	s_cbranch_execnz .LBB62_102
; %bb.103:
	s_or_b32 exec_lo, exec_lo, s34
.LBB62_104:
	s_delay_alu instid0(SALU_CYCLE_1) | instskip(SKIP_4) | instid1(VALU_DEP_1)
	s_or_b32 exec_lo, exec_lo, s33
	v_mov_b32_e32 v132, 0
	ds_load_b64 v[132:133], v132 offset:416
	s_wait_dscnt 0x0
	v_pk_mul_f32 v[134:135], v[130:131], v[132:133] op_sel:[1,1] op_sel_hi:[0,1]
	v_pk_fma_f32 v[136:137], v[130:131], v[132:133], v[134:135] op_sel_hi:[1,0,1]
	v_pk_fma_f32 v[130:131], v[130:131], v[132:133], v[134:135] neg_lo:[0,0,1] neg_hi:[0,0,1]
	s_delay_alu instid0(VALU_DEP_2)
	v_mov_b32_e32 v131, v137
	scratch_store_b64 off, v[130:131], off offset:416
.LBB62_105:
	s_wait_xcnt 0x0
	s_or_b32 exec_lo, exec_lo, s2
	scratch_load_b64 v[130:131], off, off offset:408
	v_cmp_lt_u32_e64 s1, 51, v0
	s_wait_loadcnt 0x0
	ds_store_b64 v1, v[130:131]
	s_wait_storecnt_dscnt 0x0
	s_barrier_signal -1
	s_barrier_wait -1
	s_wait_xcnt 0x0
	s_and_saveexec_b32 s2, s1
	s_cbranch_execz .LBB62_115
; %bb.106:
	s_and_not1_b32 vcc_lo, exec_lo, s3
	s_cbranch_vccnz .LBB62_108
; %bb.107:
	scratch_load_b64 v[130:131], v55, off
	ds_load_b64 v[132:133], v1
	s_wait_loadcnt_dscnt 0x0
	v_pk_mul_f32 v[134:135], v[132:133], v[130:131] op_sel:[1,1] op_sel_hi:[0,1]
	s_delay_alu instid0(VALU_DEP_1) | instskip(SKIP_1) | instid1(VALU_DEP_2)
	v_pk_fma_f32 v[136:137], v[132:133], v[130:131], v[134:135] op_sel_hi:[1,0,1]
	v_pk_fma_f32 v[130:131], v[132:133], v[130:131], v[134:135] neg_lo:[0,0,1] neg_hi:[0,0,1]
	v_mov_b32_e32 v131, v137
	s_cbranch_execz .LBB62_109
	s_branch .LBB62_110
.LBB62_108:
                                        ; implicit-def: $vgpr130_vgpr131
.LBB62_109:
	ds_load_b64 v[130:131], v1
.LBB62_110:
	s_and_saveexec_b32 s33, s0
	s_cbranch_execz .LBB62_114
; %bb.111:
	v_subrev_nc_u32_e32 v132, 52, v0
	s_movk_i32 s34, 0x3a0
	s_mov_b32 s0, 0
.LBB62_112:                             ; =>This Inner Loop Header: Depth=1
	scratch_load_b64 v[134:135], off, s31
	v_dual_mov_b32 v133, s34 :: v_dual_add_nc_u32 v132, -1, v132
	s_add_co_i32 s34, s34, 8
	s_wait_xcnt 0x0
	s_add_co_i32 s31, s31, 8
	ds_load_b64 v[136:137], v133
	v_cmp_eq_u32_e32 vcc_lo, 0, v132
	s_or_b32 s0, vcc_lo, s0
	s_wait_loadcnt_dscnt 0x0
	v_pk_mul_f32 v[138:139], v[136:137], v[134:135] op_sel:[1,1] op_sel_hi:[0,1]
	s_delay_alu instid0(VALU_DEP_1) | instskip(SKIP_1) | instid1(VALU_DEP_2)
	v_pk_fma_f32 v[140:141], v[136:137], v[134:135], v[138:139] op_sel_hi:[1,0,1]
	v_pk_fma_f32 v[134:135], v[136:137], v[134:135], v[138:139] neg_lo:[0,0,1] neg_hi:[0,0,1]
	v_mov_b32_e32 v135, v141
	s_delay_alu instid0(VALU_DEP_1)
	v_pk_add_f32 v[130:131], v[130:131], v[134:135]
	s_and_not1_b32 exec_lo, exec_lo, s0
	s_cbranch_execnz .LBB62_112
; %bb.113:
	s_or_b32 exec_lo, exec_lo, s0
.LBB62_114:
	s_delay_alu instid0(SALU_CYCLE_1) | instskip(SKIP_4) | instid1(VALU_DEP_1)
	s_or_b32 exec_lo, exec_lo, s33
	v_mov_b32_e32 v132, 0
	ds_load_b64 v[132:133], v132 offset:408
	s_wait_dscnt 0x0
	v_pk_mul_f32 v[134:135], v[130:131], v[132:133] op_sel:[1,1] op_sel_hi:[0,1]
	v_pk_fma_f32 v[136:137], v[130:131], v[132:133], v[134:135] op_sel_hi:[1,0,1]
	v_pk_fma_f32 v[130:131], v[130:131], v[132:133], v[134:135] neg_lo:[0,0,1] neg_hi:[0,0,1]
	s_delay_alu instid0(VALU_DEP_2)
	v_mov_b32_e32 v131, v137
	scratch_store_b64 off, v[130:131], off offset:408
.LBB62_115:
	s_wait_xcnt 0x0
	s_or_b32 exec_lo, exec_lo, s2
	scratch_load_b64 v[130:131], off, off offset:400
	v_cmp_lt_u32_e64 s0, 50, v0
	s_wait_loadcnt 0x0
	ds_store_b64 v1, v[130:131]
	s_wait_storecnt_dscnt 0x0
	s_barrier_signal -1
	s_barrier_wait -1
	s_wait_xcnt 0x0
	s_and_saveexec_b32 s2, s0
	s_cbranch_execz .LBB62_125
; %bb.116:
	s_and_not1_b32 vcc_lo, exec_lo, s3
	s_cbranch_vccnz .LBB62_118
; %bb.117:
	scratch_load_b64 v[130:131], v55, off
	ds_load_b64 v[132:133], v1
	s_wait_loadcnt_dscnt 0x0
	v_pk_mul_f32 v[134:135], v[132:133], v[130:131] op_sel:[1,1] op_sel_hi:[0,1]
	s_delay_alu instid0(VALU_DEP_1) | instskip(SKIP_1) | instid1(VALU_DEP_2)
	v_pk_fma_f32 v[136:137], v[132:133], v[130:131], v[134:135] op_sel_hi:[1,0,1]
	v_pk_fma_f32 v[130:131], v[132:133], v[130:131], v[134:135] neg_lo:[0,0,1] neg_hi:[0,0,1]
	v_mov_b32_e32 v131, v137
	s_cbranch_execz .LBB62_119
	s_branch .LBB62_120
.LBB62_118:
                                        ; implicit-def: $vgpr130_vgpr131
.LBB62_119:
	ds_load_b64 v[130:131], v1
.LBB62_120:
	s_and_saveexec_b32 s31, s1
	s_cbranch_execz .LBB62_124
; %bb.121:
	v_subrev_nc_u32_e32 v132, 51, v0
	s_movk_i32 s1, 0x198
	s_movk_i32 s34, 0x398
	s_mov_b32 s33, 0
.LBB62_122:                             ; =>This Inner Loop Header: Depth=1
	scratch_load_b64 v[134:135], off, s1
	v_dual_mov_b32 v133, s34 :: v_dual_add_nc_u32 v132, -1, v132
	s_add_co_i32 s34, s34, 8
	s_wait_xcnt 0x0
	s_add_co_i32 s1, s1, 8
	ds_load_b64 v[136:137], v133
	v_cmp_eq_u32_e32 vcc_lo, 0, v132
	s_or_b32 s33, vcc_lo, s33
	s_wait_loadcnt_dscnt 0x0
	v_pk_mul_f32 v[138:139], v[136:137], v[134:135] op_sel:[1,1] op_sel_hi:[0,1]
	s_delay_alu instid0(VALU_DEP_1) | instskip(SKIP_1) | instid1(VALU_DEP_2)
	v_pk_fma_f32 v[140:141], v[136:137], v[134:135], v[138:139] op_sel_hi:[1,0,1]
	v_pk_fma_f32 v[134:135], v[136:137], v[134:135], v[138:139] neg_lo:[0,0,1] neg_hi:[0,0,1]
	v_mov_b32_e32 v135, v141
	s_delay_alu instid0(VALU_DEP_1)
	v_pk_add_f32 v[130:131], v[130:131], v[134:135]
	s_and_not1_b32 exec_lo, exec_lo, s33
	s_cbranch_execnz .LBB62_122
; %bb.123:
	s_or_b32 exec_lo, exec_lo, s33
.LBB62_124:
	s_delay_alu instid0(SALU_CYCLE_1) | instskip(SKIP_4) | instid1(VALU_DEP_1)
	s_or_b32 exec_lo, exec_lo, s31
	v_mov_b32_e32 v132, 0
	ds_load_b64 v[132:133], v132 offset:400
	s_wait_dscnt 0x0
	v_pk_mul_f32 v[134:135], v[130:131], v[132:133] op_sel:[1,1] op_sel_hi:[0,1]
	v_pk_fma_f32 v[136:137], v[130:131], v[132:133], v[134:135] op_sel_hi:[1,0,1]
	v_pk_fma_f32 v[130:131], v[130:131], v[132:133], v[134:135] neg_lo:[0,0,1] neg_hi:[0,0,1]
	s_delay_alu instid0(VALU_DEP_2)
	v_mov_b32_e32 v131, v137
	scratch_store_b64 off, v[130:131], off offset:400
.LBB62_125:
	s_wait_xcnt 0x0
	s_or_b32 exec_lo, exec_lo, s2
	scratch_load_b64 v[130:131], off, off offset:392
	v_cmp_lt_u32_e64 s1, 49, v0
	s_wait_loadcnt 0x0
	ds_store_b64 v1, v[130:131]
	s_wait_storecnt_dscnt 0x0
	s_barrier_signal -1
	s_barrier_wait -1
	s_wait_xcnt 0x0
	s_and_saveexec_b32 s2, s1
	s_cbranch_execz .LBB62_135
; %bb.126:
	s_and_not1_b32 vcc_lo, exec_lo, s3
	s_cbranch_vccnz .LBB62_128
; %bb.127:
	scratch_load_b64 v[130:131], v55, off
	ds_load_b64 v[132:133], v1
	s_wait_loadcnt_dscnt 0x0
	v_pk_mul_f32 v[134:135], v[132:133], v[130:131] op_sel:[1,1] op_sel_hi:[0,1]
	s_delay_alu instid0(VALU_DEP_1) | instskip(SKIP_1) | instid1(VALU_DEP_2)
	v_pk_fma_f32 v[136:137], v[132:133], v[130:131], v[134:135] op_sel_hi:[1,0,1]
	v_pk_fma_f32 v[130:131], v[132:133], v[130:131], v[134:135] neg_lo:[0,0,1] neg_hi:[0,0,1]
	v_mov_b32_e32 v131, v137
	s_cbranch_execz .LBB62_129
	s_branch .LBB62_130
.LBB62_128:
                                        ; implicit-def: $vgpr130_vgpr131
.LBB62_129:
	ds_load_b64 v[130:131], v1
.LBB62_130:
	s_and_saveexec_b32 s31, s0
	s_cbranch_execz .LBB62_134
; %bb.131:
	v_subrev_nc_u32_e32 v132, 50, v0
	s_movk_i32 s33, 0x390
	s_mov_b32 s0, 0
.LBB62_132:                             ; =>This Inner Loop Header: Depth=1
	scratch_load_b64 v[134:135], off, s30
	v_dual_mov_b32 v133, s33 :: v_dual_add_nc_u32 v132, -1, v132
	s_add_co_i32 s33, s33, 8
	s_wait_xcnt 0x0
	s_add_co_i32 s30, s30, 8
	ds_load_b64 v[136:137], v133
	v_cmp_eq_u32_e32 vcc_lo, 0, v132
	s_or_b32 s0, vcc_lo, s0
	s_wait_loadcnt_dscnt 0x0
	v_pk_mul_f32 v[138:139], v[136:137], v[134:135] op_sel:[1,1] op_sel_hi:[0,1]
	s_delay_alu instid0(VALU_DEP_1) | instskip(SKIP_1) | instid1(VALU_DEP_2)
	v_pk_fma_f32 v[140:141], v[136:137], v[134:135], v[138:139] op_sel_hi:[1,0,1]
	v_pk_fma_f32 v[134:135], v[136:137], v[134:135], v[138:139] neg_lo:[0,0,1] neg_hi:[0,0,1]
	v_mov_b32_e32 v135, v141
	s_delay_alu instid0(VALU_DEP_1)
	v_pk_add_f32 v[130:131], v[130:131], v[134:135]
	s_and_not1_b32 exec_lo, exec_lo, s0
	s_cbranch_execnz .LBB62_132
; %bb.133:
	s_or_b32 exec_lo, exec_lo, s0
.LBB62_134:
	s_delay_alu instid0(SALU_CYCLE_1) | instskip(SKIP_4) | instid1(VALU_DEP_1)
	s_or_b32 exec_lo, exec_lo, s31
	v_mov_b32_e32 v132, 0
	ds_load_b64 v[132:133], v132 offset:392
	s_wait_dscnt 0x0
	v_pk_mul_f32 v[134:135], v[130:131], v[132:133] op_sel:[1,1] op_sel_hi:[0,1]
	v_pk_fma_f32 v[136:137], v[130:131], v[132:133], v[134:135] op_sel_hi:[1,0,1]
	v_pk_fma_f32 v[130:131], v[130:131], v[132:133], v[134:135] neg_lo:[0,0,1] neg_hi:[0,0,1]
	s_delay_alu instid0(VALU_DEP_2)
	v_mov_b32_e32 v131, v137
	scratch_store_b64 off, v[130:131], off offset:392
.LBB62_135:
	s_wait_xcnt 0x0
	s_or_b32 exec_lo, exec_lo, s2
	scratch_load_b64 v[130:131], off, off offset:384
	v_cmp_lt_u32_e64 s0, 48, v0
	s_wait_loadcnt 0x0
	ds_store_b64 v1, v[130:131]
	s_wait_storecnt_dscnt 0x0
	s_barrier_signal -1
	s_barrier_wait -1
	s_wait_xcnt 0x0
	s_and_saveexec_b32 s2, s0
	s_cbranch_execz .LBB62_145
; %bb.136:
	s_and_not1_b32 vcc_lo, exec_lo, s3
	s_cbranch_vccnz .LBB62_138
; %bb.137:
	scratch_load_b64 v[130:131], v55, off
	ds_load_b64 v[132:133], v1
	s_wait_loadcnt_dscnt 0x0
	v_pk_mul_f32 v[134:135], v[132:133], v[130:131] op_sel:[1,1] op_sel_hi:[0,1]
	s_delay_alu instid0(VALU_DEP_1) | instskip(SKIP_1) | instid1(VALU_DEP_2)
	v_pk_fma_f32 v[136:137], v[132:133], v[130:131], v[134:135] op_sel_hi:[1,0,1]
	v_pk_fma_f32 v[130:131], v[132:133], v[130:131], v[134:135] neg_lo:[0,0,1] neg_hi:[0,0,1]
	v_mov_b32_e32 v131, v137
	s_cbranch_execz .LBB62_139
	s_branch .LBB62_140
.LBB62_138:
                                        ; implicit-def: $vgpr130_vgpr131
.LBB62_139:
	ds_load_b64 v[130:131], v1
.LBB62_140:
	s_and_saveexec_b32 s30, s1
	s_cbranch_execz .LBB62_144
; %bb.141:
	v_subrev_nc_u32_e32 v132, 49, v0
	s_movk_i32 s1, 0x188
	s_movk_i32 s33, 0x388
	s_mov_b32 s31, 0
.LBB62_142:                             ; =>This Inner Loop Header: Depth=1
	scratch_load_b64 v[134:135], off, s1
	v_dual_mov_b32 v133, s33 :: v_dual_add_nc_u32 v132, -1, v132
	s_add_co_i32 s33, s33, 8
	s_wait_xcnt 0x0
	s_add_co_i32 s1, s1, 8
	ds_load_b64 v[136:137], v133
	v_cmp_eq_u32_e32 vcc_lo, 0, v132
	s_or_b32 s31, vcc_lo, s31
	s_wait_loadcnt_dscnt 0x0
	v_pk_mul_f32 v[138:139], v[136:137], v[134:135] op_sel:[1,1] op_sel_hi:[0,1]
	s_delay_alu instid0(VALU_DEP_1) | instskip(SKIP_1) | instid1(VALU_DEP_2)
	v_pk_fma_f32 v[140:141], v[136:137], v[134:135], v[138:139] op_sel_hi:[1,0,1]
	v_pk_fma_f32 v[134:135], v[136:137], v[134:135], v[138:139] neg_lo:[0,0,1] neg_hi:[0,0,1]
	v_mov_b32_e32 v135, v141
	s_delay_alu instid0(VALU_DEP_1)
	v_pk_add_f32 v[130:131], v[130:131], v[134:135]
	s_and_not1_b32 exec_lo, exec_lo, s31
	s_cbranch_execnz .LBB62_142
; %bb.143:
	s_or_b32 exec_lo, exec_lo, s31
.LBB62_144:
	s_delay_alu instid0(SALU_CYCLE_1) | instskip(SKIP_4) | instid1(VALU_DEP_1)
	s_or_b32 exec_lo, exec_lo, s30
	v_mov_b32_e32 v132, 0
	ds_load_b64 v[132:133], v132 offset:384
	s_wait_dscnt 0x0
	v_pk_mul_f32 v[134:135], v[130:131], v[132:133] op_sel:[1,1] op_sel_hi:[0,1]
	v_pk_fma_f32 v[136:137], v[130:131], v[132:133], v[134:135] op_sel_hi:[1,0,1]
	v_pk_fma_f32 v[130:131], v[130:131], v[132:133], v[134:135] neg_lo:[0,0,1] neg_hi:[0,0,1]
	s_delay_alu instid0(VALU_DEP_2)
	v_mov_b32_e32 v131, v137
	scratch_store_b64 off, v[130:131], off offset:384
.LBB62_145:
	s_wait_xcnt 0x0
	s_or_b32 exec_lo, exec_lo, s2
	scratch_load_b64 v[130:131], off, off offset:376
	v_cmp_lt_u32_e64 s1, 47, v0
	s_wait_loadcnt 0x0
	ds_store_b64 v1, v[130:131]
	s_wait_storecnt_dscnt 0x0
	s_barrier_signal -1
	s_barrier_wait -1
	s_wait_xcnt 0x0
	s_and_saveexec_b32 s2, s1
	s_cbranch_execz .LBB62_155
; %bb.146:
	s_and_not1_b32 vcc_lo, exec_lo, s3
	s_cbranch_vccnz .LBB62_148
; %bb.147:
	scratch_load_b64 v[130:131], v55, off
	ds_load_b64 v[132:133], v1
	s_wait_loadcnt_dscnt 0x0
	v_pk_mul_f32 v[134:135], v[132:133], v[130:131] op_sel:[1,1] op_sel_hi:[0,1]
	s_delay_alu instid0(VALU_DEP_1) | instskip(SKIP_1) | instid1(VALU_DEP_2)
	v_pk_fma_f32 v[136:137], v[132:133], v[130:131], v[134:135] op_sel_hi:[1,0,1]
	v_pk_fma_f32 v[130:131], v[132:133], v[130:131], v[134:135] neg_lo:[0,0,1] neg_hi:[0,0,1]
	v_mov_b32_e32 v131, v137
	s_cbranch_execz .LBB62_149
	s_branch .LBB62_150
.LBB62_148:
                                        ; implicit-def: $vgpr130_vgpr131
.LBB62_149:
	ds_load_b64 v[130:131], v1
.LBB62_150:
	s_and_saveexec_b32 s30, s0
	s_cbranch_execz .LBB62_154
; %bb.151:
	v_subrev_nc_u32_e32 v132, 48, v0
	s_movk_i32 s31, 0x380
	s_mov_b32 s0, 0
.LBB62_152:                             ; =>This Inner Loop Header: Depth=1
	scratch_load_b64 v[134:135], off, s29
	v_dual_mov_b32 v133, s31 :: v_dual_add_nc_u32 v132, -1, v132
	s_add_co_i32 s31, s31, 8
	s_wait_xcnt 0x0
	s_add_co_i32 s29, s29, 8
	ds_load_b64 v[136:137], v133
	v_cmp_eq_u32_e32 vcc_lo, 0, v132
	s_or_b32 s0, vcc_lo, s0
	s_wait_loadcnt_dscnt 0x0
	v_pk_mul_f32 v[138:139], v[136:137], v[134:135] op_sel:[1,1] op_sel_hi:[0,1]
	s_delay_alu instid0(VALU_DEP_1) | instskip(SKIP_1) | instid1(VALU_DEP_2)
	v_pk_fma_f32 v[140:141], v[136:137], v[134:135], v[138:139] op_sel_hi:[1,0,1]
	v_pk_fma_f32 v[134:135], v[136:137], v[134:135], v[138:139] neg_lo:[0,0,1] neg_hi:[0,0,1]
	v_mov_b32_e32 v135, v141
	s_delay_alu instid0(VALU_DEP_1)
	v_pk_add_f32 v[130:131], v[130:131], v[134:135]
	s_and_not1_b32 exec_lo, exec_lo, s0
	s_cbranch_execnz .LBB62_152
; %bb.153:
	s_or_b32 exec_lo, exec_lo, s0
.LBB62_154:
	s_delay_alu instid0(SALU_CYCLE_1) | instskip(SKIP_4) | instid1(VALU_DEP_1)
	s_or_b32 exec_lo, exec_lo, s30
	v_mov_b32_e32 v132, 0
	ds_load_b64 v[132:133], v132 offset:376
	s_wait_dscnt 0x0
	v_pk_mul_f32 v[134:135], v[130:131], v[132:133] op_sel:[1,1] op_sel_hi:[0,1]
	v_pk_fma_f32 v[136:137], v[130:131], v[132:133], v[134:135] op_sel_hi:[1,0,1]
	v_pk_fma_f32 v[130:131], v[130:131], v[132:133], v[134:135] neg_lo:[0,0,1] neg_hi:[0,0,1]
	s_delay_alu instid0(VALU_DEP_2)
	v_mov_b32_e32 v131, v137
	scratch_store_b64 off, v[130:131], off offset:376
.LBB62_155:
	s_wait_xcnt 0x0
	s_or_b32 exec_lo, exec_lo, s2
	scratch_load_b64 v[130:131], off, off offset:368
	v_cmp_lt_u32_e64 s0, 46, v0
	s_wait_loadcnt 0x0
	ds_store_b64 v1, v[130:131]
	s_wait_storecnt_dscnt 0x0
	s_barrier_signal -1
	s_barrier_wait -1
	s_wait_xcnt 0x0
	s_and_saveexec_b32 s2, s0
	s_cbranch_execz .LBB62_165
; %bb.156:
	s_and_not1_b32 vcc_lo, exec_lo, s3
	s_cbranch_vccnz .LBB62_158
; %bb.157:
	scratch_load_b64 v[130:131], v55, off
	ds_load_b64 v[132:133], v1
	s_wait_loadcnt_dscnt 0x0
	v_pk_mul_f32 v[134:135], v[132:133], v[130:131] op_sel:[1,1] op_sel_hi:[0,1]
	s_delay_alu instid0(VALU_DEP_1) | instskip(SKIP_1) | instid1(VALU_DEP_2)
	v_pk_fma_f32 v[136:137], v[132:133], v[130:131], v[134:135] op_sel_hi:[1,0,1]
	v_pk_fma_f32 v[130:131], v[132:133], v[130:131], v[134:135] neg_lo:[0,0,1] neg_hi:[0,0,1]
	v_mov_b32_e32 v131, v137
	s_cbranch_execz .LBB62_159
	s_branch .LBB62_160
.LBB62_158:
                                        ; implicit-def: $vgpr130_vgpr131
.LBB62_159:
	ds_load_b64 v[130:131], v1
.LBB62_160:
	s_and_saveexec_b32 s29, s1
	s_cbranch_execz .LBB62_164
; %bb.161:
	v_subrev_nc_u32_e32 v132, 47, v0
	s_movk_i32 s1, 0x178
	s_movk_i32 s31, 0x378
	s_mov_b32 s30, 0
.LBB62_162:                             ; =>This Inner Loop Header: Depth=1
	scratch_load_b64 v[134:135], off, s1
	v_dual_mov_b32 v133, s31 :: v_dual_add_nc_u32 v132, -1, v132
	s_add_co_i32 s31, s31, 8
	s_wait_xcnt 0x0
	s_add_co_i32 s1, s1, 8
	ds_load_b64 v[136:137], v133
	v_cmp_eq_u32_e32 vcc_lo, 0, v132
	s_or_b32 s30, vcc_lo, s30
	s_wait_loadcnt_dscnt 0x0
	v_pk_mul_f32 v[138:139], v[136:137], v[134:135] op_sel:[1,1] op_sel_hi:[0,1]
	s_delay_alu instid0(VALU_DEP_1) | instskip(SKIP_1) | instid1(VALU_DEP_2)
	v_pk_fma_f32 v[140:141], v[136:137], v[134:135], v[138:139] op_sel_hi:[1,0,1]
	v_pk_fma_f32 v[134:135], v[136:137], v[134:135], v[138:139] neg_lo:[0,0,1] neg_hi:[0,0,1]
	v_mov_b32_e32 v135, v141
	s_delay_alu instid0(VALU_DEP_1)
	v_pk_add_f32 v[130:131], v[130:131], v[134:135]
	s_and_not1_b32 exec_lo, exec_lo, s30
	s_cbranch_execnz .LBB62_162
; %bb.163:
	s_or_b32 exec_lo, exec_lo, s30
.LBB62_164:
	s_delay_alu instid0(SALU_CYCLE_1) | instskip(SKIP_4) | instid1(VALU_DEP_1)
	s_or_b32 exec_lo, exec_lo, s29
	v_mov_b32_e32 v132, 0
	ds_load_b64 v[132:133], v132 offset:368
	s_wait_dscnt 0x0
	v_pk_mul_f32 v[134:135], v[130:131], v[132:133] op_sel:[1,1] op_sel_hi:[0,1]
	v_pk_fma_f32 v[136:137], v[130:131], v[132:133], v[134:135] op_sel_hi:[1,0,1]
	v_pk_fma_f32 v[130:131], v[130:131], v[132:133], v[134:135] neg_lo:[0,0,1] neg_hi:[0,0,1]
	s_delay_alu instid0(VALU_DEP_2)
	v_mov_b32_e32 v131, v137
	scratch_store_b64 off, v[130:131], off offset:368
.LBB62_165:
	s_wait_xcnt 0x0
	s_or_b32 exec_lo, exec_lo, s2
	scratch_load_b64 v[130:131], off, off offset:360
	v_cmp_lt_u32_e64 s1, 45, v0
	s_wait_loadcnt 0x0
	ds_store_b64 v1, v[130:131]
	s_wait_storecnt_dscnt 0x0
	s_barrier_signal -1
	s_barrier_wait -1
	s_wait_xcnt 0x0
	s_and_saveexec_b32 s2, s1
	s_cbranch_execz .LBB62_175
; %bb.166:
	s_and_not1_b32 vcc_lo, exec_lo, s3
	s_cbranch_vccnz .LBB62_168
; %bb.167:
	scratch_load_b64 v[130:131], v55, off
	ds_load_b64 v[132:133], v1
	s_wait_loadcnt_dscnt 0x0
	v_pk_mul_f32 v[134:135], v[132:133], v[130:131] op_sel:[1,1] op_sel_hi:[0,1]
	s_delay_alu instid0(VALU_DEP_1) | instskip(SKIP_1) | instid1(VALU_DEP_2)
	v_pk_fma_f32 v[136:137], v[132:133], v[130:131], v[134:135] op_sel_hi:[1,0,1]
	v_pk_fma_f32 v[130:131], v[132:133], v[130:131], v[134:135] neg_lo:[0,0,1] neg_hi:[0,0,1]
	v_mov_b32_e32 v131, v137
	s_cbranch_execz .LBB62_169
	s_branch .LBB62_170
.LBB62_168:
                                        ; implicit-def: $vgpr130_vgpr131
.LBB62_169:
	ds_load_b64 v[130:131], v1
.LBB62_170:
	s_and_saveexec_b32 s29, s0
	s_cbranch_execz .LBB62_174
; %bb.171:
	v_subrev_nc_u32_e32 v132, 46, v0
	s_movk_i32 s30, 0x370
	s_mov_b32 s0, 0
.LBB62_172:                             ; =>This Inner Loop Header: Depth=1
	scratch_load_b64 v[134:135], off, s28
	v_dual_mov_b32 v133, s30 :: v_dual_add_nc_u32 v132, -1, v132
	s_add_co_i32 s30, s30, 8
	s_wait_xcnt 0x0
	s_add_co_i32 s28, s28, 8
	ds_load_b64 v[136:137], v133
	v_cmp_eq_u32_e32 vcc_lo, 0, v132
	s_or_b32 s0, vcc_lo, s0
	s_wait_loadcnt_dscnt 0x0
	v_pk_mul_f32 v[138:139], v[136:137], v[134:135] op_sel:[1,1] op_sel_hi:[0,1]
	s_delay_alu instid0(VALU_DEP_1) | instskip(SKIP_1) | instid1(VALU_DEP_2)
	v_pk_fma_f32 v[140:141], v[136:137], v[134:135], v[138:139] op_sel_hi:[1,0,1]
	v_pk_fma_f32 v[134:135], v[136:137], v[134:135], v[138:139] neg_lo:[0,0,1] neg_hi:[0,0,1]
	v_mov_b32_e32 v135, v141
	s_delay_alu instid0(VALU_DEP_1)
	v_pk_add_f32 v[130:131], v[130:131], v[134:135]
	s_and_not1_b32 exec_lo, exec_lo, s0
	s_cbranch_execnz .LBB62_172
; %bb.173:
	s_or_b32 exec_lo, exec_lo, s0
.LBB62_174:
	s_delay_alu instid0(SALU_CYCLE_1) | instskip(SKIP_4) | instid1(VALU_DEP_1)
	s_or_b32 exec_lo, exec_lo, s29
	v_mov_b32_e32 v132, 0
	ds_load_b64 v[132:133], v132 offset:360
	s_wait_dscnt 0x0
	v_pk_mul_f32 v[134:135], v[130:131], v[132:133] op_sel:[1,1] op_sel_hi:[0,1]
	v_pk_fma_f32 v[136:137], v[130:131], v[132:133], v[134:135] op_sel_hi:[1,0,1]
	v_pk_fma_f32 v[130:131], v[130:131], v[132:133], v[134:135] neg_lo:[0,0,1] neg_hi:[0,0,1]
	s_delay_alu instid0(VALU_DEP_2)
	v_mov_b32_e32 v131, v137
	scratch_store_b64 off, v[130:131], off offset:360
.LBB62_175:
	s_wait_xcnt 0x0
	s_or_b32 exec_lo, exec_lo, s2
	scratch_load_b64 v[130:131], off, off offset:352
	v_cmp_lt_u32_e64 s0, 44, v0
	s_wait_loadcnt 0x0
	ds_store_b64 v1, v[130:131]
	s_wait_storecnt_dscnt 0x0
	s_barrier_signal -1
	s_barrier_wait -1
	s_wait_xcnt 0x0
	s_and_saveexec_b32 s2, s0
	s_cbranch_execz .LBB62_185
; %bb.176:
	s_and_not1_b32 vcc_lo, exec_lo, s3
	s_cbranch_vccnz .LBB62_178
; %bb.177:
	scratch_load_b64 v[130:131], v55, off
	ds_load_b64 v[132:133], v1
	s_wait_loadcnt_dscnt 0x0
	v_pk_mul_f32 v[134:135], v[132:133], v[130:131] op_sel:[1,1] op_sel_hi:[0,1]
	s_delay_alu instid0(VALU_DEP_1) | instskip(SKIP_1) | instid1(VALU_DEP_2)
	v_pk_fma_f32 v[136:137], v[132:133], v[130:131], v[134:135] op_sel_hi:[1,0,1]
	v_pk_fma_f32 v[130:131], v[132:133], v[130:131], v[134:135] neg_lo:[0,0,1] neg_hi:[0,0,1]
	v_mov_b32_e32 v131, v137
	s_cbranch_execz .LBB62_179
	s_branch .LBB62_180
.LBB62_178:
                                        ; implicit-def: $vgpr130_vgpr131
.LBB62_179:
	ds_load_b64 v[130:131], v1
.LBB62_180:
	s_and_saveexec_b32 s28, s1
	s_cbranch_execz .LBB62_184
; %bb.181:
	v_subrev_nc_u32_e32 v132, 45, v0
	s_movk_i32 s1, 0x168
	s_movk_i32 s30, 0x368
	s_mov_b32 s29, 0
.LBB62_182:                             ; =>This Inner Loop Header: Depth=1
	scratch_load_b64 v[134:135], off, s1
	v_dual_mov_b32 v133, s30 :: v_dual_add_nc_u32 v132, -1, v132
	s_add_co_i32 s30, s30, 8
	s_wait_xcnt 0x0
	s_add_co_i32 s1, s1, 8
	ds_load_b64 v[136:137], v133
	v_cmp_eq_u32_e32 vcc_lo, 0, v132
	s_or_b32 s29, vcc_lo, s29
	s_wait_loadcnt_dscnt 0x0
	v_pk_mul_f32 v[138:139], v[136:137], v[134:135] op_sel:[1,1] op_sel_hi:[0,1]
	s_delay_alu instid0(VALU_DEP_1) | instskip(SKIP_1) | instid1(VALU_DEP_2)
	v_pk_fma_f32 v[140:141], v[136:137], v[134:135], v[138:139] op_sel_hi:[1,0,1]
	v_pk_fma_f32 v[134:135], v[136:137], v[134:135], v[138:139] neg_lo:[0,0,1] neg_hi:[0,0,1]
	v_mov_b32_e32 v135, v141
	s_delay_alu instid0(VALU_DEP_1)
	v_pk_add_f32 v[130:131], v[130:131], v[134:135]
	s_and_not1_b32 exec_lo, exec_lo, s29
	s_cbranch_execnz .LBB62_182
; %bb.183:
	s_or_b32 exec_lo, exec_lo, s29
.LBB62_184:
	s_delay_alu instid0(SALU_CYCLE_1) | instskip(SKIP_4) | instid1(VALU_DEP_1)
	s_or_b32 exec_lo, exec_lo, s28
	v_mov_b32_e32 v132, 0
	ds_load_b64 v[132:133], v132 offset:352
	s_wait_dscnt 0x0
	v_pk_mul_f32 v[134:135], v[130:131], v[132:133] op_sel:[1,1] op_sel_hi:[0,1]
	v_pk_fma_f32 v[136:137], v[130:131], v[132:133], v[134:135] op_sel_hi:[1,0,1]
	v_pk_fma_f32 v[130:131], v[130:131], v[132:133], v[134:135] neg_lo:[0,0,1] neg_hi:[0,0,1]
	s_delay_alu instid0(VALU_DEP_2)
	v_mov_b32_e32 v131, v137
	scratch_store_b64 off, v[130:131], off offset:352
.LBB62_185:
	s_wait_xcnt 0x0
	s_or_b32 exec_lo, exec_lo, s2
	scratch_load_b64 v[130:131], off, off offset:344
	v_cmp_lt_u32_e64 s1, 43, v0
	s_wait_loadcnt 0x0
	ds_store_b64 v1, v[130:131]
	s_wait_storecnt_dscnt 0x0
	s_barrier_signal -1
	s_barrier_wait -1
	s_wait_xcnt 0x0
	s_and_saveexec_b32 s2, s1
	s_cbranch_execz .LBB62_195
; %bb.186:
	s_and_not1_b32 vcc_lo, exec_lo, s3
	s_cbranch_vccnz .LBB62_188
; %bb.187:
	scratch_load_b64 v[130:131], v55, off
	ds_load_b64 v[132:133], v1
	s_wait_loadcnt_dscnt 0x0
	v_pk_mul_f32 v[134:135], v[132:133], v[130:131] op_sel:[1,1] op_sel_hi:[0,1]
	s_delay_alu instid0(VALU_DEP_1) | instskip(SKIP_1) | instid1(VALU_DEP_2)
	v_pk_fma_f32 v[136:137], v[132:133], v[130:131], v[134:135] op_sel_hi:[1,0,1]
	v_pk_fma_f32 v[130:131], v[132:133], v[130:131], v[134:135] neg_lo:[0,0,1] neg_hi:[0,0,1]
	v_mov_b32_e32 v131, v137
	s_cbranch_execz .LBB62_189
	s_branch .LBB62_190
.LBB62_188:
                                        ; implicit-def: $vgpr130_vgpr131
.LBB62_189:
	ds_load_b64 v[130:131], v1
.LBB62_190:
	s_and_saveexec_b32 s28, s0
	s_cbranch_execz .LBB62_194
; %bb.191:
	v_subrev_nc_u32_e32 v132, 44, v0
	s_movk_i32 s29, 0x360
	s_mov_b32 s0, 0
.LBB62_192:                             ; =>This Inner Loop Header: Depth=1
	scratch_load_b64 v[134:135], off, s27
	v_dual_mov_b32 v133, s29 :: v_dual_add_nc_u32 v132, -1, v132
	s_add_co_i32 s29, s29, 8
	s_wait_xcnt 0x0
	s_add_co_i32 s27, s27, 8
	ds_load_b64 v[136:137], v133
	v_cmp_eq_u32_e32 vcc_lo, 0, v132
	s_or_b32 s0, vcc_lo, s0
	s_wait_loadcnt_dscnt 0x0
	v_pk_mul_f32 v[138:139], v[136:137], v[134:135] op_sel:[1,1] op_sel_hi:[0,1]
	s_delay_alu instid0(VALU_DEP_1) | instskip(SKIP_1) | instid1(VALU_DEP_2)
	v_pk_fma_f32 v[140:141], v[136:137], v[134:135], v[138:139] op_sel_hi:[1,0,1]
	v_pk_fma_f32 v[134:135], v[136:137], v[134:135], v[138:139] neg_lo:[0,0,1] neg_hi:[0,0,1]
	v_mov_b32_e32 v135, v141
	s_delay_alu instid0(VALU_DEP_1)
	v_pk_add_f32 v[130:131], v[130:131], v[134:135]
	s_and_not1_b32 exec_lo, exec_lo, s0
	s_cbranch_execnz .LBB62_192
; %bb.193:
	s_or_b32 exec_lo, exec_lo, s0
.LBB62_194:
	s_delay_alu instid0(SALU_CYCLE_1) | instskip(SKIP_4) | instid1(VALU_DEP_1)
	s_or_b32 exec_lo, exec_lo, s28
	v_mov_b32_e32 v132, 0
	ds_load_b64 v[132:133], v132 offset:344
	s_wait_dscnt 0x0
	v_pk_mul_f32 v[134:135], v[130:131], v[132:133] op_sel:[1,1] op_sel_hi:[0,1]
	v_pk_fma_f32 v[136:137], v[130:131], v[132:133], v[134:135] op_sel_hi:[1,0,1]
	v_pk_fma_f32 v[130:131], v[130:131], v[132:133], v[134:135] neg_lo:[0,0,1] neg_hi:[0,0,1]
	s_delay_alu instid0(VALU_DEP_2)
	v_mov_b32_e32 v131, v137
	scratch_store_b64 off, v[130:131], off offset:344
.LBB62_195:
	s_wait_xcnt 0x0
	s_or_b32 exec_lo, exec_lo, s2
	scratch_load_b64 v[130:131], off, off offset:336
	v_cmp_lt_u32_e64 s0, 42, v0
	s_wait_loadcnt 0x0
	ds_store_b64 v1, v[130:131]
	s_wait_storecnt_dscnt 0x0
	s_barrier_signal -1
	s_barrier_wait -1
	s_wait_xcnt 0x0
	s_and_saveexec_b32 s2, s0
	s_cbranch_execz .LBB62_205
; %bb.196:
	s_and_not1_b32 vcc_lo, exec_lo, s3
	s_cbranch_vccnz .LBB62_198
; %bb.197:
	scratch_load_b64 v[130:131], v55, off
	ds_load_b64 v[132:133], v1
	s_wait_loadcnt_dscnt 0x0
	v_pk_mul_f32 v[134:135], v[132:133], v[130:131] op_sel:[1,1] op_sel_hi:[0,1]
	s_delay_alu instid0(VALU_DEP_1) | instskip(SKIP_1) | instid1(VALU_DEP_2)
	v_pk_fma_f32 v[136:137], v[132:133], v[130:131], v[134:135] op_sel_hi:[1,0,1]
	v_pk_fma_f32 v[130:131], v[132:133], v[130:131], v[134:135] neg_lo:[0,0,1] neg_hi:[0,0,1]
	v_mov_b32_e32 v131, v137
	s_cbranch_execz .LBB62_199
	s_branch .LBB62_200
.LBB62_198:
                                        ; implicit-def: $vgpr130_vgpr131
.LBB62_199:
	ds_load_b64 v[130:131], v1
.LBB62_200:
	s_and_saveexec_b32 s27, s1
	s_cbranch_execz .LBB62_204
; %bb.201:
	v_subrev_nc_u32_e32 v132, 43, v0
	s_movk_i32 s1, 0x158
	s_movk_i32 s29, 0x358
	s_mov_b32 s28, 0
.LBB62_202:                             ; =>This Inner Loop Header: Depth=1
	scratch_load_b64 v[134:135], off, s1
	v_dual_mov_b32 v133, s29 :: v_dual_add_nc_u32 v132, -1, v132
	s_add_co_i32 s29, s29, 8
	s_wait_xcnt 0x0
	s_add_co_i32 s1, s1, 8
	ds_load_b64 v[136:137], v133
	v_cmp_eq_u32_e32 vcc_lo, 0, v132
	s_or_b32 s28, vcc_lo, s28
	s_wait_loadcnt_dscnt 0x0
	v_pk_mul_f32 v[138:139], v[136:137], v[134:135] op_sel:[1,1] op_sel_hi:[0,1]
	s_delay_alu instid0(VALU_DEP_1) | instskip(SKIP_1) | instid1(VALU_DEP_2)
	v_pk_fma_f32 v[140:141], v[136:137], v[134:135], v[138:139] op_sel_hi:[1,0,1]
	v_pk_fma_f32 v[134:135], v[136:137], v[134:135], v[138:139] neg_lo:[0,0,1] neg_hi:[0,0,1]
	v_mov_b32_e32 v135, v141
	s_delay_alu instid0(VALU_DEP_1)
	v_pk_add_f32 v[130:131], v[130:131], v[134:135]
	s_and_not1_b32 exec_lo, exec_lo, s28
	s_cbranch_execnz .LBB62_202
; %bb.203:
	s_or_b32 exec_lo, exec_lo, s28
.LBB62_204:
	s_delay_alu instid0(SALU_CYCLE_1) | instskip(SKIP_4) | instid1(VALU_DEP_1)
	s_or_b32 exec_lo, exec_lo, s27
	v_mov_b32_e32 v132, 0
	ds_load_b64 v[132:133], v132 offset:336
	s_wait_dscnt 0x0
	v_pk_mul_f32 v[134:135], v[130:131], v[132:133] op_sel:[1,1] op_sel_hi:[0,1]
	v_pk_fma_f32 v[136:137], v[130:131], v[132:133], v[134:135] op_sel_hi:[1,0,1]
	v_pk_fma_f32 v[130:131], v[130:131], v[132:133], v[134:135] neg_lo:[0,0,1] neg_hi:[0,0,1]
	s_delay_alu instid0(VALU_DEP_2)
	v_mov_b32_e32 v131, v137
	scratch_store_b64 off, v[130:131], off offset:336
.LBB62_205:
	s_wait_xcnt 0x0
	s_or_b32 exec_lo, exec_lo, s2
	scratch_load_b64 v[130:131], off, off offset:328
	v_cmp_lt_u32_e64 s1, 41, v0
	s_wait_loadcnt 0x0
	ds_store_b64 v1, v[130:131]
	s_wait_storecnt_dscnt 0x0
	s_barrier_signal -1
	s_barrier_wait -1
	s_wait_xcnt 0x0
	s_and_saveexec_b32 s2, s1
	s_cbranch_execz .LBB62_215
; %bb.206:
	s_and_not1_b32 vcc_lo, exec_lo, s3
	s_cbranch_vccnz .LBB62_208
; %bb.207:
	scratch_load_b64 v[130:131], v55, off
	ds_load_b64 v[132:133], v1
	s_wait_loadcnt_dscnt 0x0
	v_pk_mul_f32 v[134:135], v[132:133], v[130:131] op_sel:[1,1] op_sel_hi:[0,1]
	s_delay_alu instid0(VALU_DEP_1) | instskip(SKIP_1) | instid1(VALU_DEP_2)
	v_pk_fma_f32 v[136:137], v[132:133], v[130:131], v[134:135] op_sel_hi:[1,0,1]
	v_pk_fma_f32 v[130:131], v[132:133], v[130:131], v[134:135] neg_lo:[0,0,1] neg_hi:[0,0,1]
	v_mov_b32_e32 v131, v137
	s_cbranch_execz .LBB62_209
	s_branch .LBB62_210
.LBB62_208:
                                        ; implicit-def: $vgpr130_vgpr131
.LBB62_209:
	ds_load_b64 v[130:131], v1
.LBB62_210:
	s_and_saveexec_b32 s27, s0
	s_cbranch_execz .LBB62_214
; %bb.211:
	v_subrev_nc_u32_e32 v132, 42, v0
	s_movk_i32 s28, 0x350
	s_mov_b32 s0, 0
.LBB62_212:                             ; =>This Inner Loop Header: Depth=1
	scratch_load_b64 v[134:135], off, s26
	v_dual_mov_b32 v133, s28 :: v_dual_add_nc_u32 v132, -1, v132
	s_add_co_i32 s28, s28, 8
	s_wait_xcnt 0x0
	s_add_co_i32 s26, s26, 8
	ds_load_b64 v[136:137], v133
	v_cmp_eq_u32_e32 vcc_lo, 0, v132
	s_or_b32 s0, vcc_lo, s0
	s_wait_loadcnt_dscnt 0x0
	v_pk_mul_f32 v[138:139], v[136:137], v[134:135] op_sel:[1,1] op_sel_hi:[0,1]
	s_delay_alu instid0(VALU_DEP_1) | instskip(SKIP_1) | instid1(VALU_DEP_2)
	v_pk_fma_f32 v[140:141], v[136:137], v[134:135], v[138:139] op_sel_hi:[1,0,1]
	v_pk_fma_f32 v[134:135], v[136:137], v[134:135], v[138:139] neg_lo:[0,0,1] neg_hi:[0,0,1]
	v_mov_b32_e32 v135, v141
	s_delay_alu instid0(VALU_DEP_1)
	v_pk_add_f32 v[130:131], v[130:131], v[134:135]
	s_and_not1_b32 exec_lo, exec_lo, s0
	s_cbranch_execnz .LBB62_212
; %bb.213:
	s_or_b32 exec_lo, exec_lo, s0
.LBB62_214:
	s_delay_alu instid0(SALU_CYCLE_1) | instskip(SKIP_4) | instid1(VALU_DEP_1)
	s_or_b32 exec_lo, exec_lo, s27
	v_mov_b32_e32 v132, 0
	ds_load_b64 v[132:133], v132 offset:328
	s_wait_dscnt 0x0
	v_pk_mul_f32 v[134:135], v[130:131], v[132:133] op_sel:[1,1] op_sel_hi:[0,1]
	v_pk_fma_f32 v[136:137], v[130:131], v[132:133], v[134:135] op_sel_hi:[1,0,1]
	v_pk_fma_f32 v[130:131], v[130:131], v[132:133], v[134:135] neg_lo:[0,0,1] neg_hi:[0,0,1]
	s_delay_alu instid0(VALU_DEP_2)
	v_mov_b32_e32 v131, v137
	scratch_store_b64 off, v[130:131], off offset:328
.LBB62_215:
	s_wait_xcnt 0x0
	s_or_b32 exec_lo, exec_lo, s2
	scratch_load_b64 v[130:131], off, off offset:320
	v_cmp_lt_u32_e64 s0, 40, v0
	s_wait_loadcnt 0x0
	ds_store_b64 v1, v[130:131]
	s_wait_storecnt_dscnt 0x0
	s_barrier_signal -1
	s_barrier_wait -1
	s_wait_xcnt 0x0
	s_and_saveexec_b32 s2, s0
	s_cbranch_execz .LBB62_225
; %bb.216:
	s_and_not1_b32 vcc_lo, exec_lo, s3
	s_cbranch_vccnz .LBB62_218
; %bb.217:
	scratch_load_b64 v[130:131], v55, off
	ds_load_b64 v[132:133], v1
	s_wait_loadcnt_dscnt 0x0
	v_pk_mul_f32 v[134:135], v[132:133], v[130:131] op_sel:[1,1] op_sel_hi:[0,1]
	s_delay_alu instid0(VALU_DEP_1) | instskip(SKIP_1) | instid1(VALU_DEP_2)
	v_pk_fma_f32 v[136:137], v[132:133], v[130:131], v[134:135] op_sel_hi:[1,0,1]
	v_pk_fma_f32 v[130:131], v[132:133], v[130:131], v[134:135] neg_lo:[0,0,1] neg_hi:[0,0,1]
	v_mov_b32_e32 v131, v137
	s_cbranch_execz .LBB62_219
	s_branch .LBB62_220
.LBB62_218:
                                        ; implicit-def: $vgpr130_vgpr131
.LBB62_219:
	ds_load_b64 v[130:131], v1
.LBB62_220:
	s_and_saveexec_b32 s26, s1
	s_cbranch_execz .LBB62_224
; %bb.221:
	v_subrev_nc_u32_e32 v132, 41, v0
	s_movk_i32 s1, 0x148
	s_movk_i32 s28, 0x348
	s_mov_b32 s27, 0
.LBB62_222:                             ; =>This Inner Loop Header: Depth=1
	scratch_load_b64 v[134:135], off, s1
	v_dual_mov_b32 v133, s28 :: v_dual_add_nc_u32 v132, -1, v132
	s_add_co_i32 s28, s28, 8
	s_wait_xcnt 0x0
	s_add_co_i32 s1, s1, 8
	ds_load_b64 v[136:137], v133
	v_cmp_eq_u32_e32 vcc_lo, 0, v132
	s_or_b32 s27, vcc_lo, s27
	s_wait_loadcnt_dscnt 0x0
	v_pk_mul_f32 v[138:139], v[136:137], v[134:135] op_sel:[1,1] op_sel_hi:[0,1]
	s_delay_alu instid0(VALU_DEP_1) | instskip(SKIP_1) | instid1(VALU_DEP_2)
	v_pk_fma_f32 v[140:141], v[136:137], v[134:135], v[138:139] op_sel_hi:[1,0,1]
	v_pk_fma_f32 v[134:135], v[136:137], v[134:135], v[138:139] neg_lo:[0,0,1] neg_hi:[0,0,1]
	v_mov_b32_e32 v135, v141
	s_delay_alu instid0(VALU_DEP_1)
	v_pk_add_f32 v[130:131], v[130:131], v[134:135]
	s_and_not1_b32 exec_lo, exec_lo, s27
	s_cbranch_execnz .LBB62_222
; %bb.223:
	s_or_b32 exec_lo, exec_lo, s27
.LBB62_224:
	s_delay_alu instid0(SALU_CYCLE_1) | instskip(SKIP_4) | instid1(VALU_DEP_1)
	s_or_b32 exec_lo, exec_lo, s26
	v_mov_b32_e32 v132, 0
	ds_load_b64 v[132:133], v132 offset:320
	s_wait_dscnt 0x0
	v_pk_mul_f32 v[134:135], v[130:131], v[132:133] op_sel:[1,1] op_sel_hi:[0,1]
	v_pk_fma_f32 v[136:137], v[130:131], v[132:133], v[134:135] op_sel_hi:[1,0,1]
	v_pk_fma_f32 v[130:131], v[130:131], v[132:133], v[134:135] neg_lo:[0,0,1] neg_hi:[0,0,1]
	s_delay_alu instid0(VALU_DEP_2)
	v_mov_b32_e32 v131, v137
	scratch_store_b64 off, v[130:131], off offset:320
.LBB62_225:
	s_wait_xcnt 0x0
	s_or_b32 exec_lo, exec_lo, s2
	scratch_load_b64 v[130:131], off, off offset:312
	v_cmp_lt_u32_e64 s1, 39, v0
	s_wait_loadcnt 0x0
	ds_store_b64 v1, v[130:131]
	s_wait_storecnt_dscnt 0x0
	s_barrier_signal -1
	s_barrier_wait -1
	s_wait_xcnt 0x0
	s_and_saveexec_b32 s2, s1
	s_cbranch_execz .LBB62_235
; %bb.226:
	s_and_not1_b32 vcc_lo, exec_lo, s3
	s_cbranch_vccnz .LBB62_228
; %bb.227:
	scratch_load_b64 v[130:131], v55, off
	ds_load_b64 v[132:133], v1
	s_wait_loadcnt_dscnt 0x0
	v_pk_mul_f32 v[134:135], v[132:133], v[130:131] op_sel:[1,1] op_sel_hi:[0,1]
	s_delay_alu instid0(VALU_DEP_1) | instskip(SKIP_1) | instid1(VALU_DEP_2)
	v_pk_fma_f32 v[136:137], v[132:133], v[130:131], v[134:135] op_sel_hi:[1,0,1]
	v_pk_fma_f32 v[130:131], v[132:133], v[130:131], v[134:135] neg_lo:[0,0,1] neg_hi:[0,0,1]
	v_mov_b32_e32 v131, v137
	s_cbranch_execz .LBB62_229
	s_branch .LBB62_230
.LBB62_228:
                                        ; implicit-def: $vgpr130_vgpr131
.LBB62_229:
	ds_load_b64 v[130:131], v1
.LBB62_230:
	s_and_saveexec_b32 s26, s0
	s_cbranch_execz .LBB62_234
; %bb.231:
	v_subrev_nc_u32_e32 v132, 40, v0
	s_movk_i32 s27, 0x340
	s_mov_b32 s0, 0
.LBB62_232:                             ; =>This Inner Loop Header: Depth=1
	scratch_load_b64 v[134:135], off, s25
	v_dual_mov_b32 v133, s27 :: v_dual_add_nc_u32 v132, -1, v132
	s_add_co_i32 s27, s27, 8
	s_wait_xcnt 0x0
	s_add_co_i32 s25, s25, 8
	ds_load_b64 v[136:137], v133
	v_cmp_eq_u32_e32 vcc_lo, 0, v132
	s_or_b32 s0, vcc_lo, s0
	s_wait_loadcnt_dscnt 0x0
	v_pk_mul_f32 v[138:139], v[136:137], v[134:135] op_sel:[1,1] op_sel_hi:[0,1]
	s_delay_alu instid0(VALU_DEP_1) | instskip(SKIP_1) | instid1(VALU_DEP_2)
	v_pk_fma_f32 v[140:141], v[136:137], v[134:135], v[138:139] op_sel_hi:[1,0,1]
	v_pk_fma_f32 v[134:135], v[136:137], v[134:135], v[138:139] neg_lo:[0,0,1] neg_hi:[0,0,1]
	v_mov_b32_e32 v135, v141
	s_delay_alu instid0(VALU_DEP_1)
	v_pk_add_f32 v[130:131], v[130:131], v[134:135]
	s_and_not1_b32 exec_lo, exec_lo, s0
	s_cbranch_execnz .LBB62_232
; %bb.233:
	s_or_b32 exec_lo, exec_lo, s0
.LBB62_234:
	s_delay_alu instid0(SALU_CYCLE_1) | instskip(SKIP_4) | instid1(VALU_DEP_1)
	s_or_b32 exec_lo, exec_lo, s26
	v_mov_b32_e32 v132, 0
	ds_load_b64 v[132:133], v132 offset:312
	s_wait_dscnt 0x0
	v_pk_mul_f32 v[134:135], v[130:131], v[132:133] op_sel:[1,1] op_sel_hi:[0,1]
	v_pk_fma_f32 v[136:137], v[130:131], v[132:133], v[134:135] op_sel_hi:[1,0,1]
	v_pk_fma_f32 v[130:131], v[130:131], v[132:133], v[134:135] neg_lo:[0,0,1] neg_hi:[0,0,1]
	s_delay_alu instid0(VALU_DEP_2)
	v_mov_b32_e32 v131, v137
	scratch_store_b64 off, v[130:131], off offset:312
.LBB62_235:
	s_wait_xcnt 0x0
	s_or_b32 exec_lo, exec_lo, s2
	scratch_load_b64 v[130:131], off, off offset:304
	v_cmp_lt_u32_e64 s0, 38, v0
	s_wait_loadcnt 0x0
	ds_store_b64 v1, v[130:131]
	s_wait_storecnt_dscnt 0x0
	s_barrier_signal -1
	s_barrier_wait -1
	s_wait_xcnt 0x0
	s_and_saveexec_b32 s2, s0
	s_cbranch_execz .LBB62_245
; %bb.236:
	s_and_not1_b32 vcc_lo, exec_lo, s3
	s_cbranch_vccnz .LBB62_238
; %bb.237:
	scratch_load_b64 v[130:131], v55, off
	ds_load_b64 v[132:133], v1
	s_wait_loadcnt_dscnt 0x0
	v_pk_mul_f32 v[134:135], v[132:133], v[130:131] op_sel:[1,1] op_sel_hi:[0,1]
	s_delay_alu instid0(VALU_DEP_1) | instskip(SKIP_1) | instid1(VALU_DEP_2)
	v_pk_fma_f32 v[136:137], v[132:133], v[130:131], v[134:135] op_sel_hi:[1,0,1]
	v_pk_fma_f32 v[130:131], v[132:133], v[130:131], v[134:135] neg_lo:[0,0,1] neg_hi:[0,0,1]
	v_mov_b32_e32 v131, v137
	s_cbranch_execz .LBB62_239
	s_branch .LBB62_240
.LBB62_238:
                                        ; implicit-def: $vgpr130_vgpr131
.LBB62_239:
	ds_load_b64 v[130:131], v1
.LBB62_240:
	s_and_saveexec_b32 s25, s1
	s_cbranch_execz .LBB62_244
; %bb.241:
	v_subrev_nc_u32_e32 v132, 39, v0
	s_movk_i32 s1, 0x138
	s_movk_i32 s27, 0x338
	s_mov_b32 s26, 0
.LBB62_242:                             ; =>This Inner Loop Header: Depth=1
	scratch_load_b64 v[134:135], off, s1
	v_dual_mov_b32 v133, s27 :: v_dual_add_nc_u32 v132, -1, v132
	s_add_co_i32 s27, s27, 8
	s_wait_xcnt 0x0
	s_add_co_i32 s1, s1, 8
	ds_load_b64 v[136:137], v133
	v_cmp_eq_u32_e32 vcc_lo, 0, v132
	s_or_b32 s26, vcc_lo, s26
	s_wait_loadcnt_dscnt 0x0
	v_pk_mul_f32 v[138:139], v[136:137], v[134:135] op_sel:[1,1] op_sel_hi:[0,1]
	s_delay_alu instid0(VALU_DEP_1) | instskip(SKIP_1) | instid1(VALU_DEP_2)
	v_pk_fma_f32 v[140:141], v[136:137], v[134:135], v[138:139] op_sel_hi:[1,0,1]
	v_pk_fma_f32 v[134:135], v[136:137], v[134:135], v[138:139] neg_lo:[0,0,1] neg_hi:[0,0,1]
	v_mov_b32_e32 v135, v141
	s_delay_alu instid0(VALU_DEP_1)
	v_pk_add_f32 v[130:131], v[130:131], v[134:135]
	s_and_not1_b32 exec_lo, exec_lo, s26
	s_cbranch_execnz .LBB62_242
; %bb.243:
	s_or_b32 exec_lo, exec_lo, s26
.LBB62_244:
	s_delay_alu instid0(SALU_CYCLE_1) | instskip(SKIP_4) | instid1(VALU_DEP_1)
	s_or_b32 exec_lo, exec_lo, s25
	v_mov_b32_e32 v132, 0
	ds_load_b64 v[132:133], v132 offset:304
	s_wait_dscnt 0x0
	v_pk_mul_f32 v[134:135], v[130:131], v[132:133] op_sel:[1,1] op_sel_hi:[0,1]
	v_pk_fma_f32 v[136:137], v[130:131], v[132:133], v[134:135] op_sel_hi:[1,0,1]
	v_pk_fma_f32 v[130:131], v[130:131], v[132:133], v[134:135] neg_lo:[0,0,1] neg_hi:[0,0,1]
	s_delay_alu instid0(VALU_DEP_2)
	v_mov_b32_e32 v131, v137
	scratch_store_b64 off, v[130:131], off offset:304
.LBB62_245:
	s_wait_xcnt 0x0
	s_or_b32 exec_lo, exec_lo, s2
	scratch_load_b64 v[130:131], off, off offset:296
	v_cmp_lt_u32_e64 s1, 37, v0
	s_wait_loadcnt 0x0
	ds_store_b64 v1, v[130:131]
	s_wait_storecnt_dscnt 0x0
	s_barrier_signal -1
	s_barrier_wait -1
	s_wait_xcnt 0x0
	s_and_saveexec_b32 s2, s1
	s_cbranch_execz .LBB62_255
; %bb.246:
	s_and_not1_b32 vcc_lo, exec_lo, s3
	s_cbranch_vccnz .LBB62_248
; %bb.247:
	scratch_load_b64 v[130:131], v55, off
	ds_load_b64 v[132:133], v1
	s_wait_loadcnt_dscnt 0x0
	v_pk_mul_f32 v[134:135], v[132:133], v[130:131] op_sel:[1,1] op_sel_hi:[0,1]
	s_delay_alu instid0(VALU_DEP_1) | instskip(SKIP_1) | instid1(VALU_DEP_2)
	v_pk_fma_f32 v[136:137], v[132:133], v[130:131], v[134:135] op_sel_hi:[1,0,1]
	v_pk_fma_f32 v[130:131], v[132:133], v[130:131], v[134:135] neg_lo:[0,0,1] neg_hi:[0,0,1]
	v_mov_b32_e32 v131, v137
	s_cbranch_execz .LBB62_249
	s_branch .LBB62_250
.LBB62_248:
                                        ; implicit-def: $vgpr130_vgpr131
.LBB62_249:
	ds_load_b64 v[130:131], v1
.LBB62_250:
	s_and_saveexec_b32 s25, s0
	s_cbranch_execz .LBB62_254
; %bb.251:
	v_subrev_nc_u32_e32 v132, 38, v0
	s_movk_i32 s26, 0x330
	s_mov_b32 s0, 0
.LBB62_252:                             ; =>This Inner Loop Header: Depth=1
	scratch_load_b64 v[134:135], off, s24
	v_dual_mov_b32 v133, s26 :: v_dual_add_nc_u32 v132, -1, v132
	s_add_co_i32 s26, s26, 8
	s_wait_xcnt 0x0
	s_add_co_i32 s24, s24, 8
	ds_load_b64 v[136:137], v133
	v_cmp_eq_u32_e32 vcc_lo, 0, v132
	s_or_b32 s0, vcc_lo, s0
	s_wait_loadcnt_dscnt 0x0
	v_pk_mul_f32 v[138:139], v[136:137], v[134:135] op_sel:[1,1] op_sel_hi:[0,1]
	s_delay_alu instid0(VALU_DEP_1) | instskip(SKIP_1) | instid1(VALU_DEP_2)
	v_pk_fma_f32 v[140:141], v[136:137], v[134:135], v[138:139] op_sel_hi:[1,0,1]
	v_pk_fma_f32 v[134:135], v[136:137], v[134:135], v[138:139] neg_lo:[0,0,1] neg_hi:[0,0,1]
	v_mov_b32_e32 v135, v141
	s_delay_alu instid0(VALU_DEP_1)
	v_pk_add_f32 v[130:131], v[130:131], v[134:135]
	s_and_not1_b32 exec_lo, exec_lo, s0
	s_cbranch_execnz .LBB62_252
; %bb.253:
	s_or_b32 exec_lo, exec_lo, s0
.LBB62_254:
	s_delay_alu instid0(SALU_CYCLE_1) | instskip(SKIP_4) | instid1(VALU_DEP_1)
	s_or_b32 exec_lo, exec_lo, s25
	v_mov_b32_e32 v132, 0
	ds_load_b64 v[132:133], v132 offset:296
	s_wait_dscnt 0x0
	v_pk_mul_f32 v[134:135], v[130:131], v[132:133] op_sel:[1,1] op_sel_hi:[0,1]
	v_pk_fma_f32 v[136:137], v[130:131], v[132:133], v[134:135] op_sel_hi:[1,0,1]
	v_pk_fma_f32 v[130:131], v[130:131], v[132:133], v[134:135] neg_lo:[0,0,1] neg_hi:[0,0,1]
	s_delay_alu instid0(VALU_DEP_2)
	v_mov_b32_e32 v131, v137
	scratch_store_b64 off, v[130:131], off offset:296
.LBB62_255:
	s_wait_xcnt 0x0
	s_or_b32 exec_lo, exec_lo, s2
	scratch_load_b64 v[130:131], off, off offset:288
	v_cmp_lt_u32_e64 s0, 36, v0
	s_wait_loadcnt 0x0
	ds_store_b64 v1, v[130:131]
	s_wait_storecnt_dscnt 0x0
	s_barrier_signal -1
	s_barrier_wait -1
	s_wait_xcnt 0x0
	s_and_saveexec_b32 s2, s0
	s_cbranch_execz .LBB62_265
; %bb.256:
	s_and_not1_b32 vcc_lo, exec_lo, s3
	s_cbranch_vccnz .LBB62_258
; %bb.257:
	scratch_load_b64 v[130:131], v55, off
	ds_load_b64 v[132:133], v1
	s_wait_loadcnt_dscnt 0x0
	v_pk_mul_f32 v[134:135], v[132:133], v[130:131] op_sel:[1,1] op_sel_hi:[0,1]
	s_delay_alu instid0(VALU_DEP_1) | instskip(SKIP_1) | instid1(VALU_DEP_2)
	v_pk_fma_f32 v[136:137], v[132:133], v[130:131], v[134:135] op_sel_hi:[1,0,1]
	v_pk_fma_f32 v[130:131], v[132:133], v[130:131], v[134:135] neg_lo:[0,0,1] neg_hi:[0,0,1]
	v_mov_b32_e32 v131, v137
	s_cbranch_execz .LBB62_259
	s_branch .LBB62_260
.LBB62_258:
                                        ; implicit-def: $vgpr130_vgpr131
.LBB62_259:
	ds_load_b64 v[130:131], v1
.LBB62_260:
	s_and_saveexec_b32 s24, s1
	s_cbranch_execz .LBB62_264
; %bb.261:
	v_subrev_nc_u32_e32 v132, 37, v0
	s_movk_i32 s1, 0x128
	s_movk_i32 s26, 0x328
	s_mov_b32 s25, 0
.LBB62_262:                             ; =>This Inner Loop Header: Depth=1
	scratch_load_b64 v[134:135], off, s1
	v_dual_mov_b32 v133, s26 :: v_dual_add_nc_u32 v132, -1, v132
	s_add_co_i32 s26, s26, 8
	s_wait_xcnt 0x0
	s_add_co_i32 s1, s1, 8
	ds_load_b64 v[136:137], v133
	v_cmp_eq_u32_e32 vcc_lo, 0, v132
	s_or_b32 s25, vcc_lo, s25
	s_wait_loadcnt_dscnt 0x0
	v_pk_mul_f32 v[138:139], v[136:137], v[134:135] op_sel:[1,1] op_sel_hi:[0,1]
	s_delay_alu instid0(VALU_DEP_1) | instskip(SKIP_1) | instid1(VALU_DEP_2)
	v_pk_fma_f32 v[140:141], v[136:137], v[134:135], v[138:139] op_sel_hi:[1,0,1]
	v_pk_fma_f32 v[134:135], v[136:137], v[134:135], v[138:139] neg_lo:[0,0,1] neg_hi:[0,0,1]
	v_mov_b32_e32 v135, v141
	s_delay_alu instid0(VALU_DEP_1)
	v_pk_add_f32 v[130:131], v[130:131], v[134:135]
	s_and_not1_b32 exec_lo, exec_lo, s25
	s_cbranch_execnz .LBB62_262
; %bb.263:
	s_or_b32 exec_lo, exec_lo, s25
.LBB62_264:
	s_delay_alu instid0(SALU_CYCLE_1) | instskip(SKIP_4) | instid1(VALU_DEP_1)
	s_or_b32 exec_lo, exec_lo, s24
	v_mov_b32_e32 v132, 0
	ds_load_b64 v[132:133], v132 offset:288
	s_wait_dscnt 0x0
	v_pk_mul_f32 v[134:135], v[130:131], v[132:133] op_sel:[1,1] op_sel_hi:[0,1]
	v_pk_fma_f32 v[136:137], v[130:131], v[132:133], v[134:135] op_sel_hi:[1,0,1]
	v_pk_fma_f32 v[130:131], v[130:131], v[132:133], v[134:135] neg_lo:[0,0,1] neg_hi:[0,0,1]
	s_delay_alu instid0(VALU_DEP_2)
	v_mov_b32_e32 v131, v137
	scratch_store_b64 off, v[130:131], off offset:288
.LBB62_265:
	s_wait_xcnt 0x0
	s_or_b32 exec_lo, exec_lo, s2
	scratch_load_b64 v[130:131], off, off offset:280
	v_cmp_lt_u32_e64 s1, 35, v0
	s_wait_loadcnt 0x0
	ds_store_b64 v1, v[130:131]
	s_wait_storecnt_dscnt 0x0
	s_barrier_signal -1
	s_barrier_wait -1
	s_wait_xcnt 0x0
	s_and_saveexec_b32 s2, s1
	s_cbranch_execz .LBB62_275
; %bb.266:
	s_and_not1_b32 vcc_lo, exec_lo, s3
	s_cbranch_vccnz .LBB62_268
; %bb.267:
	scratch_load_b64 v[130:131], v55, off
	ds_load_b64 v[132:133], v1
	s_wait_loadcnt_dscnt 0x0
	v_pk_mul_f32 v[134:135], v[132:133], v[130:131] op_sel:[1,1] op_sel_hi:[0,1]
	s_delay_alu instid0(VALU_DEP_1) | instskip(SKIP_1) | instid1(VALU_DEP_2)
	v_pk_fma_f32 v[136:137], v[132:133], v[130:131], v[134:135] op_sel_hi:[1,0,1]
	v_pk_fma_f32 v[130:131], v[132:133], v[130:131], v[134:135] neg_lo:[0,0,1] neg_hi:[0,0,1]
	v_mov_b32_e32 v131, v137
	s_cbranch_execz .LBB62_269
	s_branch .LBB62_270
.LBB62_268:
                                        ; implicit-def: $vgpr130_vgpr131
.LBB62_269:
	ds_load_b64 v[130:131], v1
.LBB62_270:
	s_and_saveexec_b32 s24, s0
	s_cbranch_execz .LBB62_274
; %bb.271:
	v_subrev_nc_u32_e32 v132, 36, v0
	s_movk_i32 s25, 0x320
	s_mov_b32 s0, 0
.LBB62_272:                             ; =>This Inner Loop Header: Depth=1
	scratch_load_b64 v[134:135], off, s23
	v_dual_mov_b32 v133, s25 :: v_dual_add_nc_u32 v132, -1, v132
	s_add_co_i32 s25, s25, 8
	s_wait_xcnt 0x0
	s_add_co_i32 s23, s23, 8
	ds_load_b64 v[136:137], v133
	v_cmp_eq_u32_e32 vcc_lo, 0, v132
	s_or_b32 s0, vcc_lo, s0
	s_wait_loadcnt_dscnt 0x0
	v_pk_mul_f32 v[138:139], v[136:137], v[134:135] op_sel:[1,1] op_sel_hi:[0,1]
	s_delay_alu instid0(VALU_DEP_1) | instskip(SKIP_1) | instid1(VALU_DEP_2)
	v_pk_fma_f32 v[140:141], v[136:137], v[134:135], v[138:139] op_sel_hi:[1,0,1]
	v_pk_fma_f32 v[134:135], v[136:137], v[134:135], v[138:139] neg_lo:[0,0,1] neg_hi:[0,0,1]
	v_mov_b32_e32 v135, v141
	s_delay_alu instid0(VALU_DEP_1)
	v_pk_add_f32 v[130:131], v[130:131], v[134:135]
	s_and_not1_b32 exec_lo, exec_lo, s0
	s_cbranch_execnz .LBB62_272
; %bb.273:
	s_or_b32 exec_lo, exec_lo, s0
.LBB62_274:
	s_delay_alu instid0(SALU_CYCLE_1) | instskip(SKIP_4) | instid1(VALU_DEP_1)
	s_or_b32 exec_lo, exec_lo, s24
	v_mov_b32_e32 v132, 0
	ds_load_b64 v[132:133], v132 offset:280
	s_wait_dscnt 0x0
	v_pk_mul_f32 v[134:135], v[130:131], v[132:133] op_sel:[1,1] op_sel_hi:[0,1]
	v_pk_fma_f32 v[136:137], v[130:131], v[132:133], v[134:135] op_sel_hi:[1,0,1]
	v_pk_fma_f32 v[130:131], v[130:131], v[132:133], v[134:135] neg_lo:[0,0,1] neg_hi:[0,0,1]
	s_delay_alu instid0(VALU_DEP_2)
	v_mov_b32_e32 v131, v137
	scratch_store_b64 off, v[130:131], off offset:280
.LBB62_275:
	s_wait_xcnt 0x0
	s_or_b32 exec_lo, exec_lo, s2
	scratch_load_b64 v[130:131], off, off offset:272
	v_cmp_lt_u32_e64 s0, 34, v0
	s_wait_loadcnt 0x0
	ds_store_b64 v1, v[130:131]
	s_wait_storecnt_dscnt 0x0
	s_barrier_signal -1
	s_barrier_wait -1
	s_wait_xcnt 0x0
	s_and_saveexec_b32 s2, s0
	s_cbranch_execz .LBB62_285
; %bb.276:
	s_and_not1_b32 vcc_lo, exec_lo, s3
	s_cbranch_vccnz .LBB62_278
; %bb.277:
	scratch_load_b64 v[130:131], v55, off
	ds_load_b64 v[132:133], v1
	s_wait_loadcnt_dscnt 0x0
	v_pk_mul_f32 v[134:135], v[132:133], v[130:131] op_sel:[1,1] op_sel_hi:[0,1]
	s_delay_alu instid0(VALU_DEP_1) | instskip(SKIP_1) | instid1(VALU_DEP_2)
	v_pk_fma_f32 v[136:137], v[132:133], v[130:131], v[134:135] op_sel_hi:[1,0,1]
	v_pk_fma_f32 v[130:131], v[132:133], v[130:131], v[134:135] neg_lo:[0,0,1] neg_hi:[0,0,1]
	v_mov_b32_e32 v131, v137
	s_cbranch_execz .LBB62_279
	s_branch .LBB62_280
.LBB62_278:
                                        ; implicit-def: $vgpr130_vgpr131
.LBB62_279:
	ds_load_b64 v[130:131], v1
.LBB62_280:
	s_and_saveexec_b32 s23, s1
	s_cbranch_execz .LBB62_284
; %bb.281:
	v_subrev_nc_u32_e32 v132, 35, v0
	s_movk_i32 s1, 0x118
	s_movk_i32 s25, 0x318
	s_mov_b32 s24, 0
.LBB62_282:                             ; =>This Inner Loop Header: Depth=1
	scratch_load_b64 v[134:135], off, s1
	v_dual_mov_b32 v133, s25 :: v_dual_add_nc_u32 v132, -1, v132
	s_add_co_i32 s25, s25, 8
	s_wait_xcnt 0x0
	s_add_co_i32 s1, s1, 8
	ds_load_b64 v[136:137], v133
	v_cmp_eq_u32_e32 vcc_lo, 0, v132
	s_or_b32 s24, vcc_lo, s24
	s_wait_loadcnt_dscnt 0x0
	v_pk_mul_f32 v[138:139], v[136:137], v[134:135] op_sel:[1,1] op_sel_hi:[0,1]
	s_delay_alu instid0(VALU_DEP_1) | instskip(SKIP_1) | instid1(VALU_DEP_2)
	v_pk_fma_f32 v[140:141], v[136:137], v[134:135], v[138:139] op_sel_hi:[1,0,1]
	v_pk_fma_f32 v[134:135], v[136:137], v[134:135], v[138:139] neg_lo:[0,0,1] neg_hi:[0,0,1]
	v_mov_b32_e32 v135, v141
	s_delay_alu instid0(VALU_DEP_1)
	v_pk_add_f32 v[130:131], v[130:131], v[134:135]
	s_and_not1_b32 exec_lo, exec_lo, s24
	s_cbranch_execnz .LBB62_282
; %bb.283:
	s_or_b32 exec_lo, exec_lo, s24
.LBB62_284:
	s_delay_alu instid0(SALU_CYCLE_1) | instskip(SKIP_4) | instid1(VALU_DEP_1)
	s_or_b32 exec_lo, exec_lo, s23
	v_mov_b32_e32 v132, 0
	ds_load_b64 v[132:133], v132 offset:272
	s_wait_dscnt 0x0
	v_pk_mul_f32 v[134:135], v[130:131], v[132:133] op_sel:[1,1] op_sel_hi:[0,1]
	v_pk_fma_f32 v[136:137], v[130:131], v[132:133], v[134:135] op_sel_hi:[1,0,1]
	v_pk_fma_f32 v[130:131], v[130:131], v[132:133], v[134:135] neg_lo:[0,0,1] neg_hi:[0,0,1]
	s_delay_alu instid0(VALU_DEP_2)
	v_mov_b32_e32 v131, v137
	scratch_store_b64 off, v[130:131], off offset:272
.LBB62_285:
	s_wait_xcnt 0x0
	s_or_b32 exec_lo, exec_lo, s2
	scratch_load_b64 v[130:131], off, off offset:264
	v_cmp_lt_u32_e64 s1, 33, v0
	s_wait_loadcnt 0x0
	ds_store_b64 v1, v[130:131]
	s_wait_storecnt_dscnt 0x0
	s_barrier_signal -1
	s_barrier_wait -1
	s_wait_xcnt 0x0
	s_and_saveexec_b32 s2, s1
	s_cbranch_execz .LBB62_295
; %bb.286:
	s_and_not1_b32 vcc_lo, exec_lo, s3
	s_cbranch_vccnz .LBB62_288
; %bb.287:
	scratch_load_b64 v[130:131], v55, off
	ds_load_b64 v[132:133], v1
	s_wait_loadcnt_dscnt 0x0
	v_pk_mul_f32 v[134:135], v[132:133], v[130:131] op_sel:[1,1] op_sel_hi:[0,1]
	s_delay_alu instid0(VALU_DEP_1) | instskip(SKIP_1) | instid1(VALU_DEP_2)
	v_pk_fma_f32 v[136:137], v[132:133], v[130:131], v[134:135] op_sel_hi:[1,0,1]
	v_pk_fma_f32 v[130:131], v[132:133], v[130:131], v[134:135] neg_lo:[0,0,1] neg_hi:[0,0,1]
	v_mov_b32_e32 v131, v137
	s_cbranch_execz .LBB62_289
	s_branch .LBB62_290
.LBB62_288:
                                        ; implicit-def: $vgpr130_vgpr131
.LBB62_289:
	ds_load_b64 v[130:131], v1
.LBB62_290:
	s_and_saveexec_b32 s23, s0
	s_cbranch_execz .LBB62_294
; %bb.291:
	v_subrev_nc_u32_e32 v132, 34, v0
	s_movk_i32 s24, 0x310
	s_mov_b32 s0, 0
.LBB62_292:                             ; =>This Inner Loop Header: Depth=1
	scratch_load_b64 v[134:135], off, s22
	v_dual_mov_b32 v133, s24 :: v_dual_add_nc_u32 v132, -1, v132
	s_add_co_i32 s24, s24, 8
	s_wait_xcnt 0x0
	s_add_co_i32 s22, s22, 8
	ds_load_b64 v[136:137], v133
	v_cmp_eq_u32_e32 vcc_lo, 0, v132
	s_or_b32 s0, vcc_lo, s0
	s_wait_loadcnt_dscnt 0x0
	v_pk_mul_f32 v[138:139], v[136:137], v[134:135] op_sel:[1,1] op_sel_hi:[0,1]
	s_delay_alu instid0(VALU_DEP_1) | instskip(SKIP_1) | instid1(VALU_DEP_2)
	v_pk_fma_f32 v[140:141], v[136:137], v[134:135], v[138:139] op_sel_hi:[1,0,1]
	v_pk_fma_f32 v[134:135], v[136:137], v[134:135], v[138:139] neg_lo:[0,0,1] neg_hi:[0,0,1]
	v_mov_b32_e32 v135, v141
	s_delay_alu instid0(VALU_DEP_1)
	v_pk_add_f32 v[130:131], v[130:131], v[134:135]
	s_and_not1_b32 exec_lo, exec_lo, s0
	s_cbranch_execnz .LBB62_292
; %bb.293:
	s_or_b32 exec_lo, exec_lo, s0
.LBB62_294:
	s_delay_alu instid0(SALU_CYCLE_1) | instskip(SKIP_4) | instid1(VALU_DEP_1)
	s_or_b32 exec_lo, exec_lo, s23
	v_mov_b32_e32 v132, 0
	ds_load_b64 v[132:133], v132 offset:264
	s_wait_dscnt 0x0
	v_pk_mul_f32 v[134:135], v[130:131], v[132:133] op_sel:[1,1] op_sel_hi:[0,1]
	v_pk_fma_f32 v[136:137], v[130:131], v[132:133], v[134:135] op_sel_hi:[1,0,1]
	v_pk_fma_f32 v[130:131], v[130:131], v[132:133], v[134:135] neg_lo:[0,0,1] neg_hi:[0,0,1]
	s_delay_alu instid0(VALU_DEP_2)
	v_mov_b32_e32 v131, v137
	scratch_store_b64 off, v[130:131], off offset:264
.LBB62_295:
	s_wait_xcnt 0x0
	s_or_b32 exec_lo, exec_lo, s2
	scratch_load_b64 v[130:131], off, off offset:256
	v_cmp_lt_u32_e64 s0, 32, v0
	s_wait_loadcnt 0x0
	ds_store_b64 v1, v[130:131]
	s_wait_storecnt_dscnt 0x0
	s_barrier_signal -1
	s_barrier_wait -1
	s_wait_xcnt 0x0
	s_and_saveexec_b32 s2, s0
	s_cbranch_execz .LBB62_305
; %bb.296:
	s_and_not1_b32 vcc_lo, exec_lo, s3
	s_cbranch_vccnz .LBB62_298
; %bb.297:
	scratch_load_b64 v[130:131], v55, off
	ds_load_b64 v[132:133], v1
	s_wait_loadcnt_dscnt 0x0
	v_pk_mul_f32 v[134:135], v[132:133], v[130:131] op_sel:[1,1] op_sel_hi:[0,1]
	s_delay_alu instid0(VALU_DEP_1) | instskip(SKIP_1) | instid1(VALU_DEP_2)
	v_pk_fma_f32 v[136:137], v[132:133], v[130:131], v[134:135] op_sel_hi:[1,0,1]
	v_pk_fma_f32 v[130:131], v[132:133], v[130:131], v[134:135] neg_lo:[0,0,1] neg_hi:[0,0,1]
	v_mov_b32_e32 v131, v137
	s_cbranch_execz .LBB62_299
	s_branch .LBB62_300
.LBB62_298:
                                        ; implicit-def: $vgpr130_vgpr131
.LBB62_299:
	ds_load_b64 v[130:131], v1
.LBB62_300:
	s_and_saveexec_b32 s22, s1
	s_cbranch_execz .LBB62_304
; %bb.301:
	v_subrev_nc_u32_e32 v132, 33, v0
	s_movk_i32 s1, 0x108
	s_movk_i32 s24, 0x308
	s_mov_b32 s23, 0
.LBB62_302:                             ; =>This Inner Loop Header: Depth=1
	scratch_load_b64 v[134:135], off, s1
	v_dual_mov_b32 v133, s24 :: v_dual_add_nc_u32 v132, -1, v132
	s_add_co_i32 s24, s24, 8
	s_wait_xcnt 0x0
	s_add_co_i32 s1, s1, 8
	ds_load_b64 v[136:137], v133
	v_cmp_eq_u32_e32 vcc_lo, 0, v132
	s_or_b32 s23, vcc_lo, s23
	s_wait_loadcnt_dscnt 0x0
	v_pk_mul_f32 v[138:139], v[136:137], v[134:135] op_sel:[1,1] op_sel_hi:[0,1]
	s_delay_alu instid0(VALU_DEP_1) | instskip(SKIP_1) | instid1(VALU_DEP_2)
	v_pk_fma_f32 v[140:141], v[136:137], v[134:135], v[138:139] op_sel_hi:[1,0,1]
	v_pk_fma_f32 v[134:135], v[136:137], v[134:135], v[138:139] neg_lo:[0,0,1] neg_hi:[0,0,1]
	v_mov_b32_e32 v135, v141
	s_delay_alu instid0(VALU_DEP_1)
	v_pk_add_f32 v[130:131], v[130:131], v[134:135]
	s_and_not1_b32 exec_lo, exec_lo, s23
	s_cbranch_execnz .LBB62_302
; %bb.303:
	s_or_b32 exec_lo, exec_lo, s23
.LBB62_304:
	s_delay_alu instid0(SALU_CYCLE_1) | instskip(SKIP_4) | instid1(VALU_DEP_1)
	s_or_b32 exec_lo, exec_lo, s22
	v_mov_b32_e32 v132, 0
	ds_load_b64 v[132:133], v132 offset:256
	s_wait_dscnt 0x0
	v_pk_mul_f32 v[134:135], v[130:131], v[132:133] op_sel:[1,1] op_sel_hi:[0,1]
	v_pk_fma_f32 v[136:137], v[130:131], v[132:133], v[134:135] op_sel_hi:[1,0,1]
	v_pk_fma_f32 v[130:131], v[130:131], v[132:133], v[134:135] neg_lo:[0,0,1] neg_hi:[0,0,1]
	s_delay_alu instid0(VALU_DEP_2)
	v_mov_b32_e32 v131, v137
	scratch_store_b64 off, v[130:131], off offset:256
.LBB62_305:
	s_wait_xcnt 0x0
	s_or_b32 exec_lo, exec_lo, s2
	scratch_load_b64 v[130:131], off, off offset:248
	v_cmp_lt_u32_e64 s1, 31, v0
	s_wait_loadcnt 0x0
	ds_store_b64 v1, v[130:131]
	s_wait_storecnt_dscnt 0x0
	s_barrier_signal -1
	s_barrier_wait -1
	s_wait_xcnt 0x0
	s_and_saveexec_b32 s2, s1
	s_cbranch_execz .LBB62_315
; %bb.306:
	s_and_not1_b32 vcc_lo, exec_lo, s3
	s_cbranch_vccnz .LBB62_308
; %bb.307:
	scratch_load_b64 v[130:131], v55, off
	ds_load_b64 v[132:133], v1
	s_wait_loadcnt_dscnt 0x0
	v_pk_mul_f32 v[134:135], v[132:133], v[130:131] op_sel:[1,1] op_sel_hi:[0,1]
	s_delay_alu instid0(VALU_DEP_1) | instskip(SKIP_1) | instid1(VALU_DEP_2)
	v_pk_fma_f32 v[136:137], v[132:133], v[130:131], v[134:135] op_sel_hi:[1,0,1]
	v_pk_fma_f32 v[130:131], v[132:133], v[130:131], v[134:135] neg_lo:[0,0,1] neg_hi:[0,0,1]
	v_mov_b32_e32 v131, v137
	s_cbranch_execz .LBB62_309
	s_branch .LBB62_310
.LBB62_308:
                                        ; implicit-def: $vgpr130_vgpr131
.LBB62_309:
	ds_load_b64 v[130:131], v1
.LBB62_310:
	s_and_saveexec_b32 s22, s0
	s_cbranch_execz .LBB62_314
; %bb.311:
	v_subrev_nc_u32_e32 v132, 32, v0
	s_movk_i32 s23, 0x300
	s_mov_b32 s0, 0
.LBB62_312:                             ; =>This Inner Loop Header: Depth=1
	scratch_load_b64 v[134:135], off, s21
	v_dual_mov_b32 v133, s23 :: v_dual_add_nc_u32 v132, -1, v132
	s_add_co_i32 s23, s23, 8
	s_wait_xcnt 0x0
	s_add_co_i32 s21, s21, 8
	ds_load_b64 v[136:137], v133
	v_cmp_eq_u32_e32 vcc_lo, 0, v132
	s_or_b32 s0, vcc_lo, s0
	s_wait_loadcnt_dscnt 0x0
	v_pk_mul_f32 v[138:139], v[136:137], v[134:135] op_sel:[1,1] op_sel_hi:[0,1]
	s_delay_alu instid0(VALU_DEP_1) | instskip(SKIP_1) | instid1(VALU_DEP_2)
	v_pk_fma_f32 v[140:141], v[136:137], v[134:135], v[138:139] op_sel_hi:[1,0,1]
	v_pk_fma_f32 v[134:135], v[136:137], v[134:135], v[138:139] neg_lo:[0,0,1] neg_hi:[0,0,1]
	v_mov_b32_e32 v135, v141
	s_delay_alu instid0(VALU_DEP_1)
	v_pk_add_f32 v[130:131], v[130:131], v[134:135]
	s_and_not1_b32 exec_lo, exec_lo, s0
	s_cbranch_execnz .LBB62_312
; %bb.313:
	s_or_b32 exec_lo, exec_lo, s0
.LBB62_314:
	s_delay_alu instid0(SALU_CYCLE_1) | instskip(SKIP_4) | instid1(VALU_DEP_1)
	s_or_b32 exec_lo, exec_lo, s22
	v_mov_b32_e32 v132, 0
	ds_load_b64 v[132:133], v132 offset:248
	s_wait_dscnt 0x0
	v_pk_mul_f32 v[134:135], v[130:131], v[132:133] op_sel:[1,1] op_sel_hi:[0,1]
	v_pk_fma_f32 v[136:137], v[130:131], v[132:133], v[134:135] op_sel_hi:[1,0,1]
	v_pk_fma_f32 v[130:131], v[130:131], v[132:133], v[134:135] neg_lo:[0,0,1] neg_hi:[0,0,1]
	s_delay_alu instid0(VALU_DEP_2)
	v_mov_b32_e32 v131, v137
	scratch_store_b64 off, v[130:131], off offset:248
.LBB62_315:
	s_wait_xcnt 0x0
	s_or_b32 exec_lo, exec_lo, s2
	scratch_load_b64 v[130:131], off, off offset:240
	v_cmp_lt_u32_e64 s0, 30, v0
	s_wait_loadcnt 0x0
	ds_store_b64 v1, v[130:131]
	s_wait_storecnt_dscnt 0x0
	s_barrier_signal -1
	s_barrier_wait -1
	s_wait_xcnt 0x0
	s_and_saveexec_b32 s2, s0
	s_cbranch_execz .LBB62_325
; %bb.316:
	s_and_not1_b32 vcc_lo, exec_lo, s3
	s_cbranch_vccnz .LBB62_318
; %bb.317:
	scratch_load_b64 v[130:131], v55, off
	ds_load_b64 v[132:133], v1
	s_wait_loadcnt_dscnt 0x0
	v_pk_mul_f32 v[134:135], v[132:133], v[130:131] op_sel:[1,1] op_sel_hi:[0,1]
	s_delay_alu instid0(VALU_DEP_1) | instskip(SKIP_1) | instid1(VALU_DEP_2)
	v_pk_fma_f32 v[136:137], v[132:133], v[130:131], v[134:135] op_sel_hi:[1,0,1]
	v_pk_fma_f32 v[130:131], v[132:133], v[130:131], v[134:135] neg_lo:[0,0,1] neg_hi:[0,0,1]
	v_mov_b32_e32 v131, v137
	s_cbranch_execz .LBB62_319
	s_branch .LBB62_320
.LBB62_318:
                                        ; implicit-def: $vgpr130_vgpr131
.LBB62_319:
	ds_load_b64 v[130:131], v1
.LBB62_320:
	s_and_saveexec_b32 s21, s1
	s_cbranch_execz .LBB62_324
; %bb.321:
	v_subrev_nc_u32_e32 v132, 31, v0
	s_movk_i32 s1, 0xf8
	s_movk_i32 s23, 0x2f8
	s_mov_b32 s22, 0
.LBB62_322:                             ; =>This Inner Loop Header: Depth=1
	scratch_load_b64 v[134:135], off, s1
	v_dual_mov_b32 v133, s23 :: v_dual_add_nc_u32 v132, -1, v132
	s_add_co_i32 s23, s23, 8
	s_wait_xcnt 0x0
	s_add_co_i32 s1, s1, 8
	ds_load_b64 v[136:137], v133
	v_cmp_eq_u32_e32 vcc_lo, 0, v132
	s_or_b32 s22, vcc_lo, s22
	s_wait_loadcnt_dscnt 0x0
	v_pk_mul_f32 v[138:139], v[136:137], v[134:135] op_sel:[1,1] op_sel_hi:[0,1]
	s_delay_alu instid0(VALU_DEP_1) | instskip(SKIP_1) | instid1(VALU_DEP_2)
	v_pk_fma_f32 v[140:141], v[136:137], v[134:135], v[138:139] op_sel_hi:[1,0,1]
	v_pk_fma_f32 v[134:135], v[136:137], v[134:135], v[138:139] neg_lo:[0,0,1] neg_hi:[0,0,1]
	v_mov_b32_e32 v135, v141
	s_delay_alu instid0(VALU_DEP_1)
	v_pk_add_f32 v[130:131], v[130:131], v[134:135]
	s_and_not1_b32 exec_lo, exec_lo, s22
	s_cbranch_execnz .LBB62_322
; %bb.323:
	s_or_b32 exec_lo, exec_lo, s22
.LBB62_324:
	s_delay_alu instid0(SALU_CYCLE_1) | instskip(SKIP_4) | instid1(VALU_DEP_1)
	s_or_b32 exec_lo, exec_lo, s21
	v_mov_b32_e32 v132, 0
	ds_load_b64 v[132:133], v132 offset:240
	s_wait_dscnt 0x0
	v_pk_mul_f32 v[134:135], v[130:131], v[132:133] op_sel:[1,1] op_sel_hi:[0,1]
	v_pk_fma_f32 v[136:137], v[130:131], v[132:133], v[134:135] op_sel_hi:[1,0,1]
	v_pk_fma_f32 v[130:131], v[130:131], v[132:133], v[134:135] neg_lo:[0,0,1] neg_hi:[0,0,1]
	s_delay_alu instid0(VALU_DEP_2)
	v_mov_b32_e32 v131, v137
	scratch_store_b64 off, v[130:131], off offset:240
.LBB62_325:
	s_wait_xcnt 0x0
	s_or_b32 exec_lo, exec_lo, s2
	scratch_load_b64 v[130:131], off, off offset:232
	v_cmp_lt_u32_e64 s1, 29, v0
	s_wait_loadcnt 0x0
	ds_store_b64 v1, v[130:131]
	s_wait_storecnt_dscnt 0x0
	s_barrier_signal -1
	s_barrier_wait -1
	s_wait_xcnt 0x0
	s_and_saveexec_b32 s2, s1
	s_cbranch_execz .LBB62_335
; %bb.326:
	s_and_not1_b32 vcc_lo, exec_lo, s3
	s_cbranch_vccnz .LBB62_328
; %bb.327:
	scratch_load_b64 v[130:131], v55, off
	ds_load_b64 v[132:133], v1
	s_wait_loadcnt_dscnt 0x0
	v_pk_mul_f32 v[134:135], v[132:133], v[130:131] op_sel:[1,1] op_sel_hi:[0,1]
	s_delay_alu instid0(VALU_DEP_1) | instskip(SKIP_1) | instid1(VALU_DEP_2)
	v_pk_fma_f32 v[136:137], v[132:133], v[130:131], v[134:135] op_sel_hi:[1,0,1]
	v_pk_fma_f32 v[130:131], v[132:133], v[130:131], v[134:135] neg_lo:[0,0,1] neg_hi:[0,0,1]
	v_mov_b32_e32 v131, v137
	s_cbranch_execz .LBB62_329
	s_branch .LBB62_330
.LBB62_328:
                                        ; implicit-def: $vgpr130_vgpr131
.LBB62_329:
	ds_load_b64 v[130:131], v1
.LBB62_330:
	s_and_saveexec_b32 s21, s0
	s_cbranch_execz .LBB62_334
; %bb.331:
	v_subrev_nc_u32_e32 v132, 30, v0
	s_movk_i32 s22, 0x2f0
	s_mov_b32 s0, 0
.LBB62_332:                             ; =>This Inner Loop Header: Depth=1
	scratch_load_b64 v[134:135], off, s20
	v_dual_mov_b32 v133, s22 :: v_dual_add_nc_u32 v132, -1, v132
	s_add_co_i32 s22, s22, 8
	s_wait_xcnt 0x0
	s_add_co_i32 s20, s20, 8
	ds_load_b64 v[136:137], v133
	v_cmp_eq_u32_e32 vcc_lo, 0, v132
	s_or_b32 s0, vcc_lo, s0
	s_wait_loadcnt_dscnt 0x0
	v_pk_mul_f32 v[138:139], v[136:137], v[134:135] op_sel:[1,1] op_sel_hi:[0,1]
	s_delay_alu instid0(VALU_DEP_1) | instskip(SKIP_1) | instid1(VALU_DEP_2)
	v_pk_fma_f32 v[140:141], v[136:137], v[134:135], v[138:139] op_sel_hi:[1,0,1]
	v_pk_fma_f32 v[134:135], v[136:137], v[134:135], v[138:139] neg_lo:[0,0,1] neg_hi:[0,0,1]
	v_mov_b32_e32 v135, v141
	s_delay_alu instid0(VALU_DEP_1)
	v_pk_add_f32 v[130:131], v[130:131], v[134:135]
	s_and_not1_b32 exec_lo, exec_lo, s0
	s_cbranch_execnz .LBB62_332
; %bb.333:
	s_or_b32 exec_lo, exec_lo, s0
.LBB62_334:
	s_delay_alu instid0(SALU_CYCLE_1) | instskip(SKIP_4) | instid1(VALU_DEP_1)
	s_or_b32 exec_lo, exec_lo, s21
	v_mov_b32_e32 v132, 0
	ds_load_b64 v[132:133], v132 offset:232
	s_wait_dscnt 0x0
	v_pk_mul_f32 v[134:135], v[130:131], v[132:133] op_sel:[1,1] op_sel_hi:[0,1]
	v_pk_fma_f32 v[136:137], v[130:131], v[132:133], v[134:135] op_sel_hi:[1,0,1]
	v_pk_fma_f32 v[130:131], v[130:131], v[132:133], v[134:135] neg_lo:[0,0,1] neg_hi:[0,0,1]
	s_delay_alu instid0(VALU_DEP_2)
	v_mov_b32_e32 v131, v137
	scratch_store_b64 off, v[130:131], off offset:232
.LBB62_335:
	s_wait_xcnt 0x0
	s_or_b32 exec_lo, exec_lo, s2
	scratch_load_b64 v[130:131], off, off offset:224
	v_cmp_lt_u32_e64 s0, 28, v0
	s_wait_loadcnt 0x0
	ds_store_b64 v1, v[130:131]
	s_wait_storecnt_dscnt 0x0
	s_barrier_signal -1
	s_barrier_wait -1
	s_wait_xcnt 0x0
	s_and_saveexec_b32 s2, s0
	s_cbranch_execz .LBB62_345
; %bb.336:
	s_and_not1_b32 vcc_lo, exec_lo, s3
	s_cbranch_vccnz .LBB62_338
; %bb.337:
	scratch_load_b64 v[130:131], v55, off
	ds_load_b64 v[132:133], v1
	s_wait_loadcnt_dscnt 0x0
	v_pk_mul_f32 v[134:135], v[132:133], v[130:131] op_sel:[1,1] op_sel_hi:[0,1]
	s_delay_alu instid0(VALU_DEP_1) | instskip(SKIP_1) | instid1(VALU_DEP_2)
	v_pk_fma_f32 v[136:137], v[132:133], v[130:131], v[134:135] op_sel_hi:[1,0,1]
	v_pk_fma_f32 v[130:131], v[132:133], v[130:131], v[134:135] neg_lo:[0,0,1] neg_hi:[0,0,1]
	v_mov_b32_e32 v131, v137
	s_cbranch_execz .LBB62_339
	s_branch .LBB62_340
.LBB62_338:
                                        ; implicit-def: $vgpr130_vgpr131
.LBB62_339:
	ds_load_b64 v[130:131], v1
.LBB62_340:
	s_and_saveexec_b32 s20, s1
	s_cbranch_execz .LBB62_344
; %bb.341:
	v_subrev_nc_u32_e32 v132, 29, v0
	s_movk_i32 s1, 0xe8
	s_movk_i32 s22, 0x2e8
	s_mov_b32 s21, 0
.LBB62_342:                             ; =>This Inner Loop Header: Depth=1
	scratch_load_b64 v[134:135], off, s1
	v_dual_mov_b32 v133, s22 :: v_dual_add_nc_u32 v132, -1, v132
	s_add_co_i32 s22, s22, 8
	s_wait_xcnt 0x0
	s_add_co_i32 s1, s1, 8
	ds_load_b64 v[136:137], v133
	v_cmp_eq_u32_e32 vcc_lo, 0, v132
	s_or_b32 s21, vcc_lo, s21
	s_wait_loadcnt_dscnt 0x0
	v_pk_mul_f32 v[138:139], v[136:137], v[134:135] op_sel:[1,1] op_sel_hi:[0,1]
	s_delay_alu instid0(VALU_DEP_1) | instskip(SKIP_1) | instid1(VALU_DEP_2)
	v_pk_fma_f32 v[140:141], v[136:137], v[134:135], v[138:139] op_sel_hi:[1,0,1]
	v_pk_fma_f32 v[134:135], v[136:137], v[134:135], v[138:139] neg_lo:[0,0,1] neg_hi:[0,0,1]
	v_mov_b32_e32 v135, v141
	s_delay_alu instid0(VALU_DEP_1)
	v_pk_add_f32 v[130:131], v[130:131], v[134:135]
	s_and_not1_b32 exec_lo, exec_lo, s21
	s_cbranch_execnz .LBB62_342
; %bb.343:
	s_or_b32 exec_lo, exec_lo, s21
.LBB62_344:
	s_delay_alu instid0(SALU_CYCLE_1) | instskip(SKIP_4) | instid1(VALU_DEP_1)
	s_or_b32 exec_lo, exec_lo, s20
	v_mov_b32_e32 v132, 0
	ds_load_b64 v[132:133], v132 offset:224
	s_wait_dscnt 0x0
	v_pk_mul_f32 v[134:135], v[130:131], v[132:133] op_sel:[1,1] op_sel_hi:[0,1]
	v_pk_fma_f32 v[136:137], v[130:131], v[132:133], v[134:135] op_sel_hi:[1,0,1]
	v_pk_fma_f32 v[130:131], v[130:131], v[132:133], v[134:135] neg_lo:[0,0,1] neg_hi:[0,0,1]
	s_delay_alu instid0(VALU_DEP_2)
	v_mov_b32_e32 v131, v137
	scratch_store_b64 off, v[130:131], off offset:224
.LBB62_345:
	s_wait_xcnt 0x0
	s_or_b32 exec_lo, exec_lo, s2
	scratch_load_b64 v[130:131], off, off offset:216
	v_cmp_lt_u32_e64 s1, 27, v0
	s_wait_loadcnt 0x0
	ds_store_b64 v1, v[130:131]
	s_wait_storecnt_dscnt 0x0
	s_barrier_signal -1
	s_barrier_wait -1
	s_wait_xcnt 0x0
	s_and_saveexec_b32 s2, s1
	s_cbranch_execz .LBB62_355
; %bb.346:
	s_and_not1_b32 vcc_lo, exec_lo, s3
	s_cbranch_vccnz .LBB62_348
; %bb.347:
	scratch_load_b64 v[130:131], v55, off
	ds_load_b64 v[132:133], v1
	s_wait_loadcnt_dscnt 0x0
	v_pk_mul_f32 v[134:135], v[132:133], v[130:131] op_sel:[1,1] op_sel_hi:[0,1]
	s_delay_alu instid0(VALU_DEP_1) | instskip(SKIP_1) | instid1(VALU_DEP_2)
	v_pk_fma_f32 v[136:137], v[132:133], v[130:131], v[134:135] op_sel_hi:[1,0,1]
	v_pk_fma_f32 v[130:131], v[132:133], v[130:131], v[134:135] neg_lo:[0,0,1] neg_hi:[0,0,1]
	v_mov_b32_e32 v131, v137
	s_cbranch_execz .LBB62_349
	s_branch .LBB62_350
.LBB62_348:
                                        ; implicit-def: $vgpr130_vgpr131
.LBB62_349:
	ds_load_b64 v[130:131], v1
.LBB62_350:
	s_and_saveexec_b32 s20, s0
	s_cbranch_execz .LBB62_354
; %bb.351:
	v_subrev_nc_u32_e32 v132, 28, v0
	s_movk_i32 s21, 0x2e0
	s_mov_b32 s0, 0
.LBB62_352:                             ; =>This Inner Loop Header: Depth=1
	scratch_load_b64 v[134:135], off, s19
	v_dual_mov_b32 v133, s21 :: v_dual_add_nc_u32 v132, -1, v132
	s_add_co_i32 s21, s21, 8
	s_wait_xcnt 0x0
	s_add_co_i32 s19, s19, 8
	ds_load_b64 v[136:137], v133
	v_cmp_eq_u32_e32 vcc_lo, 0, v132
	s_or_b32 s0, vcc_lo, s0
	s_wait_loadcnt_dscnt 0x0
	v_pk_mul_f32 v[138:139], v[136:137], v[134:135] op_sel:[1,1] op_sel_hi:[0,1]
	s_delay_alu instid0(VALU_DEP_1) | instskip(SKIP_1) | instid1(VALU_DEP_2)
	v_pk_fma_f32 v[140:141], v[136:137], v[134:135], v[138:139] op_sel_hi:[1,0,1]
	v_pk_fma_f32 v[134:135], v[136:137], v[134:135], v[138:139] neg_lo:[0,0,1] neg_hi:[0,0,1]
	v_mov_b32_e32 v135, v141
	s_delay_alu instid0(VALU_DEP_1)
	v_pk_add_f32 v[130:131], v[130:131], v[134:135]
	s_and_not1_b32 exec_lo, exec_lo, s0
	s_cbranch_execnz .LBB62_352
; %bb.353:
	s_or_b32 exec_lo, exec_lo, s0
.LBB62_354:
	s_delay_alu instid0(SALU_CYCLE_1) | instskip(SKIP_4) | instid1(VALU_DEP_1)
	s_or_b32 exec_lo, exec_lo, s20
	v_mov_b32_e32 v132, 0
	ds_load_b64 v[132:133], v132 offset:216
	s_wait_dscnt 0x0
	v_pk_mul_f32 v[134:135], v[130:131], v[132:133] op_sel:[1,1] op_sel_hi:[0,1]
	v_pk_fma_f32 v[136:137], v[130:131], v[132:133], v[134:135] op_sel_hi:[1,0,1]
	v_pk_fma_f32 v[130:131], v[130:131], v[132:133], v[134:135] neg_lo:[0,0,1] neg_hi:[0,0,1]
	s_delay_alu instid0(VALU_DEP_2)
	v_mov_b32_e32 v131, v137
	scratch_store_b64 off, v[130:131], off offset:216
.LBB62_355:
	s_wait_xcnt 0x0
	s_or_b32 exec_lo, exec_lo, s2
	scratch_load_b64 v[130:131], off, off offset:208
	v_cmp_lt_u32_e64 s0, 26, v0
	s_wait_loadcnt 0x0
	ds_store_b64 v1, v[130:131]
	s_wait_storecnt_dscnt 0x0
	s_barrier_signal -1
	s_barrier_wait -1
	s_wait_xcnt 0x0
	s_and_saveexec_b32 s2, s0
	s_cbranch_execz .LBB62_365
; %bb.356:
	s_and_not1_b32 vcc_lo, exec_lo, s3
	s_cbranch_vccnz .LBB62_358
; %bb.357:
	scratch_load_b64 v[130:131], v55, off
	ds_load_b64 v[132:133], v1
	s_wait_loadcnt_dscnt 0x0
	v_pk_mul_f32 v[134:135], v[132:133], v[130:131] op_sel:[1,1] op_sel_hi:[0,1]
	s_delay_alu instid0(VALU_DEP_1) | instskip(SKIP_1) | instid1(VALU_DEP_2)
	v_pk_fma_f32 v[136:137], v[132:133], v[130:131], v[134:135] op_sel_hi:[1,0,1]
	v_pk_fma_f32 v[130:131], v[132:133], v[130:131], v[134:135] neg_lo:[0,0,1] neg_hi:[0,0,1]
	v_mov_b32_e32 v131, v137
	s_cbranch_execz .LBB62_359
	s_branch .LBB62_360
.LBB62_358:
                                        ; implicit-def: $vgpr130_vgpr131
.LBB62_359:
	ds_load_b64 v[130:131], v1
.LBB62_360:
	s_and_saveexec_b32 s19, s1
	s_cbranch_execz .LBB62_364
; %bb.361:
	v_subrev_nc_u32_e32 v132, 27, v0
	s_movk_i32 s1, 0xd8
	s_movk_i32 s21, 0x2d8
	s_mov_b32 s20, 0
.LBB62_362:                             ; =>This Inner Loop Header: Depth=1
	scratch_load_b64 v[134:135], off, s1
	v_dual_mov_b32 v133, s21 :: v_dual_add_nc_u32 v132, -1, v132
	s_add_co_i32 s21, s21, 8
	s_wait_xcnt 0x0
	s_add_co_i32 s1, s1, 8
	ds_load_b64 v[136:137], v133
	v_cmp_eq_u32_e32 vcc_lo, 0, v132
	s_or_b32 s20, vcc_lo, s20
	s_wait_loadcnt_dscnt 0x0
	v_pk_mul_f32 v[138:139], v[136:137], v[134:135] op_sel:[1,1] op_sel_hi:[0,1]
	s_delay_alu instid0(VALU_DEP_1) | instskip(SKIP_1) | instid1(VALU_DEP_2)
	v_pk_fma_f32 v[140:141], v[136:137], v[134:135], v[138:139] op_sel_hi:[1,0,1]
	v_pk_fma_f32 v[134:135], v[136:137], v[134:135], v[138:139] neg_lo:[0,0,1] neg_hi:[0,0,1]
	v_mov_b32_e32 v135, v141
	s_delay_alu instid0(VALU_DEP_1)
	v_pk_add_f32 v[130:131], v[130:131], v[134:135]
	s_and_not1_b32 exec_lo, exec_lo, s20
	s_cbranch_execnz .LBB62_362
; %bb.363:
	s_or_b32 exec_lo, exec_lo, s20
.LBB62_364:
	s_delay_alu instid0(SALU_CYCLE_1) | instskip(SKIP_4) | instid1(VALU_DEP_1)
	s_or_b32 exec_lo, exec_lo, s19
	v_mov_b32_e32 v132, 0
	ds_load_b64 v[132:133], v132 offset:208
	s_wait_dscnt 0x0
	v_pk_mul_f32 v[134:135], v[130:131], v[132:133] op_sel:[1,1] op_sel_hi:[0,1]
	v_pk_fma_f32 v[136:137], v[130:131], v[132:133], v[134:135] op_sel_hi:[1,0,1]
	v_pk_fma_f32 v[130:131], v[130:131], v[132:133], v[134:135] neg_lo:[0,0,1] neg_hi:[0,0,1]
	s_delay_alu instid0(VALU_DEP_2)
	v_mov_b32_e32 v131, v137
	scratch_store_b64 off, v[130:131], off offset:208
.LBB62_365:
	s_wait_xcnt 0x0
	s_or_b32 exec_lo, exec_lo, s2
	scratch_load_b64 v[130:131], off, off offset:200
	v_cmp_lt_u32_e64 s1, 25, v0
	s_wait_loadcnt 0x0
	ds_store_b64 v1, v[130:131]
	s_wait_storecnt_dscnt 0x0
	s_barrier_signal -1
	s_barrier_wait -1
	s_wait_xcnt 0x0
	s_and_saveexec_b32 s2, s1
	s_cbranch_execz .LBB62_375
; %bb.366:
	s_and_not1_b32 vcc_lo, exec_lo, s3
	s_cbranch_vccnz .LBB62_368
; %bb.367:
	scratch_load_b64 v[130:131], v55, off
	ds_load_b64 v[132:133], v1
	s_wait_loadcnt_dscnt 0x0
	v_pk_mul_f32 v[134:135], v[132:133], v[130:131] op_sel:[1,1] op_sel_hi:[0,1]
	s_delay_alu instid0(VALU_DEP_1) | instskip(SKIP_1) | instid1(VALU_DEP_2)
	v_pk_fma_f32 v[136:137], v[132:133], v[130:131], v[134:135] op_sel_hi:[1,0,1]
	v_pk_fma_f32 v[130:131], v[132:133], v[130:131], v[134:135] neg_lo:[0,0,1] neg_hi:[0,0,1]
	v_mov_b32_e32 v131, v137
	s_cbranch_execz .LBB62_369
	s_branch .LBB62_370
.LBB62_368:
                                        ; implicit-def: $vgpr130_vgpr131
.LBB62_369:
	ds_load_b64 v[130:131], v1
.LBB62_370:
	s_and_saveexec_b32 s19, s0
	s_cbranch_execz .LBB62_374
; %bb.371:
	v_subrev_nc_u32_e32 v132, 26, v0
	s_movk_i32 s20, 0x2d0
	s_mov_b32 s0, 0
.LBB62_372:                             ; =>This Inner Loop Header: Depth=1
	scratch_load_b64 v[134:135], off, s18
	v_dual_mov_b32 v133, s20 :: v_dual_add_nc_u32 v132, -1, v132
	s_add_co_i32 s20, s20, 8
	s_wait_xcnt 0x0
	s_add_co_i32 s18, s18, 8
	ds_load_b64 v[136:137], v133
	v_cmp_eq_u32_e32 vcc_lo, 0, v132
	s_or_b32 s0, vcc_lo, s0
	s_wait_loadcnt_dscnt 0x0
	v_pk_mul_f32 v[138:139], v[136:137], v[134:135] op_sel:[1,1] op_sel_hi:[0,1]
	s_delay_alu instid0(VALU_DEP_1) | instskip(SKIP_1) | instid1(VALU_DEP_2)
	v_pk_fma_f32 v[140:141], v[136:137], v[134:135], v[138:139] op_sel_hi:[1,0,1]
	v_pk_fma_f32 v[134:135], v[136:137], v[134:135], v[138:139] neg_lo:[0,0,1] neg_hi:[0,0,1]
	v_mov_b32_e32 v135, v141
	s_delay_alu instid0(VALU_DEP_1)
	v_pk_add_f32 v[130:131], v[130:131], v[134:135]
	s_and_not1_b32 exec_lo, exec_lo, s0
	s_cbranch_execnz .LBB62_372
; %bb.373:
	s_or_b32 exec_lo, exec_lo, s0
.LBB62_374:
	s_delay_alu instid0(SALU_CYCLE_1) | instskip(SKIP_4) | instid1(VALU_DEP_1)
	s_or_b32 exec_lo, exec_lo, s19
	v_mov_b32_e32 v132, 0
	ds_load_b64 v[132:133], v132 offset:200
	s_wait_dscnt 0x0
	v_pk_mul_f32 v[134:135], v[130:131], v[132:133] op_sel:[1,1] op_sel_hi:[0,1]
	v_pk_fma_f32 v[136:137], v[130:131], v[132:133], v[134:135] op_sel_hi:[1,0,1]
	v_pk_fma_f32 v[130:131], v[130:131], v[132:133], v[134:135] neg_lo:[0,0,1] neg_hi:[0,0,1]
	s_delay_alu instid0(VALU_DEP_2)
	v_mov_b32_e32 v131, v137
	scratch_store_b64 off, v[130:131], off offset:200
.LBB62_375:
	s_wait_xcnt 0x0
	s_or_b32 exec_lo, exec_lo, s2
	scratch_load_b64 v[130:131], off, off offset:192
	v_cmp_lt_u32_e64 s0, 24, v0
	s_wait_loadcnt 0x0
	ds_store_b64 v1, v[130:131]
	s_wait_storecnt_dscnt 0x0
	s_barrier_signal -1
	s_barrier_wait -1
	s_wait_xcnt 0x0
	s_and_saveexec_b32 s2, s0
	s_cbranch_execz .LBB62_385
; %bb.376:
	s_and_not1_b32 vcc_lo, exec_lo, s3
	s_cbranch_vccnz .LBB62_378
; %bb.377:
	scratch_load_b64 v[130:131], v55, off
	ds_load_b64 v[132:133], v1
	s_wait_loadcnt_dscnt 0x0
	v_pk_mul_f32 v[134:135], v[132:133], v[130:131] op_sel:[1,1] op_sel_hi:[0,1]
	s_delay_alu instid0(VALU_DEP_1) | instskip(SKIP_1) | instid1(VALU_DEP_2)
	v_pk_fma_f32 v[136:137], v[132:133], v[130:131], v[134:135] op_sel_hi:[1,0,1]
	v_pk_fma_f32 v[130:131], v[132:133], v[130:131], v[134:135] neg_lo:[0,0,1] neg_hi:[0,0,1]
	v_mov_b32_e32 v131, v137
	s_cbranch_execz .LBB62_379
	s_branch .LBB62_380
.LBB62_378:
                                        ; implicit-def: $vgpr130_vgpr131
.LBB62_379:
	ds_load_b64 v[130:131], v1
.LBB62_380:
	s_and_saveexec_b32 s18, s1
	s_cbranch_execz .LBB62_384
; %bb.381:
	v_subrev_nc_u32_e32 v132, 25, v0
	s_movk_i32 s1, 0xc8
	s_movk_i32 s20, 0x2c8
	s_mov_b32 s19, 0
.LBB62_382:                             ; =>This Inner Loop Header: Depth=1
	scratch_load_b64 v[134:135], off, s1
	v_dual_mov_b32 v133, s20 :: v_dual_add_nc_u32 v132, -1, v132
	s_add_co_i32 s20, s20, 8
	s_wait_xcnt 0x0
	s_add_co_i32 s1, s1, 8
	ds_load_b64 v[136:137], v133
	v_cmp_eq_u32_e32 vcc_lo, 0, v132
	s_or_b32 s19, vcc_lo, s19
	s_wait_loadcnt_dscnt 0x0
	v_pk_mul_f32 v[138:139], v[136:137], v[134:135] op_sel:[1,1] op_sel_hi:[0,1]
	s_delay_alu instid0(VALU_DEP_1) | instskip(SKIP_1) | instid1(VALU_DEP_2)
	v_pk_fma_f32 v[140:141], v[136:137], v[134:135], v[138:139] op_sel_hi:[1,0,1]
	v_pk_fma_f32 v[134:135], v[136:137], v[134:135], v[138:139] neg_lo:[0,0,1] neg_hi:[0,0,1]
	v_mov_b32_e32 v135, v141
	s_delay_alu instid0(VALU_DEP_1)
	v_pk_add_f32 v[130:131], v[130:131], v[134:135]
	s_and_not1_b32 exec_lo, exec_lo, s19
	s_cbranch_execnz .LBB62_382
; %bb.383:
	s_or_b32 exec_lo, exec_lo, s19
.LBB62_384:
	s_delay_alu instid0(SALU_CYCLE_1) | instskip(SKIP_4) | instid1(VALU_DEP_1)
	s_or_b32 exec_lo, exec_lo, s18
	v_mov_b32_e32 v132, 0
	ds_load_b64 v[132:133], v132 offset:192
	s_wait_dscnt 0x0
	v_pk_mul_f32 v[134:135], v[130:131], v[132:133] op_sel:[1,1] op_sel_hi:[0,1]
	v_pk_fma_f32 v[136:137], v[130:131], v[132:133], v[134:135] op_sel_hi:[1,0,1]
	v_pk_fma_f32 v[130:131], v[130:131], v[132:133], v[134:135] neg_lo:[0,0,1] neg_hi:[0,0,1]
	s_delay_alu instid0(VALU_DEP_2)
	v_mov_b32_e32 v131, v137
	scratch_store_b64 off, v[130:131], off offset:192
.LBB62_385:
	s_wait_xcnt 0x0
	s_or_b32 exec_lo, exec_lo, s2
	scratch_load_b64 v[130:131], off, off offset:184
	v_cmp_lt_u32_e64 s1, 23, v0
	s_wait_loadcnt 0x0
	ds_store_b64 v1, v[130:131]
	s_wait_storecnt_dscnt 0x0
	s_barrier_signal -1
	s_barrier_wait -1
	s_wait_xcnt 0x0
	s_and_saveexec_b32 s2, s1
	s_cbranch_execz .LBB62_395
; %bb.386:
	s_and_not1_b32 vcc_lo, exec_lo, s3
	s_cbranch_vccnz .LBB62_388
; %bb.387:
	scratch_load_b64 v[130:131], v55, off
	ds_load_b64 v[132:133], v1
	s_wait_loadcnt_dscnt 0x0
	v_pk_mul_f32 v[134:135], v[132:133], v[130:131] op_sel:[1,1] op_sel_hi:[0,1]
	s_delay_alu instid0(VALU_DEP_1) | instskip(SKIP_1) | instid1(VALU_DEP_2)
	v_pk_fma_f32 v[136:137], v[132:133], v[130:131], v[134:135] op_sel_hi:[1,0,1]
	v_pk_fma_f32 v[130:131], v[132:133], v[130:131], v[134:135] neg_lo:[0,0,1] neg_hi:[0,0,1]
	v_mov_b32_e32 v131, v137
	s_cbranch_execz .LBB62_389
	s_branch .LBB62_390
.LBB62_388:
                                        ; implicit-def: $vgpr130_vgpr131
.LBB62_389:
	ds_load_b64 v[130:131], v1
.LBB62_390:
	s_and_saveexec_b32 s18, s0
	s_cbranch_execz .LBB62_394
; %bb.391:
	v_subrev_nc_u32_e32 v132, 24, v0
	s_movk_i32 s19, 0x2c0
	s_mov_b32 s0, 0
.LBB62_392:                             ; =>This Inner Loop Header: Depth=1
	scratch_load_b64 v[134:135], off, s17
	v_dual_mov_b32 v133, s19 :: v_dual_add_nc_u32 v132, -1, v132
	s_add_co_i32 s19, s19, 8
	s_wait_xcnt 0x0
	s_add_co_i32 s17, s17, 8
	ds_load_b64 v[136:137], v133
	v_cmp_eq_u32_e32 vcc_lo, 0, v132
	s_or_b32 s0, vcc_lo, s0
	s_wait_loadcnt_dscnt 0x0
	v_pk_mul_f32 v[138:139], v[136:137], v[134:135] op_sel:[1,1] op_sel_hi:[0,1]
	s_delay_alu instid0(VALU_DEP_1) | instskip(SKIP_1) | instid1(VALU_DEP_2)
	v_pk_fma_f32 v[140:141], v[136:137], v[134:135], v[138:139] op_sel_hi:[1,0,1]
	v_pk_fma_f32 v[134:135], v[136:137], v[134:135], v[138:139] neg_lo:[0,0,1] neg_hi:[0,0,1]
	v_mov_b32_e32 v135, v141
	s_delay_alu instid0(VALU_DEP_1)
	v_pk_add_f32 v[130:131], v[130:131], v[134:135]
	s_and_not1_b32 exec_lo, exec_lo, s0
	s_cbranch_execnz .LBB62_392
; %bb.393:
	s_or_b32 exec_lo, exec_lo, s0
.LBB62_394:
	s_delay_alu instid0(SALU_CYCLE_1) | instskip(SKIP_4) | instid1(VALU_DEP_1)
	s_or_b32 exec_lo, exec_lo, s18
	v_mov_b32_e32 v132, 0
	ds_load_b64 v[132:133], v132 offset:184
	s_wait_dscnt 0x0
	v_pk_mul_f32 v[134:135], v[130:131], v[132:133] op_sel:[1,1] op_sel_hi:[0,1]
	v_pk_fma_f32 v[136:137], v[130:131], v[132:133], v[134:135] op_sel_hi:[1,0,1]
	v_pk_fma_f32 v[130:131], v[130:131], v[132:133], v[134:135] neg_lo:[0,0,1] neg_hi:[0,0,1]
	s_delay_alu instid0(VALU_DEP_2)
	v_mov_b32_e32 v131, v137
	scratch_store_b64 off, v[130:131], off offset:184
.LBB62_395:
	s_wait_xcnt 0x0
	s_or_b32 exec_lo, exec_lo, s2
	scratch_load_b64 v[130:131], off, off offset:176
	v_cmp_lt_u32_e64 s0, 22, v0
	s_wait_loadcnt 0x0
	ds_store_b64 v1, v[130:131]
	s_wait_storecnt_dscnt 0x0
	s_barrier_signal -1
	s_barrier_wait -1
	s_wait_xcnt 0x0
	s_and_saveexec_b32 s2, s0
	s_cbranch_execz .LBB62_405
; %bb.396:
	s_and_not1_b32 vcc_lo, exec_lo, s3
	s_cbranch_vccnz .LBB62_398
; %bb.397:
	scratch_load_b64 v[130:131], v55, off
	ds_load_b64 v[132:133], v1
	s_wait_loadcnt_dscnt 0x0
	v_pk_mul_f32 v[134:135], v[132:133], v[130:131] op_sel:[1,1] op_sel_hi:[0,1]
	s_delay_alu instid0(VALU_DEP_1) | instskip(SKIP_1) | instid1(VALU_DEP_2)
	v_pk_fma_f32 v[136:137], v[132:133], v[130:131], v[134:135] op_sel_hi:[1,0,1]
	v_pk_fma_f32 v[130:131], v[132:133], v[130:131], v[134:135] neg_lo:[0,0,1] neg_hi:[0,0,1]
	v_mov_b32_e32 v131, v137
	s_cbranch_execz .LBB62_399
	s_branch .LBB62_400
.LBB62_398:
                                        ; implicit-def: $vgpr130_vgpr131
.LBB62_399:
	ds_load_b64 v[130:131], v1
.LBB62_400:
	s_and_saveexec_b32 s17, s1
	s_cbranch_execz .LBB62_404
; %bb.401:
	v_subrev_nc_u32_e32 v132, 23, v0
	s_movk_i32 s1, 0xb8
	s_movk_i32 s19, 0x2b8
	s_mov_b32 s18, 0
.LBB62_402:                             ; =>This Inner Loop Header: Depth=1
	scratch_load_b64 v[134:135], off, s1
	v_dual_mov_b32 v133, s19 :: v_dual_add_nc_u32 v132, -1, v132
	s_add_co_i32 s19, s19, 8
	s_wait_xcnt 0x0
	s_add_co_i32 s1, s1, 8
	ds_load_b64 v[136:137], v133
	v_cmp_eq_u32_e32 vcc_lo, 0, v132
	s_or_b32 s18, vcc_lo, s18
	s_wait_loadcnt_dscnt 0x0
	v_pk_mul_f32 v[138:139], v[136:137], v[134:135] op_sel:[1,1] op_sel_hi:[0,1]
	s_delay_alu instid0(VALU_DEP_1) | instskip(SKIP_1) | instid1(VALU_DEP_2)
	v_pk_fma_f32 v[140:141], v[136:137], v[134:135], v[138:139] op_sel_hi:[1,0,1]
	v_pk_fma_f32 v[134:135], v[136:137], v[134:135], v[138:139] neg_lo:[0,0,1] neg_hi:[0,0,1]
	v_mov_b32_e32 v135, v141
	s_delay_alu instid0(VALU_DEP_1)
	v_pk_add_f32 v[130:131], v[130:131], v[134:135]
	s_and_not1_b32 exec_lo, exec_lo, s18
	s_cbranch_execnz .LBB62_402
; %bb.403:
	s_or_b32 exec_lo, exec_lo, s18
.LBB62_404:
	s_delay_alu instid0(SALU_CYCLE_1) | instskip(SKIP_4) | instid1(VALU_DEP_1)
	s_or_b32 exec_lo, exec_lo, s17
	v_mov_b32_e32 v132, 0
	ds_load_b64 v[132:133], v132 offset:176
	s_wait_dscnt 0x0
	v_pk_mul_f32 v[134:135], v[130:131], v[132:133] op_sel:[1,1] op_sel_hi:[0,1]
	v_pk_fma_f32 v[136:137], v[130:131], v[132:133], v[134:135] op_sel_hi:[1,0,1]
	v_pk_fma_f32 v[130:131], v[130:131], v[132:133], v[134:135] neg_lo:[0,0,1] neg_hi:[0,0,1]
	s_delay_alu instid0(VALU_DEP_2)
	v_mov_b32_e32 v131, v137
	scratch_store_b64 off, v[130:131], off offset:176
.LBB62_405:
	s_wait_xcnt 0x0
	s_or_b32 exec_lo, exec_lo, s2
	scratch_load_b64 v[130:131], off, off offset:168
	v_cmp_lt_u32_e64 s1, 21, v0
	s_wait_loadcnt 0x0
	ds_store_b64 v1, v[130:131]
	s_wait_storecnt_dscnt 0x0
	s_barrier_signal -1
	s_barrier_wait -1
	s_wait_xcnt 0x0
	s_and_saveexec_b32 s2, s1
	s_cbranch_execz .LBB62_415
; %bb.406:
	s_and_not1_b32 vcc_lo, exec_lo, s3
	s_cbranch_vccnz .LBB62_408
; %bb.407:
	scratch_load_b64 v[130:131], v55, off
	ds_load_b64 v[132:133], v1
	s_wait_loadcnt_dscnt 0x0
	v_pk_mul_f32 v[134:135], v[132:133], v[130:131] op_sel:[1,1] op_sel_hi:[0,1]
	s_delay_alu instid0(VALU_DEP_1) | instskip(SKIP_1) | instid1(VALU_DEP_2)
	v_pk_fma_f32 v[136:137], v[132:133], v[130:131], v[134:135] op_sel_hi:[1,0,1]
	v_pk_fma_f32 v[130:131], v[132:133], v[130:131], v[134:135] neg_lo:[0,0,1] neg_hi:[0,0,1]
	v_mov_b32_e32 v131, v137
	s_cbranch_execz .LBB62_409
	s_branch .LBB62_410
.LBB62_408:
                                        ; implicit-def: $vgpr130_vgpr131
.LBB62_409:
	ds_load_b64 v[130:131], v1
.LBB62_410:
	s_and_saveexec_b32 s17, s0
	s_cbranch_execz .LBB62_414
; %bb.411:
	v_subrev_nc_u32_e32 v132, 22, v0
	s_movk_i32 s18, 0x2b0
	s_mov_b32 s0, 0
.LBB62_412:                             ; =>This Inner Loop Header: Depth=1
	scratch_load_b64 v[134:135], off, s16
	v_dual_mov_b32 v133, s18 :: v_dual_add_nc_u32 v132, -1, v132
	s_add_co_i32 s18, s18, 8
	s_wait_xcnt 0x0
	s_add_co_i32 s16, s16, 8
	ds_load_b64 v[136:137], v133
	v_cmp_eq_u32_e32 vcc_lo, 0, v132
	s_or_b32 s0, vcc_lo, s0
	s_wait_loadcnt_dscnt 0x0
	v_pk_mul_f32 v[138:139], v[136:137], v[134:135] op_sel:[1,1] op_sel_hi:[0,1]
	s_delay_alu instid0(VALU_DEP_1) | instskip(SKIP_1) | instid1(VALU_DEP_2)
	v_pk_fma_f32 v[140:141], v[136:137], v[134:135], v[138:139] op_sel_hi:[1,0,1]
	v_pk_fma_f32 v[134:135], v[136:137], v[134:135], v[138:139] neg_lo:[0,0,1] neg_hi:[0,0,1]
	v_mov_b32_e32 v135, v141
	s_delay_alu instid0(VALU_DEP_1)
	v_pk_add_f32 v[130:131], v[130:131], v[134:135]
	s_and_not1_b32 exec_lo, exec_lo, s0
	s_cbranch_execnz .LBB62_412
; %bb.413:
	s_or_b32 exec_lo, exec_lo, s0
.LBB62_414:
	s_delay_alu instid0(SALU_CYCLE_1) | instskip(SKIP_4) | instid1(VALU_DEP_1)
	s_or_b32 exec_lo, exec_lo, s17
	v_mov_b32_e32 v132, 0
	ds_load_b64 v[132:133], v132 offset:168
	s_wait_dscnt 0x0
	v_pk_mul_f32 v[134:135], v[130:131], v[132:133] op_sel:[1,1] op_sel_hi:[0,1]
	v_pk_fma_f32 v[136:137], v[130:131], v[132:133], v[134:135] op_sel_hi:[1,0,1]
	v_pk_fma_f32 v[130:131], v[130:131], v[132:133], v[134:135] neg_lo:[0,0,1] neg_hi:[0,0,1]
	s_delay_alu instid0(VALU_DEP_2)
	v_mov_b32_e32 v131, v137
	scratch_store_b64 off, v[130:131], off offset:168
.LBB62_415:
	s_wait_xcnt 0x0
	s_or_b32 exec_lo, exec_lo, s2
	scratch_load_b64 v[130:131], off, off offset:160
	v_cmp_lt_u32_e64 s0, 20, v0
	s_wait_loadcnt 0x0
	ds_store_b64 v1, v[130:131]
	s_wait_storecnt_dscnt 0x0
	s_barrier_signal -1
	s_barrier_wait -1
	s_wait_xcnt 0x0
	s_and_saveexec_b32 s2, s0
	s_cbranch_execz .LBB62_425
; %bb.416:
	s_and_not1_b32 vcc_lo, exec_lo, s3
	s_cbranch_vccnz .LBB62_418
; %bb.417:
	scratch_load_b64 v[130:131], v55, off
	ds_load_b64 v[132:133], v1
	s_wait_loadcnt_dscnt 0x0
	v_pk_mul_f32 v[134:135], v[132:133], v[130:131] op_sel:[1,1] op_sel_hi:[0,1]
	s_delay_alu instid0(VALU_DEP_1) | instskip(SKIP_1) | instid1(VALU_DEP_2)
	v_pk_fma_f32 v[136:137], v[132:133], v[130:131], v[134:135] op_sel_hi:[1,0,1]
	v_pk_fma_f32 v[130:131], v[132:133], v[130:131], v[134:135] neg_lo:[0,0,1] neg_hi:[0,0,1]
	v_mov_b32_e32 v131, v137
	s_cbranch_execz .LBB62_419
	s_branch .LBB62_420
.LBB62_418:
                                        ; implicit-def: $vgpr130_vgpr131
.LBB62_419:
	ds_load_b64 v[130:131], v1
.LBB62_420:
	s_and_saveexec_b32 s16, s1
	s_cbranch_execz .LBB62_424
; %bb.421:
	v_subrev_nc_u32_e32 v132, 21, v0
	s_movk_i32 s1, 0xa8
	s_movk_i32 s18, 0x2a8
	s_mov_b32 s17, 0
.LBB62_422:                             ; =>This Inner Loop Header: Depth=1
	scratch_load_b64 v[134:135], off, s1
	v_dual_mov_b32 v133, s18 :: v_dual_add_nc_u32 v132, -1, v132
	s_add_co_i32 s18, s18, 8
	s_wait_xcnt 0x0
	s_add_co_i32 s1, s1, 8
	ds_load_b64 v[136:137], v133
	v_cmp_eq_u32_e32 vcc_lo, 0, v132
	s_or_b32 s17, vcc_lo, s17
	s_wait_loadcnt_dscnt 0x0
	v_pk_mul_f32 v[138:139], v[136:137], v[134:135] op_sel:[1,1] op_sel_hi:[0,1]
	s_delay_alu instid0(VALU_DEP_1) | instskip(SKIP_1) | instid1(VALU_DEP_2)
	v_pk_fma_f32 v[140:141], v[136:137], v[134:135], v[138:139] op_sel_hi:[1,0,1]
	v_pk_fma_f32 v[134:135], v[136:137], v[134:135], v[138:139] neg_lo:[0,0,1] neg_hi:[0,0,1]
	v_mov_b32_e32 v135, v141
	s_delay_alu instid0(VALU_DEP_1)
	v_pk_add_f32 v[130:131], v[130:131], v[134:135]
	s_and_not1_b32 exec_lo, exec_lo, s17
	s_cbranch_execnz .LBB62_422
; %bb.423:
	s_or_b32 exec_lo, exec_lo, s17
.LBB62_424:
	s_delay_alu instid0(SALU_CYCLE_1) | instskip(SKIP_4) | instid1(VALU_DEP_1)
	s_or_b32 exec_lo, exec_lo, s16
	v_mov_b32_e32 v132, 0
	ds_load_b64 v[132:133], v132 offset:160
	s_wait_dscnt 0x0
	v_pk_mul_f32 v[134:135], v[130:131], v[132:133] op_sel:[1,1] op_sel_hi:[0,1]
	v_pk_fma_f32 v[136:137], v[130:131], v[132:133], v[134:135] op_sel_hi:[1,0,1]
	v_pk_fma_f32 v[130:131], v[130:131], v[132:133], v[134:135] neg_lo:[0,0,1] neg_hi:[0,0,1]
	s_delay_alu instid0(VALU_DEP_2)
	v_mov_b32_e32 v131, v137
	scratch_store_b64 off, v[130:131], off offset:160
.LBB62_425:
	s_wait_xcnt 0x0
	s_or_b32 exec_lo, exec_lo, s2
	scratch_load_b64 v[130:131], off, off offset:152
	v_cmp_lt_u32_e64 s1, 19, v0
	s_wait_loadcnt 0x0
	ds_store_b64 v1, v[130:131]
	s_wait_storecnt_dscnt 0x0
	s_barrier_signal -1
	s_barrier_wait -1
	s_wait_xcnt 0x0
	s_and_saveexec_b32 s2, s1
	s_cbranch_execz .LBB62_435
; %bb.426:
	s_and_not1_b32 vcc_lo, exec_lo, s3
	s_cbranch_vccnz .LBB62_428
; %bb.427:
	scratch_load_b64 v[130:131], v55, off
	ds_load_b64 v[132:133], v1
	s_wait_loadcnt_dscnt 0x0
	v_pk_mul_f32 v[134:135], v[132:133], v[130:131] op_sel:[1,1] op_sel_hi:[0,1]
	s_delay_alu instid0(VALU_DEP_1) | instskip(SKIP_1) | instid1(VALU_DEP_2)
	v_pk_fma_f32 v[136:137], v[132:133], v[130:131], v[134:135] op_sel_hi:[1,0,1]
	v_pk_fma_f32 v[130:131], v[132:133], v[130:131], v[134:135] neg_lo:[0,0,1] neg_hi:[0,0,1]
	v_mov_b32_e32 v131, v137
	s_cbranch_execz .LBB62_429
	s_branch .LBB62_430
.LBB62_428:
                                        ; implicit-def: $vgpr130_vgpr131
.LBB62_429:
	ds_load_b64 v[130:131], v1
.LBB62_430:
	s_and_saveexec_b32 s16, s0
	s_cbranch_execz .LBB62_434
; %bb.431:
	v_subrev_nc_u32_e32 v132, 20, v0
	s_movk_i32 s17, 0x2a0
	s_mov_b32 s0, 0
.LBB62_432:                             ; =>This Inner Loop Header: Depth=1
	scratch_load_b64 v[134:135], off, s15
	v_dual_mov_b32 v133, s17 :: v_dual_add_nc_u32 v132, -1, v132
	s_add_co_i32 s17, s17, 8
	s_wait_xcnt 0x0
	s_add_co_i32 s15, s15, 8
	ds_load_b64 v[136:137], v133
	v_cmp_eq_u32_e32 vcc_lo, 0, v132
	s_or_b32 s0, vcc_lo, s0
	s_wait_loadcnt_dscnt 0x0
	v_pk_mul_f32 v[138:139], v[136:137], v[134:135] op_sel:[1,1] op_sel_hi:[0,1]
	s_delay_alu instid0(VALU_DEP_1) | instskip(SKIP_1) | instid1(VALU_DEP_2)
	v_pk_fma_f32 v[140:141], v[136:137], v[134:135], v[138:139] op_sel_hi:[1,0,1]
	v_pk_fma_f32 v[134:135], v[136:137], v[134:135], v[138:139] neg_lo:[0,0,1] neg_hi:[0,0,1]
	v_mov_b32_e32 v135, v141
	s_delay_alu instid0(VALU_DEP_1)
	v_pk_add_f32 v[130:131], v[130:131], v[134:135]
	s_and_not1_b32 exec_lo, exec_lo, s0
	s_cbranch_execnz .LBB62_432
; %bb.433:
	s_or_b32 exec_lo, exec_lo, s0
.LBB62_434:
	s_delay_alu instid0(SALU_CYCLE_1) | instskip(SKIP_4) | instid1(VALU_DEP_1)
	s_or_b32 exec_lo, exec_lo, s16
	v_mov_b32_e32 v132, 0
	ds_load_b64 v[132:133], v132 offset:152
	s_wait_dscnt 0x0
	v_pk_mul_f32 v[134:135], v[130:131], v[132:133] op_sel:[1,1] op_sel_hi:[0,1]
	v_pk_fma_f32 v[136:137], v[130:131], v[132:133], v[134:135] op_sel_hi:[1,0,1]
	v_pk_fma_f32 v[130:131], v[130:131], v[132:133], v[134:135] neg_lo:[0,0,1] neg_hi:[0,0,1]
	s_delay_alu instid0(VALU_DEP_2)
	v_mov_b32_e32 v131, v137
	scratch_store_b64 off, v[130:131], off offset:152
.LBB62_435:
	s_wait_xcnt 0x0
	s_or_b32 exec_lo, exec_lo, s2
	scratch_load_b64 v[130:131], off, off offset:144
	v_cmp_lt_u32_e64 s0, 18, v0
	s_wait_loadcnt 0x0
	ds_store_b64 v1, v[130:131]
	s_wait_storecnt_dscnt 0x0
	s_barrier_signal -1
	s_barrier_wait -1
	s_wait_xcnt 0x0
	s_and_saveexec_b32 s2, s0
	s_cbranch_execz .LBB62_445
; %bb.436:
	s_and_not1_b32 vcc_lo, exec_lo, s3
	s_cbranch_vccnz .LBB62_438
; %bb.437:
	scratch_load_b64 v[130:131], v55, off
	ds_load_b64 v[132:133], v1
	s_wait_loadcnt_dscnt 0x0
	v_pk_mul_f32 v[134:135], v[132:133], v[130:131] op_sel:[1,1] op_sel_hi:[0,1]
	s_delay_alu instid0(VALU_DEP_1) | instskip(SKIP_1) | instid1(VALU_DEP_2)
	v_pk_fma_f32 v[136:137], v[132:133], v[130:131], v[134:135] op_sel_hi:[1,0,1]
	v_pk_fma_f32 v[130:131], v[132:133], v[130:131], v[134:135] neg_lo:[0,0,1] neg_hi:[0,0,1]
	v_mov_b32_e32 v131, v137
	s_cbranch_execz .LBB62_439
	s_branch .LBB62_440
.LBB62_438:
                                        ; implicit-def: $vgpr130_vgpr131
.LBB62_439:
	ds_load_b64 v[130:131], v1
.LBB62_440:
	s_and_saveexec_b32 s15, s1
	s_cbranch_execz .LBB62_444
; %bb.441:
	v_subrev_nc_u32_e32 v132, 19, v0
	s_movk_i32 s1, 0x98
	s_movk_i32 s17, 0x298
	s_mov_b32 s16, 0
.LBB62_442:                             ; =>This Inner Loop Header: Depth=1
	scratch_load_b64 v[134:135], off, s1
	v_dual_mov_b32 v133, s17 :: v_dual_add_nc_u32 v132, -1, v132
	s_add_co_i32 s17, s17, 8
	s_wait_xcnt 0x0
	s_add_co_i32 s1, s1, 8
	ds_load_b64 v[136:137], v133
	v_cmp_eq_u32_e32 vcc_lo, 0, v132
	s_or_b32 s16, vcc_lo, s16
	s_wait_loadcnt_dscnt 0x0
	v_pk_mul_f32 v[138:139], v[136:137], v[134:135] op_sel:[1,1] op_sel_hi:[0,1]
	s_delay_alu instid0(VALU_DEP_1) | instskip(SKIP_1) | instid1(VALU_DEP_2)
	v_pk_fma_f32 v[140:141], v[136:137], v[134:135], v[138:139] op_sel_hi:[1,0,1]
	v_pk_fma_f32 v[134:135], v[136:137], v[134:135], v[138:139] neg_lo:[0,0,1] neg_hi:[0,0,1]
	v_mov_b32_e32 v135, v141
	s_delay_alu instid0(VALU_DEP_1)
	v_pk_add_f32 v[130:131], v[130:131], v[134:135]
	s_and_not1_b32 exec_lo, exec_lo, s16
	s_cbranch_execnz .LBB62_442
; %bb.443:
	s_or_b32 exec_lo, exec_lo, s16
.LBB62_444:
	s_delay_alu instid0(SALU_CYCLE_1) | instskip(SKIP_4) | instid1(VALU_DEP_1)
	s_or_b32 exec_lo, exec_lo, s15
	v_mov_b32_e32 v132, 0
	ds_load_b64 v[132:133], v132 offset:144
	s_wait_dscnt 0x0
	v_pk_mul_f32 v[134:135], v[130:131], v[132:133] op_sel:[1,1] op_sel_hi:[0,1]
	v_pk_fma_f32 v[136:137], v[130:131], v[132:133], v[134:135] op_sel_hi:[1,0,1]
	v_pk_fma_f32 v[130:131], v[130:131], v[132:133], v[134:135] neg_lo:[0,0,1] neg_hi:[0,0,1]
	s_delay_alu instid0(VALU_DEP_2)
	v_mov_b32_e32 v131, v137
	scratch_store_b64 off, v[130:131], off offset:144
.LBB62_445:
	s_wait_xcnt 0x0
	s_or_b32 exec_lo, exec_lo, s2
	scratch_load_b64 v[130:131], off, off offset:136
	v_cmp_lt_u32_e64 s1, 17, v0
	s_wait_loadcnt 0x0
	ds_store_b64 v1, v[130:131]
	s_wait_storecnt_dscnt 0x0
	s_barrier_signal -1
	s_barrier_wait -1
	s_wait_xcnt 0x0
	s_and_saveexec_b32 s2, s1
	s_cbranch_execz .LBB62_455
; %bb.446:
	s_and_not1_b32 vcc_lo, exec_lo, s3
	s_cbranch_vccnz .LBB62_448
; %bb.447:
	scratch_load_b64 v[130:131], v55, off
	ds_load_b64 v[132:133], v1
	s_wait_loadcnt_dscnt 0x0
	v_pk_mul_f32 v[134:135], v[132:133], v[130:131] op_sel:[1,1] op_sel_hi:[0,1]
	s_delay_alu instid0(VALU_DEP_1) | instskip(SKIP_1) | instid1(VALU_DEP_2)
	v_pk_fma_f32 v[136:137], v[132:133], v[130:131], v[134:135] op_sel_hi:[1,0,1]
	v_pk_fma_f32 v[130:131], v[132:133], v[130:131], v[134:135] neg_lo:[0,0,1] neg_hi:[0,0,1]
	v_mov_b32_e32 v131, v137
	s_cbranch_execz .LBB62_449
	s_branch .LBB62_450
.LBB62_448:
                                        ; implicit-def: $vgpr130_vgpr131
.LBB62_449:
	ds_load_b64 v[130:131], v1
.LBB62_450:
	s_and_saveexec_b32 s15, s0
	s_cbranch_execz .LBB62_454
; %bb.451:
	v_subrev_nc_u32_e32 v132, 18, v0
	s_movk_i32 s16, 0x290
	s_mov_b32 s0, 0
.LBB62_452:                             ; =>This Inner Loop Header: Depth=1
	scratch_load_b64 v[134:135], off, s14
	v_dual_mov_b32 v133, s16 :: v_dual_add_nc_u32 v132, -1, v132
	s_add_co_i32 s16, s16, 8
	s_wait_xcnt 0x0
	s_add_co_i32 s14, s14, 8
	ds_load_b64 v[136:137], v133
	v_cmp_eq_u32_e32 vcc_lo, 0, v132
	s_or_b32 s0, vcc_lo, s0
	s_wait_loadcnt_dscnt 0x0
	v_pk_mul_f32 v[138:139], v[136:137], v[134:135] op_sel:[1,1] op_sel_hi:[0,1]
	s_delay_alu instid0(VALU_DEP_1) | instskip(SKIP_1) | instid1(VALU_DEP_2)
	v_pk_fma_f32 v[140:141], v[136:137], v[134:135], v[138:139] op_sel_hi:[1,0,1]
	v_pk_fma_f32 v[134:135], v[136:137], v[134:135], v[138:139] neg_lo:[0,0,1] neg_hi:[0,0,1]
	v_mov_b32_e32 v135, v141
	s_delay_alu instid0(VALU_DEP_1)
	v_pk_add_f32 v[130:131], v[130:131], v[134:135]
	s_and_not1_b32 exec_lo, exec_lo, s0
	s_cbranch_execnz .LBB62_452
; %bb.453:
	s_or_b32 exec_lo, exec_lo, s0
.LBB62_454:
	s_delay_alu instid0(SALU_CYCLE_1) | instskip(SKIP_4) | instid1(VALU_DEP_1)
	s_or_b32 exec_lo, exec_lo, s15
	v_mov_b32_e32 v132, 0
	ds_load_b64 v[132:133], v132 offset:136
	s_wait_dscnt 0x0
	v_pk_mul_f32 v[134:135], v[130:131], v[132:133] op_sel:[1,1] op_sel_hi:[0,1]
	v_pk_fma_f32 v[136:137], v[130:131], v[132:133], v[134:135] op_sel_hi:[1,0,1]
	v_pk_fma_f32 v[130:131], v[130:131], v[132:133], v[134:135] neg_lo:[0,0,1] neg_hi:[0,0,1]
	s_delay_alu instid0(VALU_DEP_2)
	v_mov_b32_e32 v131, v137
	scratch_store_b64 off, v[130:131], off offset:136
.LBB62_455:
	s_wait_xcnt 0x0
	s_or_b32 exec_lo, exec_lo, s2
	scratch_load_b64 v[130:131], off, off offset:128
	v_cmp_lt_u32_e64 s0, 16, v0
	s_wait_loadcnt 0x0
	ds_store_b64 v1, v[130:131]
	s_wait_storecnt_dscnt 0x0
	s_barrier_signal -1
	s_barrier_wait -1
	s_wait_xcnt 0x0
	s_and_saveexec_b32 s2, s0
	s_cbranch_execz .LBB62_465
; %bb.456:
	s_and_not1_b32 vcc_lo, exec_lo, s3
	s_cbranch_vccnz .LBB62_458
; %bb.457:
	scratch_load_b64 v[130:131], v55, off
	ds_load_b64 v[132:133], v1
	s_wait_loadcnt_dscnt 0x0
	v_pk_mul_f32 v[134:135], v[132:133], v[130:131] op_sel:[1,1] op_sel_hi:[0,1]
	s_delay_alu instid0(VALU_DEP_1) | instskip(SKIP_1) | instid1(VALU_DEP_2)
	v_pk_fma_f32 v[136:137], v[132:133], v[130:131], v[134:135] op_sel_hi:[1,0,1]
	v_pk_fma_f32 v[130:131], v[132:133], v[130:131], v[134:135] neg_lo:[0,0,1] neg_hi:[0,0,1]
	v_mov_b32_e32 v131, v137
	s_cbranch_execz .LBB62_459
	s_branch .LBB62_460
.LBB62_458:
                                        ; implicit-def: $vgpr130_vgpr131
.LBB62_459:
	ds_load_b64 v[130:131], v1
.LBB62_460:
	s_and_saveexec_b32 s14, s1
	s_cbranch_execz .LBB62_464
; %bb.461:
	v_subrev_nc_u32_e32 v132, 17, v0
	s_movk_i32 s1, 0x88
	s_movk_i32 s16, 0x288
	s_mov_b32 s15, 0
.LBB62_462:                             ; =>This Inner Loop Header: Depth=1
	scratch_load_b64 v[134:135], off, s1
	v_dual_mov_b32 v133, s16 :: v_dual_add_nc_u32 v132, -1, v132
	s_add_co_i32 s16, s16, 8
	s_wait_xcnt 0x0
	s_add_co_i32 s1, s1, 8
	ds_load_b64 v[136:137], v133
	v_cmp_eq_u32_e32 vcc_lo, 0, v132
	s_or_b32 s15, vcc_lo, s15
	s_wait_loadcnt_dscnt 0x0
	v_pk_mul_f32 v[138:139], v[136:137], v[134:135] op_sel:[1,1] op_sel_hi:[0,1]
	s_delay_alu instid0(VALU_DEP_1) | instskip(SKIP_1) | instid1(VALU_DEP_2)
	v_pk_fma_f32 v[140:141], v[136:137], v[134:135], v[138:139] op_sel_hi:[1,0,1]
	v_pk_fma_f32 v[134:135], v[136:137], v[134:135], v[138:139] neg_lo:[0,0,1] neg_hi:[0,0,1]
	v_mov_b32_e32 v135, v141
	s_delay_alu instid0(VALU_DEP_1)
	v_pk_add_f32 v[130:131], v[130:131], v[134:135]
	s_and_not1_b32 exec_lo, exec_lo, s15
	s_cbranch_execnz .LBB62_462
; %bb.463:
	s_or_b32 exec_lo, exec_lo, s15
.LBB62_464:
	s_delay_alu instid0(SALU_CYCLE_1) | instskip(SKIP_4) | instid1(VALU_DEP_1)
	s_or_b32 exec_lo, exec_lo, s14
	v_mov_b32_e32 v132, 0
	ds_load_b64 v[132:133], v132 offset:128
	s_wait_dscnt 0x0
	v_pk_mul_f32 v[134:135], v[130:131], v[132:133] op_sel:[1,1] op_sel_hi:[0,1]
	v_pk_fma_f32 v[136:137], v[130:131], v[132:133], v[134:135] op_sel_hi:[1,0,1]
	v_pk_fma_f32 v[130:131], v[130:131], v[132:133], v[134:135] neg_lo:[0,0,1] neg_hi:[0,0,1]
	s_delay_alu instid0(VALU_DEP_2)
	v_mov_b32_e32 v131, v137
	scratch_store_b64 off, v[130:131], off offset:128
.LBB62_465:
	s_wait_xcnt 0x0
	s_or_b32 exec_lo, exec_lo, s2
	scratch_load_b64 v[130:131], off, off offset:120
	v_cmp_lt_u32_e64 s1, 15, v0
	s_wait_loadcnt 0x0
	ds_store_b64 v1, v[130:131]
	s_wait_storecnt_dscnt 0x0
	s_barrier_signal -1
	s_barrier_wait -1
	s_wait_xcnt 0x0
	s_and_saveexec_b32 s2, s1
	s_cbranch_execz .LBB62_475
; %bb.466:
	s_and_not1_b32 vcc_lo, exec_lo, s3
	s_cbranch_vccnz .LBB62_468
; %bb.467:
	scratch_load_b64 v[130:131], v55, off
	ds_load_b64 v[132:133], v1
	s_wait_loadcnt_dscnt 0x0
	v_pk_mul_f32 v[134:135], v[132:133], v[130:131] op_sel:[1,1] op_sel_hi:[0,1]
	s_delay_alu instid0(VALU_DEP_1) | instskip(SKIP_1) | instid1(VALU_DEP_2)
	v_pk_fma_f32 v[136:137], v[132:133], v[130:131], v[134:135] op_sel_hi:[1,0,1]
	v_pk_fma_f32 v[130:131], v[132:133], v[130:131], v[134:135] neg_lo:[0,0,1] neg_hi:[0,0,1]
	v_mov_b32_e32 v131, v137
	s_cbranch_execz .LBB62_469
	s_branch .LBB62_470
.LBB62_468:
                                        ; implicit-def: $vgpr130_vgpr131
.LBB62_469:
	ds_load_b64 v[130:131], v1
.LBB62_470:
	s_and_saveexec_b32 s14, s0
	s_cbranch_execz .LBB62_474
; %bb.471:
	v_add_nc_u32_e32 v132, -16, v0
	s_movk_i32 s15, 0x280
	s_mov_b32 s0, 0
.LBB62_472:                             ; =>This Inner Loop Header: Depth=1
	scratch_load_b64 v[134:135], off, s13
	v_dual_mov_b32 v133, s15 :: v_dual_add_nc_u32 v132, -1, v132
	s_add_co_i32 s15, s15, 8
	s_wait_xcnt 0x0
	s_add_co_i32 s13, s13, 8
	ds_load_b64 v[136:137], v133
	v_cmp_eq_u32_e32 vcc_lo, 0, v132
	s_or_b32 s0, vcc_lo, s0
	s_wait_loadcnt_dscnt 0x0
	v_pk_mul_f32 v[138:139], v[136:137], v[134:135] op_sel:[1,1] op_sel_hi:[0,1]
	s_delay_alu instid0(VALU_DEP_1) | instskip(SKIP_1) | instid1(VALU_DEP_2)
	v_pk_fma_f32 v[140:141], v[136:137], v[134:135], v[138:139] op_sel_hi:[1,0,1]
	v_pk_fma_f32 v[134:135], v[136:137], v[134:135], v[138:139] neg_lo:[0,0,1] neg_hi:[0,0,1]
	v_mov_b32_e32 v135, v141
	s_delay_alu instid0(VALU_DEP_1)
	v_pk_add_f32 v[130:131], v[130:131], v[134:135]
	s_and_not1_b32 exec_lo, exec_lo, s0
	s_cbranch_execnz .LBB62_472
; %bb.473:
	s_or_b32 exec_lo, exec_lo, s0
.LBB62_474:
	s_delay_alu instid0(SALU_CYCLE_1) | instskip(SKIP_4) | instid1(VALU_DEP_1)
	s_or_b32 exec_lo, exec_lo, s14
	v_mov_b32_e32 v132, 0
	ds_load_b64 v[132:133], v132 offset:120
	s_wait_dscnt 0x0
	v_pk_mul_f32 v[134:135], v[130:131], v[132:133] op_sel:[1,1] op_sel_hi:[0,1]
	v_pk_fma_f32 v[136:137], v[130:131], v[132:133], v[134:135] op_sel_hi:[1,0,1]
	v_pk_fma_f32 v[130:131], v[130:131], v[132:133], v[134:135] neg_lo:[0,0,1] neg_hi:[0,0,1]
	s_delay_alu instid0(VALU_DEP_2)
	v_mov_b32_e32 v131, v137
	scratch_store_b64 off, v[130:131], off offset:120
.LBB62_475:
	s_wait_xcnt 0x0
	s_or_b32 exec_lo, exec_lo, s2
	scratch_load_b64 v[130:131], off, off offset:112
	v_cmp_lt_u32_e64 s0, 14, v0
	s_wait_loadcnt 0x0
	ds_store_b64 v1, v[130:131]
	s_wait_storecnt_dscnt 0x0
	s_barrier_signal -1
	s_barrier_wait -1
	s_wait_xcnt 0x0
	s_and_saveexec_b32 s2, s0
	s_cbranch_execz .LBB62_485
; %bb.476:
	s_and_not1_b32 vcc_lo, exec_lo, s3
	s_cbranch_vccnz .LBB62_478
; %bb.477:
	scratch_load_b64 v[130:131], v55, off
	ds_load_b64 v[132:133], v1
	s_wait_loadcnt_dscnt 0x0
	v_pk_mul_f32 v[134:135], v[132:133], v[130:131] op_sel:[1,1] op_sel_hi:[0,1]
	s_delay_alu instid0(VALU_DEP_1) | instskip(SKIP_1) | instid1(VALU_DEP_2)
	v_pk_fma_f32 v[136:137], v[132:133], v[130:131], v[134:135] op_sel_hi:[1,0,1]
	v_pk_fma_f32 v[130:131], v[132:133], v[130:131], v[134:135] neg_lo:[0,0,1] neg_hi:[0,0,1]
	v_mov_b32_e32 v131, v137
	s_cbranch_execz .LBB62_479
	s_branch .LBB62_480
.LBB62_478:
                                        ; implicit-def: $vgpr130_vgpr131
.LBB62_479:
	ds_load_b64 v[130:131], v1
.LBB62_480:
	s_and_saveexec_b32 s13, s1
	s_cbranch_execz .LBB62_484
; %bb.481:
	v_add_nc_u32_e32 v132, -15, v0
	s_movk_i32 s1, 0x78
	s_movk_i32 s15, 0x278
	s_mov_b32 s14, 0
.LBB62_482:                             ; =>This Inner Loop Header: Depth=1
	scratch_load_b64 v[134:135], off, s1
	v_dual_mov_b32 v133, s15 :: v_dual_add_nc_u32 v132, -1, v132
	s_add_co_i32 s15, s15, 8
	s_wait_xcnt 0x0
	s_add_co_i32 s1, s1, 8
	ds_load_b64 v[136:137], v133
	v_cmp_eq_u32_e32 vcc_lo, 0, v132
	s_or_b32 s14, vcc_lo, s14
	s_wait_loadcnt_dscnt 0x0
	v_pk_mul_f32 v[138:139], v[136:137], v[134:135] op_sel:[1,1] op_sel_hi:[0,1]
	s_delay_alu instid0(VALU_DEP_1) | instskip(SKIP_1) | instid1(VALU_DEP_2)
	v_pk_fma_f32 v[140:141], v[136:137], v[134:135], v[138:139] op_sel_hi:[1,0,1]
	v_pk_fma_f32 v[134:135], v[136:137], v[134:135], v[138:139] neg_lo:[0,0,1] neg_hi:[0,0,1]
	v_mov_b32_e32 v135, v141
	s_delay_alu instid0(VALU_DEP_1)
	v_pk_add_f32 v[130:131], v[130:131], v[134:135]
	s_and_not1_b32 exec_lo, exec_lo, s14
	s_cbranch_execnz .LBB62_482
; %bb.483:
	s_or_b32 exec_lo, exec_lo, s14
.LBB62_484:
	s_delay_alu instid0(SALU_CYCLE_1) | instskip(SKIP_4) | instid1(VALU_DEP_1)
	s_or_b32 exec_lo, exec_lo, s13
	v_mov_b32_e32 v132, 0
	ds_load_b64 v[132:133], v132 offset:112
	s_wait_dscnt 0x0
	v_pk_mul_f32 v[134:135], v[130:131], v[132:133] op_sel:[1,1] op_sel_hi:[0,1]
	v_pk_fma_f32 v[136:137], v[130:131], v[132:133], v[134:135] op_sel_hi:[1,0,1]
	v_pk_fma_f32 v[130:131], v[130:131], v[132:133], v[134:135] neg_lo:[0,0,1] neg_hi:[0,0,1]
	s_delay_alu instid0(VALU_DEP_2)
	v_mov_b32_e32 v131, v137
	scratch_store_b64 off, v[130:131], off offset:112
.LBB62_485:
	s_wait_xcnt 0x0
	s_or_b32 exec_lo, exec_lo, s2
	scratch_load_b64 v[130:131], off, off offset:104
	v_cmp_lt_u32_e64 s1, 13, v0
	s_wait_loadcnt 0x0
	ds_store_b64 v1, v[130:131]
	s_wait_storecnt_dscnt 0x0
	s_barrier_signal -1
	s_barrier_wait -1
	s_wait_xcnt 0x0
	s_and_saveexec_b32 s2, s1
	s_cbranch_execz .LBB62_495
; %bb.486:
	s_and_not1_b32 vcc_lo, exec_lo, s3
	s_cbranch_vccnz .LBB62_488
; %bb.487:
	scratch_load_b64 v[130:131], v55, off
	ds_load_b64 v[132:133], v1
	s_wait_loadcnt_dscnt 0x0
	v_pk_mul_f32 v[134:135], v[132:133], v[130:131] op_sel:[1,1] op_sel_hi:[0,1]
	s_delay_alu instid0(VALU_DEP_1) | instskip(SKIP_1) | instid1(VALU_DEP_2)
	v_pk_fma_f32 v[136:137], v[132:133], v[130:131], v[134:135] op_sel_hi:[1,0,1]
	v_pk_fma_f32 v[130:131], v[132:133], v[130:131], v[134:135] neg_lo:[0,0,1] neg_hi:[0,0,1]
	v_mov_b32_e32 v131, v137
	s_cbranch_execz .LBB62_489
	s_branch .LBB62_490
.LBB62_488:
                                        ; implicit-def: $vgpr130_vgpr131
.LBB62_489:
	ds_load_b64 v[130:131], v1
.LBB62_490:
	s_and_saveexec_b32 s13, s0
	s_cbranch_execz .LBB62_494
; %bb.491:
	v_add_nc_u32_e32 v132, -14, v0
	s_movk_i32 s14, 0x270
	s_mov_b32 s0, 0
.LBB62_492:                             ; =>This Inner Loop Header: Depth=1
	scratch_load_b64 v[134:135], off, s12
	v_dual_mov_b32 v133, s14 :: v_dual_add_nc_u32 v132, -1, v132
	s_add_co_i32 s14, s14, 8
	s_wait_xcnt 0x0
	s_add_co_i32 s12, s12, 8
	ds_load_b64 v[136:137], v133
	v_cmp_eq_u32_e32 vcc_lo, 0, v132
	s_or_b32 s0, vcc_lo, s0
	s_wait_loadcnt_dscnt 0x0
	v_pk_mul_f32 v[138:139], v[136:137], v[134:135] op_sel:[1,1] op_sel_hi:[0,1]
	s_delay_alu instid0(VALU_DEP_1) | instskip(SKIP_1) | instid1(VALU_DEP_2)
	v_pk_fma_f32 v[140:141], v[136:137], v[134:135], v[138:139] op_sel_hi:[1,0,1]
	v_pk_fma_f32 v[134:135], v[136:137], v[134:135], v[138:139] neg_lo:[0,0,1] neg_hi:[0,0,1]
	v_mov_b32_e32 v135, v141
	s_delay_alu instid0(VALU_DEP_1)
	v_pk_add_f32 v[130:131], v[130:131], v[134:135]
	s_and_not1_b32 exec_lo, exec_lo, s0
	s_cbranch_execnz .LBB62_492
; %bb.493:
	s_or_b32 exec_lo, exec_lo, s0
.LBB62_494:
	s_delay_alu instid0(SALU_CYCLE_1) | instskip(SKIP_4) | instid1(VALU_DEP_1)
	s_or_b32 exec_lo, exec_lo, s13
	v_mov_b32_e32 v132, 0
	ds_load_b64 v[132:133], v132 offset:104
	s_wait_dscnt 0x0
	v_pk_mul_f32 v[134:135], v[130:131], v[132:133] op_sel:[1,1] op_sel_hi:[0,1]
	v_pk_fma_f32 v[136:137], v[130:131], v[132:133], v[134:135] op_sel_hi:[1,0,1]
	v_pk_fma_f32 v[130:131], v[130:131], v[132:133], v[134:135] neg_lo:[0,0,1] neg_hi:[0,0,1]
	s_delay_alu instid0(VALU_DEP_2)
	v_mov_b32_e32 v131, v137
	scratch_store_b64 off, v[130:131], off offset:104
.LBB62_495:
	s_wait_xcnt 0x0
	s_or_b32 exec_lo, exec_lo, s2
	scratch_load_b64 v[130:131], off, off offset:96
	v_cmp_lt_u32_e64 s0, 12, v0
	s_wait_loadcnt 0x0
	ds_store_b64 v1, v[130:131]
	s_wait_storecnt_dscnt 0x0
	s_barrier_signal -1
	s_barrier_wait -1
	s_wait_xcnt 0x0
	s_and_saveexec_b32 s2, s0
	s_cbranch_execz .LBB62_505
; %bb.496:
	s_and_not1_b32 vcc_lo, exec_lo, s3
	s_cbranch_vccnz .LBB62_498
; %bb.497:
	scratch_load_b64 v[130:131], v55, off
	ds_load_b64 v[132:133], v1
	s_wait_loadcnt_dscnt 0x0
	v_pk_mul_f32 v[134:135], v[132:133], v[130:131] op_sel:[1,1] op_sel_hi:[0,1]
	s_delay_alu instid0(VALU_DEP_1) | instskip(SKIP_1) | instid1(VALU_DEP_2)
	v_pk_fma_f32 v[136:137], v[132:133], v[130:131], v[134:135] op_sel_hi:[1,0,1]
	v_pk_fma_f32 v[130:131], v[132:133], v[130:131], v[134:135] neg_lo:[0,0,1] neg_hi:[0,0,1]
	v_mov_b32_e32 v131, v137
	s_cbranch_execz .LBB62_499
	s_branch .LBB62_500
.LBB62_498:
                                        ; implicit-def: $vgpr130_vgpr131
.LBB62_499:
	ds_load_b64 v[130:131], v1
.LBB62_500:
	s_and_saveexec_b32 s12, s1
	s_cbranch_execz .LBB62_504
; %bb.501:
	v_add_nc_u32_e32 v132, -13, v0
	s_movk_i32 s1, 0x68
	s_movk_i32 s14, 0x268
	s_mov_b32 s13, 0
.LBB62_502:                             ; =>This Inner Loop Header: Depth=1
	scratch_load_b64 v[134:135], off, s1
	v_dual_mov_b32 v133, s14 :: v_dual_add_nc_u32 v132, -1, v132
	s_add_co_i32 s14, s14, 8
	s_wait_xcnt 0x0
	s_add_co_i32 s1, s1, 8
	ds_load_b64 v[136:137], v133
	v_cmp_eq_u32_e32 vcc_lo, 0, v132
	s_or_b32 s13, vcc_lo, s13
	s_wait_loadcnt_dscnt 0x0
	v_pk_mul_f32 v[138:139], v[136:137], v[134:135] op_sel:[1,1] op_sel_hi:[0,1]
	s_delay_alu instid0(VALU_DEP_1) | instskip(SKIP_1) | instid1(VALU_DEP_2)
	v_pk_fma_f32 v[140:141], v[136:137], v[134:135], v[138:139] op_sel_hi:[1,0,1]
	v_pk_fma_f32 v[134:135], v[136:137], v[134:135], v[138:139] neg_lo:[0,0,1] neg_hi:[0,0,1]
	v_mov_b32_e32 v135, v141
	s_delay_alu instid0(VALU_DEP_1)
	v_pk_add_f32 v[130:131], v[130:131], v[134:135]
	s_and_not1_b32 exec_lo, exec_lo, s13
	s_cbranch_execnz .LBB62_502
; %bb.503:
	s_or_b32 exec_lo, exec_lo, s13
.LBB62_504:
	s_delay_alu instid0(SALU_CYCLE_1) | instskip(SKIP_4) | instid1(VALU_DEP_1)
	s_or_b32 exec_lo, exec_lo, s12
	v_mov_b32_e32 v132, 0
	ds_load_b64 v[132:133], v132 offset:96
	s_wait_dscnt 0x0
	v_pk_mul_f32 v[134:135], v[130:131], v[132:133] op_sel:[1,1] op_sel_hi:[0,1]
	v_pk_fma_f32 v[136:137], v[130:131], v[132:133], v[134:135] op_sel_hi:[1,0,1]
	v_pk_fma_f32 v[130:131], v[130:131], v[132:133], v[134:135] neg_lo:[0,0,1] neg_hi:[0,0,1]
	s_delay_alu instid0(VALU_DEP_2)
	v_mov_b32_e32 v131, v137
	scratch_store_b64 off, v[130:131], off offset:96
.LBB62_505:
	s_wait_xcnt 0x0
	s_or_b32 exec_lo, exec_lo, s2
	scratch_load_b64 v[130:131], off, off offset:88
	v_cmp_lt_u32_e64 s1, 11, v0
	s_wait_loadcnt 0x0
	ds_store_b64 v1, v[130:131]
	s_wait_storecnt_dscnt 0x0
	s_barrier_signal -1
	s_barrier_wait -1
	s_wait_xcnt 0x0
	s_and_saveexec_b32 s2, s1
	s_cbranch_execz .LBB62_515
; %bb.506:
	s_and_not1_b32 vcc_lo, exec_lo, s3
	s_cbranch_vccnz .LBB62_508
; %bb.507:
	scratch_load_b64 v[130:131], v55, off
	ds_load_b64 v[132:133], v1
	s_wait_loadcnt_dscnt 0x0
	v_pk_mul_f32 v[134:135], v[132:133], v[130:131] op_sel:[1,1] op_sel_hi:[0,1]
	s_delay_alu instid0(VALU_DEP_1) | instskip(SKIP_1) | instid1(VALU_DEP_2)
	v_pk_fma_f32 v[136:137], v[132:133], v[130:131], v[134:135] op_sel_hi:[1,0,1]
	v_pk_fma_f32 v[130:131], v[132:133], v[130:131], v[134:135] neg_lo:[0,0,1] neg_hi:[0,0,1]
	v_mov_b32_e32 v131, v137
	s_cbranch_execz .LBB62_509
	s_branch .LBB62_510
.LBB62_508:
                                        ; implicit-def: $vgpr130_vgpr131
.LBB62_509:
	ds_load_b64 v[130:131], v1
.LBB62_510:
	s_and_saveexec_b32 s12, s0
	s_cbranch_execz .LBB62_514
; %bb.511:
	v_add_nc_u32_e32 v132, -12, v0
	s_movk_i32 s13, 0x260
	s_mov_b32 s0, 0
.LBB62_512:                             ; =>This Inner Loop Header: Depth=1
	scratch_load_b64 v[134:135], off, s11
	v_dual_mov_b32 v133, s13 :: v_dual_add_nc_u32 v132, -1, v132
	s_add_co_i32 s13, s13, 8
	s_wait_xcnt 0x0
	s_add_co_i32 s11, s11, 8
	ds_load_b64 v[136:137], v133
	v_cmp_eq_u32_e32 vcc_lo, 0, v132
	s_or_b32 s0, vcc_lo, s0
	s_wait_loadcnt_dscnt 0x0
	v_pk_mul_f32 v[138:139], v[136:137], v[134:135] op_sel:[1,1] op_sel_hi:[0,1]
	s_delay_alu instid0(VALU_DEP_1) | instskip(SKIP_1) | instid1(VALU_DEP_2)
	v_pk_fma_f32 v[140:141], v[136:137], v[134:135], v[138:139] op_sel_hi:[1,0,1]
	v_pk_fma_f32 v[134:135], v[136:137], v[134:135], v[138:139] neg_lo:[0,0,1] neg_hi:[0,0,1]
	v_mov_b32_e32 v135, v141
	s_delay_alu instid0(VALU_DEP_1)
	v_pk_add_f32 v[130:131], v[130:131], v[134:135]
	s_and_not1_b32 exec_lo, exec_lo, s0
	s_cbranch_execnz .LBB62_512
; %bb.513:
	s_or_b32 exec_lo, exec_lo, s0
.LBB62_514:
	s_delay_alu instid0(SALU_CYCLE_1) | instskip(SKIP_4) | instid1(VALU_DEP_1)
	s_or_b32 exec_lo, exec_lo, s12
	v_mov_b32_e32 v132, 0
	ds_load_b64 v[132:133], v132 offset:88
	s_wait_dscnt 0x0
	v_pk_mul_f32 v[134:135], v[130:131], v[132:133] op_sel:[1,1] op_sel_hi:[0,1]
	v_pk_fma_f32 v[136:137], v[130:131], v[132:133], v[134:135] op_sel_hi:[1,0,1]
	v_pk_fma_f32 v[130:131], v[130:131], v[132:133], v[134:135] neg_lo:[0,0,1] neg_hi:[0,0,1]
	s_delay_alu instid0(VALU_DEP_2)
	v_mov_b32_e32 v131, v137
	scratch_store_b64 off, v[130:131], off offset:88
.LBB62_515:
	s_wait_xcnt 0x0
	s_or_b32 exec_lo, exec_lo, s2
	scratch_load_b64 v[130:131], off, off offset:80
	v_cmp_lt_u32_e64 s0, 10, v0
	s_wait_loadcnt 0x0
	ds_store_b64 v1, v[130:131]
	s_wait_storecnt_dscnt 0x0
	s_barrier_signal -1
	s_barrier_wait -1
	s_wait_xcnt 0x0
	s_and_saveexec_b32 s2, s0
	s_cbranch_execz .LBB62_525
; %bb.516:
	s_and_not1_b32 vcc_lo, exec_lo, s3
	s_cbranch_vccnz .LBB62_518
; %bb.517:
	scratch_load_b64 v[130:131], v55, off
	ds_load_b64 v[132:133], v1
	s_wait_loadcnt_dscnt 0x0
	v_pk_mul_f32 v[134:135], v[132:133], v[130:131] op_sel:[1,1] op_sel_hi:[0,1]
	s_delay_alu instid0(VALU_DEP_1) | instskip(SKIP_1) | instid1(VALU_DEP_2)
	v_pk_fma_f32 v[136:137], v[132:133], v[130:131], v[134:135] op_sel_hi:[1,0,1]
	v_pk_fma_f32 v[130:131], v[132:133], v[130:131], v[134:135] neg_lo:[0,0,1] neg_hi:[0,0,1]
	v_mov_b32_e32 v131, v137
	s_cbranch_execz .LBB62_519
	s_branch .LBB62_520
.LBB62_518:
                                        ; implicit-def: $vgpr130_vgpr131
.LBB62_519:
	ds_load_b64 v[130:131], v1
.LBB62_520:
	s_and_saveexec_b32 s11, s1
	s_cbranch_execz .LBB62_524
; %bb.521:
	v_add_nc_u32_e32 v132, -11, v0
	s_movk_i32 s1, 0x58
	s_movk_i32 s13, 0x258
	s_mov_b32 s12, 0
.LBB62_522:                             ; =>This Inner Loop Header: Depth=1
	scratch_load_b64 v[134:135], off, s1
	v_dual_mov_b32 v133, s13 :: v_dual_add_nc_u32 v132, -1, v132
	s_add_co_i32 s13, s13, 8
	s_wait_xcnt 0x0
	s_add_co_i32 s1, s1, 8
	ds_load_b64 v[136:137], v133
	v_cmp_eq_u32_e32 vcc_lo, 0, v132
	s_or_b32 s12, vcc_lo, s12
	s_wait_loadcnt_dscnt 0x0
	v_pk_mul_f32 v[138:139], v[136:137], v[134:135] op_sel:[1,1] op_sel_hi:[0,1]
	s_delay_alu instid0(VALU_DEP_1) | instskip(SKIP_1) | instid1(VALU_DEP_2)
	v_pk_fma_f32 v[140:141], v[136:137], v[134:135], v[138:139] op_sel_hi:[1,0,1]
	v_pk_fma_f32 v[134:135], v[136:137], v[134:135], v[138:139] neg_lo:[0,0,1] neg_hi:[0,0,1]
	v_mov_b32_e32 v135, v141
	s_delay_alu instid0(VALU_DEP_1)
	v_pk_add_f32 v[130:131], v[130:131], v[134:135]
	s_and_not1_b32 exec_lo, exec_lo, s12
	s_cbranch_execnz .LBB62_522
; %bb.523:
	s_or_b32 exec_lo, exec_lo, s12
.LBB62_524:
	s_delay_alu instid0(SALU_CYCLE_1) | instskip(SKIP_4) | instid1(VALU_DEP_1)
	s_or_b32 exec_lo, exec_lo, s11
	v_mov_b32_e32 v132, 0
	ds_load_b64 v[132:133], v132 offset:80
	s_wait_dscnt 0x0
	v_pk_mul_f32 v[134:135], v[130:131], v[132:133] op_sel:[1,1] op_sel_hi:[0,1]
	v_pk_fma_f32 v[136:137], v[130:131], v[132:133], v[134:135] op_sel_hi:[1,0,1]
	v_pk_fma_f32 v[130:131], v[130:131], v[132:133], v[134:135] neg_lo:[0,0,1] neg_hi:[0,0,1]
	s_delay_alu instid0(VALU_DEP_2)
	v_mov_b32_e32 v131, v137
	scratch_store_b64 off, v[130:131], off offset:80
.LBB62_525:
	s_wait_xcnt 0x0
	s_or_b32 exec_lo, exec_lo, s2
	scratch_load_b64 v[130:131], off, off offset:72
	v_cmp_lt_u32_e64 s1, 9, v0
	s_wait_loadcnt 0x0
	ds_store_b64 v1, v[130:131]
	s_wait_storecnt_dscnt 0x0
	s_barrier_signal -1
	s_barrier_wait -1
	s_wait_xcnt 0x0
	s_and_saveexec_b32 s2, s1
	s_cbranch_execz .LBB62_535
; %bb.526:
	s_and_not1_b32 vcc_lo, exec_lo, s3
	s_cbranch_vccnz .LBB62_528
; %bb.527:
	scratch_load_b64 v[130:131], v55, off
	ds_load_b64 v[132:133], v1
	s_wait_loadcnt_dscnt 0x0
	v_pk_mul_f32 v[134:135], v[132:133], v[130:131] op_sel:[1,1] op_sel_hi:[0,1]
	s_delay_alu instid0(VALU_DEP_1) | instskip(SKIP_1) | instid1(VALU_DEP_2)
	v_pk_fma_f32 v[136:137], v[132:133], v[130:131], v[134:135] op_sel_hi:[1,0,1]
	v_pk_fma_f32 v[130:131], v[132:133], v[130:131], v[134:135] neg_lo:[0,0,1] neg_hi:[0,0,1]
	v_mov_b32_e32 v131, v137
	s_cbranch_execz .LBB62_529
	s_branch .LBB62_530
.LBB62_528:
                                        ; implicit-def: $vgpr130_vgpr131
.LBB62_529:
	ds_load_b64 v[130:131], v1
.LBB62_530:
	s_and_saveexec_b32 s11, s0
	s_cbranch_execz .LBB62_534
; %bb.531:
	v_add_nc_u32_e32 v132, -10, v0
	s_movk_i32 s12, 0x250
	s_mov_b32 s0, 0
.LBB62_532:                             ; =>This Inner Loop Header: Depth=1
	scratch_load_b64 v[134:135], off, s10
	v_dual_mov_b32 v133, s12 :: v_dual_add_nc_u32 v132, -1, v132
	s_add_co_i32 s12, s12, 8
	s_wait_xcnt 0x0
	s_add_co_i32 s10, s10, 8
	ds_load_b64 v[136:137], v133
	v_cmp_eq_u32_e32 vcc_lo, 0, v132
	s_or_b32 s0, vcc_lo, s0
	s_wait_loadcnt_dscnt 0x0
	v_pk_mul_f32 v[138:139], v[136:137], v[134:135] op_sel:[1,1] op_sel_hi:[0,1]
	s_delay_alu instid0(VALU_DEP_1) | instskip(SKIP_1) | instid1(VALU_DEP_2)
	v_pk_fma_f32 v[140:141], v[136:137], v[134:135], v[138:139] op_sel_hi:[1,0,1]
	v_pk_fma_f32 v[134:135], v[136:137], v[134:135], v[138:139] neg_lo:[0,0,1] neg_hi:[0,0,1]
	v_mov_b32_e32 v135, v141
	s_delay_alu instid0(VALU_DEP_1)
	v_pk_add_f32 v[130:131], v[130:131], v[134:135]
	s_and_not1_b32 exec_lo, exec_lo, s0
	s_cbranch_execnz .LBB62_532
; %bb.533:
	s_or_b32 exec_lo, exec_lo, s0
.LBB62_534:
	s_delay_alu instid0(SALU_CYCLE_1) | instskip(SKIP_4) | instid1(VALU_DEP_1)
	s_or_b32 exec_lo, exec_lo, s11
	v_mov_b32_e32 v132, 0
	ds_load_b64 v[132:133], v132 offset:72
	s_wait_dscnt 0x0
	v_pk_mul_f32 v[134:135], v[130:131], v[132:133] op_sel:[1,1] op_sel_hi:[0,1]
	v_pk_fma_f32 v[136:137], v[130:131], v[132:133], v[134:135] op_sel_hi:[1,0,1]
	v_pk_fma_f32 v[130:131], v[130:131], v[132:133], v[134:135] neg_lo:[0,0,1] neg_hi:[0,0,1]
	s_delay_alu instid0(VALU_DEP_2)
	v_mov_b32_e32 v131, v137
	scratch_store_b64 off, v[130:131], off offset:72
.LBB62_535:
	s_wait_xcnt 0x0
	s_or_b32 exec_lo, exec_lo, s2
	scratch_load_b64 v[130:131], off, off offset:64
	v_cmp_lt_u32_e64 s0, 8, v0
	s_wait_loadcnt 0x0
	ds_store_b64 v1, v[130:131]
	s_wait_storecnt_dscnt 0x0
	s_barrier_signal -1
	s_barrier_wait -1
	s_wait_xcnt 0x0
	s_and_saveexec_b32 s2, s0
	s_cbranch_execz .LBB62_545
; %bb.536:
	s_and_not1_b32 vcc_lo, exec_lo, s3
	s_cbranch_vccnz .LBB62_538
; %bb.537:
	scratch_load_b64 v[130:131], v55, off
	ds_load_b64 v[132:133], v1
	s_wait_loadcnt_dscnt 0x0
	v_pk_mul_f32 v[134:135], v[132:133], v[130:131] op_sel:[1,1] op_sel_hi:[0,1]
	s_delay_alu instid0(VALU_DEP_1) | instskip(SKIP_1) | instid1(VALU_DEP_2)
	v_pk_fma_f32 v[136:137], v[132:133], v[130:131], v[134:135] op_sel_hi:[1,0,1]
	v_pk_fma_f32 v[130:131], v[132:133], v[130:131], v[134:135] neg_lo:[0,0,1] neg_hi:[0,0,1]
	v_mov_b32_e32 v131, v137
	s_cbranch_execz .LBB62_539
	s_branch .LBB62_540
.LBB62_538:
                                        ; implicit-def: $vgpr130_vgpr131
.LBB62_539:
	ds_load_b64 v[130:131], v1
.LBB62_540:
	s_and_saveexec_b32 s10, s1
	s_cbranch_execz .LBB62_544
; %bb.541:
	v_add_nc_u32_e32 v132, -9, v0
	s_movk_i32 s1, 0x48
	s_movk_i32 s12, 0x248
	s_mov_b32 s11, 0
.LBB62_542:                             ; =>This Inner Loop Header: Depth=1
	scratch_load_b64 v[134:135], off, s1
	v_dual_mov_b32 v133, s12 :: v_dual_add_nc_u32 v132, -1, v132
	s_add_co_i32 s12, s12, 8
	s_wait_xcnt 0x0
	s_add_co_i32 s1, s1, 8
	ds_load_b64 v[136:137], v133
	v_cmp_eq_u32_e32 vcc_lo, 0, v132
	s_or_b32 s11, vcc_lo, s11
	s_wait_loadcnt_dscnt 0x0
	v_pk_mul_f32 v[138:139], v[136:137], v[134:135] op_sel:[1,1] op_sel_hi:[0,1]
	s_delay_alu instid0(VALU_DEP_1) | instskip(SKIP_1) | instid1(VALU_DEP_2)
	v_pk_fma_f32 v[140:141], v[136:137], v[134:135], v[138:139] op_sel_hi:[1,0,1]
	v_pk_fma_f32 v[134:135], v[136:137], v[134:135], v[138:139] neg_lo:[0,0,1] neg_hi:[0,0,1]
	v_mov_b32_e32 v135, v141
	s_delay_alu instid0(VALU_DEP_1)
	v_pk_add_f32 v[130:131], v[130:131], v[134:135]
	s_and_not1_b32 exec_lo, exec_lo, s11
	s_cbranch_execnz .LBB62_542
; %bb.543:
	s_or_b32 exec_lo, exec_lo, s11
.LBB62_544:
	s_delay_alu instid0(SALU_CYCLE_1) | instskip(SKIP_4) | instid1(VALU_DEP_1)
	s_or_b32 exec_lo, exec_lo, s10
	v_mov_b32_e32 v132, 0
	ds_load_b64 v[132:133], v132 offset:64
	s_wait_dscnt 0x0
	v_pk_mul_f32 v[134:135], v[130:131], v[132:133] op_sel:[1,1] op_sel_hi:[0,1]
	v_pk_fma_f32 v[136:137], v[130:131], v[132:133], v[134:135] op_sel_hi:[1,0,1]
	v_pk_fma_f32 v[130:131], v[130:131], v[132:133], v[134:135] neg_lo:[0,0,1] neg_hi:[0,0,1]
	s_delay_alu instid0(VALU_DEP_2)
	v_mov_b32_e32 v131, v137
	scratch_store_b64 off, v[130:131], off offset:64
.LBB62_545:
	s_wait_xcnt 0x0
	s_or_b32 exec_lo, exec_lo, s2
	scratch_load_b64 v[130:131], off, off offset:56
	v_cmp_lt_u32_e64 s1, 7, v0
	s_wait_loadcnt 0x0
	ds_store_b64 v1, v[130:131]
	s_wait_storecnt_dscnt 0x0
	s_barrier_signal -1
	s_barrier_wait -1
	s_wait_xcnt 0x0
	s_and_saveexec_b32 s2, s1
	s_cbranch_execz .LBB62_555
; %bb.546:
	s_and_not1_b32 vcc_lo, exec_lo, s3
	s_cbranch_vccnz .LBB62_548
; %bb.547:
	scratch_load_b64 v[130:131], v55, off
	ds_load_b64 v[132:133], v1
	s_wait_loadcnt_dscnt 0x0
	v_pk_mul_f32 v[134:135], v[132:133], v[130:131] op_sel:[1,1] op_sel_hi:[0,1]
	s_delay_alu instid0(VALU_DEP_1) | instskip(SKIP_1) | instid1(VALU_DEP_2)
	v_pk_fma_f32 v[136:137], v[132:133], v[130:131], v[134:135] op_sel_hi:[1,0,1]
	v_pk_fma_f32 v[130:131], v[132:133], v[130:131], v[134:135] neg_lo:[0,0,1] neg_hi:[0,0,1]
	v_mov_b32_e32 v131, v137
	s_cbranch_execz .LBB62_549
	s_branch .LBB62_550
.LBB62_548:
                                        ; implicit-def: $vgpr130_vgpr131
.LBB62_549:
	ds_load_b64 v[130:131], v1
.LBB62_550:
	s_and_saveexec_b32 s10, s0
	s_cbranch_execz .LBB62_554
; %bb.551:
	v_add_nc_u32_e32 v132, -8, v0
	s_movk_i32 s11, 0x240
	s_mov_b32 s0, 0
.LBB62_552:                             ; =>This Inner Loop Header: Depth=1
	scratch_load_b64 v[134:135], off, s9
	v_dual_mov_b32 v133, s11 :: v_dual_add_nc_u32 v132, -1, v132
	s_add_co_i32 s11, s11, 8
	s_wait_xcnt 0x0
	s_add_co_i32 s9, s9, 8
	ds_load_b64 v[136:137], v133
	v_cmp_eq_u32_e32 vcc_lo, 0, v132
	s_or_b32 s0, vcc_lo, s0
	s_wait_loadcnt_dscnt 0x0
	v_pk_mul_f32 v[138:139], v[136:137], v[134:135] op_sel:[1,1] op_sel_hi:[0,1]
	s_delay_alu instid0(VALU_DEP_1) | instskip(SKIP_1) | instid1(VALU_DEP_2)
	v_pk_fma_f32 v[140:141], v[136:137], v[134:135], v[138:139] op_sel_hi:[1,0,1]
	v_pk_fma_f32 v[134:135], v[136:137], v[134:135], v[138:139] neg_lo:[0,0,1] neg_hi:[0,0,1]
	v_mov_b32_e32 v135, v141
	s_delay_alu instid0(VALU_DEP_1)
	v_pk_add_f32 v[130:131], v[130:131], v[134:135]
	s_and_not1_b32 exec_lo, exec_lo, s0
	s_cbranch_execnz .LBB62_552
; %bb.553:
	s_or_b32 exec_lo, exec_lo, s0
.LBB62_554:
	s_delay_alu instid0(SALU_CYCLE_1) | instskip(SKIP_4) | instid1(VALU_DEP_1)
	s_or_b32 exec_lo, exec_lo, s10
	v_mov_b32_e32 v132, 0
	ds_load_b64 v[132:133], v132 offset:56
	s_wait_dscnt 0x0
	v_pk_mul_f32 v[134:135], v[130:131], v[132:133] op_sel:[1,1] op_sel_hi:[0,1]
	v_pk_fma_f32 v[136:137], v[130:131], v[132:133], v[134:135] op_sel_hi:[1,0,1]
	v_pk_fma_f32 v[130:131], v[130:131], v[132:133], v[134:135] neg_lo:[0,0,1] neg_hi:[0,0,1]
	s_delay_alu instid0(VALU_DEP_2)
	v_mov_b32_e32 v131, v137
	scratch_store_b64 off, v[130:131], off offset:56
.LBB62_555:
	s_wait_xcnt 0x0
	s_or_b32 exec_lo, exec_lo, s2
	scratch_load_b64 v[130:131], off, off offset:48
	v_cmp_lt_u32_e64 s0, 6, v0
	s_wait_loadcnt 0x0
	ds_store_b64 v1, v[130:131]
	s_wait_storecnt_dscnt 0x0
	s_barrier_signal -1
	s_barrier_wait -1
	s_wait_xcnt 0x0
	s_and_saveexec_b32 s2, s0
	s_cbranch_execz .LBB62_565
; %bb.556:
	s_and_not1_b32 vcc_lo, exec_lo, s3
	s_cbranch_vccnz .LBB62_558
; %bb.557:
	scratch_load_b64 v[130:131], v55, off
	ds_load_b64 v[132:133], v1
	s_wait_loadcnt_dscnt 0x0
	v_pk_mul_f32 v[134:135], v[132:133], v[130:131] op_sel:[1,1] op_sel_hi:[0,1]
	s_delay_alu instid0(VALU_DEP_1) | instskip(SKIP_1) | instid1(VALU_DEP_2)
	v_pk_fma_f32 v[136:137], v[132:133], v[130:131], v[134:135] op_sel_hi:[1,0,1]
	v_pk_fma_f32 v[130:131], v[132:133], v[130:131], v[134:135] neg_lo:[0,0,1] neg_hi:[0,0,1]
	v_mov_b32_e32 v131, v137
	s_cbranch_execz .LBB62_559
	s_branch .LBB62_560
.LBB62_558:
                                        ; implicit-def: $vgpr130_vgpr131
.LBB62_559:
	ds_load_b64 v[130:131], v1
.LBB62_560:
	s_and_saveexec_b32 s9, s1
	s_cbranch_execz .LBB62_564
; %bb.561:
	v_add_nc_u32_e32 v132, -7, v0
	s_mov_b32 s1, 56
	s_movk_i32 s11, 0x238
	s_mov_b32 s10, 0
.LBB62_562:                             ; =>This Inner Loop Header: Depth=1
	scratch_load_b64 v[134:135], off, s1
	v_dual_mov_b32 v133, s11 :: v_dual_add_nc_u32 v132, -1, v132
	s_add_co_i32 s11, s11, 8
	s_wait_xcnt 0x0
	s_add_co_i32 s1, s1, 8
	ds_load_b64 v[136:137], v133
	v_cmp_eq_u32_e32 vcc_lo, 0, v132
	s_or_b32 s10, vcc_lo, s10
	s_wait_loadcnt_dscnt 0x0
	v_pk_mul_f32 v[138:139], v[136:137], v[134:135] op_sel:[1,1] op_sel_hi:[0,1]
	s_delay_alu instid0(VALU_DEP_1) | instskip(SKIP_1) | instid1(VALU_DEP_2)
	v_pk_fma_f32 v[140:141], v[136:137], v[134:135], v[138:139] op_sel_hi:[1,0,1]
	v_pk_fma_f32 v[134:135], v[136:137], v[134:135], v[138:139] neg_lo:[0,0,1] neg_hi:[0,0,1]
	v_mov_b32_e32 v135, v141
	s_delay_alu instid0(VALU_DEP_1)
	v_pk_add_f32 v[130:131], v[130:131], v[134:135]
	s_and_not1_b32 exec_lo, exec_lo, s10
	s_cbranch_execnz .LBB62_562
; %bb.563:
	s_or_b32 exec_lo, exec_lo, s10
.LBB62_564:
	s_delay_alu instid0(SALU_CYCLE_1) | instskip(SKIP_4) | instid1(VALU_DEP_1)
	s_or_b32 exec_lo, exec_lo, s9
	v_mov_b32_e32 v132, 0
	ds_load_b64 v[132:133], v132 offset:48
	s_wait_dscnt 0x0
	v_pk_mul_f32 v[134:135], v[130:131], v[132:133] op_sel:[1,1] op_sel_hi:[0,1]
	v_pk_fma_f32 v[136:137], v[130:131], v[132:133], v[134:135] op_sel_hi:[1,0,1]
	v_pk_fma_f32 v[130:131], v[130:131], v[132:133], v[134:135] neg_lo:[0,0,1] neg_hi:[0,0,1]
	s_delay_alu instid0(VALU_DEP_2)
	v_mov_b32_e32 v131, v137
	scratch_store_b64 off, v[130:131], off offset:48
.LBB62_565:
	s_wait_xcnt 0x0
	s_or_b32 exec_lo, exec_lo, s2
	scratch_load_b64 v[130:131], off, off offset:40
	v_cmp_lt_u32_e64 s1, 5, v0
	s_wait_loadcnt 0x0
	ds_store_b64 v1, v[130:131]
	s_wait_storecnt_dscnt 0x0
	s_barrier_signal -1
	s_barrier_wait -1
	s_wait_xcnt 0x0
	s_and_saveexec_b32 s2, s1
	s_cbranch_execz .LBB62_575
; %bb.566:
	s_and_not1_b32 vcc_lo, exec_lo, s3
	s_cbranch_vccnz .LBB62_568
; %bb.567:
	scratch_load_b64 v[130:131], v55, off
	ds_load_b64 v[132:133], v1
	s_wait_loadcnt_dscnt 0x0
	v_pk_mul_f32 v[134:135], v[132:133], v[130:131] op_sel:[1,1] op_sel_hi:[0,1]
	s_delay_alu instid0(VALU_DEP_1) | instskip(SKIP_1) | instid1(VALU_DEP_2)
	v_pk_fma_f32 v[136:137], v[132:133], v[130:131], v[134:135] op_sel_hi:[1,0,1]
	v_pk_fma_f32 v[130:131], v[132:133], v[130:131], v[134:135] neg_lo:[0,0,1] neg_hi:[0,0,1]
	v_mov_b32_e32 v131, v137
	s_cbranch_execz .LBB62_569
	s_branch .LBB62_570
.LBB62_568:
                                        ; implicit-def: $vgpr130_vgpr131
.LBB62_569:
	ds_load_b64 v[130:131], v1
.LBB62_570:
	s_and_saveexec_b32 s9, s0
	s_cbranch_execz .LBB62_574
; %bb.571:
	v_add_nc_u32_e32 v132, -6, v0
	s_movk_i32 s10, 0x230
	s_mov_b32 s0, 0
.LBB62_572:                             ; =>This Inner Loop Header: Depth=1
	scratch_load_b64 v[134:135], off, s8
	v_dual_mov_b32 v133, s10 :: v_dual_add_nc_u32 v132, -1, v132
	s_add_co_i32 s10, s10, 8
	s_wait_xcnt 0x0
	s_add_co_i32 s8, s8, 8
	ds_load_b64 v[136:137], v133
	v_cmp_eq_u32_e32 vcc_lo, 0, v132
	s_or_b32 s0, vcc_lo, s0
	s_wait_loadcnt_dscnt 0x0
	v_pk_mul_f32 v[138:139], v[136:137], v[134:135] op_sel:[1,1] op_sel_hi:[0,1]
	s_delay_alu instid0(VALU_DEP_1) | instskip(SKIP_1) | instid1(VALU_DEP_2)
	v_pk_fma_f32 v[140:141], v[136:137], v[134:135], v[138:139] op_sel_hi:[1,0,1]
	v_pk_fma_f32 v[134:135], v[136:137], v[134:135], v[138:139] neg_lo:[0,0,1] neg_hi:[0,0,1]
	v_mov_b32_e32 v135, v141
	s_delay_alu instid0(VALU_DEP_1)
	v_pk_add_f32 v[130:131], v[130:131], v[134:135]
	s_and_not1_b32 exec_lo, exec_lo, s0
	s_cbranch_execnz .LBB62_572
; %bb.573:
	s_or_b32 exec_lo, exec_lo, s0
.LBB62_574:
	s_delay_alu instid0(SALU_CYCLE_1) | instskip(SKIP_4) | instid1(VALU_DEP_1)
	s_or_b32 exec_lo, exec_lo, s9
	v_mov_b32_e32 v132, 0
	ds_load_b64 v[132:133], v132 offset:40
	s_wait_dscnt 0x0
	v_pk_mul_f32 v[134:135], v[130:131], v[132:133] op_sel:[1,1] op_sel_hi:[0,1]
	v_pk_fma_f32 v[136:137], v[130:131], v[132:133], v[134:135] op_sel_hi:[1,0,1]
	v_pk_fma_f32 v[130:131], v[130:131], v[132:133], v[134:135] neg_lo:[0,0,1] neg_hi:[0,0,1]
	s_delay_alu instid0(VALU_DEP_2)
	v_mov_b32_e32 v131, v137
	scratch_store_b64 off, v[130:131], off offset:40
.LBB62_575:
	s_wait_xcnt 0x0
	s_or_b32 exec_lo, exec_lo, s2
	scratch_load_b64 v[130:131], off, off offset:32
	v_cmp_lt_u32_e64 s0, 4, v0
	s_wait_loadcnt 0x0
	ds_store_b64 v1, v[130:131]
	s_wait_storecnt_dscnt 0x0
	s_barrier_signal -1
	s_barrier_wait -1
	s_wait_xcnt 0x0
	s_and_saveexec_b32 s2, s0
	s_cbranch_execz .LBB62_585
; %bb.576:
	s_and_not1_b32 vcc_lo, exec_lo, s3
	s_cbranch_vccnz .LBB62_578
; %bb.577:
	scratch_load_b64 v[130:131], v55, off
	ds_load_b64 v[132:133], v1
	s_wait_loadcnt_dscnt 0x0
	v_pk_mul_f32 v[134:135], v[132:133], v[130:131] op_sel:[1,1] op_sel_hi:[0,1]
	s_delay_alu instid0(VALU_DEP_1) | instskip(SKIP_1) | instid1(VALU_DEP_2)
	v_pk_fma_f32 v[136:137], v[132:133], v[130:131], v[134:135] op_sel_hi:[1,0,1]
	v_pk_fma_f32 v[130:131], v[132:133], v[130:131], v[134:135] neg_lo:[0,0,1] neg_hi:[0,0,1]
	v_mov_b32_e32 v131, v137
	s_cbranch_execz .LBB62_579
	s_branch .LBB62_580
.LBB62_578:
                                        ; implicit-def: $vgpr130_vgpr131
.LBB62_579:
	ds_load_b64 v[130:131], v1
.LBB62_580:
	s_and_saveexec_b32 s8, s1
	s_cbranch_execz .LBB62_584
; %bb.581:
	v_add_nc_u32_e32 v132, -5, v0
	s_mov_b32 s1, 40
	s_movk_i32 s10, 0x228
	s_mov_b32 s9, 0
.LBB62_582:                             ; =>This Inner Loop Header: Depth=1
	scratch_load_b64 v[134:135], off, s1
	v_dual_mov_b32 v133, s10 :: v_dual_add_nc_u32 v132, -1, v132
	s_add_co_i32 s10, s10, 8
	s_wait_xcnt 0x0
	s_add_co_i32 s1, s1, 8
	ds_load_b64 v[136:137], v133
	v_cmp_eq_u32_e32 vcc_lo, 0, v132
	s_or_b32 s9, vcc_lo, s9
	s_wait_loadcnt_dscnt 0x0
	v_pk_mul_f32 v[138:139], v[136:137], v[134:135] op_sel:[1,1] op_sel_hi:[0,1]
	s_delay_alu instid0(VALU_DEP_1) | instskip(SKIP_1) | instid1(VALU_DEP_2)
	v_pk_fma_f32 v[140:141], v[136:137], v[134:135], v[138:139] op_sel_hi:[1,0,1]
	v_pk_fma_f32 v[134:135], v[136:137], v[134:135], v[138:139] neg_lo:[0,0,1] neg_hi:[0,0,1]
	v_mov_b32_e32 v135, v141
	s_delay_alu instid0(VALU_DEP_1)
	v_pk_add_f32 v[130:131], v[130:131], v[134:135]
	s_and_not1_b32 exec_lo, exec_lo, s9
	s_cbranch_execnz .LBB62_582
; %bb.583:
	s_or_b32 exec_lo, exec_lo, s9
.LBB62_584:
	s_delay_alu instid0(SALU_CYCLE_1) | instskip(SKIP_4) | instid1(VALU_DEP_1)
	s_or_b32 exec_lo, exec_lo, s8
	v_mov_b32_e32 v132, 0
	ds_load_b64 v[132:133], v132 offset:32
	s_wait_dscnt 0x0
	v_pk_mul_f32 v[134:135], v[130:131], v[132:133] op_sel:[1,1] op_sel_hi:[0,1]
	v_pk_fma_f32 v[136:137], v[130:131], v[132:133], v[134:135] op_sel_hi:[1,0,1]
	v_pk_fma_f32 v[130:131], v[130:131], v[132:133], v[134:135] neg_lo:[0,0,1] neg_hi:[0,0,1]
	s_delay_alu instid0(VALU_DEP_2)
	v_mov_b32_e32 v131, v137
	scratch_store_b64 off, v[130:131], off offset:32
.LBB62_585:
	s_wait_xcnt 0x0
	s_or_b32 exec_lo, exec_lo, s2
	scratch_load_b64 v[130:131], off, off offset:24
	v_cmp_lt_u32_e64 s2, 3, v0
	s_wait_loadcnt 0x0
	ds_store_b64 v1, v[130:131]
	s_wait_storecnt_dscnt 0x0
	s_barrier_signal -1
	s_barrier_wait -1
	s_wait_xcnt 0x0
	s_and_saveexec_b32 s1, s2
	s_cbranch_execz .LBB62_595
; %bb.586:
	s_and_not1_b32 vcc_lo, exec_lo, s3
	s_cbranch_vccnz .LBB62_588
; %bb.587:
	scratch_load_b64 v[130:131], v55, off
	ds_load_b64 v[132:133], v1
	s_wait_loadcnt_dscnt 0x0
	v_pk_mul_f32 v[134:135], v[132:133], v[130:131] op_sel:[1,1] op_sel_hi:[0,1]
	s_delay_alu instid0(VALU_DEP_1) | instskip(SKIP_1) | instid1(VALU_DEP_2)
	v_pk_fma_f32 v[136:137], v[132:133], v[130:131], v[134:135] op_sel_hi:[1,0,1]
	v_pk_fma_f32 v[130:131], v[132:133], v[130:131], v[134:135] neg_lo:[0,0,1] neg_hi:[0,0,1]
	v_mov_b32_e32 v131, v137
	s_cbranch_execz .LBB62_589
	s_branch .LBB62_590
.LBB62_588:
                                        ; implicit-def: $vgpr130_vgpr131
.LBB62_589:
	ds_load_b64 v[130:131], v1
.LBB62_590:
	s_and_saveexec_b32 s8, s0
	s_cbranch_execz .LBB62_594
; %bb.591:
	v_add_nc_u32_e32 v132, -4, v0
	s_movk_i32 s9, 0x220
	s_mov_b32 s0, 0
.LBB62_592:                             ; =>This Inner Loop Header: Depth=1
	scratch_load_b64 v[134:135], off, s5
	v_dual_mov_b32 v133, s9 :: v_dual_add_nc_u32 v132, -1, v132
	s_add_co_i32 s9, s9, 8
	s_wait_xcnt 0x0
	s_add_co_i32 s5, s5, 8
	ds_load_b64 v[136:137], v133
	v_cmp_eq_u32_e32 vcc_lo, 0, v132
	s_or_b32 s0, vcc_lo, s0
	s_wait_loadcnt_dscnt 0x0
	v_pk_mul_f32 v[138:139], v[136:137], v[134:135] op_sel:[1,1] op_sel_hi:[0,1]
	s_delay_alu instid0(VALU_DEP_1) | instskip(SKIP_1) | instid1(VALU_DEP_2)
	v_pk_fma_f32 v[140:141], v[136:137], v[134:135], v[138:139] op_sel_hi:[1,0,1]
	v_pk_fma_f32 v[134:135], v[136:137], v[134:135], v[138:139] neg_lo:[0,0,1] neg_hi:[0,0,1]
	v_mov_b32_e32 v135, v141
	s_delay_alu instid0(VALU_DEP_1)
	v_pk_add_f32 v[130:131], v[130:131], v[134:135]
	s_and_not1_b32 exec_lo, exec_lo, s0
	s_cbranch_execnz .LBB62_592
; %bb.593:
	s_or_b32 exec_lo, exec_lo, s0
.LBB62_594:
	s_delay_alu instid0(SALU_CYCLE_1) | instskip(SKIP_4) | instid1(VALU_DEP_1)
	s_or_b32 exec_lo, exec_lo, s8
	v_mov_b32_e32 v132, 0
	ds_load_b64 v[132:133], v132 offset:24
	s_wait_dscnt 0x0
	v_pk_mul_f32 v[134:135], v[130:131], v[132:133] op_sel:[1,1] op_sel_hi:[0,1]
	v_pk_fma_f32 v[136:137], v[130:131], v[132:133], v[134:135] op_sel_hi:[1,0,1]
	v_pk_fma_f32 v[130:131], v[130:131], v[132:133], v[134:135] neg_lo:[0,0,1] neg_hi:[0,0,1]
	s_delay_alu instid0(VALU_DEP_2)
	v_mov_b32_e32 v131, v137
	scratch_store_b64 off, v[130:131], off offset:24
.LBB62_595:
	s_wait_xcnt 0x0
	s_or_b32 exec_lo, exec_lo, s1
	scratch_load_b64 v[130:131], off, off offset:16
	v_cmp_lt_u32_e64 s1, 2, v0
	s_wait_loadcnt 0x0
	ds_store_b64 v1, v[130:131]
	s_wait_storecnt_dscnt 0x0
	s_barrier_signal -1
	s_barrier_wait -1
	s_wait_xcnt 0x0
	s_and_saveexec_b32 s0, s1
	s_cbranch_execz .LBB62_605
; %bb.596:
	s_and_not1_b32 vcc_lo, exec_lo, s3
	s_cbranch_vccnz .LBB62_598
; %bb.597:
	scratch_load_b64 v[130:131], v55, off
	ds_load_b64 v[132:133], v1
	s_wait_loadcnt_dscnt 0x0
	v_pk_mul_f32 v[134:135], v[132:133], v[130:131] op_sel:[1,1] op_sel_hi:[0,1]
	s_delay_alu instid0(VALU_DEP_1) | instskip(SKIP_1) | instid1(VALU_DEP_2)
	v_pk_fma_f32 v[136:137], v[132:133], v[130:131], v[134:135] op_sel_hi:[1,0,1]
	v_pk_fma_f32 v[130:131], v[132:133], v[130:131], v[134:135] neg_lo:[0,0,1] neg_hi:[0,0,1]
	v_mov_b32_e32 v131, v137
	s_cbranch_execz .LBB62_599
	s_branch .LBB62_600
.LBB62_598:
                                        ; implicit-def: $vgpr130_vgpr131
.LBB62_599:
	ds_load_b64 v[130:131], v1
.LBB62_600:
	s_and_saveexec_b32 s5, s2
	s_cbranch_execz .LBB62_604
; %bb.601:
	v_add_nc_u32_e32 v132, -3, v0
	s_mov_b32 s2, 24
	s_movk_i32 s9, 0x218
	s_mov_b32 s8, 0
.LBB62_602:                             ; =>This Inner Loop Header: Depth=1
	scratch_load_b64 v[134:135], off, s2
	v_dual_mov_b32 v133, s9 :: v_dual_add_nc_u32 v132, -1, v132
	s_add_co_i32 s9, s9, 8
	s_wait_xcnt 0x0
	s_add_co_i32 s2, s2, 8
	ds_load_b64 v[136:137], v133
	v_cmp_eq_u32_e32 vcc_lo, 0, v132
	s_or_b32 s8, vcc_lo, s8
	s_wait_loadcnt_dscnt 0x0
	v_pk_mul_f32 v[138:139], v[136:137], v[134:135] op_sel:[1,1] op_sel_hi:[0,1]
	s_delay_alu instid0(VALU_DEP_1) | instskip(SKIP_1) | instid1(VALU_DEP_2)
	v_pk_fma_f32 v[140:141], v[136:137], v[134:135], v[138:139] op_sel_hi:[1,0,1]
	v_pk_fma_f32 v[134:135], v[136:137], v[134:135], v[138:139] neg_lo:[0,0,1] neg_hi:[0,0,1]
	v_mov_b32_e32 v135, v141
	s_delay_alu instid0(VALU_DEP_1)
	v_pk_add_f32 v[130:131], v[130:131], v[134:135]
	s_and_not1_b32 exec_lo, exec_lo, s8
	s_cbranch_execnz .LBB62_602
; %bb.603:
	s_or_b32 exec_lo, exec_lo, s8
.LBB62_604:
	s_delay_alu instid0(SALU_CYCLE_1) | instskip(SKIP_4) | instid1(VALU_DEP_1)
	s_or_b32 exec_lo, exec_lo, s5
	v_mov_b32_e32 v132, 0
	ds_load_b64 v[132:133], v132 offset:16
	s_wait_dscnt 0x0
	v_pk_mul_f32 v[134:135], v[130:131], v[132:133] op_sel:[1,1] op_sel_hi:[0,1]
	v_pk_fma_f32 v[136:137], v[130:131], v[132:133], v[134:135] op_sel_hi:[1,0,1]
	v_pk_fma_f32 v[130:131], v[130:131], v[132:133], v[134:135] neg_lo:[0,0,1] neg_hi:[0,0,1]
	s_delay_alu instid0(VALU_DEP_2)
	v_mov_b32_e32 v131, v137
	scratch_store_b64 off, v[130:131], off offset:16
.LBB62_605:
	s_wait_xcnt 0x0
	s_or_b32 exec_lo, exec_lo, s0
	scratch_load_b64 v[130:131], off, off offset:8
	v_cmp_lt_u32_e64 s0, 1, v0
	s_wait_loadcnt 0x0
	ds_store_b64 v1, v[130:131]
	s_wait_storecnt_dscnt 0x0
	s_barrier_signal -1
	s_barrier_wait -1
	s_wait_xcnt 0x0
	s_and_saveexec_b32 s2, s0
	s_cbranch_execz .LBB62_615
; %bb.606:
	s_and_not1_b32 vcc_lo, exec_lo, s3
	s_cbranch_vccnz .LBB62_608
; %bb.607:
	scratch_load_b64 v[130:131], v55, off
	ds_load_b64 v[132:133], v1
	s_wait_loadcnt_dscnt 0x0
	v_pk_mul_f32 v[134:135], v[132:133], v[130:131] op_sel:[1,1] op_sel_hi:[0,1]
	s_delay_alu instid0(VALU_DEP_1) | instskip(SKIP_1) | instid1(VALU_DEP_2)
	v_pk_fma_f32 v[136:137], v[132:133], v[130:131], v[134:135] op_sel_hi:[1,0,1]
	v_pk_fma_f32 v[130:131], v[132:133], v[130:131], v[134:135] neg_lo:[0,0,1] neg_hi:[0,0,1]
	v_mov_b32_e32 v131, v137
	s_cbranch_execz .LBB62_609
	s_branch .LBB62_610
.LBB62_608:
                                        ; implicit-def: $vgpr130_vgpr131
.LBB62_609:
	ds_load_b64 v[130:131], v1
.LBB62_610:
	s_and_saveexec_b32 s5, s1
	s_cbranch_execz .LBB62_614
; %bb.611:
	v_add_nc_u32_e32 v132, -2, v0
	s_movk_i32 s8, 0x210
	s_mov_b32 s1, 0
.LBB62_612:                             ; =>This Inner Loop Header: Depth=1
	scratch_load_b64 v[134:135], off, s4
	v_dual_mov_b32 v133, s8 :: v_dual_add_nc_u32 v132, -1, v132
	s_add_co_i32 s8, s8, 8
	s_wait_xcnt 0x0
	s_add_co_i32 s4, s4, 8
	ds_load_b64 v[136:137], v133
	v_cmp_eq_u32_e32 vcc_lo, 0, v132
	s_or_b32 s1, vcc_lo, s1
	s_wait_loadcnt_dscnt 0x0
	v_pk_mul_f32 v[138:139], v[136:137], v[134:135] op_sel:[1,1] op_sel_hi:[0,1]
	s_delay_alu instid0(VALU_DEP_1) | instskip(SKIP_1) | instid1(VALU_DEP_2)
	v_pk_fma_f32 v[140:141], v[136:137], v[134:135], v[138:139] op_sel_hi:[1,0,1]
	v_pk_fma_f32 v[134:135], v[136:137], v[134:135], v[138:139] neg_lo:[0,0,1] neg_hi:[0,0,1]
	v_mov_b32_e32 v135, v141
	s_delay_alu instid0(VALU_DEP_1)
	v_pk_add_f32 v[130:131], v[130:131], v[134:135]
	s_and_not1_b32 exec_lo, exec_lo, s1
	s_cbranch_execnz .LBB62_612
; %bb.613:
	s_or_b32 exec_lo, exec_lo, s1
.LBB62_614:
	s_delay_alu instid0(SALU_CYCLE_1) | instskip(SKIP_4) | instid1(VALU_DEP_1)
	s_or_b32 exec_lo, exec_lo, s5
	v_mov_b32_e32 v132, 0
	ds_load_b64 v[132:133], v132 offset:8
	s_wait_dscnt 0x0
	v_pk_mul_f32 v[134:135], v[130:131], v[132:133] op_sel:[1,1] op_sel_hi:[0,1]
	v_pk_fma_f32 v[136:137], v[130:131], v[132:133], v[134:135] op_sel_hi:[1,0,1]
	v_pk_fma_f32 v[130:131], v[130:131], v[132:133], v[134:135] neg_lo:[0,0,1] neg_hi:[0,0,1]
	s_delay_alu instid0(VALU_DEP_2)
	v_mov_b32_e32 v131, v137
	scratch_store_b64 off, v[130:131], off offset:8
.LBB62_615:
	s_wait_xcnt 0x0
	s_or_b32 exec_lo, exec_lo, s2
	scratch_load_b64 v[130:131], off, off
	s_mov_b32 s2, 0
	s_mov_b32 s1, 0
	s_mov_b32 s5, exec_lo
                                        ; implicit-def: $vgpr174
                                        ; implicit-def: $sgpr4
	s_wait_loadcnt 0x0
	ds_store_b64 v1, v[130:131]
	s_wait_storecnt_dscnt 0x0
	s_barrier_signal -1
	s_barrier_wait -1
	s_wait_xcnt 0x0
	v_cmpx_ne_u32_e32 0, v0
	s_cbranch_execz .LBB62_625
; %bb.616:
	s_and_not1_b32 vcc_lo, exec_lo, s3
	s_cbranch_vccnz .LBB62_618
; %bb.617:
	scratch_load_b64 v[132:133], v55, off
	ds_load_b64 v[134:135], v1
	s_wait_loadcnt_dscnt 0x0
	v_dual_mul_f32 v130, v135, v133 :: v_dual_mul_f32 v131, v134, v133
	s_delay_alu instid0(VALU_DEP_1)
	v_dual_fma_f32 v130, v134, v132, -v130 :: v_dual_fmac_f32 v131, v135, v132
	s_and_not1_b32 vcc_lo, exec_lo, s1
	s_cbranch_vccz .LBB62_619
	s_branch .LBB62_620
.LBB62_618:
                                        ; implicit-def: $vgpr130
.LBB62_619:
	ds_load_b64 v[130:131], v1
.LBB62_620:
	s_and_saveexec_b32 s1, s0
	s_cbranch_execz .LBB62_624
; %bb.621:
	v_add_nc_u32_e32 v132, -1, v0
	s_or_b32 s0, 0, 8
	s_movk_i32 s8, 0x208
	s_mov_b32 s4, 0
.LBB62_622:                             ; =>This Inner Loop Header: Depth=1
	scratch_load_b64 v[134:135], off, s0
	v_mov_b32_e32 v133, s8
	s_add_co_i32 s8, s8, 8
	s_wait_xcnt 0x0
	s_add_co_i32 s0, s0, 8
	v_add_nc_u32_e32 v132, -1, v132
	ds_load_b64 v[136:137], v133
	v_cmp_eq_u32_e32 vcc_lo, 0, v132
	s_or_b32 s4, vcc_lo, s4
	s_wait_loadcnt_dscnt 0x0
	v_dual_mul_f32 v133, v137, v135 :: v_dual_mul_f32 v135, v136, v135
	s_delay_alu instid0(VALU_DEP_1) | instskip(NEXT) | instid1(VALU_DEP_1)
	v_dual_fma_f32 v133, v136, v134, -v133 :: v_dual_fmac_f32 v135, v137, v134
	v_dual_add_f32 v130, v130, v133 :: v_dual_add_f32 v131, v131, v135
	s_and_not1_b32 exec_lo, exec_lo, s4
	s_cbranch_execnz .LBB62_622
; %bb.623:
	s_or_b32 exec_lo, exec_lo, s4
.LBB62_624:
	s_delay_alu instid0(SALU_CYCLE_1)
	s_or_b32 exec_lo, exec_lo, s1
	v_mov_b32_e32 v132, 0
	s_mov_b32 s1, exec_lo
	s_or_b32 s4, 0, 4
	ds_load_b64 v[132:133], v132
	s_wait_dscnt 0x0
	v_dual_mul_f32 v134, v131, v133 :: v_dual_mul_f32 v174, v130, v133
	s_delay_alu instid0(VALU_DEP_1) | instskip(NEXT) | instid1(VALU_DEP_2)
	v_fma_f32 v130, v130, v132, -v134
	v_fmac_f32_e32 v174, v131, v132
	scratch_store_b32 off, v130, off
.LBB62_625:
	s_wait_xcnt 0x0
	s_or_b32 exec_lo, exec_lo, s5
	s_delay_alu instid0(SALU_CYCLE_1)
	s_and_b32 vcc_lo, exec_lo, s2
	s_cbranch_vccz .LBB62_1241
.LBB62_626:
	scratch_load_b64 v[130:131], off, off offset:8
	v_cmp_eq_u32_e64 s0, 0, v0
	s_wait_loadcnt 0x0
	ds_store_b64 v1, v[130:131]
	s_wait_storecnt_dscnt 0x0
	s_barrier_signal -1
	s_barrier_wait -1
	s_wait_xcnt 0x0
	s_and_saveexec_b32 s2, s0
	s_cbranch_execz .LBB62_632
; %bb.627:
	s_and_b32 vcc_lo, exec_lo, s3
	s_cbranch_vccz .LBB62_629
; %bb.628:
	scratch_load_b64 v[130:131], v55, off
	ds_load_b64 v[132:133], v1
	s_wait_loadcnt_dscnt 0x0
	v_pk_mul_f32 v[134:135], v[132:133], v[130:131] op_sel:[1,1] op_sel_hi:[0,1]
	v_pk_mul_f32 v[136:137], v[132:133], v[130:131] op_sel_hi:[1,0]
	s_delay_alu instid0(VALU_DEP_2) | instskip(NEXT) | instid1(VALU_DEP_2)
	v_pk_fma_f32 v[130:131], v[132:133], v[130:131], v[134:135] op_sel_hi:[1,0,1]
	v_sub_f32_e32 v130, v136, v134
	s_cbranch_execz .LBB62_630
	s_branch .LBB62_631
.LBB62_629:
                                        ; implicit-def: $vgpr131
.LBB62_630:
	ds_load_b64 v[130:131], v1
.LBB62_631:
	s_wait_dscnt 0x0
	v_dual_mov_b32 v132, 0 :: v_dual_mov_b32 v134, v131
	v_mov_b32_e32 v135, v130
	ds_load_b64 v[132:133], v132 offset:8
	s_wait_dscnt 0x0
	v_pk_mul_f32 v[134:135], v[134:135], v[132:133] op_sel:[0,1]
	s_delay_alu instid0(VALU_DEP_1) | instskip(SKIP_1) | instid1(VALU_DEP_2)
	v_pk_fma_f32 v[136:137], v[130:131], v[132:133], v[134:135] op_sel_hi:[1,0,1]
	v_pk_fma_f32 v[130:131], v[130:131], v[132:133], v[134:135] neg_lo:[0,0,1] neg_hi:[0,0,1]
	v_mov_b32_e32 v131, v137
	scratch_store_b64 off, v[130:131], off offset:8
.LBB62_632:
	s_wait_xcnt 0x0
	s_or_b32 exec_lo, exec_lo, s2
	scratch_load_b64 v[130:131], off, off offset:16
	v_cndmask_b32_e64 v132, 0, 1, s3
	s_mov_b32 s2, exec_lo
	s_wait_loadcnt 0x0
	ds_store_b64 v1, v[130:131]
	s_wait_storecnt_dscnt 0x0
	s_barrier_signal -1
	s_barrier_wait -1
	s_wait_xcnt 0x0
	v_cmpx_gt_u32_e32 2, v0
	s_cbranch_execz .LBB62_640
; %bb.633:
	s_and_not1_b32 vcc_lo, exec_lo, s3
	s_cbranch_vccnz .LBB62_635
; %bb.634:
	scratch_load_b64 v[130:131], v55, off
	ds_load_b64 v[134:135], v1
	s_wait_loadcnt_dscnt 0x0
	v_pk_mul_f32 v[136:137], v[134:135], v[130:131] op_sel:[1,1] op_sel_hi:[0,1]
	s_delay_alu instid0(VALU_DEP_1) | instskip(SKIP_1) | instid1(VALU_DEP_2)
	v_pk_fma_f32 v[138:139], v[134:135], v[130:131], v[136:137] op_sel_hi:[1,0,1]
	v_pk_fma_f32 v[130:131], v[134:135], v[130:131], v[136:137] neg_lo:[0,0,1] neg_hi:[0,0,1]
	v_mov_b32_e32 v131, v139
	s_cbranch_execz .LBB62_636
	s_branch .LBB62_637
.LBB62_635:
                                        ; implicit-def: $vgpr130_vgpr131
.LBB62_636:
	ds_load_b64 v[130:131], v1
.LBB62_637:
	s_and_saveexec_b32 s3, s0
	s_cbranch_execz .LBB62_639
; %bb.638:
	scratch_load_b64 v[134:135], off, off offset:8
	v_mov_b32_e32 v133, 0
	ds_load_b64 v[136:137], v133 offset:520
	s_wait_loadcnt_dscnt 0x0
	v_pk_mul_f32 v[138:139], v[136:137], v[134:135] op_sel:[1,1] op_sel_hi:[0,1]
	s_delay_alu instid0(VALU_DEP_1) | instskip(SKIP_1) | instid1(VALU_DEP_2)
	v_pk_fma_f32 v[140:141], v[136:137], v[134:135], v[138:139] op_sel_hi:[1,0,1]
	v_pk_fma_f32 v[134:135], v[136:137], v[134:135], v[138:139] neg_lo:[0,0,1] neg_hi:[0,0,1]
	v_mov_b32_e32 v135, v141
	s_delay_alu instid0(VALU_DEP_1)
	v_pk_add_f32 v[130:131], v[130:131], v[134:135]
.LBB62_639:
	s_or_b32 exec_lo, exec_lo, s3
	v_mov_b32_e32 v133, 0
	ds_load_b64 v[134:135], v133 offset:16
	s_wait_dscnt 0x0
	v_pk_mul_f32 v[136:137], v[130:131], v[134:135] op_sel:[1,1] op_sel_hi:[0,1]
	s_delay_alu instid0(VALU_DEP_1) | instskip(SKIP_1) | instid1(VALU_DEP_2)
	v_pk_fma_f32 v[138:139], v[130:131], v[134:135], v[136:137] op_sel_hi:[1,0,1]
	v_pk_fma_f32 v[130:131], v[130:131], v[134:135], v[136:137] neg_lo:[0,0,1] neg_hi:[0,0,1]
	v_mov_b32_e32 v131, v139
	scratch_store_b64 off, v[130:131], off offset:16
.LBB62_640:
	s_wait_xcnt 0x0
	s_or_b32 exec_lo, exec_lo, s2
	scratch_load_b64 v[130:131], off, off offset:24
	s_mov_b32 s2, exec_lo
	s_wait_loadcnt 0x0
	ds_store_b64 v1, v[130:131]
	s_wait_storecnt_dscnt 0x0
	s_barrier_signal -1
	s_barrier_wait -1
	s_wait_xcnt 0x0
	v_cmpx_gt_u32_e32 3, v0
	s_cbranch_execz .LBB62_650
; %bb.641:
	v_cmp_ne_u32_e32 vcc_lo, 1, v132
	s_cbranch_vccnz .LBB62_643
; %bb.642:
	scratch_load_b64 v[130:131], v55, off
	ds_load_b64 v[134:135], v1
	s_wait_loadcnt_dscnt 0x0
	v_pk_mul_f32 v[136:137], v[134:135], v[130:131] op_sel:[1,1] op_sel_hi:[0,1]
	s_delay_alu instid0(VALU_DEP_1) | instskip(SKIP_1) | instid1(VALU_DEP_2)
	v_pk_fma_f32 v[138:139], v[134:135], v[130:131], v[136:137] op_sel_hi:[1,0,1]
	v_pk_fma_f32 v[130:131], v[134:135], v[130:131], v[136:137] neg_lo:[0,0,1] neg_hi:[0,0,1]
	v_mov_b32_e32 v131, v139
	s_cbranch_execz .LBB62_644
	s_branch .LBB62_645
.LBB62_643:
                                        ; implicit-def: $vgpr130_vgpr131
.LBB62_644:
	ds_load_b64 v[130:131], v1
.LBB62_645:
	s_mov_b32 s3, exec_lo
	v_cmpx_ne_u32_e32 2, v0
	s_cbranch_execz .LBB62_649
; %bb.646:
	scratch_load_b64 v[134:135], v55, off offset:8
	ds_load_b64 v[136:137], v1 offset:8
	s_wait_loadcnt_dscnt 0x0
	v_pk_mul_f32 v[138:139], v[136:137], v[134:135] op_sel:[1,1] op_sel_hi:[0,1]
	s_delay_alu instid0(VALU_DEP_1) | instskip(SKIP_1) | instid1(VALU_DEP_2)
	v_pk_fma_f32 v[140:141], v[136:137], v[134:135], v[138:139] op_sel_hi:[1,0,1]
	v_pk_fma_f32 v[134:135], v[136:137], v[134:135], v[138:139] neg_lo:[0,0,1] neg_hi:[0,0,1]
	v_mov_b32_e32 v135, v141
	s_delay_alu instid0(VALU_DEP_1)
	v_pk_add_f32 v[130:131], v[130:131], v[134:135]
	s_and_saveexec_b32 s4, s0
	s_cbranch_execz .LBB62_648
; %bb.647:
	scratch_load_b64 v[134:135], off, off offset:16
	v_mov_b32_e32 v133, 0
	ds_load_b64 v[136:137], v133 offset:528
	s_wait_loadcnt_dscnt 0x0
	v_pk_mul_f32 v[138:139], v[136:137], v[134:135] op_sel:[1,1] op_sel_hi:[0,1]
	s_delay_alu instid0(VALU_DEP_1) | instskip(SKIP_1) | instid1(VALU_DEP_2)
	v_pk_fma_f32 v[140:141], v[136:137], v[134:135], v[138:139] op_sel_hi:[1,0,1]
	v_pk_fma_f32 v[134:135], v[136:137], v[134:135], v[138:139] neg_lo:[0,0,1] neg_hi:[0,0,1]
	v_mov_b32_e32 v135, v141
	s_delay_alu instid0(VALU_DEP_1)
	v_pk_add_f32 v[130:131], v[130:131], v[134:135]
.LBB62_648:
	s_or_b32 exec_lo, exec_lo, s4
.LBB62_649:
	s_delay_alu instid0(SALU_CYCLE_1) | instskip(SKIP_4) | instid1(VALU_DEP_1)
	s_or_b32 exec_lo, exec_lo, s3
	v_mov_b32_e32 v133, 0
	ds_load_b64 v[134:135], v133 offset:24
	s_wait_dscnt 0x0
	v_pk_mul_f32 v[136:137], v[130:131], v[134:135] op_sel:[1,1] op_sel_hi:[0,1]
	v_pk_fma_f32 v[138:139], v[130:131], v[134:135], v[136:137] op_sel_hi:[1,0,1]
	v_pk_fma_f32 v[130:131], v[130:131], v[134:135], v[136:137] neg_lo:[0,0,1] neg_hi:[0,0,1]
	s_delay_alu instid0(VALU_DEP_2)
	v_mov_b32_e32 v131, v139
	scratch_store_b64 off, v[130:131], off offset:24
.LBB62_650:
	s_wait_xcnt 0x0
	s_or_b32 exec_lo, exec_lo, s2
	scratch_load_b64 v[130:131], off, off offset:32
	s_mov_b32 s0, exec_lo
	s_wait_loadcnt 0x0
	ds_store_b64 v1, v[130:131]
	s_wait_storecnt_dscnt 0x0
	s_barrier_signal -1
	s_barrier_wait -1
	s_wait_xcnt 0x0
	v_cmpx_gt_u32_e32 4, v0
	s_cbranch_execz .LBB62_660
; %bb.651:
	v_cmp_ne_u32_e32 vcc_lo, 1, v132
	s_cbranch_vccnz .LBB62_653
; %bb.652:
	scratch_load_b64 v[130:131], v55, off
	ds_load_b64 v[134:135], v1
	s_wait_loadcnt_dscnt 0x0
	v_pk_mul_f32 v[136:137], v[134:135], v[130:131] op_sel:[1,1] op_sel_hi:[0,1]
	s_delay_alu instid0(VALU_DEP_1) | instskip(SKIP_1) | instid1(VALU_DEP_2)
	v_pk_fma_f32 v[138:139], v[134:135], v[130:131], v[136:137] op_sel_hi:[1,0,1]
	v_pk_fma_f32 v[130:131], v[134:135], v[130:131], v[136:137] neg_lo:[0,0,1] neg_hi:[0,0,1]
	v_mov_b32_e32 v131, v139
	s_cbranch_execz .LBB62_654
	s_branch .LBB62_655
.LBB62_653:
                                        ; implicit-def: $vgpr130_vgpr131
.LBB62_654:
	ds_load_b64 v[130:131], v1
.LBB62_655:
	s_mov_b32 s2, exec_lo
	v_cmpx_ne_u32_e32 3, v0
	s_cbranch_execz .LBB62_659
; %bb.656:
	v_add_nc_u32_e32 v133, 0x208, v54
	v_add3_u32 v134, 0, v54, 8
	v_mov_b32_e32 v135, v0
	s_mov_b32 s3, 0
.LBB62_657:                             ; =>This Inner Loop Header: Depth=1
	scratch_load_b64 v[136:137], v134, off
	ds_load_b64 v[138:139], v133
	s_wait_xcnt 0x0
	v_dual_add_nc_u32 v133, 8, v133 :: v_dual_add_nc_u32 v134, 8, v134
	s_wait_loadcnt_dscnt 0x0
	v_pk_mul_f32 v[140:141], v[138:139], v[136:137] op_sel:[1,1] op_sel_hi:[0,1]
	s_delay_alu instid0(VALU_DEP_1) | instskip(SKIP_2) | instid1(VALU_DEP_3)
	v_pk_fma_f32 v[142:143], v[138:139], v[136:137], v[140:141] op_sel_hi:[1,0,1]
	v_add_nc_u32_e32 v135, 1, v135
	v_pk_fma_f32 v[136:137], v[138:139], v[136:137], v[140:141] neg_lo:[0,0,1] neg_hi:[0,0,1]
	v_mov_b32_e32 v137, v143
	s_delay_alu instid0(VALU_DEP_3) | instskip(NEXT) | instid1(VALU_DEP_2)
	v_cmp_lt_u32_e32 vcc_lo, 2, v135
	v_pk_add_f32 v[130:131], v[130:131], v[136:137]
	s_or_b32 s3, vcc_lo, s3
	s_delay_alu instid0(SALU_CYCLE_1)
	s_and_not1_b32 exec_lo, exec_lo, s3
	s_cbranch_execnz .LBB62_657
; %bb.658:
	s_or_b32 exec_lo, exec_lo, s3
.LBB62_659:
	s_delay_alu instid0(SALU_CYCLE_1) | instskip(SKIP_4) | instid1(VALU_DEP_1)
	s_or_b32 exec_lo, exec_lo, s2
	v_mov_b32_e32 v133, 0
	ds_load_b64 v[134:135], v133 offset:32
	s_wait_dscnt 0x0
	v_pk_mul_f32 v[136:137], v[130:131], v[134:135] op_sel:[1,1] op_sel_hi:[0,1]
	v_pk_fma_f32 v[138:139], v[130:131], v[134:135], v[136:137] op_sel_hi:[1,0,1]
	v_pk_fma_f32 v[130:131], v[130:131], v[134:135], v[136:137] neg_lo:[0,0,1] neg_hi:[0,0,1]
	s_delay_alu instid0(VALU_DEP_2)
	v_mov_b32_e32 v131, v139
	scratch_store_b64 off, v[130:131], off offset:32
.LBB62_660:
	s_wait_xcnt 0x0
	s_or_b32 exec_lo, exec_lo, s0
	scratch_load_b64 v[130:131], off, off offset:40
	s_mov_b32 s0, exec_lo
	s_wait_loadcnt 0x0
	ds_store_b64 v1, v[130:131]
	s_wait_storecnt_dscnt 0x0
	s_barrier_signal -1
	s_barrier_wait -1
	s_wait_xcnt 0x0
	v_cmpx_gt_u32_e32 5, v0
	s_cbranch_execz .LBB62_670
; %bb.661:
	v_cmp_ne_u32_e32 vcc_lo, 1, v132
	s_cbranch_vccnz .LBB62_663
; %bb.662:
	scratch_load_b64 v[130:131], v55, off
	ds_load_b64 v[134:135], v1
	s_wait_loadcnt_dscnt 0x0
	v_pk_mul_f32 v[136:137], v[134:135], v[130:131] op_sel:[1,1] op_sel_hi:[0,1]
	s_delay_alu instid0(VALU_DEP_1) | instskip(SKIP_1) | instid1(VALU_DEP_2)
	v_pk_fma_f32 v[138:139], v[134:135], v[130:131], v[136:137] op_sel_hi:[1,0,1]
	v_pk_fma_f32 v[130:131], v[134:135], v[130:131], v[136:137] neg_lo:[0,0,1] neg_hi:[0,0,1]
	v_mov_b32_e32 v131, v139
	s_cbranch_execz .LBB62_664
	s_branch .LBB62_665
.LBB62_663:
                                        ; implicit-def: $vgpr130_vgpr131
.LBB62_664:
	ds_load_b64 v[130:131], v1
.LBB62_665:
	s_mov_b32 s2, exec_lo
	v_cmpx_ne_u32_e32 4, v0
	s_cbranch_execz .LBB62_669
; %bb.666:
	v_add_nc_u32_e32 v133, 0x208, v54
	v_add3_u32 v134, 0, v54, 8
	v_mov_b32_e32 v135, v0
	s_mov_b32 s3, 0
.LBB62_667:                             ; =>This Inner Loop Header: Depth=1
	scratch_load_b64 v[136:137], v134, off
	ds_load_b64 v[138:139], v133
	s_wait_xcnt 0x0
	v_dual_add_nc_u32 v133, 8, v133 :: v_dual_add_nc_u32 v134, 8, v134
	s_wait_loadcnt_dscnt 0x0
	v_pk_mul_f32 v[140:141], v[138:139], v[136:137] op_sel:[1,1] op_sel_hi:[0,1]
	s_delay_alu instid0(VALU_DEP_1) | instskip(SKIP_2) | instid1(VALU_DEP_3)
	v_pk_fma_f32 v[142:143], v[138:139], v[136:137], v[140:141] op_sel_hi:[1,0,1]
	v_add_nc_u32_e32 v135, 1, v135
	v_pk_fma_f32 v[136:137], v[138:139], v[136:137], v[140:141] neg_lo:[0,0,1] neg_hi:[0,0,1]
	v_mov_b32_e32 v137, v143
	s_delay_alu instid0(VALU_DEP_3) | instskip(NEXT) | instid1(VALU_DEP_2)
	v_cmp_lt_u32_e32 vcc_lo, 3, v135
	v_pk_add_f32 v[130:131], v[130:131], v[136:137]
	s_or_b32 s3, vcc_lo, s3
	s_delay_alu instid0(SALU_CYCLE_1)
	s_and_not1_b32 exec_lo, exec_lo, s3
	s_cbranch_execnz .LBB62_667
; %bb.668:
	s_or_b32 exec_lo, exec_lo, s3
.LBB62_669:
	s_delay_alu instid0(SALU_CYCLE_1) | instskip(SKIP_4) | instid1(VALU_DEP_1)
	s_or_b32 exec_lo, exec_lo, s2
	v_mov_b32_e32 v133, 0
	ds_load_b64 v[134:135], v133 offset:40
	s_wait_dscnt 0x0
	v_pk_mul_f32 v[136:137], v[130:131], v[134:135] op_sel:[1,1] op_sel_hi:[0,1]
	v_pk_fma_f32 v[138:139], v[130:131], v[134:135], v[136:137] op_sel_hi:[1,0,1]
	v_pk_fma_f32 v[130:131], v[130:131], v[134:135], v[136:137] neg_lo:[0,0,1] neg_hi:[0,0,1]
	s_delay_alu instid0(VALU_DEP_2)
	v_mov_b32_e32 v131, v139
	scratch_store_b64 off, v[130:131], off offset:40
.LBB62_670:
	s_wait_xcnt 0x0
	s_or_b32 exec_lo, exec_lo, s0
	scratch_load_b64 v[130:131], off, off offset:48
	s_mov_b32 s0, exec_lo
	s_wait_loadcnt 0x0
	ds_store_b64 v1, v[130:131]
	s_wait_storecnt_dscnt 0x0
	s_barrier_signal -1
	s_barrier_wait -1
	s_wait_xcnt 0x0
	v_cmpx_gt_u32_e32 6, v0
	s_cbranch_execz .LBB62_680
; %bb.671:
	v_cmp_ne_u32_e32 vcc_lo, 1, v132
	s_cbranch_vccnz .LBB62_673
; %bb.672:
	scratch_load_b64 v[130:131], v55, off
	ds_load_b64 v[134:135], v1
	s_wait_loadcnt_dscnt 0x0
	v_pk_mul_f32 v[136:137], v[134:135], v[130:131] op_sel:[1,1] op_sel_hi:[0,1]
	s_delay_alu instid0(VALU_DEP_1) | instskip(SKIP_1) | instid1(VALU_DEP_2)
	v_pk_fma_f32 v[138:139], v[134:135], v[130:131], v[136:137] op_sel_hi:[1,0,1]
	v_pk_fma_f32 v[130:131], v[134:135], v[130:131], v[136:137] neg_lo:[0,0,1] neg_hi:[0,0,1]
	v_mov_b32_e32 v131, v139
	s_cbranch_execz .LBB62_674
	s_branch .LBB62_675
.LBB62_673:
                                        ; implicit-def: $vgpr130_vgpr131
.LBB62_674:
	ds_load_b64 v[130:131], v1
.LBB62_675:
	s_mov_b32 s2, exec_lo
	v_cmpx_ne_u32_e32 5, v0
	s_cbranch_execz .LBB62_679
; %bb.676:
	v_add_nc_u32_e32 v133, 0x208, v54
	v_add3_u32 v134, 0, v54, 8
	v_mov_b32_e32 v135, v0
	s_mov_b32 s3, 0
.LBB62_677:                             ; =>This Inner Loop Header: Depth=1
	scratch_load_b64 v[136:137], v134, off
	ds_load_b64 v[138:139], v133
	s_wait_xcnt 0x0
	v_dual_add_nc_u32 v133, 8, v133 :: v_dual_add_nc_u32 v134, 8, v134
	s_wait_loadcnt_dscnt 0x0
	v_pk_mul_f32 v[140:141], v[138:139], v[136:137] op_sel:[1,1] op_sel_hi:[0,1]
	s_delay_alu instid0(VALU_DEP_1) | instskip(SKIP_2) | instid1(VALU_DEP_3)
	v_pk_fma_f32 v[142:143], v[138:139], v[136:137], v[140:141] op_sel_hi:[1,0,1]
	v_add_nc_u32_e32 v135, 1, v135
	v_pk_fma_f32 v[136:137], v[138:139], v[136:137], v[140:141] neg_lo:[0,0,1] neg_hi:[0,0,1]
	v_mov_b32_e32 v137, v143
	s_delay_alu instid0(VALU_DEP_3) | instskip(NEXT) | instid1(VALU_DEP_2)
	v_cmp_lt_u32_e32 vcc_lo, 4, v135
	v_pk_add_f32 v[130:131], v[130:131], v[136:137]
	s_or_b32 s3, vcc_lo, s3
	s_delay_alu instid0(SALU_CYCLE_1)
	s_and_not1_b32 exec_lo, exec_lo, s3
	s_cbranch_execnz .LBB62_677
; %bb.678:
	s_or_b32 exec_lo, exec_lo, s3
.LBB62_679:
	s_delay_alu instid0(SALU_CYCLE_1) | instskip(SKIP_4) | instid1(VALU_DEP_1)
	s_or_b32 exec_lo, exec_lo, s2
	v_mov_b32_e32 v133, 0
	ds_load_b64 v[134:135], v133 offset:48
	s_wait_dscnt 0x0
	v_pk_mul_f32 v[136:137], v[130:131], v[134:135] op_sel:[1,1] op_sel_hi:[0,1]
	v_pk_fma_f32 v[138:139], v[130:131], v[134:135], v[136:137] op_sel_hi:[1,0,1]
	v_pk_fma_f32 v[130:131], v[130:131], v[134:135], v[136:137] neg_lo:[0,0,1] neg_hi:[0,0,1]
	s_delay_alu instid0(VALU_DEP_2)
	v_mov_b32_e32 v131, v139
	scratch_store_b64 off, v[130:131], off offset:48
.LBB62_680:
	s_wait_xcnt 0x0
	s_or_b32 exec_lo, exec_lo, s0
	scratch_load_b64 v[130:131], off, off offset:56
	s_mov_b32 s0, exec_lo
	s_wait_loadcnt 0x0
	ds_store_b64 v1, v[130:131]
	s_wait_storecnt_dscnt 0x0
	s_barrier_signal -1
	s_barrier_wait -1
	s_wait_xcnt 0x0
	v_cmpx_gt_u32_e32 7, v0
	s_cbranch_execz .LBB62_690
; %bb.681:
	v_cmp_ne_u32_e32 vcc_lo, 1, v132
	s_cbranch_vccnz .LBB62_683
; %bb.682:
	scratch_load_b64 v[130:131], v55, off
	ds_load_b64 v[134:135], v1
	s_wait_loadcnt_dscnt 0x0
	v_pk_mul_f32 v[136:137], v[134:135], v[130:131] op_sel:[1,1] op_sel_hi:[0,1]
	s_delay_alu instid0(VALU_DEP_1) | instskip(SKIP_1) | instid1(VALU_DEP_2)
	v_pk_fma_f32 v[138:139], v[134:135], v[130:131], v[136:137] op_sel_hi:[1,0,1]
	v_pk_fma_f32 v[130:131], v[134:135], v[130:131], v[136:137] neg_lo:[0,0,1] neg_hi:[0,0,1]
	v_mov_b32_e32 v131, v139
	s_cbranch_execz .LBB62_684
	s_branch .LBB62_685
.LBB62_683:
                                        ; implicit-def: $vgpr130_vgpr131
.LBB62_684:
	ds_load_b64 v[130:131], v1
.LBB62_685:
	s_mov_b32 s2, exec_lo
	v_cmpx_ne_u32_e32 6, v0
	s_cbranch_execz .LBB62_689
; %bb.686:
	v_add_nc_u32_e32 v133, 0x208, v54
	v_add3_u32 v134, 0, v54, 8
	v_mov_b32_e32 v135, v0
	s_mov_b32 s3, 0
.LBB62_687:                             ; =>This Inner Loop Header: Depth=1
	scratch_load_b64 v[136:137], v134, off
	ds_load_b64 v[138:139], v133
	s_wait_xcnt 0x0
	v_dual_add_nc_u32 v133, 8, v133 :: v_dual_add_nc_u32 v134, 8, v134
	s_wait_loadcnt_dscnt 0x0
	v_pk_mul_f32 v[140:141], v[138:139], v[136:137] op_sel:[1,1] op_sel_hi:[0,1]
	s_delay_alu instid0(VALU_DEP_1) | instskip(SKIP_2) | instid1(VALU_DEP_3)
	v_pk_fma_f32 v[142:143], v[138:139], v[136:137], v[140:141] op_sel_hi:[1,0,1]
	v_add_nc_u32_e32 v135, 1, v135
	v_pk_fma_f32 v[136:137], v[138:139], v[136:137], v[140:141] neg_lo:[0,0,1] neg_hi:[0,0,1]
	v_mov_b32_e32 v137, v143
	s_delay_alu instid0(VALU_DEP_3) | instskip(NEXT) | instid1(VALU_DEP_2)
	v_cmp_lt_u32_e32 vcc_lo, 5, v135
	v_pk_add_f32 v[130:131], v[130:131], v[136:137]
	s_or_b32 s3, vcc_lo, s3
	s_delay_alu instid0(SALU_CYCLE_1)
	s_and_not1_b32 exec_lo, exec_lo, s3
	s_cbranch_execnz .LBB62_687
; %bb.688:
	s_or_b32 exec_lo, exec_lo, s3
.LBB62_689:
	s_delay_alu instid0(SALU_CYCLE_1) | instskip(SKIP_4) | instid1(VALU_DEP_1)
	s_or_b32 exec_lo, exec_lo, s2
	v_mov_b32_e32 v133, 0
	ds_load_b64 v[134:135], v133 offset:56
	s_wait_dscnt 0x0
	v_pk_mul_f32 v[136:137], v[130:131], v[134:135] op_sel:[1,1] op_sel_hi:[0,1]
	v_pk_fma_f32 v[138:139], v[130:131], v[134:135], v[136:137] op_sel_hi:[1,0,1]
	v_pk_fma_f32 v[130:131], v[130:131], v[134:135], v[136:137] neg_lo:[0,0,1] neg_hi:[0,0,1]
	s_delay_alu instid0(VALU_DEP_2)
	v_mov_b32_e32 v131, v139
	scratch_store_b64 off, v[130:131], off offset:56
.LBB62_690:
	s_wait_xcnt 0x0
	s_or_b32 exec_lo, exec_lo, s0
	scratch_load_b64 v[130:131], off, off offset:64
	s_mov_b32 s0, exec_lo
	s_wait_loadcnt 0x0
	ds_store_b64 v1, v[130:131]
	s_wait_storecnt_dscnt 0x0
	s_barrier_signal -1
	s_barrier_wait -1
	s_wait_xcnt 0x0
	v_cmpx_gt_u32_e32 8, v0
	s_cbranch_execz .LBB62_700
; %bb.691:
	v_cmp_ne_u32_e32 vcc_lo, 1, v132
	s_cbranch_vccnz .LBB62_693
; %bb.692:
	scratch_load_b64 v[130:131], v55, off
	ds_load_b64 v[134:135], v1
	s_wait_loadcnt_dscnt 0x0
	v_pk_mul_f32 v[136:137], v[134:135], v[130:131] op_sel:[1,1] op_sel_hi:[0,1]
	s_delay_alu instid0(VALU_DEP_1) | instskip(SKIP_1) | instid1(VALU_DEP_2)
	v_pk_fma_f32 v[138:139], v[134:135], v[130:131], v[136:137] op_sel_hi:[1,0,1]
	v_pk_fma_f32 v[130:131], v[134:135], v[130:131], v[136:137] neg_lo:[0,0,1] neg_hi:[0,0,1]
	v_mov_b32_e32 v131, v139
	s_cbranch_execz .LBB62_694
	s_branch .LBB62_695
.LBB62_693:
                                        ; implicit-def: $vgpr130_vgpr131
.LBB62_694:
	ds_load_b64 v[130:131], v1
.LBB62_695:
	s_mov_b32 s2, exec_lo
	v_cmpx_ne_u32_e32 7, v0
	s_cbranch_execz .LBB62_699
; %bb.696:
	v_add_nc_u32_e32 v133, 0x208, v54
	v_add3_u32 v134, 0, v54, 8
	v_mov_b32_e32 v135, v0
	s_mov_b32 s3, 0
.LBB62_697:                             ; =>This Inner Loop Header: Depth=1
	scratch_load_b64 v[136:137], v134, off
	ds_load_b64 v[138:139], v133
	s_wait_xcnt 0x0
	v_dual_add_nc_u32 v133, 8, v133 :: v_dual_add_nc_u32 v134, 8, v134
	s_wait_loadcnt_dscnt 0x0
	v_pk_mul_f32 v[140:141], v[138:139], v[136:137] op_sel:[1,1] op_sel_hi:[0,1]
	s_delay_alu instid0(VALU_DEP_1) | instskip(SKIP_2) | instid1(VALU_DEP_3)
	v_pk_fma_f32 v[142:143], v[138:139], v[136:137], v[140:141] op_sel_hi:[1,0,1]
	v_add_nc_u32_e32 v135, 1, v135
	v_pk_fma_f32 v[136:137], v[138:139], v[136:137], v[140:141] neg_lo:[0,0,1] neg_hi:[0,0,1]
	v_mov_b32_e32 v137, v143
	s_delay_alu instid0(VALU_DEP_3) | instskip(NEXT) | instid1(VALU_DEP_2)
	v_cmp_lt_u32_e32 vcc_lo, 6, v135
	v_pk_add_f32 v[130:131], v[130:131], v[136:137]
	s_or_b32 s3, vcc_lo, s3
	s_delay_alu instid0(SALU_CYCLE_1)
	s_and_not1_b32 exec_lo, exec_lo, s3
	s_cbranch_execnz .LBB62_697
; %bb.698:
	s_or_b32 exec_lo, exec_lo, s3
.LBB62_699:
	s_delay_alu instid0(SALU_CYCLE_1) | instskip(SKIP_4) | instid1(VALU_DEP_1)
	s_or_b32 exec_lo, exec_lo, s2
	v_mov_b32_e32 v133, 0
	ds_load_b64 v[134:135], v133 offset:64
	s_wait_dscnt 0x0
	v_pk_mul_f32 v[136:137], v[130:131], v[134:135] op_sel:[1,1] op_sel_hi:[0,1]
	v_pk_fma_f32 v[138:139], v[130:131], v[134:135], v[136:137] op_sel_hi:[1,0,1]
	v_pk_fma_f32 v[130:131], v[130:131], v[134:135], v[136:137] neg_lo:[0,0,1] neg_hi:[0,0,1]
	s_delay_alu instid0(VALU_DEP_2)
	v_mov_b32_e32 v131, v139
	scratch_store_b64 off, v[130:131], off offset:64
.LBB62_700:
	s_wait_xcnt 0x0
	s_or_b32 exec_lo, exec_lo, s0
	scratch_load_b64 v[130:131], off, off offset:72
	s_mov_b32 s0, exec_lo
	s_wait_loadcnt 0x0
	ds_store_b64 v1, v[130:131]
	s_wait_storecnt_dscnt 0x0
	s_barrier_signal -1
	s_barrier_wait -1
	s_wait_xcnt 0x0
	v_cmpx_gt_u32_e32 9, v0
	s_cbranch_execz .LBB62_710
; %bb.701:
	v_cmp_ne_u32_e32 vcc_lo, 1, v132
	s_cbranch_vccnz .LBB62_703
; %bb.702:
	scratch_load_b64 v[130:131], v55, off
	ds_load_b64 v[134:135], v1
	s_wait_loadcnt_dscnt 0x0
	v_pk_mul_f32 v[136:137], v[134:135], v[130:131] op_sel:[1,1] op_sel_hi:[0,1]
	s_delay_alu instid0(VALU_DEP_1) | instskip(SKIP_1) | instid1(VALU_DEP_2)
	v_pk_fma_f32 v[138:139], v[134:135], v[130:131], v[136:137] op_sel_hi:[1,0,1]
	v_pk_fma_f32 v[130:131], v[134:135], v[130:131], v[136:137] neg_lo:[0,0,1] neg_hi:[0,0,1]
	v_mov_b32_e32 v131, v139
	s_cbranch_execz .LBB62_704
	s_branch .LBB62_705
.LBB62_703:
                                        ; implicit-def: $vgpr130_vgpr131
.LBB62_704:
	ds_load_b64 v[130:131], v1
.LBB62_705:
	s_mov_b32 s2, exec_lo
	v_cmpx_ne_u32_e32 8, v0
	s_cbranch_execz .LBB62_709
; %bb.706:
	v_add_nc_u32_e32 v133, 0x208, v54
	v_add3_u32 v134, 0, v54, 8
	v_mov_b32_e32 v135, v0
	s_mov_b32 s3, 0
.LBB62_707:                             ; =>This Inner Loop Header: Depth=1
	scratch_load_b64 v[136:137], v134, off
	ds_load_b64 v[138:139], v133
	s_wait_xcnt 0x0
	v_dual_add_nc_u32 v133, 8, v133 :: v_dual_add_nc_u32 v134, 8, v134
	s_wait_loadcnt_dscnt 0x0
	v_pk_mul_f32 v[140:141], v[138:139], v[136:137] op_sel:[1,1] op_sel_hi:[0,1]
	s_delay_alu instid0(VALU_DEP_1) | instskip(SKIP_2) | instid1(VALU_DEP_3)
	v_pk_fma_f32 v[142:143], v[138:139], v[136:137], v[140:141] op_sel_hi:[1,0,1]
	v_add_nc_u32_e32 v135, 1, v135
	v_pk_fma_f32 v[136:137], v[138:139], v[136:137], v[140:141] neg_lo:[0,0,1] neg_hi:[0,0,1]
	v_mov_b32_e32 v137, v143
	s_delay_alu instid0(VALU_DEP_3) | instskip(NEXT) | instid1(VALU_DEP_2)
	v_cmp_lt_u32_e32 vcc_lo, 7, v135
	v_pk_add_f32 v[130:131], v[130:131], v[136:137]
	s_or_b32 s3, vcc_lo, s3
	s_delay_alu instid0(SALU_CYCLE_1)
	s_and_not1_b32 exec_lo, exec_lo, s3
	s_cbranch_execnz .LBB62_707
; %bb.708:
	s_or_b32 exec_lo, exec_lo, s3
.LBB62_709:
	s_delay_alu instid0(SALU_CYCLE_1) | instskip(SKIP_4) | instid1(VALU_DEP_1)
	s_or_b32 exec_lo, exec_lo, s2
	v_mov_b32_e32 v133, 0
	ds_load_b64 v[134:135], v133 offset:72
	s_wait_dscnt 0x0
	v_pk_mul_f32 v[136:137], v[130:131], v[134:135] op_sel:[1,1] op_sel_hi:[0,1]
	v_pk_fma_f32 v[138:139], v[130:131], v[134:135], v[136:137] op_sel_hi:[1,0,1]
	v_pk_fma_f32 v[130:131], v[130:131], v[134:135], v[136:137] neg_lo:[0,0,1] neg_hi:[0,0,1]
	s_delay_alu instid0(VALU_DEP_2)
	v_mov_b32_e32 v131, v139
	scratch_store_b64 off, v[130:131], off offset:72
.LBB62_710:
	s_wait_xcnt 0x0
	s_or_b32 exec_lo, exec_lo, s0
	scratch_load_b64 v[130:131], off, off offset:80
	s_mov_b32 s0, exec_lo
	s_wait_loadcnt 0x0
	ds_store_b64 v1, v[130:131]
	s_wait_storecnt_dscnt 0x0
	s_barrier_signal -1
	s_barrier_wait -1
	s_wait_xcnt 0x0
	v_cmpx_gt_u32_e32 10, v0
	s_cbranch_execz .LBB62_720
; %bb.711:
	v_cmp_ne_u32_e32 vcc_lo, 1, v132
	s_cbranch_vccnz .LBB62_713
; %bb.712:
	scratch_load_b64 v[130:131], v55, off
	ds_load_b64 v[134:135], v1
	s_wait_loadcnt_dscnt 0x0
	v_pk_mul_f32 v[136:137], v[134:135], v[130:131] op_sel:[1,1] op_sel_hi:[0,1]
	s_delay_alu instid0(VALU_DEP_1) | instskip(SKIP_1) | instid1(VALU_DEP_2)
	v_pk_fma_f32 v[138:139], v[134:135], v[130:131], v[136:137] op_sel_hi:[1,0,1]
	v_pk_fma_f32 v[130:131], v[134:135], v[130:131], v[136:137] neg_lo:[0,0,1] neg_hi:[0,0,1]
	v_mov_b32_e32 v131, v139
	s_cbranch_execz .LBB62_714
	s_branch .LBB62_715
.LBB62_713:
                                        ; implicit-def: $vgpr130_vgpr131
.LBB62_714:
	ds_load_b64 v[130:131], v1
.LBB62_715:
	s_mov_b32 s2, exec_lo
	v_cmpx_ne_u32_e32 9, v0
	s_cbranch_execz .LBB62_719
; %bb.716:
	v_add_nc_u32_e32 v133, 0x208, v54
	v_add3_u32 v134, 0, v54, 8
	v_mov_b32_e32 v135, v0
	s_mov_b32 s3, 0
.LBB62_717:                             ; =>This Inner Loop Header: Depth=1
	scratch_load_b64 v[136:137], v134, off
	ds_load_b64 v[138:139], v133
	s_wait_xcnt 0x0
	v_dual_add_nc_u32 v133, 8, v133 :: v_dual_add_nc_u32 v134, 8, v134
	s_wait_loadcnt_dscnt 0x0
	v_pk_mul_f32 v[140:141], v[138:139], v[136:137] op_sel:[1,1] op_sel_hi:[0,1]
	s_delay_alu instid0(VALU_DEP_1) | instskip(SKIP_2) | instid1(VALU_DEP_3)
	v_pk_fma_f32 v[142:143], v[138:139], v[136:137], v[140:141] op_sel_hi:[1,0,1]
	v_add_nc_u32_e32 v135, 1, v135
	v_pk_fma_f32 v[136:137], v[138:139], v[136:137], v[140:141] neg_lo:[0,0,1] neg_hi:[0,0,1]
	v_mov_b32_e32 v137, v143
	s_delay_alu instid0(VALU_DEP_3) | instskip(NEXT) | instid1(VALU_DEP_2)
	v_cmp_lt_u32_e32 vcc_lo, 8, v135
	v_pk_add_f32 v[130:131], v[130:131], v[136:137]
	s_or_b32 s3, vcc_lo, s3
	s_delay_alu instid0(SALU_CYCLE_1)
	s_and_not1_b32 exec_lo, exec_lo, s3
	s_cbranch_execnz .LBB62_717
; %bb.718:
	s_or_b32 exec_lo, exec_lo, s3
.LBB62_719:
	s_delay_alu instid0(SALU_CYCLE_1) | instskip(SKIP_4) | instid1(VALU_DEP_1)
	s_or_b32 exec_lo, exec_lo, s2
	v_mov_b32_e32 v133, 0
	ds_load_b64 v[134:135], v133 offset:80
	s_wait_dscnt 0x0
	v_pk_mul_f32 v[136:137], v[130:131], v[134:135] op_sel:[1,1] op_sel_hi:[0,1]
	v_pk_fma_f32 v[138:139], v[130:131], v[134:135], v[136:137] op_sel_hi:[1,0,1]
	v_pk_fma_f32 v[130:131], v[130:131], v[134:135], v[136:137] neg_lo:[0,0,1] neg_hi:[0,0,1]
	s_delay_alu instid0(VALU_DEP_2)
	v_mov_b32_e32 v131, v139
	scratch_store_b64 off, v[130:131], off offset:80
.LBB62_720:
	s_wait_xcnt 0x0
	s_or_b32 exec_lo, exec_lo, s0
	scratch_load_b64 v[130:131], off, off offset:88
	s_mov_b32 s0, exec_lo
	s_wait_loadcnt 0x0
	ds_store_b64 v1, v[130:131]
	s_wait_storecnt_dscnt 0x0
	s_barrier_signal -1
	s_barrier_wait -1
	s_wait_xcnt 0x0
	v_cmpx_gt_u32_e32 11, v0
	s_cbranch_execz .LBB62_730
; %bb.721:
	v_cmp_ne_u32_e32 vcc_lo, 1, v132
	s_cbranch_vccnz .LBB62_723
; %bb.722:
	scratch_load_b64 v[130:131], v55, off
	ds_load_b64 v[134:135], v1
	s_wait_loadcnt_dscnt 0x0
	v_pk_mul_f32 v[136:137], v[134:135], v[130:131] op_sel:[1,1] op_sel_hi:[0,1]
	s_delay_alu instid0(VALU_DEP_1) | instskip(SKIP_1) | instid1(VALU_DEP_2)
	v_pk_fma_f32 v[138:139], v[134:135], v[130:131], v[136:137] op_sel_hi:[1,0,1]
	v_pk_fma_f32 v[130:131], v[134:135], v[130:131], v[136:137] neg_lo:[0,0,1] neg_hi:[0,0,1]
	v_mov_b32_e32 v131, v139
	s_cbranch_execz .LBB62_724
	s_branch .LBB62_725
.LBB62_723:
                                        ; implicit-def: $vgpr130_vgpr131
.LBB62_724:
	ds_load_b64 v[130:131], v1
.LBB62_725:
	s_mov_b32 s2, exec_lo
	v_cmpx_ne_u32_e32 10, v0
	s_cbranch_execz .LBB62_729
; %bb.726:
	v_add_nc_u32_e32 v133, 0x208, v54
	v_add3_u32 v134, 0, v54, 8
	v_mov_b32_e32 v135, v0
	s_mov_b32 s3, 0
.LBB62_727:                             ; =>This Inner Loop Header: Depth=1
	scratch_load_b64 v[136:137], v134, off
	ds_load_b64 v[138:139], v133
	s_wait_xcnt 0x0
	v_dual_add_nc_u32 v133, 8, v133 :: v_dual_add_nc_u32 v134, 8, v134
	s_wait_loadcnt_dscnt 0x0
	v_pk_mul_f32 v[140:141], v[138:139], v[136:137] op_sel:[1,1] op_sel_hi:[0,1]
	s_delay_alu instid0(VALU_DEP_1) | instskip(SKIP_2) | instid1(VALU_DEP_3)
	v_pk_fma_f32 v[142:143], v[138:139], v[136:137], v[140:141] op_sel_hi:[1,0,1]
	v_add_nc_u32_e32 v135, 1, v135
	v_pk_fma_f32 v[136:137], v[138:139], v[136:137], v[140:141] neg_lo:[0,0,1] neg_hi:[0,0,1]
	v_mov_b32_e32 v137, v143
	s_delay_alu instid0(VALU_DEP_3) | instskip(NEXT) | instid1(VALU_DEP_2)
	v_cmp_lt_u32_e32 vcc_lo, 9, v135
	v_pk_add_f32 v[130:131], v[130:131], v[136:137]
	s_or_b32 s3, vcc_lo, s3
	s_delay_alu instid0(SALU_CYCLE_1)
	s_and_not1_b32 exec_lo, exec_lo, s3
	s_cbranch_execnz .LBB62_727
; %bb.728:
	s_or_b32 exec_lo, exec_lo, s3
.LBB62_729:
	s_delay_alu instid0(SALU_CYCLE_1) | instskip(SKIP_4) | instid1(VALU_DEP_1)
	s_or_b32 exec_lo, exec_lo, s2
	v_mov_b32_e32 v133, 0
	ds_load_b64 v[134:135], v133 offset:88
	s_wait_dscnt 0x0
	v_pk_mul_f32 v[136:137], v[130:131], v[134:135] op_sel:[1,1] op_sel_hi:[0,1]
	v_pk_fma_f32 v[138:139], v[130:131], v[134:135], v[136:137] op_sel_hi:[1,0,1]
	v_pk_fma_f32 v[130:131], v[130:131], v[134:135], v[136:137] neg_lo:[0,0,1] neg_hi:[0,0,1]
	s_delay_alu instid0(VALU_DEP_2)
	v_mov_b32_e32 v131, v139
	scratch_store_b64 off, v[130:131], off offset:88
.LBB62_730:
	s_wait_xcnt 0x0
	s_or_b32 exec_lo, exec_lo, s0
	scratch_load_b64 v[130:131], off, off offset:96
	s_mov_b32 s0, exec_lo
	s_wait_loadcnt 0x0
	ds_store_b64 v1, v[130:131]
	s_wait_storecnt_dscnt 0x0
	s_barrier_signal -1
	s_barrier_wait -1
	s_wait_xcnt 0x0
	v_cmpx_gt_u32_e32 12, v0
	s_cbranch_execz .LBB62_740
; %bb.731:
	v_cmp_ne_u32_e32 vcc_lo, 1, v132
	s_cbranch_vccnz .LBB62_733
; %bb.732:
	scratch_load_b64 v[130:131], v55, off
	ds_load_b64 v[134:135], v1
	s_wait_loadcnt_dscnt 0x0
	v_pk_mul_f32 v[136:137], v[134:135], v[130:131] op_sel:[1,1] op_sel_hi:[0,1]
	s_delay_alu instid0(VALU_DEP_1) | instskip(SKIP_1) | instid1(VALU_DEP_2)
	v_pk_fma_f32 v[138:139], v[134:135], v[130:131], v[136:137] op_sel_hi:[1,0,1]
	v_pk_fma_f32 v[130:131], v[134:135], v[130:131], v[136:137] neg_lo:[0,0,1] neg_hi:[0,0,1]
	v_mov_b32_e32 v131, v139
	s_cbranch_execz .LBB62_734
	s_branch .LBB62_735
.LBB62_733:
                                        ; implicit-def: $vgpr130_vgpr131
.LBB62_734:
	ds_load_b64 v[130:131], v1
.LBB62_735:
	s_mov_b32 s2, exec_lo
	v_cmpx_ne_u32_e32 11, v0
	s_cbranch_execz .LBB62_739
; %bb.736:
	v_add_nc_u32_e32 v133, 0x208, v54
	v_add3_u32 v134, 0, v54, 8
	v_mov_b32_e32 v135, v0
	s_mov_b32 s3, 0
.LBB62_737:                             ; =>This Inner Loop Header: Depth=1
	scratch_load_b64 v[136:137], v134, off
	ds_load_b64 v[138:139], v133
	s_wait_xcnt 0x0
	v_dual_add_nc_u32 v133, 8, v133 :: v_dual_add_nc_u32 v134, 8, v134
	s_wait_loadcnt_dscnt 0x0
	v_pk_mul_f32 v[140:141], v[138:139], v[136:137] op_sel:[1,1] op_sel_hi:[0,1]
	s_delay_alu instid0(VALU_DEP_1) | instskip(SKIP_2) | instid1(VALU_DEP_3)
	v_pk_fma_f32 v[142:143], v[138:139], v[136:137], v[140:141] op_sel_hi:[1,0,1]
	v_add_nc_u32_e32 v135, 1, v135
	v_pk_fma_f32 v[136:137], v[138:139], v[136:137], v[140:141] neg_lo:[0,0,1] neg_hi:[0,0,1]
	v_mov_b32_e32 v137, v143
	s_delay_alu instid0(VALU_DEP_3) | instskip(NEXT) | instid1(VALU_DEP_2)
	v_cmp_lt_u32_e32 vcc_lo, 10, v135
	v_pk_add_f32 v[130:131], v[130:131], v[136:137]
	s_or_b32 s3, vcc_lo, s3
	s_delay_alu instid0(SALU_CYCLE_1)
	s_and_not1_b32 exec_lo, exec_lo, s3
	s_cbranch_execnz .LBB62_737
; %bb.738:
	s_or_b32 exec_lo, exec_lo, s3
.LBB62_739:
	s_delay_alu instid0(SALU_CYCLE_1) | instskip(SKIP_4) | instid1(VALU_DEP_1)
	s_or_b32 exec_lo, exec_lo, s2
	v_mov_b32_e32 v133, 0
	ds_load_b64 v[134:135], v133 offset:96
	s_wait_dscnt 0x0
	v_pk_mul_f32 v[136:137], v[130:131], v[134:135] op_sel:[1,1] op_sel_hi:[0,1]
	v_pk_fma_f32 v[138:139], v[130:131], v[134:135], v[136:137] op_sel_hi:[1,0,1]
	v_pk_fma_f32 v[130:131], v[130:131], v[134:135], v[136:137] neg_lo:[0,0,1] neg_hi:[0,0,1]
	s_delay_alu instid0(VALU_DEP_2)
	v_mov_b32_e32 v131, v139
	scratch_store_b64 off, v[130:131], off offset:96
.LBB62_740:
	s_wait_xcnt 0x0
	s_or_b32 exec_lo, exec_lo, s0
	scratch_load_b64 v[130:131], off, off offset:104
	s_mov_b32 s0, exec_lo
	s_wait_loadcnt 0x0
	ds_store_b64 v1, v[130:131]
	s_wait_storecnt_dscnt 0x0
	s_barrier_signal -1
	s_barrier_wait -1
	s_wait_xcnt 0x0
	v_cmpx_gt_u32_e32 13, v0
	s_cbranch_execz .LBB62_750
; %bb.741:
	v_cmp_ne_u32_e32 vcc_lo, 1, v132
	s_cbranch_vccnz .LBB62_743
; %bb.742:
	scratch_load_b64 v[130:131], v55, off
	ds_load_b64 v[134:135], v1
	s_wait_loadcnt_dscnt 0x0
	v_pk_mul_f32 v[136:137], v[134:135], v[130:131] op_sel:[1,1] op_sel_hi:[0,1]
	s_delay_alu instid0(VALU_DEP_1) | instskip(SKIP_1) | instid1(VALU_DEP_2)
	v_pk_fma_f32 v[138:139], v[134:135], v[130:131], v[136:137] op_sel_hi:[1,0,1]
	v_pk_fma_f32 v[130:131], v[134:135], v[130:131], v[136:137] neg_lo:[0,0,1] neg_hi:[0,0,1]
	v_mov_b32_e32 v131, v139
	s_cbranch_execz .LBB62_744
	s_branch .LBB62_745
.LBB62_743:
                                        ; implicit-def: $vgpr130_vgpr131
.LBB62_744:
	ds_load_b64 v[130:131], v1
.LBB62_745:
	s_mov_b32 s2, exec_lo
	v_cmpx_ne_u32_e32 12, v0
	s_cbranch_execz .LBB62_749
; %bb.746:
	v_add_nc_u32_e32 v133, 0x208, v54
	v_add3_u32 v134, 0, v54, 8
	v_mov_b32_e32 v135, v0
	s_mov_b32 s3, 0
.LBB62_747:                             ; =>This Inner Loop Header: Depth=1
	scratch_load_b64 v[136:137], v134, off
	ds_load_b64 v[138:139], v133
	s_wait_xcnt 0x0
	v_dual_add_nc_u32 v133, 8, v133 :: v_dual_add_nc_u32 v134, 8, v134
	s_wait_loadcnt_dscnt 0x0
	v_pk_mul_f32 v[140:141], v[138:139], v[136:137] op_sel:[1,1] op_sel_hi:[0,1]
	s_delay_alu instid0(VALU_DEP_1) | instskip(SKIP_2) | instid1(VALU_DEP_3)
	v_pk_fma_f32 v[142:143], v[138:139], v[136:137], v[140:141] op_sel_hi:[1,0,1]
	v_add_nc_u32_e32 v135, 1, v135
	v_pk_fma_f32 v[136:137], v[138:139], v[136:137], v[140:141] neg_lo:[0,0,1] neg_hi:[0,0,1]
	v_mov_b32_e32 v137, v143
	s_delay_alu instid0(VALU_DEP_3) | instskip(NEXT) | instid1(VALU_DEP_2)
	v_cmp_lt_u32_e32 vcc_lo, 11, v135
	v_pk_add_f32 v[130:131], v[130:131], v[136:137]
	s_or_b32 s3, vcc_lo, s3
	s_delay_alu instid0(SALU_CYCLE_1)
	s_and_not1_b32 exec_lo, exec_lo, s3
	s_cbranch_execnz .LBB62_747
; %bb.748:
	s_or_b32 exec_lo, exec_lo, s3
.LBB62_749:
	s_delay_alu instid0(SALU_CYCLE_1) | instskip(SKIP_4) | instid1(VALU_DEP_1)
	s_or_b32 exec_lo, exec_lo, s2
	v_mov_b32_e32 v133, 0
	ds_load_b64 v[134:135], v133 offset:104
	s_wait_dscnt 0x0
	v_pk_mul_f32 v[136:137], v[130:131], v[134:135] op_sel:[1,1] op_sel_hi:[0,1]
	v_pk_fma_f32 v[138:139], v[130:131], v[134:135], v[136:137] op_sel_hi:[1,0,1]
	v_pk_fma_f32 v[130:131], v[130:131], v[134:135], v[136:137] neg_lo:[0,0,1] neg_hi:[0,0,1]
	s_delay_alu instid0(VALU_DEP_2)
	v_mov_b32_e32 v131, v139
	scratch_store_b64 off, v[130:131], off offset:104
.LBB62_750:
	s_wait_xcnt 0x0
	s_or_b32 exec_lo, exec_lo, s0
	scratch_load_b64 v[130:131], off, off offset:112
	s_mov_b32 s0, exec_lo
	s_wait_loadcnt 0x0
	ds_store_b64 v1, v[130:131]
	s_wait_storecnt_dscnt 0x0
	s_barrier_signal -1
	s_barrier_wait -1
	s_wait_xcnt 0x0
	v_cmpx_gt_u32_e32 14, v0
	s_cbranch_execz .LBB62_760
; %bb.751:
	v_cmp_ne_u32_e32 vcc_lo, 1, v132
	s_cbranch_vccnz .LBB62_753
; %bb.752:
	scratch_load_b64 v[130:131], v55, off
	ds_load_b64 v[134:135], v1
	s_wait_loadcnt_dscnt 0x0
	v_pk_mul_f32 v[136:137], v[134:135], v[130:131] op_sel:[1,1] op_sel_hi:[0,1]
	s_delay_alu instid0(VALU_DEP_1) | instskip(SKIP_1) | instid1(VALU_DEP_2)
	v_pk_fma_f32 v[138:139], v[134:135], v[130:131], v[136:137] op_sel_hi:[1,0,1]
	v_pk_fma_f32 v[130:131], v[134:135], v[130:131], v[136:137] neg_lo:[0,0,1] neg_hi:[0,0,1]
	v_mov_b32_e32 v131, v139
	s_cbranch_execz .LBB62_754
	s_branch .LBB62_755
.LBB62_753:
                                        ; implicit-def: $vgpr130_vgpr131
.LBB62_754:
	ds_load_b64 v[130:131], v1
.LBB62_755:
	s_mov_b32 s2, exec_lo
	v_cmpx_ne_u32_e32 13, v0
	s_cbranch_execz .LBB62_759
; %bb.756:
	v_add_nc_u32_e32 v133, 0x208, v54
	v_add3_u32 v134, 0, v54, 8
	v_mov_b32_e32 v135, v0
	s_mov_b32 s3, 0
.LBB62_757:                             ; =>This Inner Loop Header: Depth=1
	scratch_load_b64 v[136:137], v134, off
	ds_load_b64 v[138:139], v133
	s_wait_xcnt 0x0
	v_dual_add_nc_u32 v133, 8, v133 :: v_dual_add_nc_u32 v134, 8, v134
	s_wait_loadcnt_dscnt 0x0
	v_pk_mul_f32 v[140:141], v[138:139], v[136:137] op_sel:[1,1] op_sel_hi:[0,1]
	s_delay_alu instid0(VALU_DEP_1) | instskip(SKIP_2) | instid1(VALU_DEP_3)
	v_pk_fma_f32 v[142:143], v[138:139], v[136:137], v[140:141] op_sel_hi:[1,0,1]
	v_add_nc_u32_e32 v135, 1, v135
	v_pk_fma_f32 v[136:137], v[138:139], v[136:137], v[140:141] neg_lo:[0,0,1] neg_hi:[0,0,1]
	v_mov_b32_e32 v137, v143
	s_delay_alu instid0(VALU_DEP_3) | instskip(NEXT) | instid1(VALU_DEP_2)
	v_cmp_lt_u32_e32 vcc_lo, 12, v135
	v_pk_add_f32 v[130:131], v[130:131], v[136:137]
	s_or_b32 s3, vcc_lo, s3
	s_delay_alu instid0(SALU_CYCLE_1)
	s_and_not1_b32 exec_lo, exec_lo, s3
	s_cbranch_execnz .LBB62_757
; %bb.758:
	s_or_b32 exec_lo, exec_lo, s3
.LBB62_759:
	s_delay_alu instid0(SALU_CYCLE_1) | instskip(SKIP_4) | instid1(VALU_DEP_1)
	s_or_b32 exec_lo, exec_lo, s2
	v_mov_b32_e32 v133, 0
	ds_load_b64 v[134:135], v133 offset:112
	s_wait_dscnt 0x0
	v_pk_mul_f32 v[136:137], v[130:131], v[134:135] op_sel:[1,1] op_sel_hi:[0,1]
	v_pk_fma_f32 v[138:139], v[130:131], v[134:135], v[136:137] op_sel_hi:[1,0,1]
	v_pk_fma_f32 v[130:131], v[130:131], v[134:135], v[136:137] neg_lo:[0,0,1] neg_hi:[0,0,1]
	s_delay_alu instid0(VALU_DEP_2)
	v_mov_b32_e32 v131, v139
	scratch_store_b64 off, v[130:131], off offset:112
.LBB62_760:
	s_wait_xcnt 0x0
	s_or_b32 exec_lo, exec_lo, s0
	scratch_load_b64 v[130:131], off, off offset:120
	s_mov_b32 s0, exec_lo
	s_wait_loadcnt 0x0
	ds_store_b64 v1, v[130:131]
	s_wait_storecnt_dscnt 0x0
	s_barrier_signal -1
	s_barrier_wait -1
	s_wait_xcnt 0x0
	v_cmpx_gt_u32_e32 15, v0
	s_cbranch_execz .LBB62_770
; %bb.761:
	v_cmp_ne_u32_e32 vcc_lo, 1, v132
	s_cbranch_vccnz .LBB62_763
; %bb.762:
	scratch_load_b64 v[130:131], v55, off
	ds_load_b64 v[134:135], v1
	s_wait_loadcnt_dscnt 0x0
	v_pk_mul_f32 v[136:137], v[134:135], v[130:131] op_sel:[1,1] op_sel_hi:[0,1]
	s_delay_alu instid0(VALU_DEP_1) | instskip(SKIP_1) | instid1(VALU_DEP_2)
	v_pk_fma_f32 v[138:139], v[134:135], v[130:131], v[136:137] op_sel_hi:[1,0,1]
	v_pk_fma_f32 v[130:131], v[134:135], v[130:131], v[136:137] neg_lo:[0,0,1] neg_hi:[0,0,1]
	v_mov_b32_e32 v131, v139
	s_cbranch_execz .LBB62_764
	s_branch .LBB62_765
.LBB62_763:
                                        ; implicit-def: $vgpr130_vgpr131
.LBB62_764:
	ds_load_b64 v[130:131], v1
.LBB62_765:
	s_mov_b32 s2, exec_lo
	v_cmpx_ne_u32_e32 14, v0
	s_cbranch_execz .LBB62_769
; %bb.766:
	v_add_nc_u32_e32 v133, 0x208, v54
	v_add3_u32 v134, 0, v54, 8
	v_mov_b32_e32 v135, v0
	s_mov_b32 s3, 0
.LBB62_767:                             ; =>This Inner Loop Header: Depth=1
	scratch_load_b64 v[136:137], v134, off
	ds_load_b64 v[138:139], v133
	s_wait_xcnt 0x0
	v_dual_add_nc_u32 v133, 8, v133 :: v_dual_add_nc_u32 v134, 8, v134
	s_wait_loadcnt_dscnt 0x0
	v_pk_mul_f32 v[140:141], v[138:139], v[136:137] op_sel:[1,1] op_sel_hi:[0,1]
	s_delay_alu instid0(VALU_DEP_1) | instskip(SKIP_2) | instid1(VALU_DEP_3)
	v_pk_fma_f32 v[142:143], v[138:139], v[136:137], v[140:141] op_sel_hi:[1,0,1]
	v_add_nc_u32_e32 v135, 1, v135
	v_pk_fma_f32 v[136:137], v[138:139], v[136:137], v[140:141] neg_lo:[0,0,1] neg_hi:[0,0,1]
	v_mov_b32_e32 v137, v143
	s_delay_alu instid0(VALU_DEP_3) | instskip(NEXT) | instid1(VALU_DEP_2)
	v_cmp_lt_u32_e32 vcc_lo, 13, v135
	v_pk_add_f32 v[130:131], v[130:131], v[136:137]
	s_or_b32 s3, vcc_lo, s3
	s_delay_alu instid0(SALU_CYCLE_1)
	s_and_not1_b32 exec_lo, exec_lo, s3
	s_cbranch_execnz .LBB62_767
; %bb.768:
	s_or_b32 exec_lo, exec_lo, s3
.LBB62_769:
	s_delay_alu instid0(SALU_CYCLE_1) | instskip(SKIP_4) | instid1(VALU_DEP_1)
	s_or_b32 exec_lo, exec_lo, s2
	v_mov_b32_e32 v133, 0
	ds_load_b64 v[134:135], v133 offset:120
	s_wait_dscnt 0x0
	v_pk_mul_f32 v[136:137], v[130:131], v[134:135] op_sel:[1,1] op_sel_hi:[0,1]
	v_pk_fma_f32 v[138:139], v[130:131], v[134:135], v[136:137] op_sel_hi:[1,0,1]
	v_pk_fma_f32 v[130:131], v[130:131], v[134:135], v[136:137] neg_lo:[0,0,1] neg_hi:[0,0,1]
	s_delay_alu instid0(VALU_DEP_2)
	v_mov_b32_e32 v131, v139
	scratch_store_b64 off, v[130:131], off offset:120
.LBB62_770:
	s_wait_xcnt 0x0
	s_or_b32 exec_lo, exec_lo, s0
	scratch_load_b64 v[130:131], off, off offset:128
	s_mov_b32 s0, exec_lo
	s_wait_loadcnt 0x0
	ds_store_b64 v1, v[130:131]
	s_wait_storecnt_dscnt 0x0
	s_barrier_signal -1
	s_barrier_wait -1
	s_wait_xcnt 0x0
	v_cmpx_gt_u32_e32 16, v0
	s_cbranch_execz .LBB62_780
; %bb.771:
	v_cmp_ne_u32_e32 vcc_lo, 1, v132
	s_cbranch_vccnz .LBB62_773
; %bb.772:
	scratch_load_b64 v[130:131], v55, off
	ds_load_b64 v[134:135], v1
	s_wait_loadcnt_dscnt 0x0
	v_pk_mul_f32 v[136:137], v[134:135], v[130:131] op_sel:[1,1] op_sel_hi:[0,1]
	s_delay_alu instid0(VALU_DEP_1) | instskip(SKIP_1) | instid1(VALU_DEP_2)
	v_pk_fma_f32 v[138:139], v[134:135], v[130:131], v[136:137] op_sel_hi:[1,0,1]
	v_pk_fma_f32 v[130:131], v[134:135], v[130:131], v[136:137] neg_lo:[0,0,1] neg_hi:[0,0,1]
	v_mov_b32_e32 v131, v139
	s_cbranch_execz .LBB62_774
	s_branch .LBB62_775
.LBB62_773:
                                        ; implicit-def: $vgpr130_vgpr131
.LBB62_774:
	ds_load_b64 v[130:131], v1
.LBB62_775:
	s_mov_b32 s2, exec_lo
	v_cmpx_ne_u32_e32 15, v0
	s_cbranch_execz .LBB62_779
; %bb.776:
	v_add_nc_u32_e32 v133, 0x208, v54
	v_add3_u32 v134, 0, v54, 8
	v_mov_b32_e32 v135, v0
	s_mov_b32 s3, 0
.LBB62_777:                             ; =>This Inner Loop Header: Depth=1
	scratch_load_b64 v[136:137], v134, off
	ds_load_b64 v[138:139], v133
	s_wait_xcnt 0x0
	v_dual_add_nc_u32 v133, 8, v133 :: v_dual_add_nc_u32 v134, 8, v134
	s_wait_loadcnt_dscnt 0x0
	v_pk_mul_f32 v[140:141], v[138:139], v[136:137] op_sel:[1,1] op_sel_hi:[0,1]
	s_delay_alu instid0(VALU_DEP_1) | instskip(SKIP_2) | instid1(VALU_DEP_3)
	v_pk_fma_f32 v[142:143], v[138:139], v[136:137], v[140:141] op_sel_hi:[1,0,1]
	v_add_nc_u32_e32 v135, 1, v135
	v_pk_fma_f32 v[136:137], v[138:139], v[136:137], v[140:141] neg_lo:[0,0,1] neg_hi:[0,0,1]
	v_mov_b32_e32 v137, v143
	s_delay_alu instid0(VALU_DEP_3) | instskip(NEXT) | instid1(VALU_DEP_2)
	v_cmp_lt_u32_e32 vcc_lo, 14, v135
	v_pk_add_f32 v[130:131], v[130:131], v[136:137]
	s_or_b32 s3, vcc_lo, s3
	s_delay_alu instid0(SALU_CYCLE_1)
	s_and_not1_b32 exec_lo, exec_lo, s3
	s_cbranch_execnz .LBB62_777
; %bb.778:
	s_or_b32 exec_lo, exec_lo, s3
.LBB62_779:
	s_delay_alu instid0(SALU_CYCLE_1) | instskip(SKIP_4) | instid1(VALU_DEP_1)
	s_or_b32 exec_lo, exec_lo, s2
	v_mov_b32_e32 v133, 0
	ds_load_b64 v[134:135], v133 offset:128
	s_wait_dscnt 0x0
	v_pk_mul_f32 v[136:137], v[130:131], v[134:135] op_sel:[1,1] op_sel_hi:[0,1]
	v_pk_fma_f32 v[138:139], v[130:131], v[134:135], v[136:137] op_sel_hi:[1,0,1]
	v_pk_fma_f32 v[130:131], v[130:131], v[134:135], v[136:137] neg_lo:[0,0,1] neg_hi:[0,0,1]
	s_delay_alu instid0(VALU_DEP_2)
	v_mov_b32_e32 v131, v139
	scratch_store_b64 off, v[130:131], off offset:128
.LBB62_780:
	s_wait_xcnt 0x0
	s_or_b32 exec_lo, exec_lo, s0
	scratch_load_b64 v[130:131], off, off offset:136
	s_mov_b32 s0, exec_lo
	s_wait_loadcnt 0x0
	ds_store_b64 v1, v[130:131]
	s_wait_storecnt_dscnt 0x0
	s_barrier_signal -1
	s_barrier_wait -1
	s_wait_xcnt 0x0
	v_cmpx_gt_u32_e32 17, v0
	s_cbranch_execz .LBB62_790
; %bb.781:
	v_cmp_ne_u32_e32 vcc_lo, 1, v132
	s_cbranch_vccnz .LBB62_783
; %bb.782:
	scratch_load_b64 v[130:131], v55, off
	ds_load_b64 v[134:135], v1
	s_wait_loadcnt_dscnt 0x0
	v_pk_mul_f32 v[136:137], v[134:135], v[130:131] op_sel:[1,1] op_sel_hi:[0,1]
	s_delay_alu instid0(VALU_DEP_1) | instskip(SKIP_1) | instid1(VALU_DEP_2)
	v_pk_fma_f32 v[138:139], v[134:135], v[130:131], v[136:137] op_sel_hi:[1,0,1]
	v_pk_fma_f32 v[130:131], v[134:135], v[130:131], v[136:137] neg_lo:[0,0,1] neg_hi:[0,0,1]
	v_mov_b32_e32 v131, v139
	s_cbranch_execz .LBB62_784
	s_branch .LBB62_785
.LBB62_783:
                                        ; implicit-def: $vgpr130_vgpr131
.LBB62_784:
	ds_load_b64 v[130:131], v1
.LBB62_785:
	s_mov_b32 s2, exec_lo
	v_cmpx_ne_u32_e32 16, v0
	s_cbranch_execz .LBB62_789
; %bb.786:
	v_add_nc_u32_e32 v133, 0x208, v54
	v_add3_u32 v134, 0, v54, 8
	v_mov_b32_e32 v135, v0
	s_mov_b32 s3, 0
.LBB62_787:                             ; =>This Inner Loop Header: Depth=1
	scratch_load_b64 v[136:137], v134, off
	ds_load_b64 v[138:139], v133
	s_wait_xcnt 0x0
	v_dual_add_nc_u32 v133, 8, v133 :: v_dual_add_nc_u32 v134, 8, v134
	s_wait_loadcnt_dscnt 0x0
	v_pk_mul_f32 v[140:141], v[138:139], v[136:137] op_sel:[1,1] op_sel_hi:[0,1]
	s_delay_alu instid0(VALU_DEP_1) | instskip(SKIP_2) | instid1(VALU_DEP_3)
	v_pk_fma_f32 v[142:143], v[138:139], v[136:137], v[140:141] op_sel_hi:[1,0,1]
	v_add_nc_u32_e32 v135, 1, v135
	v_pk_fma_f32 v[136:137], v[138:139], v[136:137], v[140:141] neg_lo:[0,0,1] neg_hi:[0,0,1]
	v_mov_b32_e32 v137, v143
	s_delay_alu instid0(VALU_DEP_3) | instskip(NEXT) | instid1(VALU_DEP_2)
	v_cmp_lt_u32_e32 vcc_lo, 15, v135
	v_pk_add_f32 v[130:131], v[130:131], v[136:137]
	s_or_b32 s3, vcc_lo, s3
	s_delay_alu instid0(SALU_CYCLE_1)
	s_and_not1_b32 exec_lo, exec_lo, s3
	s_cbranch_execnz .LBB62_787
; %bb.788:
	s_or_b32 exec_lo, exec_lo, s3
.LBB62_789:
	s_delay_alu instid0(SALU_CYCLE_1) | instskip(SKIP_4) | instid1(VALU_DEP_1)
	s_or_b32 exec_lo, exec_lo, s2
	v_mov_b32_e32 v133, 0
	ds_load_b64 v[134:135], v133 offset:136
	s_wait_dscnt 0x0
	v_pk_mul_f32 v[136:137], v[130:131], v[134:135] op_sel:[1,1] op_sel_hi:[0,1]
	v_pk_fma_f32 v[138:139], v[130:131], v[134:135], v[136:137] op_sel_hi:[1,0,1]
	v_pk_fma_f32 v[130:131], v[130:131], v[134:135], v[136:137] neg_lo:[0,0,1] neg_hi:[0,0,1]
	s_delay_alu instid0(VALU_DEP_2)
	v_mov_b32_e32 v131, v139
	scratch_store_b64 off, v[130:131], off offset:136
.LBB62_790:
	s_wait_xcnt 0x0
	s_or_b32 exec_lo, exec_lo, s0
	scratch_load_b64 v[130:131], off, off offset:144
	s_mov_b32 s0, exec_lo
	s_wait_loadcnt 0x0
	ds_store_b64 v1, v[130:131]
	s_wait_storecnt_dscnt 0x0
	s_barrier_signal -1
	s_barrier_wait -1
	s_wait_xcnt 0x0
	v_cmpx_gt_u32_e32 18, v0
	s_cbranch_execz .LBB62_800
; %bb.791:
	v_cmp_ne_u32_e32 vcc_lo, 1, v132
	s_cbranch_vccnz .LBB62_793
; %bb.792:
	scratch_load_b64 v[130:131], v55, off
	ds_load_b64 v[134:135], v1
	s_wait_loadcnt_dscnt 0x0
	v_pk_mul_f32 v[136:137], v[134:135], v[130:131] op_sel:[1,1] op_sel_hi:[0,1]
	s_delay_alu instid0(VALU_DEP_1) | instskip(SKIP_1) | instid1(VALU_DEP_2)
	v_pk_fma_f32 v[138:139], v[134:135], v[130:131], v[136:137] op_sel_hi:[1,0,1]
	v_pk_fma_f32 v[130:131], v[134:135], v[130:131], v[136:137] neg_lo:[0,0,1] neg_hi:[0,0,1]
	v_mov_b32_e32 v131, v139
	s_cbranch_execz .LBB62_794
	s_branch .LBB62_795
.LBB62_793:
                                        ; implicit-def: $vgpr130_vgpr131
.LBB62_794:
	ds_load_b64 v[130:131], v1
.LBB62_795:
	s_mov_b32 s2, exec_lo
	v_cmpx_ne_u32_e32 17, v0
	s_cbranch_execz .LBB62_799
; %bb.796:
	v_add_nc_u32_e32 v133, 0x208, v54
	v_add3_u32 v134, 0, v54, 8
	v_mov_b32_e32 v135, v0
	s_mov_b32 s3, 0
.LBB62_797:                             ; =>This Inner Loop Header: Depth=1
	scratch_load_b64 v[136:137], v134, off
	ds_load_b64 v[138:139], v133
	s_wait_xcnt 0x0
	v_dual_add_nc_u32 v133, 8, v133 :: v_dual_add_nc_u32 v134, 8, v134
	s_wait_loadcnt_dscnt 0x0
	v_pk_mul_f32 v[140:141], v[138:139], v[136:137] op_sel:[1,1] op_sel_hi:[0,1]
	s_delay_alu instid0(VALU_DEP_1) | instskip(SKIP_2) | instid1(VALU_DEP_3)
	v_pk_fma_f32 v[142:143], v[138:139], v[136:137], v[140:141] op_sel_hi:[1,0,1]
	v_add_nc_u32_e32 v135, 1, v135
	v_pk_fma_f32 v[136:137], v[138:139], v[136:137], v[140:141] neg_lo:[0,0,1] neg_hi:[0,0,1]
	v_mov_b32_e32 v137, v143
	s_delay_alu instid0(VALU_DEP_3) | instskip(NEXT) | instid1(VALU_DEP_2)
	v_cmp_lt_u32_e32 vcc_lo, 16, v135
	v_pk_add_f32 v[130:131], v[130:131], v[136:137]
	s_or_b32 s3, vcc_lo, s3
	s_delay_alu instid0(SALU_CYCLE_1)
	s_and_not1_b32 exec_lo, exec_lo, s3
	s_cbranch_execnz .LBB62_797
; %bb.798:
	s_or_b32 exec_lo, exec_lo, s3
.LBB62_799:
	s_delay_alu instid0(SALU_CYCLE_1) | instskip(SKIP_4) | instid1(VALU_DEP_1)
	s_or_b32 exec_lo, exec_lo, s2
	v_mov_b32_e32 v133, 0
	ds_load_b64 v[134:135], v133 offset:144
	s_wait_dscnt 0x0
	v_pk_mul_f32 v[136:137], v[130:131], v[134:135] op_sel:[1,1] op_sel_hi:[0,1]
	v_pk_fma_f32 v[138:139], v[130:131], v[134:135], v[136:137] op_sel_hi:[1,0,1]
	v_pk_fma_f32 v[130:131], v[130:131], v[134:135], v[136:137] neg_lo:[0,0,1] neg_hi:[0,0,1]
	s_delay_alu instid0(VALU_DEP_2)
	v_mov_b32_e32 v131, v139
	scratch_store_b64 off, v[130:131], off offset:144
.LBB62_800:
	s_wait_xcnt 0x0
	s_or_b32 exec_lo, exec_lo, s0
	scratch_load_b64 v[130:131], off, off offset:152
	s_mov_b32 s0, exec_lo
	s_wait_loadcnt 0x0
	ds_store_b64 v1, v[130:131]
	s_wait_storecnt_dscnt 0x0
	s_barrier_signal -1
	s_barrier_wait -1
	s_wait_xcnt 0x0
	v_cmpx_gt_u32_e32 19, v0
	s_cbranch_execz .LBB62_810
; %bb.801:
	v_cmp_ne_u32_e32 vcc_lo, 1, v132
	s_cbranch_vccnz .LBB62_803
; %bb.802:
	scratch_load_b64 v[130:131], v55, off
	ds_load_b64 v[134:135], v1
	s_wait_loadcnt_dscnt 0x0
	v_pk_mul_f32 v[136:137], v[134:135], v[130:131] op_sel:[1,1] op_sel_hi:[0,1]
	s_delay_alu instid0(VALU_DEP_1) | instskip(SKIP_1) | instid1(VALU_DEP_2)
	v_pk_fma_f32 v[138:139], v[134:135], v[130:131], v[136:137] op_sel_hi:[1,0,1]
	v_pk_fma_f32 v[130:131], v[134:135], v[130:131], v[136:137] neg_lo:[0,0,1] neg_hi:[0,0,1]
	v_mov_b32_e32 v131, v139
	s_cbranch_execz .LBB62_804
	s_branch .LBB62_805
.LBB62_803:
                                        ; implicit-def: $vgpr130_vgpr131
.LBB62_804:
	ds_load_b64 v[130:131], v1
.LBB62_805:
	s_mov_b32 s2, exec_lo
	v_cmpx_ne_u32_e32 18, v0
	s_cbranch_execz .LBB62_809
; %bb.806:
	v_add_nc_u32_e32 v133, 0x208, v54
	v_add3_u32 v134, 0, v54, 8
	v_mov_b32_e32 v135, v0
	s_mov_b32 s3, 0
.LBB62_807:                             ; =>This Inner Loop Header: Depth=1
	scratch_load_b64 v[136:137], v134, off
	ds_load_b64 v[138:139], v133
	s_wait_xcnt 0x0
	v_dual_add_nc_u32 v133, 8, v133 :: v_dual_add_nc_u32 v134, 8, v134
	s_wait_loadcnt_dscnt 0x0
	v_pk_mul_f32 v[140:141], v[138:139], v[136:137] op_sel:[1,1] op_sel_hi:[0,1]
	s_delay_alu instid0(VALU_DEP_1) | instskip(SKIP_2) | instid1(VALU_DEP_3)
	v_pk_fma_f32 v[142:143], v[138:139], v[136:137], v[140:141] op_sel_hi:[1,0,1]
	v_add_nc_u32_e32 v135, 1, v135
	v_pk_fma_f32 v[136:137], v[138:139], v[136:137], v[140:141] neg_lo:[0,0,1] neg_hi:[0,0,1]
	v_mov_b32_e32 v137, v143
	s_delay_alu instid0(VALU_DEP_3) | instskip(NEXT) | instid1(VALU_DEP_2)
	v_cmp_lt_u32_e32 vcc_lo, 17, v135
	v_pk_add_f32 v[130:131], v[130:131], v[136:137]
	s_or_b32 s3, vcc_lo, s3
	s_delay_alu instid0(SALU_CYCLE_1)
	s_and_not1_b32 exec_lo, exec_lo, s3
	s_cbranch_execnz .LBB62_807
; %bb.808:
	s_or_b32 exec_lo, exec_lo, s3
.LBB62_809:
	s_delay_alu instid0(SALU_CYCLE_1) | instskip(SKIP_4) | instid1(VALU_DEP_1)
	s_or_b32 exec_lo, exec_lo, s2
	v_mov_b32_e32 v133, 0
	ds_load_b64 v[134:135], v133 offset:152
	s_wait_dscnt 0x0
	v_pk_mul_f32 v[136:137], v[130:131], v[134:135] op_sel:[1,1] op_sel_hi:[0,1]
	v_pk_fma_f32 v[138:139], v[130:131], v[134:135], v[136:137] op_sel_hi:[1,0,1]
	v_pk_fma_f32 v[130:131], v[130:131], v[134:135], v[136:137] neg_lo:[0,0,1] neg_hi:[0,0,1]
	s_delay_alu instid0(VALU_DEP_2)
	v_mov_b32_e32 v131, v139
	scratch_store_b64 off, v[130:131], off offset:152
.LBB62_810:
	s_wait_xcnt 0x0
	s_or_b32 exec_lo, exec_lo, s0
	scratch_load_b64 v[130:131], off, off offset:160
	s_mov_b32 s0, exec_lo
	s_wait_loadcnt 0x0
	ds_store_b64 v1, v[130:131]
	s_wait_storecnt_dscnt 0x0
	s_barrier_signal -1
	s_barrier_wait -1
	s_wait_xcnt 0x0
	v_cmpx_gt_u32_e32 20, v0
	s_cbranch_execz .LBB62_820
; %bb.811:
	v_cmp_ne_u32_e32 vcc_lo, 1, v132
	s_cbranch_vccnz .LBB62_813
; %bb.812:
	scratch_load_b64 v[130:131], v55, off
	ds_load_b64 v[134:135], v1
	s_wait_loadcnt_dscnt 0x0
	v_pk_mul_f32 v[136:137], v[134:135], v[130:131] op_sel:[1,1] op_sel_hi:[0,1]
	s_delay_alu instid0(VALU_DEP_1) | instskip(SKIP_1) | instid1(VALU_DEP_2)
	v_pk_fma_f32 v[138:139], v[134:135], v[130:131], v[136:137] op_sel_hi:[1,0,1]
	v_pk_fma_f32 v[130:131], v[134:135], v[130:131], v[136:137] neg_lo:[0,0,1] neg_hi:[0,0,1]
	v_mov_b32_e32 v131, v139
	s_cbranch_execz .LBB62_814
	s_branch .LBB62_815
.LBB62_813:
                                        ; implicit-def: $vgpr130_vgpr131
.LBB62_814:
	ds_load_b64 v[130:131], v1
.LBB62_815:
	s_mov_b32 s2, exec_lo
	v_cmpx_ne_u32_e32 19, v0
	s_cbranch_execz .LBB62_819
; %bb.816:
	v_add_nc_u32_e32 v133, 0x208, v54
	v_add3_u32 v134, 0, v54, 8
	v_mov_b32_e32 v135, v0
	s_mov_b32 s3, 0
.LBB62_817:                             ; =>This Inner Loop Header: Depth=1
	scratch_load_b64 v[136:137], v134, off
	ds_load_b64 v[138:139], v133
	s_wait_xcnt 0x0
	v_dual_add_nc_u32 v133, 8, v133 :: v_dual_add_nc_u32 v134, 8, v134
	s_wait_loadcnt_dscnt 0x0
	v_pk_mul_f32 v[140:141], v[138:139], v[136:137] op_sel:[1,1] op_sel_hi:[0,1]
	s_delay_alu instid0(VALU_DEP_1) | instskip(SKIP_2) | instid1(VALU_DEP_3)
	v_pk_fma_f32 v[142:143], v[138:139], v[136:137], v[140:141] op_sel_hi:[1,0,1]
	v_add_nc_u32_e32 v135, 1, v135
	v_pk_fma_f32 v[136:137], v[138:139], v[136:137], v[140:141] neg_lo:[0,0,1] neg_hi:[0,0,1]
	v_mov_b32_e32 v137, v143
	s_delay_alu instid0(VALU_DEP_3) | instskip(NEXT) | instid1(VALU_DEP_2)
	v_cmp_lt_u32_e32 vcc_lo, 18, v135
	v_pk_add_f32 v[130:131], v[130:131], v[136:137]
	s_or_b32 s3, vcc_lo, s3
	s_delay_alu instid0(SALU_CYCLE_1)
	s_and_not1_b32 exec_lo, exec_lo, s3
	s_cbranch_execnz .LBB62_817
; %bb.818:
	s_or_b32 exec_lo, exec_lo, s3
.LBB62_819:
	s_delay_alu instid0(SALU_CYCLE_1) | instskip(SKIP_4) | instid1(VALU_DEP_1)
	s_or_b32 exec_lo, exec_lo, s2
	v_mov_b32_e32 v133, 0
	ds_load_b64 v[134:135], v133 offset:160
	s_wait_dscnt 0x0
	v_pk_mul_f32 v[136:137], v[130:131], v[134:135] op_sel:[1,1] op_sel_hi:[0,1]
	v_pk_fma_f32 v[138:139], v[130:131], v[134:135], v[136:137] op_sel_hi:[1,0,1]
	v_pk_fma_f32 v[130:131], v[130:131], v[134:135], v[136:137] neg_lo:[0,0,1] neg_hi:[0,0,1]
	s_delay_alu instid0(VALU_DEP_2)
	v_mov_b32_e32 v131, v139
	scratch_store_b64 off, v[130:131], off offset:160
.LBB62_820:
	s_wait_xcnt 0x0
	s_or_b32 exec_lo, exec_lo, s0
	scratch_load_b64 v[130:131], off, off offset:168
	s_mov_b32 s0, exec_lo
	s_wait_loadcnt 0x0
	ds_store_b64 v1, v[130:131]
	s_wait_storecnt_dscnt 0x0
	s_barrier_signal -1
	s_barrier_wait -1
	s_wait_xcnt 0x0
	v_cmpx_gt_u32_e32 21, v0
	s_cbranch_execz .LBB62_830
; %bb.821:
	v_cmp_ne_u32_e32 vcc_lo, 1, v132
	s_cbranch_vccnz .LBB62_823
; %bb.822:
	scratch_load_b64 v[130:131], v55, off
	ds_load_b64 v[134:135], v1
	s_wait_loadcnt_dscnt 0x0
	v_pk_mul_f32 v[136:137], v[134:135], v[130:131] op_sel:[1,1] op_sel_hi:[0,1]
	s_delay_alu instid0(VALU_DEP_1) | instskip(SKIP_1) | instid1(VALU_DEP_2)
	v_pk_fma_f32 v[138:139], v[134:135], v[130:131], v[136:137] op_sel_hi:[1,0,1]
	v_pk_fma_f32 v[130:131], v[134:135], v[130:131], v[136:137] neg_lo:[0,0,1] neg_hi:[0,0,1]
	v_mov_b32_e32 v131, v139
	s_cbranch_execz .LBB62_824
	s_branch .LBB62_825
.LBB62_823:
                                        ; implicit-def: $vgpr130_vgpr131
.LBB62_824:
	ds_load_b64 v[130:131], v1
.LBB62_825:
	s_mov_b32 s2, exec_lo
	v_cmpx_ne_u32_e32 20, v0
	s_cbranch_execz .LBB62_829
; %bb.826:
	v_add_nc_u32_e32 v133, 0x208, v54
	v_add3_u32 v134, 0, v54, 8
	v_mov_b32_e32 v135, v0
	s_mov_b32 s3, 0
.LBB62_827:                             ; =>This Inner Loop Header: Depth=1
	scratch_load_b64 v[136:137], v134, off
	ds_load_b64 v[138:139], v133
	s_wait_xcnt 0x0
	v_dual_add_nc_u32 v133, 8, v133 :: v_dual_add_nc_u32 v134, 8, v134
	s_wait_loadcnt_dscnt 0x0
	v_pk_mul_f32 v[140:141], v[138:139], v[136:137] op_sel:[1,1] op_sel_hi:[0,1]
	s_delay_alu instid0(VALU_DEP_1) | instskip(SKIP_2) | instid1(VALU_DEP_3)
	v_pk_fma_f32 v[142:143], v[138:139], v[136:137], v[140:141] op_sel_hi:[1,0,1]
	v_add_nc_u32_e32 v135, 1, v135
	v_pk_fma_f32 v[136:137], v[138:139], v[136:137], v[140:141] neg_lo:[0,0,1] neg_hi:[0,0,1]
	v_mov_b32_e32 v137, v143
	s_delay_alu instid0(VALU_DEP_3) | instskip(NEXT) | instid1(VALU_DEP_2)
	v_cmp_lt_u32_e32 vcc_lo, 19, v135
	v_pk_add_f32 v[130:131], v[130:131], v[136:137]
	s_or_b32 s3, vcc_lo, s3
	s_delay_alu instid0(SALU_CYCLE_1)
	s_and_not1_b32 exec_lo, exec_lo, s3
	s_cbranch_execnz .LBB62_827
; %bb.828:
	s_or_b32 exec_lo, exec_lo, s3
.LBB62_829:
	s_delay_alu instid0(SALU_CYCLE_1) | instskip(SKIP_4) | instid1(VALU_DEP_1)
	s_or_b32 exec_lo, exec_lo, s2
	v_mov_b32_e32 v133, 0
	ds_load_b64 v[134:135], v133 offset:168
	s_wait_dscnt 0x0
	v_pk_mul_f32 v[136:137], v[130:131], v[134:135] op_sel:[1,1] op_sel_hi:[0,1]
	v_pk_fma_f32 v[138:139], v[130:131], v[134:135], v[136:137] op_sel_hi:[1,0,1]
	v_pk_fma_f32 v[130:131], v[130:131], v[134:135], v[136:137] neg_lo:[0,0,1] neg_hi:[0,0,1]
	s_delay_alu instid0(VALU_DEP_2)
	v_mov_b32_e32 v131, v139
	scratch_store_b64 off, v[130:131], off offset:168
.LBB62_830:
	s_wait_xcnt 0x0
	s_or_b32 exec_lo, exec_lo, s0
	scratch_load_b64 v[130:131], off, off offset:176
	s_mov_b32 s0, exec_lo
	s_wait_loadcnt 0x0
	ds_store_b64 v1, v[130:131]
	s_wait_storecnt_dscnt 0x0
	s_barrier_signal -1
	s_barrier_wait -1
	s_wait_xcnt 0x0
	v_cmpx_gt_u32_e32 22, v0
	s_cbranch_execz .LBB62_840
; %bb.831:
	v_cmp_ne_u32_e32 vcc_lo, 1, v132
	s_cbranch_vccnz .LBB62_833
; %bb.832:
	scratch_load_b64 v[130:131], v55, off
	ds_load_b64 v[134:135], v1
	s_wait_loadcnt_dscnt 0x0
	v_pk_mul_f32 v[136:137], v[134:135], v[130:131] op_sel:[1,1] op_sel_hi:[0,1]
	s_delay_alu instid0(VALU_DEP_1) | instskip(SKIP_1) | instid1(VALU_DEP_2)
	v_pk_fma_f32 v[138:139], v[134:135], v[130:131], v[136:137] op_sel_hi:[1,0,1]
	v_pk_fma_f32 v[130:131], v[134:135], v[130:131], v[136:137] neg_lo:[0,0,1] neg_hi:[0,0,1]
	v_mov_b32_e32 v131, v139
	s_cbranch_execz .LBB62_834
	s_branch .LBB62_835
.LBB62_833:
                                        ; implicit-def: $vgpr130_vgpr131
.LBB62_834:
	ds_load_b64 v[130:131], v1
.LBB62_835:
	s_mov_b32 s2, exec_lo
	v_cmpx_ne_u32_e32 21, v0
	s_cbranch_execz .LBB62_839
; %bb.836:
	v_add_nc_u32_e32 v133, 0x208, v54
	v_add3_u32 v134, 0, v54, 8
	v_mov_b32_e32 v135, v0
	s_mov_b32 s3, 0
.LBB62_837:                             ; =>This Inner Loop Header: Depth=1
	scratch_load_b64 v[136:137], v134, off
	ds_load_b64 v[138:139], v133
	s_wait_xcnt 0x0
	v_dual_add_nc_u32 v133, 8, v133 :: v_dual_add_nc_u32 v134, 8, v134
	s_wait_loadcnt_dscnt 0x0
	v_pk_mul_f32 v[140:141], v[138:139], v[136:137] op_sel:[1,1] op_sel_hi:[0,1]
	s_delay_alu instid0(VALU_DEP_1) | instskip(SKIP_2) | instid1(VALU_DEP_3)
	v_pk_fma_f32 v[142:143], v[138:139], v[136:137], v[140:141] op_sel_hi:[1,0,1]
	v_add_nc_u32_e32 v135, 1, v135
	v_pk_fma_f32 v[136:137], v[138:139], v[136:137], v[140:141] neg_lo:[0,0,1] neg_hi:[0,0,1]
	v_mov_b32_e32 v137, v143
	s_delay_alu instid0(VALU_DEP_3) | instskip(NEXT) | instid1(VALU_DEP_2)
	v_cmp_lt_u32_e32 vcc_lo, 20, v135
	v_pk_add_f32 v[130:131], v[130:131], v[136:137]
	s_or_b32 s3, vcc_lo, s3
	s_delay_alu instid0(SALU_CYCLE_1)
	s_and_not1_b32 exec_lo, exec_lo, s3
	s_cbranch_execnz .LBB62_837
; %bb.838:
	s_or_b32 exec_lo, exec_lo, s3
.LBB62_839:
	s_delay_alu instid0(SALU_CYCLE_1) | instskip(SKIP_4) | instid1(VALU_DEP_1)
	s_or_b32 exec_lo, exec_lo, s2
	v_mov_b32_e32 v133, 0
	ds_load_b64 v[134:135], v133 offset:176
	s_wait_dscnt 0x0
	v_pk_mul_f32 v[136:137], v[130:131], v[134:135] op_sel:[1,1] op_sel_hi:[0,1]
	v_pk_fma_f32 v[138:139], v[130:131], v[134:135], v[136:137] op_sel_hi:[1,0,1]
	v_pk_fma_f32 v[130:131], v[130:131], v[134:135], v[136:137] neg_lo:[0,0,1] neg_hi:[0,0,1]
	s_delay_alu instid0(VALU_DEP_2)
	v_mov_b32_e32 v131, v139
	scratch_store_b64 off, v[130:131], off offset:176
.LBB62_840:
	s_wait_xcnt 0x0
	s_or_b32 exec_lo, exec_lo, s0
	scratch_load_b64 v[130:131], off, off offset:184
	s_mov_b32 s0, exec_lo
	s_wait_loadcnt 0x0
	ds_store_b64 v1, v[130:131]
	s_wait_storecnt_dscnt 0x0
	s_barrier_signal -1
	s_barrier_wait -1
	s_wait_xcnt 0x0
	v_cmpx_gt_u32_e32 23, v0
	s_cbranch_execz .LBB62_850
; %bb.841:
	v_cmp_ne_u32_e32 vcc_lo, 1, v132
	s_cbranch_vccnz .LBB62_843
; %bb.842:
	scratch_load_b64 v[130:131], v55, off
	ds_load_b64 v[134:135], v1
	s_wait_loadcnt_dscnt 0x0
	v_pk_mul_f32 v[136:137], v[134:135], v[130:131] op_sel:[1,1] op_sel_hi:[0,1]
	s_delay_alu instid0(VALU_DEP_1) | instskip(SKIP_1) | instid1(VALU_DEP_2)
	v_pk_fma_f32 v[138:139], v[134:135], v[130:131], v[136:137] op_sel_hi:[1,0,1]
	v_pk_fma_f32 v[130:131], v[134:135], v[130:131], v[136:137] neg_lo:[0,0,1] neg_hi:[0,0,1]
	v_mov_b32_e32 v131, v139
	s_cbranch_execz .LBB62_844
	s_branch .LBB62_845
.LBB62_843:
                                        ; implicit-def: $vgpr130_vgpr131
.LBB62_844:
	ds_load_b64 v[130:131], v1
.LBB62_845:
	s_mov_b32 s2, exec_lo
	v_cmpx_ne_u32_e32 22, v0
	s_cbranch_execz .LBB62_849
; %bb.846:
	v_add_nc_u32_e32 v133, 0x208, v54
	v_add3_u32 v134, 0, v54, 8
	v_mov_b32_e32 v135, v0
	s_mov_b32 s3, 0
.LBB62_847:                             ; =>This Inner Loop Header: Depth=1
	scratch_load_b64 v[136:137], v134, off
	ds_load_b64 v[138:139], v133
	s_wait_xcnt 0x0
	v_dual_add_nc_u32 v133, 8, v133 :: v_dual_add_nc_u32 v134, 8, v134
	s_wait_loadcnt_dscnt 0x0
	v_pk_mul_f32 v[140:141], v[138:139], v[136:137] op_sel:[1,1] op_sel_hi:[0,1]
	s_delay_alu instid0(VALU_DEP_1) | instskip(SKIP_2) | instid1(VALU_DEP_3)
	v_pk_fma_f32 v[142:143], v[138:139], v[136:137], v[140:141] op_sel_hi:[1,0,1]
	v_add_nc_u32_e32 v135, 1, v135
	v_pk_fma_f32 v[136:137], v[138:139], v[136:137], v[140:141] neg_lo:[0,0,1] neg_hi:[0,0,1]
	v_mov_b32_e32 v137, v143
	s_delay_alu instid0(VALU_DEP_3) | instskip(NEXT) | instid1(VALU_DEP_2)
	v_cmp_lt_u32_e32 vcc_lo, 21, v135
	v_pk_add_f32 v[130:131], v[130:131], v[136:137]
	s_or_b32 s3, vcc_lo, s3
	s_delay_alu instid0(SALU_CYCLE_1)
	s_and_not1_b32 exec_lo, exec_lo, s3
	s_cbranch_execnz .LBB62_847
; %bb.848:
	s_or_b32 exec_lo, exec_lo, s3
.LBB62_849:
	s_delay_alu instid0(SALU_CYCLE_1) | instskip(SKIP_4) | instid1(VALU_DEP_1)
	s_or_b32 exec_lo, exec_lo, s2
	v_mov_b32_e32 v133, 0
	ds_load_b64 v[134:135], v133 offset:184
	s_wait_dscnt 0x0
	v_pk_mul_f32 v[136:137], v[130:131], v[134:135] op_sel:[1,1] op_sel_hi:[0,1]
	v_pk_fma_f32 v[138:139], v[130:131], v[134:135], v[136:137] op_sel_hi:[1,0,1]
	v_pk_fma_f32 v[130:131], v[130:131], v[134:135], v[136:137] neg_lo:[0,0,1] neg_hi:[0,0,1]
	s_delay_alu instid0(VALU_DEP_2)
	v_mov_b32_e32 v131, v139
	scratch_store_b64 off, v[130:131], off offset:184
.LBB62_850:
	s_wait_xcnt 0x0
	s_or_b32 exec_lo, exec_lo, s0
	scratch_load_b64 v[130:131], off, off offset:192
	s_mov_b32 s0, exec_lo
	s_wait_loadcnt 0x0
	ds_store_b64 v1, v[130:131]
	s_wait_storecnt_dscnt 0x0
	s_barrier_signal -1
	s_barrier_wait -1
	s_wait_xcnt 0x0
	v_cmpx_gt_u32_e32 24, v0
	s_cbranch_execz .LBB62_860
; %bb.851:
	v_cmp_ne_u32_e32 vcc_lo, 1, v132
	s_cbranch_vccnz .LBB62_853
; %bb.852:
	scratch_load_b64 v[130:131], v55, off
	ds_load_b64 v[134:135], v1
	s_wait_loadcnt_dscnt 0x0
	v_pk_mul_f32 v[136:137], v[134:135], v[130:131] op_sel:[1,1] op_sel_hi:[0,1]
	s_delay_alu instid0(VALU_DEP_1) | instskip(SKIP_1) | instid1(VALU_DEP_2)
	v_pk_fma_f32 v[138:139], v[134:135], v[130:131], v[136:137] op_sel_hi:[1,0,1]
	v_pk_fma_f32 v[130:131], v[134:135], v[130:131], v[136:137] neg_lo:[0,0,1] neg_hi:[0,0,1]
	v_mov_b32_e32 v131, v139
	s_cbranch_execz .LBB62_854
	s_branch .LBB62_855
.LBB62_853:
                                        ; implicit-def: $vgpr130_vgpr131
.LBB62_854:
	ds_load_b64 v[130:131], v1
.LBB62_855:
	s_mov_b32 s2, exec_lo
	v_cmpx_ne_u32_e32 23, v0
	s_cbranch_execz .LBB62_859
; %bb.856:
	v_add_nc_u32_e32 v133, 0x208, v54
	v_add3_u32 v134, 0, v54, 8
	v_mov_b32_e32 v135, v0
	s_mov_b32 s3, 0
.LBB62_857:                             ; =>This Inner Loop Header: Depth=1
	scratch_load_b64 v[136:137], v134, off
	ds_load_b64 v[138:139], v133
	s_wait_xcnt 0x0
	v_dual_add_nc_u32 v133, 8, v133 :: v_dual_add_nc_u32 v134, 8, v134
	s_wait_loadcnt_dscnt 0x0
	v_pk_mul_f32 v[140:141], v[138:139], v[136:137] op_sel:[1,1] op_sel_hi:[0,1]
	s_delay_alu instid0(VALU_DEP_1) | instskip(SKIP_2) | instid1(VALU_DEP_3)
	v_pk_fma_f32 v[142:143], v[138:139], v[136:137], v[140:141] op_sel_hi:[1,0,1]
	v_add_nc_u32_e32 v135, 1, v135
	v_pk_fma_f32 v[136:137], v[138:139], v[136:137], v[140:141] neg_lo:[0,0,1] neg_hi:[0,0,1]
	v_mov_b32_e32 v137, v143
	s_delay_alu instid0(VALU_DEP_3) | instskip(NEXT) | instid1(VALU_DEP_2)
	v_cmp_lt_u32_e32 vcc_lo, 22, v135
	v_pk_add_f32 v[130:131], v[130:131], v[136:137]
	s_or_b32 s3, vcc_lo, s3
	s_delay_alu instid0(SALU_CYCLE_1)
	s_and_not1_b32 exec_lo, exec_lo, s3
	s_cbranch_execnz .LBB62_857
; %bb.858:
	s_or_b32 exec_lo, exec_lo, s3
.LBB62_859:
	s_delay_alu instid0(SALU_CYCLE_1) | instskip(SKIP_4) | instid1(VALU_DEP_1)
	s_or_b32 exec_lo, exec_lo, s2
	v_mov_b32_e32 v133, 0
	ds_load_b64 v[134:135], v133 offset:192
	s_wait_dscnt 0x0
	v_pk_mul_f32 v[136:137], v[130:131], v[134:135] op_sel:[1,1] op_sel_hi:[0,1]
	v_pk_fma_f32 v[138:139], v[130:131], v[134:135], v[136:137] op_sel_hi:[1,0,1]
	v_pk_fma_f32 v[130:131], v[130:131], v[134:135], v[136:137] neg_lo:[0,0,1] neg_hi:[0,0,1]
	s_delay_alu instid0(VALU_DEP_2)
	v_mov_b32_e32 v131, v139
	scratch_store_b64 off, v[130:131], off offset:192
.LBB62_860:
	s_wait_xcnt 0x0
	s_or_b32 exec_lo, exec_lo, s0
	scratch_load_b64 v[130:131], off, off offset:200
	s_mov_b32 s0, exec_lo
	s_wait_loadcnt 0x0
	ds_store_b64 v1, v[130:131]
	s_wait_storecnt_dscnt 0x0
	s_barrier_signal -1
	s_barrier_wait -1
	s_wait_xcnt 0x0
	v_cmpx_gt_u32_e32 25, v0
	s_cbranch_execz .LBB62_870
; %bb.861:
	v_cmp_ne_u32_e32 vcc_lo, 1, v132
	s_cbranch_vccnz .LBB62_863
; %bb.862:
	scratch_load_b64 v[130:131], v55, off
	ds_load_b64 v[134:135], v1
	s_wait_loadcnt_dscnt 0x0
	v_pk_mul_f32 v[136:137], v[134:135], v[130:131] op_sel:[1,1] op_sel_hi:[0,1]
	s_delay_alu instid0(VALU_DEP_1) | instskip(SKIP_1) | instid1(VALU_DEP_2)
	v_pk_fma_f32 v[138:139], v[134:135], v[130:131], v[136:137] op_sel_hi:[1,0,1]
	v_pk_fma_f32 v[130:131], v[134:135], v[130:131], v[136:137] neg_lo:[0,0,1] neg_hi:[0,0,1]
	v_mov_b32_e32 v131, v139
	s_cbranch_execz .LBB62_864
	s_branch .LBB62_865
.LBB62_863:
                                        ; implicit-def: $vgpr130_vgpr131
.LBB62_864:
	ds_load_b64 v[130:131], v1
.LBB62_865:
	s_mov_b32 s2, exec_lo
	v_cmpx_ne_u32_e32 24, v0
	s_cbranch_execz .LBB62_869
; %bb.866:
	v_add_nc_u32_e32 v133, 0x208, v54
	v_add3_u32 v134, 0, v54, 8
	v_mov_b32_e32 v135, v0
	s_mov_b32 s3, 0
.LBB62_867:                             ; =>This Inner Loop Header: Depth=1
	scratch_load_b64 v[136:137], v134, off
	ds_load_b64 v[138:139], v133
	s_wait_xcnt 0x0
	v_dual_add_nc_u32 v133, 8, v133 :: v_dual_add_nc_u32 v134, 8, v134
	s_wait_loadcnt_dscnt 0x0
	v_pk_mul_f32 v[140:141], v[138:139], v[136:137] op_sel:[1,1] op_sel_hi:[0,1]
	s_delay_alu instid0(VALU_DEP_1) | instskip(SKIP_2) | instid1(VALU_DEP_3)
	v_pk_fma_f32 v[142:143], v[138:139], v[136:137], v[140:141] op_sel_hi:[1,0,1]
	v_add_nc_u32_e32 v135, 1, v135
	v_pk_fma_f32 v[136:137], v[138:139], v[136:137], v[140:141] neg_lo:[0,0,1] neg_hi:[0,0,1]
	v_mov_b32_e32 v137, v143
	s_delay_alu instid0(VALU_DEP_3) | instskip(NEXT) | instid1(VALU_DEP_2)
	v_cmp_lt_u32_e32 vcc_lo, 23, v135
	v_pk_add_f32 v[130:131], v[130:131], v[136:137]
	s_or_b32 s3, vcc_lo, s3
	s_delay_alu instid0(SALU_CYCLE_1)
	s_and_not1_b32 exec_lo, exec_lo, s3
	s_cbranch_execnz .LBB62_867
; %bb.868:
	s_or_b32 exec_lo, exec_lo, s3
.LBB62_869:
	s_delay_alu instid0(SALU_CYCLE_1) | instskip(SKIP_4) | instid1(VALU_DEP_1)
	s_or_b32 exec_lo, exec_lo, s2
	v_mov_b32_e32 v133, 0
	ds_load_b64 v[134:135], v133 offset:200
	s_wait_dscnt 0x0
	v_pk_mul_f32 v[136:137], v[130:131], v[134:135] op_sel:[1,1] op_sel_hi:[0,1]
	v_pk_fma_f32 v[138:139], v[130:131], v[134:135], v[136:137] op_sel_hi:[1,0,1]
	v_pk_fma_f32 v[130:131], v[130:131], v[134:135], v[136:137] neg_lo:[0,0,1] neg_hi:[0,0,1]
	s_delay_alu instid0(VALU_DEP_2)
	v_mov_b32_e32 v131, v139
	scratch_store_b64 off, v[130:131], off offset:200
.LBB62_870:
	s_wait_xcnt 0x0
	s_or_b32 exec_lo, exec_lo, s0
	scratch_load_b64 v[130:131], off, off offset:208
	s_mov_b32 s0, exec_lo
	s_wait_loadcnt 0x0
	ds_store_b64 v1, v[130:131]
	s_wait_storecnt_dscnt 0x0
	s_barrier_signal -1
	s_barrier_wait -1
	s_wait_xcnt 0x0
	v_cmpx_gt_u32_e32 26, v0
	s_cbranch_execz .LBB62_880
; %bb.871:
	v_cmp_ne_u32_e32 vcc_lo, 1, v132
	s_cbranch_vccnz .LBB62_873
; %bb.872:
	scratch_load_b64 v[130:131], v55, off
	ds_load_b64 v[134:135], v1
	s_wait_loadcnt_dscnt 0x0
	v_pk_mul_f32 v[136:137], v[134:135], v[130:131] op_sel:[1,1] op_sel_hi:[0,1]
	s_delay_alu instid0(VALU_DEP_1) | instskip(SKIP_1) | instid1(VALU_DEP_2)
	v_pk_fma_f32 v[138:139], v[134:135], v[130:131], v[136:137] op_sel_hi:[1,0,1]
	v_pk_fma_f32 v[130:131], v[134:135], v[130:131], v[136:137] neg_lo:[0,0,1] neg_hi:[0,0,1]
	v_mov_b32_e32 v131, v139
	s_cbranch_execz .LBB62_874
	s_branch .LBB62_875
.LBB62_873:
                                        ; implicit-def: $vgpr130_vgpr131
.LBB62_874:
	ds_load_b64 v[130:131], v1
.LBB62_875:
	s_mov_b32 s2, exec_lo
	v_cmpx_ne_u32_e32 25, v0
	s_cbranch_execz .LBB62_879
; %bb.876:
	v_add_nc_u32_e32 v133, 0x208, v54
	v_add3_u32 v134, 0, v54, 8
	v_mov_b32_e32 v135, v0
	s_mov_b32 s3, 0
.LBB62_877:                             ; =>This Inner Loop Header: Depth=1
	scratch_load_b64 v[136:137], v134, off
	ds_load_b64 v[138:139], v133
	s_wait_xcnt 0x0
	v_dual_add_nc_u32 v133, 8, v133 :: v_dual_add_nc_u32 v134, 8, v134
	s_wait_loadcnt_dscnt 0x0
	v_pk_mul_f32 v[140:141], v[138:139], v[136:137] op_sel:[1,1] op_sel_hi:[0,1]
	s_delay_alu instid0(VALU_DEP_1) | instskip(SKIP_2) | instid1(VALU_DEP_3)
	v_pk_fma_f32 v[142:143], v[138:139], v[136:137], v[140:141] op_sel_hi:[1,0,1]
	v_add_nc_u32_e32 v135, 1, v135
	v_pk_fma_f32 v[136:137], v[138:139], v[136:137], v[140:141] neg_lo:[0,0,1] neg_hi:[0,0,1]
	v_mov_b32_e32 v137, v143
	s_delay_alu instid0(VALU_DEP_3) | instskip(NEXT) | instid1(VALU_DEP_2)
	v_cmp_lt_u32_e32 vcc_lo, 24, v135
	v_pk_add_f32 v[130:131], v[130:131], v[136:137]
	s_or_b32 s3, vcc_lo, s3
	s_delay_alu instid0(SALU_CYCLE_1)
	s_and_not1_b32 exec_lo, exec_lo, s3
	s_cbranch_execnz .LBB62_877
; %bb.878:
	s_or_b32 exec_lo, exec_lo, s3
.LBB62_879:
	s_delay_alu instid0(SALU_CYCLE_1) | instskip(SKIP_4) | instid1(VALU_DEP_1)
	s_or_b32 exec_lo, exec_lo, s2
	v_mov_b32_e32 v133, 0
	ds_load_b64 v[134:135], v133 offset:208
	s_wait_dscnt 0x0
	v_pk_mul_f32 v[136:137], v[130:131], v[134:135] op_sel:[1,1] op_sel_hi:[0,1]
	v_pk_fma_f32 v[138:139], v[130:131], v[134:135], v[136:137] op_sel_hi:[1,0,1]
	v_pk_fma_f32 v[130:131], v[130:131], v[134:135], v[136:137] neg_lo:[0,0,1] neg_hi:[0,0,1]
	s_delay_alu instid0(VALU_DEP_2)
	v_mov_b32_e32 v131, v139
	scratch_store_b64 off, v[130:131], off offset:208
.LBB62_880:
	s_wait_xcnt 0x0
	s_or_b32 exec_lo, exec_lo, s0
	scratch_load_b64 v[130:131], off, off offset:216
	s_mov_b32 s0, exec_lo
	s_wait_loadcnt 0x0
	ds_store_b64 v1, v[130:131]
	s_wait_storecnt_dscnt 0x0
	s_barrier_signal -1
	s_barrier_wait -1
	s_wait_xcnt 0x0
	v_cmpx_gt_u32_e32 27, v0
	s_cbranch_execz .LBB62_890
; %bb.881:
	v_cmp_ne_u32_e32 vcc_lo, 1, v132
	s_cbranch_vccnz .LBB62_883
; %bb.882:
	scratch_load_b64 v[130:131], v55, off
	ds_load_b64 v[134:135], v1
	s_wait_loadcnt_dscnt 0x0
	v_pk_mul_f32 v[136:137], v[134:135], v[130:131] op_sel:[1,1] op_sel_hi:[0,1]
	s_delay_alu instid0(VALU_DEP_1) | instskip(SKIP_1) | instid1(VALU_DEP_2)
	v_pk_fma_f32 v[138:139], v[134:135], v[130:131], v[136:137] op_sel_hi:[1,0,1]
	v_pk_fma_f32 v[130:131], v[134:135], v[130:131], v[136:137] neg_lo:[0,0,1] neg_hi:[0,0,1]
	v_mov_b32_e32 v131, v139
	s_cbranch_execz .LBB62_884
	s_branch .LBB62_885
.LBB62_883:
                                        ; implicit-def: $vgpr130_vgpr131
.LBB62_884:
	ds_load_b64 v[130:131], v1
.LBB62_885:
	s_mov_b32 s2, exec_lo
	v_cmpx_ne_u32_e32 26, v0
	s_cbranch_execz .LBB62_889
; %bb.886:
	v_add_nc_u32_e32 v133, 0x208, v54
	v_add3_u32 v134, 0, v54, 8
	v_mov_b32_e32 v135, v0
	s_mov_b32 s3, 0
.LBB62_887:                             ; =>This Inner Loop Header: Depth=1
	scratch_load_b64 v[136:137], v134, off
	ds_load_b64 v[138:139], v133
	s_wait_xcnt 0x0
	v_dual_add_nc_u32 v133, 8, v133 :: v_dual_add_nc_u32 v134, 8, v134
	s_wait_loadcnt_dscnt 0x0
	v_pk_mul_f32 v[140:141], v[138:139], v[136:137] op_sel:[1,1] op_sel_hi:[0,1]
	s_delay_alu instid0(VALU_DEP_1) | instskip(SKIP_2) | instid1(VALU_DEP_3)
	v_pk_fma_f32 v[142:143], v[138:139], v[136:137], v[140:141] op_sel_hi:[1,0,1]
	v_add_nc_u32_e32 v135, 1, v135
	v_pk_fma_f32 v[136:137], v[138:139], v[136:137], v[140:141] neg_lo:[0,0,1] neg_hi:[0,0,1]
	v_mov_b32_e32 v137, v143
	s_delay_alu instid0(VALU_DEP_3) | instskip(NEXT) | instid1(VALU_DEP_2)
	v_cmp_lt_u32_e32 vcc_lo, 25, v135
	v_pk_add_f32 v[130:131], v[130:131], v[136:137]
	s_or_b32 s3, vcc_lo, s3
	s_delay_alu instid0(SALU_CYCLE_1)
	s_and_not1_b32 exec_lo, exec_lo, s3
	s_cbranch_execnz .LBB62_887
; %bb.888:
	s_or_b32 exec_lo, exec_lo, s3
.LBB62_889:
	s_delay_alu instid0(SALU_CYCLE_1) | instskip(SKIP_4) | instid1(VALU_DEP_1)
	s_or_b32 exec_lo, exec_lo, s2
	v_mov_b32_e32 v133, 0
	ds_load_b64 v[134:135], v133 offset:216
	s_wait_dscnt 0x0
	v_pk_mul_f32 v[136:137], v[130:131], v[134:135] op_sel:[1,1] op_sel_hi:[0,1]
	v_pk_fma_f32 v[138:139], v[130:131], v[134:135], v[136:137] op_sel_hi:[1,0,1]
	v_pk_fma_f32 v[130:131], v[130:131], v[134:135], v[136:137] neg_lo:[0,0,1] neg_hi:[0,0,1]
	s_delay_alu instid0(VALU_DEP_2)
	v_mov_b32_e32 v131, v139
	scratch_store_b64 off, v[130:131], off offset:216
.LBB62_890:
	s_wait_xcnt 0x0
	s_or_b32 exec_lo, exec_lo, s0
	scratch_load_b64 v[130:131], off, off offset:224
	s_mov_b32 s0, exec_lo
	s_wait_loadcnt 0x0
	ds_store_b64 v1, v[130:131]
	s_wait_storecnt_dscnt 0x0
	s_barrier_signal -1
	s_barrier_wait -1
	s_wait_xcnt 0x0
	v_cmpx_gt_u32_e32 28, v0
	s_cbranch_execz .LBB62_900
; %bb.891:
	v_cmp_ne_u32_e32 vcc_lo, 1, v132
	s_cbranch_vccnz .LBB62_893
; %bb.892:
	scratch_load_b64 v[130:131], v55, off
	ds_load_b64 v[134:135], v1
	s_wait_loadcnt_dscnt 0x0
	v_pk_mul_f32 v[136:137], v[134:135], v[130:131] op_sel:[1,1] op_sel_hi:[0,1]
	s_delay_alu instid0(VALU_DEP_1) | instskip(SKIP_1) | instid1(VALU_DEP_2)
	v_pk_fma_f32 v[138:139], v[134:135], v[130:131], v[136:137] op_sel_hi:[1,0,1]
	v_pk_fma_f32 v[130:131], v[134:135], v[130:131], v[136:137] neg_lo:[0,0,1] neg_hi:[0,0,1]
	v_mov_b32_e32 v131, v139
	s_cbranch_execz .LBB62_894
	s_branch .LBB62_895
.LBB62_893:
                                        ; implicit-def: $vgpr130_vgpr131
.LBB62_894:
	ds_load_b64 v[130:131], v1
.LBB62_895:
	s_mov_b32 s2, exec_lo
	v_cmpx_ne_u32_e32 27, v0
	s_cbranch_execz .LBB62_899
; %bb.896:
	v_add_nc_u32_e32 v133, 0x208, v54
	v_add3_u32 v134, 0, v54, 8
	v_mov_b32_e32 v135, v0
	s_mov_b32 s3, 0
.LBB62_897:                             ; =>This Inner Loop Header: Depth=1
	scratch_load_b64 v[136:137], v134, off
	ds_load_b64 v[138:139], v133
	s_wait_xcnt 0x0
	v_dual_add_nc_u32 v133, 8, v133 :: v_dual_add_nc_u32 v134, 8, v134
	s_wait_loadcnt_dscnt 0x0
	v_pk_mul_f32 v[140:141], v[138:139], v[136:137] op_sel:[1,1] op_sel_hi:[0,1]
	s_delay_alu instid0(VALU_DEP_1) | instskip(SKIP_2) | instid1(VALU_DEP_3)
	v_pk_fma_f32 v[142:143], v[138:139], v[136:137], v[140:141] op_sel_hi:[1,0,1]
	v_add_nc_u32_e32 v135, 1, v135
	v_pk_fma_f32 v[136:137], v[138:139], v[136:137], v[140:141] neg_lo:[0,0,1] neg_hi:[0,0,1]
	v_mov_b32_e32 v137, v143
	s_delay_alu instid0(VALU_DEP_3) | instskip(NEXT) | instid1(VALU_DEP_2)
	v_cmp_lt_u32_e32 vcc_lo, 26, v135
	v_pk_add_f32 v[130:131], v[130:131], v[136:137]
	s_or_b32 s3, vcc_lo, s3
	s_delay_alu instid0(SALU_CYCLE_1)
	s_and_not1_b32 exec_lo, exec_lo, s3
	s_cbranch_execnz .LBB62_897
; %bb.898:
	s_or_b32 exec_lo, exec_lo, s3
.LBB62_899:
	s_delay_alu instid0(SALU_CYCLE_1) | instskip(SKIP_4) | instid1(VALU_DEP_1)
	s_or_b32 exec_lo, exec_lo, s2
	v_mov_b32_e32 v133, 0
	ds_load_b64 v[134:135], v133 offset:224
	s_wait_dscnt 0x0
	v_pk_mul_f32 v[136:137], v[130:131], v[134:135] op_sel:[1,1] op_sel_hi:[0,1]
	v_pk_fma_f32 v[138:139], v[130:131], v[134:135], v[136:137] op_sel_hi:[1,0,1]
	v_pk_fma_f32 v[130:131], v[130:131], v[134:135], v[136:137] neg_lo:[0,0,1] neg_hi:[0,0,1]
	s_delay_alu instid0(VALU_DEP_2)
	v_mov_b32_e32 v131, v139
	scratch_store_b64 off, v[130:131], off offset:224
.LBB62_900:
	s_wait_xcnt 0x0
	s_or_b32 exec_lo, exec_lo, s0
	scratch_load_b64 v[130:131], off, off offset:232
	s_mov_b32 s0, exec_lo
	s_wait_loadcnt 0x0
	ds_store_b64 v1, v[130:131]
	s_wait_storecnt_dscnt 0x0
	s_barrier_signal -1
	s_barrier_wait -1
	s_wait_xcnt 0x0
	v_cmpx_gt_u32_e32 29, v0
	s_cbranch_execz .LBB62_910
; %bb.901:
	v_cmp_ne_u32_e32 vcc_lo, 1, v132
	s_cbranch_vccnz .LBB62_903
; %bb.902:
	scratch_load_b64 v[130:131], v55, off
	ds_load_b64 v[134:135], v1
	s_wait_loadcnt_dscnt 0x0
	v_pk_mul_f32 v[136:137], v[134:135], v[130:131] op_sel:[1,1] op_sel_hi:[0,1]
	s_delay_alu instid0(VALU_DEP_1) | instskip(SKIP_1) | instid1(VALU_DEP_2)
	v_pk_fma_f32 v[138:139], v[134:135], v[130:131], v[136:137] op_sel_hi:[1,0,1]
	v_pk_fma_f32 v[130:131], v[134:135], v[130:131], v[136:137] neg_lo:[0,0,1] neg_hi:[0,0,1]
	v_mov_b32_e32 v131, v139
	s_cbranch_execz .LBB62_904
	s_branch .LBB62_905
.LBB62_903:
                                        ; implicit-def: $vgpr130_vgpr131
.LBB62_904:
	ds_load_b64 v[130:131], v1
.LBB62_905:
	s_mov_b32 s2, exec_lo
	v_cmpx_ne_u32_e32 28, v0
	s_cbranch_execz .LBB62_909
; %bb.906:
	v_add_nc_u32_e32 v133, 0x208, v54
	v_add3_u32 v134, 0, v54, 8
	v_mov_b32_e32 v135, v0
	s_mov_b32 s3, 0
.LBB62_907:                             ; =>This Inner Loop Header: Depth=1
	scratch_load_b64 v[136:137], v134, off
	ds_load_b64 v[138:139], v133
	s_wait_xcnt 0x0
	v_dual_add_nc_u32 v133, 8, v133 :: v_dual_add_nc_u32 v134, 8, v134
	s_wait_loadcnt_dscnt 0x0
	v_pk_mul_f32 v[140:141], v[138:139], v[136:137] op_sel:[1,1] op_sel_hi:[0,1]
	s_delay_alu instid0(VALU_DEP_1) | instskip(SKIP_2) | instid1(VALU_DEP_3)
	v_pk_fma_f32 v[142:143], v[138:139], v[136:137], v[140:141] op_sel_hi:[1,0,1]
	v_add_nc_u32_e32 v135, 1, v135
	v_pk_fma_f32 v[136:137], v[138:139], v[136:137], v[140:141] neg_lo:[0,0,1] neg_hi:[0,0,1]
	v_mov_b32_e32 v137, v143
	s_delay_alu instid0(VALU_DEP_3) | instskip(NEXT) | instid1(VALU_DEP_2)
	v_cmp_lt_u32_e32 vcc_lo, 27, v135
	v_pk_add_f32 v[130:131], v[130:131], v[136:137]
	s_or_b32 s3, vcc_lo, s3
	s_delay_alu instid0(SALU_CYCLE_1)
	s_and_not1_b32 exec_lo, exec_lo, s3
	s_cbranch_execnz .LBB62_907
; %bb.908:
	s_or_b32 exec_lo, exec_lo, s3
.LBB62_909:
	s_delay_alu instid0(SALU_CYCLE_1) | instskip(SKIP_4) | instid1(VALU_DEP_1)
	s_or_b32 exec_lo, exec_lo, s2
	v_mov_b32_e32 v133, 0
	ds_load_b64 v[134:135], v133 offset:232
	s_wait_dscnt 0x0
	v_pk_mul_f32 v[136:137], v[130:131], v[134:135] op_sel:[1,1] op_sel_hi:[0,1]
	v_pk_fma_f32 v[138:139], v[130:131], v[134:135], v[136:137] op_sel_hi:[1,0,1]
	v_pk_fma_f32 v[130:131], v[130:131], v[134:135], v[136:137] neg_lo:[0,0,1] neg_hi:[0,0,1]
	s_delay_alu instid0(VALU_DEP_2)
	v_mov_b32_e32 v131, v139
	scratch_store_b64 off, v[130:131], off offset:232
.LBB62_910:
	s_wait_xcnt 0x0
	s_or_b32 exec_lo, exec_lo, s0
	scratch_load_b64 v[130:131], off, off offset:240
	s_mov_b32 s0, exec_lo
	s_wait_loadcnt 0x0
	ds_store_b64 v1, v[130:131]
	s_wait_storecnt_dscnt 0x0
	s_barrier_signal -1
	s_barrier_wait -1
	s_wait_xcnt 0x0
	v_cmpx_gt_u32_e32 30, v0
	s_cbranch_execz .LBB62_920
; %bb.911:
	v_cmp_ne_u32_e32 vcc_lo, 1, v132
	s_cbranch_vccnz .LBB62_913
; %bb.912:
	scratch_load_b64 v[130:131], v55, off
	ds_load_b64 v[134:135], v1
	s_wait_loadcnt_dscnt 0x0
	v_pk_mul_f32 v[136:137], v[134:135], v[130:131] op_sel:[1,1] op_sel_hi:[0,1]
	s_delay_alu instid0(VALU_DEP_1) | instskip(SKIP_1) | instid1(VALU_DEP_2)
	v_pk_fma_f32 v[138:139], v[134:135], v[130:131], v[136:137] op_sel_hi:[1,0,1]
	v_pk_fma_f32 v[130:131], v[134:135], v[130:131], v[136:137] neg_lo:[0,0,1] neg_hi:[0,0,1]
	v_mov_b32_e32 v131, v139
	s_cbranch_execz .LBB62_914
	s_branch .LBB62_915
.LBB62_913:
                                        ; implicit-def: $vgpr130_vgpr131
.LBB62_914:
	ds_load_b64 v[130:131], v1
.LBB62_915:
	s_mov_b32 s2, exec_lo
	v_cmpx_ne_u32_e32 29, v0
	s_cbranch_execz .LBB62_919
; %bb.916:
	v_add_nc_u32_e32 v133, 0x208, v54
	v_add3_u32 v134, 0, v54, 8
	v_mov_b32_e32 v135, v0
	s_mov_b32 s3, 0
.LBB62_917:                             ; =>This Inner Loop Header: Depth=1
	scratch_load_b64 v[136:137], v134, off
	ds_load_b64 v[138:139], v133
	s_wait_xcnt 0x0
	v_dual_add_nc_u32 v133, 8, v133 :: v_dual_add_nc_u32 v134, 8, v134
	s_wait_loadcnt_dscnt 0x0
	v_pk_mul_f32 v[140:141], v[138:139], v[136:137] op_sel:[1,1] op_sel_hi:[0,1]
	s_delay_alu instid0(VALU_DEP_1) | instskip(SKIP_2) | instid1(VALU_DEP_3)
	v_pk_fma_f32 v[142:143], v[138:139], v[136:137], v[140:141] op_sel_hi:[1,0,1]
	v_add_nc_u32_e32 v135, 1, v135
	v_pk_fma_f32 v[136:137], v[138:139], v[136:137], v[140:141] neg_lo:[0,0,1] neg_hi:[0,0,1]
	v_mov_b32_e32 v137, v143
	s_delay_alu instid0(VALU_DEP_3) | instskip(NEXT) | instid1(VALU_DEP_2)
	v_cmp_lt_u32_e32 vcc_lo, 28, v135
	v_pk_add_f32 v[130:131], v[130:131], v[136:137]
	s_or_b32 s3, vcc_lo, s3
	s_delay_alu instid0(SALU_CYCLE_1)
	s_and_not1_b32 exec_lo, exec_lo, s3
	s_cbranch_execnz .LBB62_917
; %bb.918:
	s_or_b32 exec_lo, exec_lo, s3
.LBB62_919:
	s_delay_alu instid0(SALU_CYCLE_1) | instskip(SKIP_4) | instid1(VALU_DEP_1)
	s_or_b32 exec_lo, exec_lo, s2
	v_mov_b32_e32 v133, 0
	ds_load_b64 v[134:135], v133 offset:240
	s_wait_dscnt 0x0
	v_pk_mul_f32 v[136:137], v[130:131], v[134:135] op_sel:[1,1] op_sel_hi:[0,1]
	v_pk_fma_f32 v[138:139], v[130:131], v[134:135], v[136:137] op_sel_hi:[1,0,1]
	v_pk_fma_f32 v[130:131], v[130:131], v[134:135], v[136:137] neg_lo:[0,0,1] neg_hi:[0,0,1]
	s_delay_alu instid0(VALU_DEP_2)
	v_mov_b32_e32 v131, v139
	scratch_store_b64 off, v[130:131], off offset:240
.LBB62_920:
	s_wait_xcnt 0x0
	s_or_b32 exec_lo, exec_lo, s0
	scratch_load_b64 v[130:131], off, off offset:248
	s_mov_b32 s0, exec_lo
	s_wait_loadcnt 0x0
	ds_store_b64 v1, v[130:131]
	s_wait_storecnt_dscnt 0x0
	s_barrier_signal -1
	s_barrier_wait -1
	s_wait_xcnt 0x0
	v_cmpx_gt_u32_e32 31, v0
	s_cbranch_execz .LBB62_930
; %bb.921:
	v_cmp_ne_u32_e32 vcc_lo, 1, v132
	s_cbranch_vccnz .LBB62_923
; %bb.922:
	scratch_load_b64 v[130:131], v55, off
	ds_load_b64 v[134:135], v1
	s_wait_loadcnt_dscnt 0x0
	v_pk_mul_f32 v[136:137], v[134:135], v[130:131] op_sel:[1,1] op_sel_hi:[0,1]
	s_delay_alu instid0(VALU_DEP_1) | instskip(SKIP_1) | instid1(VALU_DEP_2)
	v_pk_fma_f32 v[138:139], v[134:135], v[130:131], v[136:137] op_sel_hi:[1,0,1]
	v_pk_fma_f32 v[130:131], v[134:135], v[130:131], v[136:137] neg_lo:[0,0,1] neg_hi:[0,0,1]
	v_mov_b32_e32 v131, v139
	s_cbranch_execz .LBB62_924
	s_branch .LBB62_925
.LBB62_923:
                                        ; implicit-def: $vgpr130_vgpr131
.LBB62_924:
	ds_load_b64 v[130:131], v1
.LBB62_925:
	s_mov_b32 s2, exec_lo
	v_cmpx_ne_u32_e32 30, v0
	s_cbranch_execz .LBB62_929
; %bb.926:
	v_add_nc_u32_e32 v133, 0x208, v54
	v_add3_u32 v134, 0, v54, 8
	v_mov_b32_e32 v135, v0
	s_mov_b32 s3, 0
.LBB62_927:                             ; =>This Inner Loop Header: Depth=1
	scratch_load_b64 v[136:137], v134, off
	ds_load_b64 v[138:139], v133
	s_wait_xcnt 0x0
	v_dual_add_nc_u32 v133, 8, v133 :: v_dual_add_nc_u32 v134, 8, v134
	s_wait_loadcnt_dscnt 0x0
	v_pk_mul_f32 v[140:141], v[138:139], v[136:137] op_sel:[1,1] op_sel_hi:[0,1]
	s_delay_alu instid0(VALU_DEP_1) | instskip(SKIP_2) | instid1(VALU_DEP_3)
	v_pk_fma_f32 v[142:143], v[138:139], v[136:137], v[140:141] op_sel_hi:[1,0,1]
	v_add_nc_u32_e32 v135, 1, v135
	v_pk_fma_f32 v[136:137], v[138:139], v[136:137], v[140:141] neg_lo:[0,0,1] neg_hi:[0,0,1]
	v_mov_b32_e32 v137, v143
	s_delay_alu instid0(VALU_DEP_3) | instskip(NEXT) | instid1(VALU_DEP_2)
	v_cmp_lt_u32_e32 vcc_lo, 29, v135
	v_pk_add_f32 v[130:131], v[130:131], v[136:137]
	s_or_b32 s3, vcc_lo, s3
	s_delay_alu instid0(SALU_CYCLE_1)
	s_and_not1_b32 exec_lo, exec_lo, s3
	s_cbranch_execnz .LBB62_927
; %bb.928:
	s_or_b32 exec_lo, exec_lo, s3
.LBB62_929:
	s_delay_alu instid0(SALU_CYCLE_1) | instskip(SKIP_4) | instid1(VALU_DEP_1)
	s_or_b32 exec_lo, exec_lo, s2
	v_mov_b32_e32 v133, 0
	ds_load_b64 v[134:135], v133 offset:248
	s_wait_dscnt 0x0
	v_pk_mul_f32 v[136:137], v[130:131], v[134:135] op_sel:[1,1] op_sel_hi:[0,1]
	v_pk_fma_f32 v[138:139], v[130:131], v[134:135], v[136:137] op_sel_hi:[1,0,1]
	v_pk_fma_f32 v[130:131], v[130:131], v[134:135], v[136:137] neg_lo:[0,0,1] neg_hi:[0,0,1]
	s_delay_alu instid0(VALU_DEP_2)
	v_mov_b32_e32 v131, v139
	scratch_store_b64 off, v[130:131], off offset:248
.LBB62_930:
	s_wait_xcnt 0x0
	s_or_b32 exec_lo, exec_lo, s0
	scratch_load_b64 v[130:131], off, off offset:256
	s_mov_b32 s0, exec_lo
	s_wait_loadcnt 0x0
	ds_store_b64 v1, v[130:131]
	s_wait_storecnt_dscnt 0x0
	s_barrier_signal -1
	s_barrier_wait -1
	s_wait_xcnt 0x0
	v_cmpx_gt_u32_e32 32, v0
	s_cbranch_execz .LBB62_940
; %bb.931:
	v_cmp_ne_u32_e32 vcc_lo, 1, v132
	s_cbranch_vccnz .LBB62_933
; %bb.932:
	scratch_load_b64 v[130:131], v55, off
	ds_load_b64 v[134:135], v1
	s_wait_loadcnt_dscnt 0x0
	v_pk_mul_f32 v[136:137], v[134:135], v[130:131] op_sel:[1,1] op_sel_hi:[0,1]
	s_delay_alu instid0(VALU_DEP_1) | instskip(SKIP_1) | instid1(VALU_DEP_2)
	v_pk_fma_f32 v[138:139], v[134:135], v[130:131], v[136:137] op_sel_hi:[1,0,1]
	v_pk_fma_f32 v[130:131], v[134:135], v[130:131], v[136:137] neg_lo:[0,0,1] neg_hi:[0,0,1]
	v_mov_b32_e32 v131, v139
	s_cbranch_execz .LBB62_934
	s_branch .LBB62_935
.LBB62_933:
                                        ; implicit-def: $vgpr130_vgpr131
.LBB62_934:
	ds_load_b64 v[130:131], v1
.LBB62_935:
	s_mov_b32 s2, exec_lo
	v_cmpx_ne_u32_e32 31, v0
	s_cbranch_execz .LBB62_939
; %bb.936:
	v_add_nc_u32_e32 v133, 0x208, v54
	v_add3_u32 v134, 0, v54, 8
	v_mov_b32_e32 v135, v0
	s_mov_b32 s3, 0
.LBB62_937:                             ; =>This Inner Loop Header: Depth=1
	scratch_load_b64 v[136:137], v134, off
	ds_load_b64 v[138:139], v133
	s_wait_xcnt 0x0
	v_dual_add_nc_u32 v133, 8, v133 :: v_dual_add_nc_u32 v134, 8, v134
	s_wait_loadcnt_dscnt 0x0
	v_pk_mul_f32 v[140:141], v[138:139], v[136:137] op_sel:[1,1] op_sel_hi:[0,1]
	s_delay_alu instid0(VALU_DEP_1) | instskip(SKIP_2) | instid1(VALU_DEP_3)
	v_pk_fma_f32 v[142:143], v[138:139], v[136:137], v[140:141] op_sel_hi:[1,0,1]
	v_add_nc_u32_e32 v135, 1, v135
	v_pk_fma_f32 v[136:137], v[138:139], v[136:137], v[140:141] neg_lo:[0,0,1] neg_hi:[0,0,1]
	v_mov_b32_e32 v137, v143
	s_delay_alu instid0(VALU_DEP_3) | instskip(NEXT) | instid1(VALU_DEP_2)
	v_cmp_lt_u32_e32 vcc_lo, 30, v135
	v_pk_add_f32 v[130:131], v[130:131], v[136:137]
	s_or_b32 s3, vcc_lo, s3
	s_delay_alu instid0(SALU_CYCLE_1)
	s_and_not1_b32 exec_lo, exec_lo, s3
	s_cbranch_execnz .LBB62_937
; %bb.938:
	s_or_b32 exec_lo, exec_lo, s3
.LBB62_939:
	s_delay_alu instid0(SALU_CYCLE_1) | instskip(SKIP_4) | instid1(VALU_DEP_1)
	s_or_b32 exec_lo, exec_lo, s2
	v_mov_b32_e32 v133, 0
	ds_load_b64 v[134:135], v133 offset:256
	s_wait_dscnt 0x0
	v_pk_mul_f32 v[136:137], v[130:131], v[134:135] op_sel:[1,1] op_sel_hi:[0,1]
	v_pk_fma_f32 v[138:139], v[130:131], v[134:135], v[136:137] op_sel_hi:[1,0,1]
	v_pk_fma_f32 v[130:131], v[130:131], v[134:135], v[136:137] neg_lo:[0,0,1] neg_hi:[0,0,1]
	s_delay_alu instid0(VALU_DEP_2)
	v_mov_b32_e32 v131, v139
	scratch_store_b64 off, v[130:131], off offset:256
.LBB62_940:
	s_wait_xcnt 0x0
	s_or_b32 exec_lo, exec_lo, s0
	scratch_load_b64 v[130:131], off, off offset:264
	s_mov_b32 s0, exec_lo
	s_wait_loadcnt 0x0
	ds_store_b64 v1, v[130:131]
	s_wait_storecnt_dscnt 0x0
	s_barrier_signal -1
	s_barrier_wait -1
	s_wait_xcnt 0x0
	v_cmpx_gt_u32_e32 33, v0
	s_cbranch_execz .LBB62_950
; %bb.941:
	v_cmp_ne_u32_e32 vcc_lo, 1, v132
	s_cbranch_vccnz .LBB62_943
; %bb.942:
	scratch_load_b64 v[130:131], v55, off
	ds_load_b64 v[134:135], v1
	s_wait_loadcnt_dscnt 0x0
	v_pk_mul_f32 v[136:137], v[134:135], v[130:131] op_sel:[1,1] op_sel_hi:[0,1]
	s_delay_alu instid0(VALU_DEP_1) | instskip(SKIP_1) | instid1(VALU_DEP_2)
	v_pk_fma_f32 v[138:139], v[134:135], v[130:131], v[136:137] op_sel_hi:[1,0,1]
	v_pk_fma_f32 v[130:131], v[134:135], v[130:131], v[136:137] neg_lo:[0,0,1] neg_hi:[0,0,1]
	v_mov_b32_e32 v131, v139
	s_cbranch_execz .LBB62_944
	s_branch .LBB62_945
.LBB62_943:
                                        ; implicit-def: $vgpr130_vgpr131
.LBB62_944:
	ds_load_b64 v[130:131], v1
.LBB62_945:
	s_mov_b32 s2, exec_lo
	v_cmpx_ne_u32_e32 32, v0
	s_cbranch_execz .LBB62_949
; %bb.946:
	v_add_nc_u32_e32 v133, 0x208, v54
	v_add3_u32 v134, 0, v54, 8
	v_mov_b32_e32 v135, v0
	s_mov_b32 s3, 0
.LBB62_947:                             ; =>This Inner Loop Header: Depth=1
	scratch_load_b64 v[136:137], v134, off
	ds_load_b64 v[138:139], v133
	s_wait_xcnt 0x0
	v_dual_add_nc_u32 v133, 8, v133 :: v_dual_add_nc_u32 v134, 8, v134
	s_wait_loadcnt_dscnt 0x0
	v_pk_mul_f32 v[140:141], v[138:139], v[136:137] op_sel:[1,1] op_sel_hi:[0,1]
	s_delay_alu instid0(VALU_DEP_1) | instskip(SKIP_2) | instid1(VALU_DEP_3)
	v_pk_fma_f32 v[142:143], v[138:139], v[136:137], v[140:141] op_sel_hi:[1,0,1]
	v_add_nc_u32_e32 v135, 1, v135
	v_pk_fma_f32 v[136:137], v[138:139], v[136:137], v[140:141] neg_lo:[0,0,1] neg_hi:[0,0,1]
	v_mov_b32_e32 v137, v143
	s_delay_alu instid0(VALU_DEP_3) | instskip(NEXT) | instid1(VALU_DEP_2)
	v_cmp_lt_u32_e32 vcc_lo, 31, v135
	v_pk_add_f32 v[130:131], v[130:131], v[136:137]
	s_or_b32 s3, vcc_lo, s3
	s_delay_alu instid0(SALU_CYCLE_1)
	s_and_not1_b32 exec_lo, exec_lo, s3
	s_cbranch_execnz .LBB62_947
; %bb.948:
	s_or_b32 exec_lo, exec_lo, s3
.LBB62_949:
	s_delay_alu instid0(SALU_CYCLE_1) | instskip(SKIP_4) | instid1(VALU_DEP_1)
	s_or_b32 exec_lo, exec_lo, s2
	v_mov_b32_e32 v133, 0
	ds_load_b64 v[134:135], v133 offset:264
	s_wait_dscnt 0x0
	v_pk_mul_f32 v[136:137], v[130:131], v[134:135] op_sel:[1,1] op_sel_hi:[0,1]
	v_pk_fma_f32 v[138:139], v[130:131], v[134:135], v[136:137] op_sel_hi:[1,0,1]
	v_pk_fma_f32 v[130:131], v[130:131], v[134:135], v[136:137] neg_lo:[0,0,1] neg_hi:[0,0,1]
	s_delay_alu instid0(VALU_DEP_2)
	v_mov_b32_e32 v131, v139
	scratch_store_b64 off, v[130:131], off offset:264
.LBB62_950:
	s_wait_xcnt 0x0
	s_or_b32 exec_lo, exec_lo, s0
	scratch_load_b64 v[130:131], off, off offset:272
	s_mov_b32 s0, exec_lo
	s_wait_loadcnt 0x0
	ds_store_b64 v1, v[130:131]
	s_wait_storecnt_dscnt 0x0
	s_barrier_signal -1
	s_barrier_wait -1
	s_wait_xcnt 0x0
	v_cmpx_gt_u32_e32 34, v0
	s_cbranch_execz .LBB62_960
; %bb.951:
	v_cmp_ne_u32_e32 vcc_lo, 1, v132
	s_cbranch_vccnz .LBB62_953
; %bb.952:
	scratch_load_b64 v[130:131], v55, off
	ds_load_b64 v[134:135], v1
	s_wait_loadcnt_dscnt 0x0
	v_pk_mul_f32 v[136:137], v[134:135], v[130:131] op_sel:[1,1] op_sel_hi:[0,1]
	s_delay_alu instid0(VALU_DEP_1) | instskip(SKIP_1) | instid1(VALU_DEP_2)
	v_pk_fma_f32 v[138:139], v[134:135], v[130:131], v[136:137] op_sel_hi:[1,0,1]
	v_pk_fma_f32 v[130:131], v[134:135], v[130:131], v[136:137] neg_lo:[0,0,1] neg_hi:[0,0,1]
	v_mov_b32_e32 v131, v139
	s_cbranch_execz .LBB62_954
	s_branch .LBB62_955
.LBB62_953:
                                        ; implicit-def: $vgpr130_vgpr131
.LBB62_954:
	ds_load_b64 v[130:131], v1
.LBB62_955:
	s_mov_b32 s2, exec_lo
	v_cmpx_ne_u32_e32 33, v0
	s_cbranch_execz .LBB62_959
; %bb.956:
	v_add_nc_u32_e32 v133, 0x208, v54
	v_add3_u32 v134, 0, v54, 8
	v_mov_b32_e32 v135, v0
	s_mov_b32 s3, 0
.LBB62_957:                             ; =>This Inner Loop Header: Depth=1
	scratch_load_b64 v[136:137], v134, off
	ds_load_b64 v[138:139], v133
	s_wait_xcnt 0x0
	v_dual_add_nc_u32 v133, 8, v133 :: v_dual_add_nc_u32 v134, 8, v134
	s_wait_loadcnt_dscnt 0x0
	v_pk_mul_f32 v[140:141], v[138:139], v[136:137] op_sel:[1,1] op_sel_hi:[0,1]
	s_delay_alu instid0(VALU_DEP_1) | instskip(SKIP_2) | instid1(VALU_DEP_3)
	v_pk_fma_f32 v[142:143], v[138:139], v[136:137], v[140:141] op_sel_hi:[1,0,1]
	v_add_nc_u32_e32 v135, 1, v135
	v_pk_fma_f32 v[136:137], v[138:139], v[136:137], v[140:141] neg_lo:[0,0,1] neg_hi:[0,0,1]
	v_mov_b32_e32 v137, v143
	s_delay_alu instid0(VALU_DEP_3) | instskip(NEXT) | instid1(VALU_DEP_2)
	v_cmp_lt_u32_e32 vcc_lo, 32, v135
	v_pk_add_f32 v[130:131], v[130:131], v[136:137]
	s_or_b32 s3, vcc_lo, s3
	s_delay_alu instid0(SALU_CYCLE_1)
	s_and_not1_b32 exec_lo, exec_lo, s3
	s_cbranch_execnz .LBB62_957
; %bb.958:
	s_or_b32 exec_lo, exec_lo, s3
.LBB62_959:
	s_delay_alu instid0(SALU_CYCLE_1) | instskip(SKIP_4) | instid1(VALU_DEP_1)
	s_or_b32 exec_lo, exec_lo, s2
	v_mov_b32_e32 v133, 0
	ds_load_b64 v[134:135], v133 offset:272
	s_wait_dscnt 0x0
	v_pk_mul_f32 v[136:137], v[130:131], v[134:135] op_sel:[1,1] op_sel_hi:[0,1]
	v_pk_fma_f32 v[138:139], v[130:131], v[134:135], v[136:137] op_sel_hi:[1,0,1]
	v_pk_fma_f32 v[130:131], v[130:131], v[134:135], v[136:137] neg_lo:[0,0,1] neg_hi:[0,0,1]
	s_delay_alu instid0(VALU_DEP_2)
	v_mov_b32_e32 v131, v139
	scratch_store_b64 off, v[130:131], off offset:272
.LBB62_960:
	s_wait_xcnt 0x0
	s_or_b32 exec_lo, exec_lo, s0
	scratch_load_b64 v[130:131], off, off offset:280
	s_mov_b32 s0, exec_lo
	s_wait_loadcnt 0x0
	ds_store_b64 v1, v[130:131]
	s_wait_storecnt_dscnt 0x0
	s_barrier_signal -1
	s_barrier_wait -1
	s_wait_xcnt 0x0
	v_cmpx_gt_u32_e32 35, v0
	s_cbranch_execz .LBB62_970
; %bb.961:
	v_cmp_ne_u32_e32 vcc_lo, 1, v132
	s_cbranch_vccnz .LBB62_963
; %bb.962:
	scratch_load_b64 v[130:131], v55, off
	ds_load_b64 v[134:135], v1
	s_wait_loadcnt_dscnt 0x0
	v_pk_mul_f32 v[136:137], v[134:135], v[130:131] op_sel:[1,1] op_sel_hi:[0,1]
	s_delay_alu instid0(VALU_DEP_1) | instskip(SKIP_1) | instid1(VALU_DEP_2)
	v_pk_fma_f32 v[138:139], v[134:135], v[130:131], v[136:137] op_sel_hi:[1,0,1]
	v_pk_fma_f32 v[130:131], v[134:135], v[130:131], v[136:137] neg_lo:[0,0,1] neg_hi:[0,0,1]
	v_mov_b32_e32 v131, v139
	s_cbranch_execz .LBB62_964
	s_branch .LBB62_965
.LBB62_963:
                                        ; implicit-def: $vgpr130_vgpr131
.LBB62_964:
	ds_load_b64 v[130:131], v1
.LBB62_965:
	s_mov_b32 s2, exec_lo
	v_cmpx_ne_u32_e32 34, v0
	s_cbranch_execz .LBB62_969
; %bb.966:
	v_add_nc_u32_e32 v133, 0x208, v54
	v_add3_u32 v134, 0, v54, 8
	v_mov_b32_e32 v135, v0
	s_mov_b32 s3, 0
.LBB62_967:                             ; =>This Inner Loop Header: Depth=1
	scratch_load_b64 v[136:137], v134, off
	ds_load_b64 v[138:139], v133
	s_wait_xcnt 0x0
	v_dual_add_nc_u32 v133, 8, v133 :: v_dual_add_nc_u32 v134, 8, v134
	s_wait_loadcnt_dscnt 0x0
	v_pk_mul_f32 v[140:141], v[138:139], v[136:137] op_sel:[1,1] op_sel_hi:[0,1]
	s_delay_alu instid0(VALU_DEP_1) | instskip(SKIP_2) | instid1(VALU_DEP_3)
	v_pk_fma_f32 v[142:143], v[138:139], v[136:137], v[140:141] op_sel_hi:[1,0,1]
	v_add_nc_u32_e32 v135, 1, v135
	v_pk_fma_f32 v[136:137], v[138:139], v[136:137], v[140:141] neg_lo:[0,0,1] neg_hi:[0,0,1]
	v_mov_b32_e32 v137, v143
	s_delay_alu instid0(VALU_DEP_3) | instskip(NEXT) | instid1(VALU_DEP_2)
	v_cmp_lt_u32_e32 vcc_lo, 33, v135
	v_pk_add_f32 v[130:131], v[130:131], v[136:137]
	s_or_b32 s3, vcc_lo, s3
	s_delay_alu instid0(SALU_CYCLE_1)
	s_and_not1_b32 exec_lo, exec_lo, s3
	s_cbranch_execnz .LBB62_967
; %bb.968:
	s_or_b32 exec_lo, exec_lo, s3
.LBB62_969:
	s_delay_alu instid0(SALU_CYCLE_1) | instskip(SKIP_4) | instid1(VALU_DEP_1)
	s_or_b32 exec_lo, exec_lo, s2
	v_mov_b32_e32 v133, 0
	ds_load_b64 v[134:135], v133 offset:280
	s_wait_dscnt 0x0
	v_pk_mul_f32 v[136:137], v[130:131], v[134:135] op_sel:[1,1] op_sel_hi:[0,1]
	v_pk_fma_f32 v[138:139], v[130:131], v[134:135], v[136:137] op_sel_hi:[1,0,1]
	v_pk_fma_f32 v[130:131], v[130:131], v[134:135], v[136:137] neg_lo:[0,0,1] neg_hi:[0,0,1]
	s_delay_alu instid0(VALU_DEP_2)
	v_mov_b32_e32 v131, v139
	scratch_store_b64 off, v[130:131], off offset:280
.LBB62_970:
	s_wait_xcnt 0x0
	s_or_b32 exec_lo, exec_lo, s0
	scratch_load_b64 v[130:131], off, off offset:288
	s_mov_b32 s0, exec_lo
	s_wait_loadcnt 0x0
	ds_store_b64 v1, v[130:131]
	s_wait_storecnt_dscnt 0x0
	s_barrier_signal -1
	s_barrier_wait -1
	s_wait_xcnt 0x0
	v_cmpx_gt_u32_e32 36, v0
	s_cbranch_execz .LBB62_980
; %bb.971:
	v_cmp_ne_u32_e32 vcc_lo, 1, v132
	s_cbranch_vccnz .LBB62_973
; %bb.972:
	scratch_load_b64 v[130:131], v55, off
	ds_load_b64 v[134:135], v1
	s_wait_loadcnt_dscnt 0x0
	v_pk_mul_f32 v[136:137], v[134:135], v[130:131] op_sel:[1,1] op_sel_hi:[0,1]
	s_delay_alu instid0(VALU_DEP_1) | instskip(SKIP_1) | instid1(VALU_DEP_2)
	v_pk_fma_f32 v[138:139], v[134:135], v[130:131], v[136:137] op_sel_hi:[1,0,1]
	v_pk_fma_f32 v[130:131], v[134:135], v[130:131], v[136:137] neg_lo:[0,0,1] neg_hi:[0,0,1]
	v_mov_b32_e32 v131, v139
	s_cbranch_execz .LBB62_974
	s_branch .LBB62_975
.LBB62_973:
                                        ; implicit-def: $vgpr130_vgpr131
.LBB62_974:
	ds_load_b64 v[130:131], v1
.LBB62_975:
	s_mov_b32 s2, exec_lo
	v_cmpx_ne_u32_e32 35, v0
	s_cbranch_execz .LBB62_979
; %bb.976:
	v_add_nc_u32_e32 v133, 0x208, v54
	v_add3_u32 v134, 0, v54, 8
	v_mov_b32_e32 v135, v0
	s_mov_b32 s3, 0
.LBB62_977:                             ; =>This Inner Loop Header: Depth=1
	scratch_load_b64 v[136:137], v134, off
	ds_load_b64 v[138:139], v133
	s_wait_xcnt 0x0
	v_dual_add_nc_u32 v133, 8, v133 :: v_dual_add_nc_u32 v134, 8, v134
	s_wait_loadcnt_dscnt 0x0
	v_pk_mul_f32 v[140:141], v[138:139], v[136:137] op_sel:[1,1] op_sel_hi:[0,1]
	s_delay_alu instid0(VALU_DEP_1) | instskip(SKIP_2) | instid1(VALU_DEP_3)
	v_pk_fma_f32 v[142:143], v[138:139], v[136:137], v[140:141] op_sel_hi:[1,0,1]
	v_add_nc_u32_e32 v135, 1, v135
	v_pk_fma_f32 v[136:137], v[138:139], v[136:137], v[140:141] neg_lo:[0,0,1] neg_hi:[0,0,1]
	v_mov_b32_e32 v137, v143
	s_delay_alu instid0(VALU_DEP_3) | instskip(NEXT) | instid1(VALU_DEP_2)
	v_cmp_lt_u32_e32 vcc_lo, 34, v135
	v_pk_add_f32 v[130:131], v[130:131], v[136:137]
	s_or_b32 s3, vcc_lo, s3
	s_delay_alu instid0(SALU_CYCLE_1)
	s_and_not1_b32 exec_lo, exec_lo, s3
	s_cbranch_execnz .LBB62_977
; %bb.978:
	s_or_b32 exec_lo, exec_lo, s3
.LBB62_979:
	s_delay_alu instid0(SALU_CYCLE_1) | instskip(SKIP_4) | instid1(VALU_DEP_1)
	s_or_b32 exec_lo, exec_lo, s2
	v_mov_b32_e32 v133, 0
	ds_load_b64 v[134:135], v133 offset:288
	s_wait_dscnt 0x0
	v_pk_mul_f32 v[136:137], v[130:131], v[134:135] op_sel:[1,1] op_sel_hi:[0,1]
	v_pk_fma_f32 v[138:139], v[130:131], v[134:135], v[136:137] op_sel_hi:[1,0,1]
	v_pk_fma_f32 v[130:131], v[130:131], v[134:135], v[136:137] neg_lo:[0,0,1] neg_hi:[0,0,1]
	s_delay_alu instid0(VALU_DEP_2)
	v_mov_b32_e32 v131, v139
	scratch_store_b64 off, v[130:131], off offset:288
.LBB62_980:
	s_wait_xcnt 0x0
	s_or_b32 exec_lo, exec_lo, s0
	scratch_load_b64 v[130:131], off, off offset:296
	s_mov_b32 s0, exec_lo
	s_wait_loadcnt 0x0
	ds_store_b64 v1, v[130:131]
	s_wait_storecnt_dscnt 0x0
	s_barrier_signal -1
	s_barrier_wait -1
	s_wait_xcnt 0x0
	v_cmpx_gt_u32_e32 37, v0
	s_cbranch_execz .LBB62_990
; %bb.981:
	v_cmp_ne_u32_e32 vcc_lo, 1, v132
	s_cbranch_vccnz .LBB62_983
; %bb.982:
	scratch_load_b64 v[130:131], v55, off
	ds_load_b64 v[134:135], v1
	s_wait_loadcnt_dscnt 0x0
	v_pk_mul_f32 v[136:137], v[134:135], v[130:131] op_sel:[1,1] op_sel_hi:[0,1]
	s_delay_alu instid0(VALU_DEP_1) | instskip(SKIP_1) | instid1(VALU_DEP_2)
	v_pk_fma_f32 v[138:139], v[134:135], v[130:131], v[136:137] op_sel_hi:[1,0,1]
	v_pk_fma_f32 v[130:131], v[134:135], v[130:131], v[136:137] neg_lo:[0,0,1] neg_hi:[0,0,1]
	v_mov_b32_e32 v131, v139
	s_cbranch_execz .LBB62_984
	s_branch .LBB62_985
.LBB62_983:
                                        ; implicit-def: $vgpr130_vgpr131
.LBB62_984:
	ds_load_b64 v[130:131], v1
.LBB62_985:
	s_mov_b32 s2, exec_lo
	v_cmpx_ne_u32_e32 36, v0
	s_cbranch_execz .LBB62_989
; %bb.986:
	v_add_nc_u32_e32 v133, 0x208, v54
	v_add3_u32 v134, 0, v54, 8
	v_mov_b32_e32 v135, v0
	s_mov_b32 s3, 0
.LBB62_987:                             ; =>This Inner Loop Header: Depth=1
	scratch_load_b64 v[136:137], v134, off
	ds_load_b64 v[138:139], v133
	s_wait_xcnt 0x0
	v_dual_add_nc_u32 v133, 8, v133 :: v_dual_add_nc_u32 v134, 8, v134
	s_wait_loadcnt_dscnt 0x0
	v_pk_mul_f32 v[140:141], v[138:139], v[136:137] op_sel:[1,1] op_sel_hi:[0,1]
	s_delay_alu instid0(VALU_DEP_1) | instskip(SKIP_2) | instid1(VALU_DEP_3)
	v_pk_fma_f32 v[142:143], v[138:139], v[136:137], v[140:141] op_sel_hi:[1,0,1]
	v_add_nc_u32_e32 v135, 1, v135
	v_pk_fma_f32 v[136:137], v[138:139], v[136:137], v[140:141] neg_lo:[0,0,1] neg_hi:[0,0,1]
	v_mov_b32_e32 v137, v143
	s_delay_alu instid0(VALU_DEP_3) | instskip(NEXT) | instid1(VALU_DEP_2)
	v_cmp_lt_u32_e32 vcc_lo, 35, v135
	v_pk_add_f32 v[130:131], v[130:131], v[136:137]
	s_or_b32 s3, vcc_lo, s3
	s_delay_alu instid0(SALU_CYCLE_1)
	s_and_not1_b32 exec_lo, exec_lo, s3
	s_cbranch_execnz .LBB62_987
; %bb.988:
	s_or_b32 exec_lo, exec_lo, s3
.LBB62_989:
	s_delay_alu instid0(SALU_CYCLE_1) | instskip(SKIP_4) | instid1(VALU_DEP_1)
	s_or_b32 exec_lo, exec_lo, s2
	v_mov_b32_e32 v133, 0
	ds_load_b64 v[134:135], v133 offset:296
	s_wait_dscnt 0x0
	v_pk_mul_f32 v[136:137], v[130:131], v[134:135] op_sel:[1,1] op_sel_hi:[0,1]
	v_pk_fma_f32 v[138:139], v[130:131], v[134:135], v[136:137] op_sel_hi:[1,0,1]
	v_pk_fma_f32 v[130:131], v[130:131], v[134:135], v[136:137] neg_lo:[0,0,1] neg_hi:[0,0,1]
	s_delay_alu instid0(VALU_DEP_2)
	v_mov_b32_e32 v131, v139
	scratch_store_b64 off, v[130:131], off offset:296
.LBB62_990:
	s_wait_xcnt 0x0
	s_or_b32 exec_lo, exec_lo, s0
	scratch_load_b64 v[130:131], off, off offset:304
	s_mov_b32 s0, exec_lo
	s_wait_loadcnt 0x0
	ds_store_b64 v1, v[130:131]
	s_wait_storecnt_dscnt 0x0
	s_barrier_signal -1
	s_barrier_wait -1
	s_wait_xcnt 0x0
	v_cmpx_gt_u32_e32 38, v0
	s_cbranch_execz .LBB62_1000
; %bb.991:
	v_cmp_ne_u32_e32 vcc_lo, 1, v132
	s_cbranch_vccnz .LBB62_993
; %bb.992:
	scratch_load_b64 v[130:131], v55, off
	ds_load_b64 v[134:135], v1
	s_wait_loadcnt_dscnt 0x0
	v_pk_mul_f32 v[136:137], v[134:135], v[130:131] op_sel:[1,1] op_sel_hi:[0,1]
	s_delay_alu instid0(VALU_DEP_1) | instskip(SKIP_1) | instid1(VALU_DEP_2)
	v_pk_fma_f32 v[138:139], v[134:135], v[130:131], v[136:137] op_sel_hi:[1,0,1]
	v_pk_fma_f32 v[130:131], v[134:135], v[130:131], v[136:137] neg_lo:[0,0,1] neg_hi:[0,0,1]
	v_mov_b32_e32 v131, v139
	s_cbranch_execz .LBB62_994
	s_branch .LBB62_995
.LBB62_993:
                                        ; implicit-def: $vgpr130_vgpr131
.LBB62_994:
	ds_load_b64 v[130:131], v1
.LBB62_995:
	s_mov_b32 s2, exec_lo
	v_cmpx_ne_u32_e32 37, v0
	s_cbranch_execz .LBB62_999
; %bb.996:
	v_add_nc_u32_e32 v133, 0x208, v54
	v_add3_u32 v134, 0, v54, 8
	v_mov_b32_e32 v135, v0
	s_mov_b32 s3, 0
.LBB62_997:                             ; =>This Inner Loop Header: Depth=1
	scratch_load_b64 v[136:137], v134, off
	ds_load_b64 v[138:139], v133
	s_wait_xcnt 0x0
	v_dual_add_nc_u32 v133, 8, v133 :: v_dual_add_nc_u32 v134, 8, v134
	s_wait_loadcnt_dscnt 0x0
	v_pk_mul_f32 v[140:141], v[138:139], v[136:137] op_sel:[1,1] op_sel_hi:[0,1]
	s_delay_alu instid0(VALU_DEP_1) | instskip(SKIP_2) | instid1(VALU_DEP_3)
	v_pk_fma_f32 v[142:143], v[138:139], v[136:137], v[140:141] op_sel_hi:[1,0,1]
	v_add_nc_u32_e32 v135, 1, v135
	v_pk_fma_f32 v[136:137], v[138:139], v[136:137], v[140:141] neg_lo:[0,0,1] neg_hi:[0,0,1]
	v_mov_b32_e32 v137, v143
	s_delay_alu instid0(VALU_DEP_3) | instskip(NEXT) | instid1(VALU_DEP_2)
	v_cmp_lt_u32_e32 vcc_lo, 36, v135
	v_pk_add_f32 v[130:131], v[130:131], v[136:137]
	s_or_b32 s3, vcc_lo, s3
	s_delay_alu instid0(SALU_CYCLE_1)
	s_and_not1_b32 exec_lo, exec_lo, s3
	s_cbranch_execnz .LBB62_997
; %bb.998:
	s_or_b32 exec_lo, exec_lo, s3
.LBB62_999:
	s_delay_alu instid0(SALU_CYCLE_1) | instskip(SKIP_4) | instid1(VALU_DEP_1)
	s_or_b32 exec_lo, exec_lo, s2
	v_mov_b32_e32 v133, 0
	ds_load_b64 v[134:135], v133 offset:304
	s_wait_dscnt 0x0
	v_pk_mul_f32 v[136:137], v[130:131], v[134:135] op_sel:[1,1] op_sel_hi:[0,1]
	v_pk_fma_f32 v[138:139], v[130:131], v[134:135], v[136:137] op_sel_hi:[1,0,1]
	v_pk_fma_f32 v[130:131], v[130:131], v[134:135], v[136:137] neg_lo:[0,0,1] neg_hi:[0,0,1]
	s_delay_alu instid0(VALU_DEP_2)
	v_mov_b32_e32 v131, v139
	scratch_store_b64 off, v[130:131], off offset:304
.LBB62_1000:
	s_wait_xcnt 0x0
	s_or_b32 exec_lo, exec_lo, s0
	scratch_load_b64 v[130:131], off, off offset:312
	s_mov_b32 s0, exec_lo
	s_wait_loadcnt 0x0
	ds_store_b64 v1, v[130:131]
	s_wait_storecnt_dscnt 0x0
	s_barrier_signal -1
	s_barrier_wait -1
	s_wait_xcnt 0x0
	v_cmpx_gt_u32_e32 39, v0
	s_cbranch_execz .LBB62_1010
; %bb.1001:
	v_cmp_ne_u32_e32 vcc_lo, 1, v132
	s_cbranch_vccnz .LBB62_1003
; %bb.1002:
	scratch_load_b64 v[130:131], v55, off
	ds_load_b64 v[134:135], v1
	s_wait_loadcnt_dscnt 0x0
	v_pk_mul_f32 v[136:137], v[134:135], v[130:131] op_sel:[1,1] op_sel_hi:[0,1]
	s_delay_alu instid0(VALU_DEP_1) | instskip(SKIP_1) | instid1(VALU_DEP_2)
	v_pk_fma_f32 v[138:139], v[134:135], v[130:131], v[136:137] op_sel_hi:[1,0,1]
	v_pk_fma_f32 v[130:131], v[134:135], v[130:131], v[136:137] neg_lo:[0,0,1] neg_hi:[0,0,1]
	v_mov_b32_e32 v131, v139
	s_cbranch_execz .LBB62_1004
	s_branch .LBB62_1005
.LBB62_1003:
                                        ; implicit-def: $vgpr130_vgpr131
.LBB62_1004:
	ds_load_b64 v[130:131], v1
.LBB62_1005:
	s_mov_b32 s2, exec_lo
	v_cmpx_ne_u32_e32 38, v0
	s_cbranch_execz .LBB62_1009
; %bb.1006:
	v_add_nc_u32_e32 v133, 0x208, v54
	v_add3_u32 v134, 0, v54, 8
	v_mov_b32_e32 v135, v0
	s_mov_b32 s3, 0
.LBB62_1007:                            ; =>This Inner Loop Header: Depth=1
	scratch_load_b64 v[136:137], v134, off
	ds_load_b64 v[138:139], v133
	s_wait_xcnt 0x0
	v_dual_add_nc_u32 v133, 8, v133 :: v_dual_add_nc_u32 v134, 8, v134
	s_wait_loadcnt_dscnt 0x0
	v_pk_mul_f32 v[140:141], v[138:139], v[136:137] op_sel:[1,1] op_sel_hi:[0,1]
	s_delay_alu instid0(VALU_DEP_1) | instskip(SKIP_2) | instid1(VALU_DEP_3)
	v_pk_fma_f32 v[142:143], v[138:139], v[136:137], v[140:141] op_sel_hi:[1,0,1]
	v_add_nc_u32_e32 v135, 1, v135
	v_pk_fma_f32 v[136:137], v[138:139], v[136:137], v[140:141] neg_lo:[0,0,1] neg_hi:[0,0,1]
	v_mov_b32_e32 v137, v143
	s_delay_alu instid0(VALU_DEP_3) | instskip(NEXT) | instid1(VALU_DEP_2)
	v_cmp_lt_u32_e32 vcc_lo, 37, v135
	v_pk_add_f32 v[130:131], v[130:131], v[136:137]
	s_or_b32 s3, vcc_lo, s3
	s_delay_alu instid0(SALU_CYCLE_1)
	s_and_not1_b32 exec_lo, exec_lo, s3
	s_cbranch_execnz .LBB62_1007
; %bb.1008:
	s_or_b32 exec_lo, exec_lo, s3
.LBB62_1009:
	s_delay_alu instid0(SALU_CYCLE_1) | instskip(SKIP_4) | instid1(VALU_DEP_1)
	s_or_b32 exec_lo, exec_lo, s2
	v_mov_b32_e32 v133, 0
	ds_load_b64 v[134:135], v133 offset:312
	s_wait_dscnt 0x0
	v_pk_mul_f32 v[136:137], v[130:131], v[134:135] op_sel:[1,1] op_sel_hi:[0,1]
	v_pk_fma_f32 v[138:139], v[130:131], v[134:135], v[136:137] op_sel_hi:[1,0,1]
	v_pk_fma_f32 v[130:131], v[130:131], v[134:135], v[136:137] neg_lo:[0,0,1] neg_hi:[0,0,1]
	s_delay_alu instid0(VALU_DEP_2)
	v_mov_b32_e32 v131, v139
	scratch_store_b64 off, v[130:131], off offset:312
.LBB62_1010:
	s_wait_xcnt 0x0
	s_or_b32 exec_lo, exec_lo, s0
	scratch_load_b64 v[130:131], off, off offset:320
	s_mov_b32 s0, exec_lo
	s_wait_loadcnt 0x0
	ds_store_b64 v1, v[130:131]
	s_wait_storecnt_dscnt 0x0
	s_barrier_signal -1
	s_barrier_wait -1
	s_wait_xcnt 0x0
	v_cmpx_gt_u32_e32 40, v0
	s_cbranch_execz .LBB62_1020
; %bb.1011:
	v_cmp_ne_u32_e32 vcc_lo, 1, v132
	s_cbranch_vccnz .LBB62_1013
; %bb.1012:
	scratch_load_b64 v[130:131], v55, off
	ds_load_b64 v[134:135], v1
	s_wait_loadcnt_dscnt 0x0
	v_pk_mul_f32 v[136:137], v[134:135], v[130:131] op_sel:[1,1] op_sel_hi:[0,1]
	s_delay_alu instid0(VALU_DEP_1) | instskip(SKIP_1) | instid1(VALU_DEP_2)
	v_pk_fma_f32 v[138:139], v[134:135], v[130:131], v[136:137] op_sel_hi:[1,0,1]
	v_pk_fma_f32 v[130:131], v[134:135], v[130:131], v[136:137] neg_lo:[0,0,1] neg_hi:[0,0,1]
	v_mov_b32_e32 v131, v139
	s_cbranch_execz .LBB62_1014
	s_branch .LBB62_1015
.LBB62_1013:
                                        ; implicit-def: $vgpr130_vgpr131
.LBB62_1014:
	ds_load_b64 v[130:131], v1
.LBB62_1015:
	s_mov_b32 s2, exec_lo
	v_cmpx_ne_u32_e32 39, v0
	s_cbranch_execz .LBB62_1019
; %bb.1016:
	v_add_nc_u32_e32 v133, 0x208, v54
	v_add3_u32 v134, 0, v54, 8
	v_mov_b32_e32 v135, v0
	s_mov_b32 s3, 0
.LBB62_1017:                            ; =>This Inner Loop Header: Depth=1
	scratch_load_b64 v[136:137], v134, off
	ds_load_b64 v[138:139], v133
	s_wait_xcnt 0x0
	v_dual_add_nc_u32 v133, 8, v133 :: v_dual_add_nc_u32 v134, 8, v134
	s_wait_loadcnt_dscnt 0x0
	v_pk_mul_f32 v[140:141], v[138:139], v[136:137] op_sel:[1,1] op_sel_hi:[0,1]
	s_delay_alu instid0(VALU_DEP_1) | instskip(SKIP_2) | instid1(VALU_DEP_3)
	v_pk_fma_f32 v[142:143], v[138:139], v[136:137], v[140:141] op_sel_hi:[1,0,1]
	v_add_nc_u32_e32 v135, 1, v135
	v_pk_fma_f32 v[136:137], v[138:139], v[136:137], v[140:141] neg_lo:[0,0,1] neg_hi:[0,0,1]
	v_mov_b32_e32 v137, v143
	s_delay_alu instid0(VALU_DEP_3) | instskip(NEXT) | instid1(VALU_DEP_2)
	v_cmp_lt_u32_e32 vcc_lo, 38, v135
	v_pk_add_f32 v[130:131], v[130:131], v[136:137]
	s_or_b32 s3, vcc_lo, s3
	s_delay_alu instid0(SALU_CYCLE_1)
	s_and_not1_b32 exec_lo, exec_lo, s3
	s_cbranch_execnz .LBB62_1017
; %bb.1018:
	s_or_b32 exec_lo, exec_lo, s3
.LBB62_1019:
	s_delay_alu instid0(SALU_CYCLE_1) | instskip(SKIP_4) | instid1(VALU_DEP_1)
	s_or_b32 exec_lo, exec_lo, s2
	v_mov_b32_e32 v133, 0
	ds_load_b64 v[134:135], v133 offset:320
	s_wait_dscnt 0x0
	v_pk_mul_f32 v[136:137], v[130:131], v[134:135] op_sel:[1,1] op_sel_hi:[0,1]
	v_pk_fma_f32 v[138:139], v[130:131], v[134:135], v[136:137] op_sel_hi:[1,0,1]
	v_pk_fma_f32 v[130:131], v[130:131], v[134:135], v[136:137] neg_lo:[0,0,1] neg_hi:[0,0,1]
	s_delay_alu instid0(VALU_DEP_2)
	v_mov_b32_e32 v131, v139
	scratch_store_b64 off, v[130:131], off offset:320
.LBB62_1020:
	s_wait_xcnt 0x0
	s_or_b32 exec_lo, exec_lo, s0
	scratch_load_b64 v[130:131], off, off offset:328
	s_mov_b32 s0, exec_lo
	s_wait_loadcnt 0x0
	ds_store_b64 v1, v[130:131]
	s_wait_storecnt_dscnt 0x0
	s_barrier_signal -1
	s_barrier_wait -1
	s_wait_xcnt 0x0
	v_cmpx_gt_u32_e32 41, v0
	s_cbranch_execz .LBB62_1030
; %bb.1021:
	v_cmp_ne_u32_e32 vcc_lo, 1, v132
	s_cbranch_vccnz .LBB62_1023
; %bb.1022:
	scratch_load_b64 v[130:131], v55, off
	ds_load_b64 v[134:135], v1
	s_wait_loadcnt_dscnt 0x0
	v_pk_mul_f32 v[136:137], v[134:135], v[130:131] op_sel:[1,1] op_sel_hi:[0,1]
	s_delay_alu instid0(VALU_DEP_1) | instskip(SKIP_1) | instid1(VALU_DEP_2)
	v_pk_fma_f32 v[138:139], v[134:135], v[130:131], v[136:137] op_sel_hi:[1,0,1]
	v_pk_fma_f32 v[130:131], v[134:135], v[130:131], v[136:137] neg_lo:[0,0,1] neg_hi:[0,0,1]
	v_mov_b32_e32 v131, v139
	s_cbranch_execz .LBB62_1024
	s_branch .LBB62_1025
.LBB62_1023:
                                        ; implicit-def: $vgpr130_vgpr131
.LBB62_1024:
	ds_load_b64 v[130:131], v1
.LBB62_1025:
	s_mov_b32 s2, exec_lo
	v_cmpx_ne_u32_e32 40, v0
	s_cbranch_execz .LBB62_1029
; %bb.1026:
	v_add_nc_u32_e32 v133, 0x208, v54
	v_add3_u32 v134, 0, v54, 8
	v_mov_b32_e32 v135, v0
	s_mov_b32 s3, 0
.LBB62_1027:                            ; =>This Inner Loop Header: Depth=1
	scratch_load_b64 v[136:137], v134, off
	ds_load_b64 v[138:139], v133
	s_wait_xcnt 0x0
	v_dual_add_nc_u32 v133, 8, v133 :: v_dual_add_nc_u32 v134, 8, v134
	s_wait_loadcnt_dscnt 0x0
	v_pk_mul_f32 v[140:141], v[138:139], v[136:137] op_sel:[1,1] op_sel_hi:[0,1]
	s_delay_alu instid0(VALU_DEP_1) | instskip(SKIP_2) | instid1(VALU_DEP_3)
	v_pk_fma_f32 v[142:143], v[138:139], v[136:137], v[140:141] op_sel_hi:[1,0,1]
	v_add_nc_u32_e32 v135, 1, v135
	v_pk_fma_f32 v[136:137], v[138:139], v[136:137], v[140:141] neg_lo:[0,0,1] neg_hi:[0,0,1]
	v_mov_b32_e32 v137, v143
	s_delay_alu instid0(VALU_DEP_3) | instskip(NEXT) | instid1(VALU_DEP_2)
	v_cmp_lt_u32_e32 vcc_lo, 39, v135
	v_pk_add_f32 v[130:131], v[130:131], v[136:137]
	s_or_b32 s3, vcc_lo, s3
	s_delay_alu instid0(SALU_CYCLE_1)
	s_and_not1_b32 exec_lo, exec_lo, s3
	s_cbranch_execnz .LBB62_1027
; %bb.1028:
	s_or_b32 exec_lo, exec_lo, s3
.LBB62_1029:
	s_delay_alu instid0(SALU_CYCLE_1) | instskip(SKIP_4) | instid1(VALU_DEP_1)
	s_or_b32 exec_lo, exec_lo, s2
	v_mov_b32_e32 v133, 0
	ds_load_b64 v[134:135], v133 offset:328
	s_wait_dscnt 0x0
	v_pk_mul_f32 v[136:137], v[130:131], v[134:135] op_sel:[1,1] op_sel_hi:[0,1]
	v_pk_fma_f32 v[138:139], v[130:131], v[134:135], v[136:137] op_sel_hi:[1,0,1]
	v_pk_fma_f32 v[130:131], v[130:131], v[134:135], v[136:137] neg_lo:[0,0,1] neg_hi:[0,0,1]
	s_delay_alu instid0(VALU_DEP_2)
	v_mov_b32_e32 v131, v139
	scratch_store_b64 off, v[130:131], off offset:328
.LBB62_1030:
	s_wait_xcnt 0x0
	s_or_b32 exec_lo, exec_lo, s0
	scratch_load_b64 v[130:131], off, off offset:336
	s_mov_b32 s0, exec_lo
	s_wait_loadcnt 0x0
	ds_store_b64 v1, v[130:131]
	s_wait_storecnt_dscnt 0x0
	s_barrier_signal -1
	s_barrier_wait -1
	s_wait_xcnt 0x0
	v_cmpx_gt_u32_e32 42, v0
	s_cbranch_execz .LBB62_1040
; %bb.1031:
	v_cmp_ne_u32_e32 vcc_lo, 1, v132
	s_cbranch_vccnz .LBB62_1033
; %bb.1032:
	scratch_load_b64 v[130:131], v55, off
	ds_load_b64 v[134:135], v1
	s_wait_loadcnt_dscnt 0x0
	v_pk_mul_f32 v[136:137], v[134:135], v[130:131] op_sel:[1,1] op_sel_hi:[0,1]
	s_delay_alu instid0(VALU_DEP_1) | instskip(SKIP_1) | instid1(VALU_DEP_2)
	v_pk_fma_f32 v[138:139], v[134:135], v[130:131], v[136:137] op_sel_hi:[1,0,1]
	v_pk_fma_f32 v[130:131], v[134:135], v[130:131], v[136:137] neg_lo:[0,0,1] neg_hi:[0,0,1]
	v_mov_b32_e32 v131, v139
	s_cbranch_execz .LBB62_1034
	s_branch .LBB62_1035
.LBB62_1033:
                                        ; implicit-def: $vgpr130_vgpr131
.LBB62_1034:
	ds_load_b64 v[130:131], v1
.LBB62_1035:
	s_mov_b32 s2, exec_lo
	v_cmpx_ne_u32_e32 41, v0
	s_cbranch_execz .LBB62_1039
; %bb.1036:
	v_add_nc_u32_e32 v133, 0x208, v54
	v_add3_u32 v134, 0, v54, 8
	v_mov_b32_e32 v135, v0
	s_mov_b32 s3, 0
.LBB62_1037:                            ; =>This Inner Loop Header: Depth=1
	scratch_load_b64 v[136:137], v134, off
	ds_load_b64 v[138:139], v133
	s_wait_xcnt 0x0
	v_dual_add_nc_u32 v133, 8, v133 :: v_dual_add_nc_u32 v134, 8, v134
	s_wait_loadcnt_dscnt 0x0
	v_pk_mul_f32 v[140:141], v[138:139], v[136:137] op_sel:[1,1] op_sel_hi:[0,1]
	s_delay_alu instid0(VALU_DEP_1) | instskip(SKIP_2) | instid1(VALU_DEP_3)
	v_pk_fma_f32 v[142:143], v[138:139], v[136:137], v[140:141] op_sel_hi:[1,0,1]
	v_add_nc_u32_e32 v135, 1, v135
	v_pk_fma_f32 v[136:137], v[138:139], v[136:137], v[140:141] neg_lo:[0,0,1] neg_hi:[0,0,1]
	v_mov_b32_e32 v137, v143
	s_delay_alu instid0(VALU_DEP_3) | instskip(NEXT) | instid1(VALU_DEP_2)
	v_cmp_lt_u32_e32 vcc_lo, 40, v135
	v_pk_add_f32 v[130:131], v[130:131], v[136:137]
	s_or_b32 s3, vcc_lo, s3
	s_delay_alu instid0(SALU_CYCLE_1)
	s_and_not1_b32 exec_lo, exec_lo, s3
	s_cbranch_execnz .LBB62_1037
; %bb.1038:
	s_or_b32 exec_lo, exec_lo, s3
.LBB62_1039:
	s_delay_alu instid0(SALU_CYCLE_1) | instskip(SKIP_4) | instid1(VALU_DEP_1)
	s_or_b32 exec_lo, exec_lo, s2
	v_mov_b32_e32 v133, 0
	ds_load_b64 v[134:135], v133 offset:336
	s_wait_dscnt 0x0
	v_pk_mul_f32 v[136:137], v[130:131], v[134:135] op_sel:[1,1] op_sel_hi:[0,1]
	v_pk_fma_f32 v[138:139], v[130:131], v[134:135], v[136:137] op_sel_hi:[1,0,1]
	v_pk_fma_f32 v[130:131], v[130:131], v[134:135], v[136:137] neg_lo:[0,0,1] neg_hi:[0,0,1]
	s_delay_alu instid0(VALU_DEP_2)
	v_mov_b32_e32 v131, v139
	scratch_store_b64 off, v[130:131], off offset:336
.LBB62_1040:
	s_wait_xcnt 0x0
	s_or_b32 exec_lo, exec_lo, s0
	scratch_load_b64 v[130:131], off, off offset:344
	s_mov_b32 s0, exec_lo
	s_wait_loadcnt 0x0
	ds_store_b64 v1, v[130:131]
	s_wait_storecnt_dscnt 0x0
	s_barrier_signal -1
	s_barrier_wait -1
	s_wait_xcnt 0x0
	v_cmpx_gt_u32_e32 43, v0
	s_cbranch_execz .LBB62_1050
; %bb.1041:
	v_cmp_ne_u32_e32 vcc_lo, 1, v132
	s_cbranch_vccnz .LBB62_1043
; %bb.1042:
	scratch_load_b64 v[130:131], v55, off
	ds_load_b64 v[134:135], v1
	s_wait_loadcnt_dscnt 0x0
	v_pk_mul_f32 v[136:137], v[134:135], v[130:131] op_sel:[1,1] op_sel_hi:[0,1]
	s_delay_alu instid0(VALU_DEP_1) | instskip(SKIP_1) | instid1(VALU_DEP_2)
	v_pk_fma_f32 v[138:139], v[134:135], v[130:131], v[136:137] op_sel_hi:[1,0,1]
	v_pk_fma_f32 v[130:131], v[134:135], v[130:131], v[136:137] neg_lo:[0,0,1] neg_hi:[0,0,1]
	v_mov_b32_e32 v131, v139
	s_cbranch_execz .LBB62_1044
	s_branch .LBB62_1045
.LBB62_1043:
                                        ; implicit-def: $vgpr130_vgpr131
.LBB62_1044:
	ds_load_b64 v[130:131], v1
.LBB62_1045:
	s_mov_b32 s2, exec_lo
	v_cmpx_ne_u32_e32 42, v0
	s_cbranch_execz .LBB62_1049
; %bb.1046:
	v_add_nc_u32_e32 v133, 0x208, v54
	v_add3_u32 v134, 0, v54, 8
	v_mov_b32_e32 v135, v0
	s_mov_b32 s3, 0
.LBB62_1047:                            ; =>This Inner Loop Header: Depth=1
	scratch_load_b64 v[136:137], v134, off
	ds_load_b64 v[138:139], v133
	s_wait_xcnt 0x0
	v_dual_add_nc_u32 v133, 8, v133 :: v_dual_add_nc_u32 v134, 8, v134
	s_wait_loadcnt_dscnt 0x0
	v_pk_mul_f32 v[140:141], v[138:139], v[136:137] op_sel:[1,1] op_sel_hi:[0,1]
	s_delay_alu instid0(VALU_DEP_1) | instskip(SKIP_2) | instid1(VALU_DEP_3)
	v_pk_fma_f32 v[142:143], v[138:139], v[136:137], v[140:141] op_sel_hi:[1,0,1]
	v_add_nc_u32_e32 v135, 1, v135
	v_pk_fma_f32 v[136:137], v[138:139], v[136:137], v[140:141] neg_lo:[0,0,1] neg_hi:[0,0,1]
	v_mov_b32_e32 v137, v143
	s_delay_alu instid0(VALU_DEP_3) | instskip(NEXT) | instid1(VALU_DEP_2)
	v_cmp_lt_u32_e32 vcc_lo, 41, v135
	v_pk_add_f32 v[130:131], v[130:131], v[136:137]
	s_or_b32 s3, vcc_lo, s3
	s_delay_alu instid0(SALU_CYCLE_1)
	s_and_not1_b32 exec_lo, exec_lo, s3
	s_cbranch_execnz .LBB62_1047
; %bb.1048:
	s_or_b32 exec_lo, exec_lo, s3
.LBB62_1049:
	s_delay_alu instid0(SALU_CYCLE_1) | instskip(SKIP_4) | instid1(VALU_DEP_1)
	s_or_b32 exec_lo, exec_lo, s2
	v_mov_b32_e32 v133, 0
	ds_load_b64 v[134:135], v133 offset:344
	s_wait_dscnt 0x0
	v_pk_mul_f32 v[136:137], v[130:131], v[134:135] op_sel:[1,1] op_sel_hi:[0,1]
	v_pk_fma_f32 v[138:139], v[130:131], v[134:135], v[136:137] op_sel_hi:[1,0,1]
	v_pk_fma_f32 v[130:131], v[130:131], v[134:135], v[136:137] neg_lo:[0,0,1] neg_hi:[0,0,1]
	s_delay_alu instid0(VALU_DEP_2)
	v_mov_b32_e32 v131, v139
	scratch_store_b64 off, v[130:131], off offset:344
.LBB62_1050:
	s_wait_xcnt 0x0
	s_or_b32 exec_lo, exec_lo, s0
	scratch_load_b64 v[130:131], off, off offset:352
	s_mov_b32 s0, exec_lo
	s_wait_loadcnt 0x0
	ds_store_b64 v1, v[130:131]
	s_wait_storecnt_dscnt 0x0
	s_barrier_signal -1
	s_barrier_wait -1
	s_wait_xcnt 0x0
	v_cmpx_gt_u32_e32 44, v0
	s_cbranch_execz .LBB62_1060
; %bb.1051:
	v_cmp_ne_u32_e32 vcc_lo, 1, v132
	s_cbranch_vccnz .LBB62_1053
; %bb.1052:
	scratch_load_b64 v[130:131], v55, off
	ds_load_b64 v[134:135], v1
	s_wait_loadcnt_dscnt 0x0
	v_pk_mul_f32 v[136:137], v[134:135], v[130:131] op_sel:[1,1] op_sel_hi:[0,1]
	s_delay_alu instid0(VALU_DEP_1) | instskip(SKIP_1) | instid1(VALU_DEP_2)
	v_pk_fma_f32 v[138:139], v[134:135], v[130:131], v[136:137] op_sel_hi:[1,0,1]
	v_pk_fma_f32 v[130:131], v[134:135], v[130:131], v[136:137] neg_lo:[0,0,1] neg_hi:[0,0,1]
	v_mov_b32_e32 v131, v139
	s_cbranch_execz .LBB62_1054
	s_branch .LBB62_1055
.LBB62_1053:
                                        ; implicit-def: $vgpr130_vgpr131
.LBB62_1054:
	ds_load_b64 v[130:131], v1
.LBB62_1055:
	s_mov_b32 s2, exec_lo
	v_cmpx_ne_u32_e32 43, v0
	s_cbranch_execz .LBB62_1059
; %bb.1056:
	v_add_nc_u32_e32 v133, 0x208, v54
	v_add3_u32 v134, 0, v54, 8
	v_mov_b32_e32 v135, v0
	s_mov_b32 s3, 0
.LBB62_1057:                            ; =>This Inner Loop Header: Depth=1
	scratch_load_b64 v[136:137], v134, off
	ds_load_b64 v[138:139], v133
	s_wait_xcnt 0x0
	v_dual_add_nc_u32 v133, 8, v133 :: v_dual_add_nc_u32 v134, 8, v134
	s_wait_loadcnt_dscnt 0x0
	v_pk_mul_f32 v[140:141], v[138:139], v[136:137] op_sel:[1,1] op_sel_hi:[0,1]
	s_delay_alu instid0(VALU_DEP_1) | instskip(SKIP_2) | instid1(VALU_DEP_3)
	v_pk_fma_f32 v[142:143], v[138:139], v[136:137], v[140:141] op_sel_hi:[1,0,1]
	v_add_nc_u32_e32 v135, 1, v135
	v_pk_fma_f32 v[136:137], v[138:139], v[136:137], v[140:141] neg_lo:[0,0,1] neg_hi:[0,0,1]
	v_mov_b32_e32 v137, v143
	s_delay_alu instid0(VALU_DEP_3) | instskip(NEXT) | instid1(VALU_DEP_2)
	v_cmp_lt_u32_e32 vcc_lo, 42, v135
	v_pk_add_f32 v[130:131], v[130:131], v[136:137]
	s_or_b32 s3, vcc_lo, s3
	s_delay_alu instid0(SALU_CYCLE_1)
	s_and_not1_b32 exec_lo, exec_lo, s3
	s_cbranch_execnz .LBB62_1057
; %bb.1058:
	s_or_b32 exec_lo, exec_lo, s3
.LBB62_1059:
	s_delay_alu instid0(SALU_CYCLE_1) | instskip(SKIP_4) | instid1(VALU_DEP_1)
	s_or_b32 exec_lo, exec_lo, s2
	v_mov_b32_e32 v133, 0
	ds_load_b64 v[134:135], v133 offset:352
	s_wait_dscnt 0x0
	v_pk_mul_f32 v[136:137], v[130:131], v[134:135] op_sel:[1,1] op_sel_hi:[0,1]
	v_pk_fma_f32 v[138:139], v[130:131], v[134:135], v[136:137] op_sel_hi:[1,0,1]
	v_pk_fma_f32 v[130:131], v[130:131], v[134:135], v[136:137] neg_lo:[0,0,1] neg_hi:[0,0,1]
	s_delay_alu instid0(VALU_DEP_2)
	v_mov_b32_e32 v131, v139
	scratch_store_b64 off, v[130:131], off offset:352
.LBB62_1060:
	s_wait_xcnt 0x0
	s_or_b32 exec_lo, exec_lo, s0
	scratch_load_b64 v[130:131], off, off offset:360
	s_mov_b32 s0, exec_lo
	s_wait_loadcnt 0x0
	ds_store_b64 v1, v[130:131]
	s_wait_storecnt_dscnt 0x0
	s_barrier_signal -1
	s_barrier_wait -1
	s_wait_xcnt 0x0
	v_cmpx_gt_u32_e32 45, v0
	s_cbranch_execz .LBB62_1070
; %bb.1061:
	v_cmp_ne_u32_e32 vcc_lo, 1, v132
	s_cbranch_vccnz .LBB62_1063
; %bb.1062:
	scratch_load_b64 v[130:131], v55, off
	ds_load_b64 v[134:135], v1
	s_wait_loadcnt_dscnt 0x0
	v_pk_mul_f32 v[136:137], v[134:135], v[130:131] op_sel:[1,1] op_sel_hi:[0,1]
	s_delay_alu instid0(VALU_DEP_1) | instskip(SKIP_1) | instid1(VALU_DEP_2)
	v_pk_fma_f32 v[138:139], v[134:135], v[130:131], v[136:137] op_sel_hi:[1,0,1]
	v_pk_fma_f32 v[130:131], v[134:135], v[130:131], v[136:137] neg_lo:[0,0,1] neg_hi:[0,0,1]
	v_mov_b32_e32 v131, v139
	s_cbranch_execz .LBB62_1064
	s_branch .LBB62_1065
.LBB62_1063:
                                        ; implicit-def: $vgpr130_vgpr131
.LBB62_1064:
	ds_load_b64 v[130:131], v1
.LBB62_1065:
	s_mov_b32 s2, exec_lo
	v_cmpx_ne_u32_e32 44, v0
	s_cbranch_execz .LBB62_1069
; %bb.1066:
	v_add_nc_u32_e32 v133, 0x208, v54
	v_add3_u32 v134, 0, v54, 8
	v_mov_b32_e32 v135, v0
	s_mov_b32 s3, 0
.LBB62_1067:                            ; =>This Inner Loop Header: Depth=1
	scratch_load_b64 v[136:137], v134, off
	ds_load_b64 v[138:139], v133
	s_wait_xcnt 0x0
	v_dual_add_nc_u32 v133, 8, v133 :: v_dual_add_nc_u32 v134, 8, v134
	s_wait_loadcnt_dscnt 0x0
	v_pk_mul_f32 v[140:141], v[138:139], v[136:137] op_sel:[1,1] op_sel_hi:[0,1]
	s_delay_alu instid0(VALU_DEP_1) | instskip(SKIP_2) | instid1(VALU_DEP_3)
	v_pk_fma_f32 v[142:143], v[138:139], v[136:137], v[140:141] op_sel_hi:[1,0,1]
	v_add_nc_u32_e32 v135, 1, v135
	v_pk_fma_f32 v[136:137], v[138:139], v[136:137], v[140:141] neg_lo:[0,0,1] neg_hi:[0,0,1]
	v_mov_b32_e32 v137, v143
	s_delay_alu instid0(VALU_DEP_3) | instskip(NEXT) | instid1(VALU_DEP_2)
	v_cmp_lt_u32_e32 vcc_lo, 43, v135
	v_pk_add_f32 v[130:131], v[130:131], v[136:137]
	s_or_b32 s3, vcc_lo, s3
	s_delay_alu instid0(SALU_CYCLE_1)
	s_and_not1_b32 exec_lo, exec_lo, s3
	s_cbranch_execnz .LBB62_1067
; %bb.1068:
	s_or_b32 exec_lo, exec_lo, s3
.LBB62_1069:
	s_delay_alu instid0(SALU_CYCLE_1) | instskip(SKIP_4) | instid1(VALU_DEP_1)
	s_or_b32 exec_lo, exec_lo, s2
	v_mov_b32_e32 v133, 0
	ds_load_b64 v[134:135], v133 offset:360
	s_wait_dscnt 0x0
	v_pk_mul_f32 v[136:137], v[130:131], v[134:135] op_sel:[1,1] op_sel_hi:[0,1]
	v_pk_fma_f32 v[138:139], v[130:131], v[134:135], v[136:137] op_sel_hi:[1,0,1]
	v_pk_fma_f32 v[130:131], v[130:131], v[134:135], v[136:137] neg_lo:[0,0,1] neg_hi:[0,0,1]
	s_delay_alu instid0(VALU_DEP_2)
	v_mov_b32_e32 v131, v139
	scratch_store_b64 off, v[130:131], off offset:360
.LBB62_1070:
	s_wait_xcnt 0x0
	s_or_b32 exec_lo, exec_lo, s0
	scratch_load_b64 v[130:131], off, off offset:368
	s_mov_b32 s0, exec_lo
	s_wait_loadcnt 0x0
	ds_store_b64 v1, v[130:131]
	s_wait_storecnt_dscnt 0x0
	s_barrier_signal -1
	s_barrier_wait -1
	s_wait_xcnt 0x0
	v_cmpx_gt_u32_e32 46, v0
	s_cbranch_execz .LBB62_1080
; %bb.1071:
	v_cmp_ne_u32_e32 vcc_lo, 1, v132
	s_cbranch_vccnz .LBB62_1073
; %bb.1072:
	scratch_load_b64 v[130:131], v55, off
	ds_load_b64 v[134:135], v1
	s_wait_loadcnt_dscnt 0x0
	v_pk_mul_f32 v[136:137], v[134:135], v[130:131] op_sel:[1,1] op_sel_hi:[0,1]
	s_delay_alu instid0(VALU_DEP_1) | instskip(SKIP_1) | instid1(VALU_DEP_2)
	v_pk_fma_f32 v[138:139], v[134:135], v[130:131], v[136:137] op_sel_hi:[1,0,1]
	v_pk_fma_f32 v[130:131], v[134:135], v[130:131], v[136:137] neg_lo:[0,0,1] neg_hi:[0,0,1]
	v_mov_b32_e32 v131, v139
	s_cbranch_execz .LBB62_1074
	s_branch .LBB62_1075
.LBB62_1073:
                                        ; implicit-def: $vgpr130_vgpr131
.LBB62_1074:
	ds_load_b64 v[130:131], v1
.LBB62_1075:
	s_mov_b32 s2, exec_lo
	v_cmpx_ne_u32_e32 45, v0
	s_cbranch_execz .LBB62_1079
; %bb.1076:
	v_add_nc_u32_e32 v133, 0x208, v54
	v_add3_u32 v134, 0, v54, 8
	v_mov_b32_e32 v135, v0
	s_mov_b32 s3, 0
.LBB62_1077:                            ; =>This Inner Loop Header: Depth=1
	scratch_load_b64 v[136:137], v134, off
	ds_load_b64 v[138:139], v133
	s_wait_xcnt 0x0
	v_dual_add_nc_u32 v133, 8, v133 :: v_dual_add_nc_u32 v134, 8, v134
	s_wait_loadcnt_dscnt 0x0
	v_pk_mul_f32 v[140:141], v[138:139], v[136:137] op_sel:[1,1] op_sel_hi:[0,1]
	s_delay_alu instid0(VALU_DEP_1) | instskip(SKIP_2) | instid1(VALU_DEP_3)
	v_pk_fma_f32 v[142:143], v[138:139], v[136:137], v[140:141] op_sel_hi:[1,0,1]
	v_add_nc_u32_e32 v135, 1, v135
	v_pk_fma_f32 v[136:137], v[138:139], v[136:137], v[140:141] neg_lo:[0,0,1] neg_hi:[0,0,1]
	v_mov_b32_e32 v137, v143
	s_delay_alu instid0(VALU_DEP_3) | instskip(NEXT) | instid1(VALU_DEP_2)
	v_cmp_lt_u32_e32 vcc_lo, 44, v135
	v_pk_add_f32 v[130:131], v[130:131], v[136:137]
	s_or_b32 s3, vcc_lo, s3
	s_delay_alu instid0(SALU_CYCLE_1)
	s_and_not1_b32 exec_lo, exec_lo, s3
	s_cbranch_execnz .LBB62_1077
; %bb.1078:
	s_or_b32 exec_lo, exec_lo, s3
.LBB62_1079:
	s_delay_alu instid0(SALU_CYCLE_1) | instskip(SKIP_4) | instid1(VALU_DEP_1)
	s_or_b32 exec_lo, exec_lo, s2
	v_mov_b32_e32 v133, 0
	ds_load_b64 v[134:135], v133 offset:368
	s_wait_dscnt 0x0
	v_pk_mul_f32 v[136:137], v[130:131], v[134:135] op_sel:[1,1] op_sel_hi:[0,1]
	v_pk_fma_f32 v[138:139], v[130:131], v[134:135], v[136:137] op_sel_hi:[1,0,1]
	v_pk_fma_f32 v[130:131], v[130:131], v[134:135], v[136:137] neg_lo:[0,0,1] neg_hi:[0,0,1]
	s_delay_alu instid0(VALU_DEP_2)
	v_mov_b32_e32 v131, v139
	scratch_store_b64 off, v[130:131], off offset:368
.LBB62_1080:
	s_wait_xcnt 0x0
	s_or_b32 exec_lo, exec_lo, s0
	scratch_load_b64 v[130:131], off, off offset:376
	s_mov_b32 s0, exec_lo
	s_wait_loadcnt 0x0
	ds_store_b64 v1, v[130:131]
	s_wait_storecnt_dscnt 0x0
	s_barrier_signal -1
	s_barrier_wait -1
	s_wait_xcnt 0x0
	v_cmpx_gt_u32_e32 47, v0
	s_cbranch_execz .LBB62_1090
; %bb.1081:
	v_cmp_ne_u32_e32 vcc_lo, 1, v132
	s_cbranch_vccnz .LBB62_1083
; %bb.1082:
	scratch_load_b64 v[130:131], v55, off
	ds_load_b64 v[134:135], v1
	s_wait_loadcnt_dscnt 0x0
	v_pk_mul_f32 v[136:137], v[134:135], v[130:131] op_sel:[1,1] op_sel_hi:[0,1]
	s_delay_alu instid0(VALU_DEP_1) | instskip(SKIP_1) | instid1(VALU_DEP_2)
	v_pk_fma_f32 v[138:139], v[134:135], v[130:131], v[136:137] op_sel_hi:[1,0,1]
	v_pk_fma_f32 v[130:131], v[134:135], v[130:131], v[136:137] neg_lo:[0,0,1] neg_hi:[0,0,1]
	v_mov_b32_e32 v131, v139
	s_cbranch_execz .LBB62_1084
	s_branch .LBB62_1085
.LBB62_1083:
                                        ; implicit-def: $vgpr130_vgpr131
.LBB62_1084:
	ds_load_b64 v[130:131], v1
.LBB62_1085:
	s_mov_b32 s2, exec_lo
	v_cmpx_ne_u32_e32 46, v0
	s_cbranch_execz .LBB62_1089
; %bb.1086:
	v_add_nc_u32_e32 v133, 0x208, v54
	v_add3_u32 v134, 0, v54, 8
	v_mov_b32_e32 v135, v0
	s_mov_b32 s3, 0
.LBB62_1087:                            ; =>This Inner Loop Header: Depth=1
	scratch_load_b64 v[136:137], v134, off
	ds_load_b64 v[138:139], v133
	s_wait_xcnt 0x0
	v_dual_add_nc_u32 v133, 8, v133 :: v_dual_add_nc_u32 v134, 8, v134
	s_wait_loadcnt_dscnt 0x0
	v_pk_mul_f32 v[140:141], v[138:139], v[136:137] op_sel:[1,1] op_sel_hi:[0,1]
	s_delay_alu instid0(VALU_DEP_1) | instskip(SKIP_2) | instid1(VALU_DEP_3)
	v_pk_fma_f32 v[142:143], v[138:139], v[136:137], v[140:141] op_sel_hi:[1,0,1]
	v_add_nc_u32_e32 v135, 1, v135
	v_pk_fma_f32 v[136:137], v[138:139], v[136:137], v[140:141] neg_lo:[0,0,1] neg_hi:[0,0,1]
	v_mov_b32_e32 v137, v143
	s_delay_alu instid0(VALU_DEP_3) | instskip(NEXT) | instid1(VALU_DEP_2)
	v_cmp_lt_u32_e32 vcc_lo, 45, v135
	v_pk_add_f32 v[130:131], v[130:131], v[136:137]
	s_or_b32 s3, vcc_lo, s3
	s_delay_alu instid0(SALU_CYCLE_1)
	s_and_not1_b32 exec_lo, exec_lo, s3
	s_cbranch_execnz .LBB62_1087
; %bb.1088:
	s_or_b32 exec_lo, exec_lo, s3
.LBB62_1089:
	s_delay_alu instid0(SALU_CYCLE_1) | instskip(SKIP_4) | instid1(VALU_DEP_1)
	s_or_b32 exec_lo, exec_lo, s2
	v_mov_b32_e32 v133, 0
	ds_load_b64 v[134:135], v133 offset:376
	s_wait_dscnt 0x0
	v_pk_mul_f32 v[136:137], v[130:131], v[134:135] op_sel:[1,1] op_sel_hi:[0,1]
	v_pk_fma_f32 v[138:139], v[130:131], v[134:135], v[136:137] op_sel_hi:[1,0,1]
	v_pk_fma_f32 v[130:131], v[130:131], v[134:135], v[136:137] neg_lo:[0,0,1] neg_hi:[0,0,1]
	s_delay_alu instid0(VALU_DEP_2)
	v_mov_b32_e32 v131, v139
	scratch_store_b64 off, v[130:131], off offset:376
.LBB62_1090:
	s_wait_xcnt 0x0
	s_or_b32 exec_lo, exec_lo, s0
	scratch_load_b64 v[130:131], off, off offset:384
	s_mov_b32 s0, exec_lo
	s_wait_loadcnt 0x0
	ds_store_b64 v1, v[130:131]
	s_wait_storecnt_dscnt 0x0
	s_barrier_signal -1
	s_barrier_wait -1
	s_wait_xcnt 0x0
	v_cmpx_gt_u32_e32 48, v0
	s_cbranch_execz .LBB62_1100
; %bb.1091:
	v_cmp_ne_u32_e32 vcc_lo, 1, v132
	s_cbranch_vccnz .LBB62_1093
; %bb.1092:
	scratch_load_b64 v[130:131], v55, off
	ds_load_b64 v[134:135], v1
	s_wait_loadcnt_dscnt 0x0
	v_pk_mul_f32 v[136:137], v[134:135], v[130:131] op_sel:[1,1] op_sel_hi:[0,1]
	s_delay_alu instid0(VALU_DEP_1) | instskip(SKIP_1) | instid1(VALU_DEP_2)
	v_pk_fma_f32 v[138:139], v[134:135], v[130:131], v[136:137] op_sel_hi:[1,0,1]
	v_pk_fma_f32 v[130:131], v[134:135], v[130:131], v[136:137] neg_lo:[0,0,1] neg_hi:[0,0,1]
	v_mov_b32_e32 v131, v139
	s_cbranch_execz .LBB62_1094
	s_branch .LBB62_1095
.LBB62_1093:
                                        ; implicit-def: $vgpr130_vgpr131
.LBB62_1094:
	ds_load_b64 v[130:131], v1
.LBB62_1095:
	s_mov_b32 s2, exec_lo
	v_cmpx_ne_u32_e32 47, v0
	s_cbranch_execz .LBB62_1099
; %bb.1096:
	v_add_nc_u32_e32 v133, 0x208, v54
	v_add3_u32 v134, 0, v54, 8
	v_mov_b32_e32 v135, v0
	s_mov_b32 s3, 0
.LBB62_1097:                            ; =>This Inner Loop Header: Depth=1
	scratch_load_b64 v[136:137], v134, off
	ds_load_b64 v[138:139], v133
	s_wait_xcnt 0x0
	v_dual_add_nc_u32 v133, 8, v133 :: v_dual_add_nc_u32 v134, 8, v134
	s_wait_loadcnt_dscnt 0x0
	v_pk_mul_f32 v[140:141], v[138:139], v[136:137] op_sel:[1,1] op_sel_hi:[0,1]
	s_delay_alu instid0(VALU_DEP_1) | instskip(SKIP_2) | instid1(VALU_DEP_3)
	v_pk_fma_f32 v[142:143], v[138:139], v[136:137], v[140:141] op_sel_hi:[1,0,1]
	v_add_nc_u32_e32 v135, 1, v135
	v_pk_fma_f32 v[136:137], v[138:139], v[136:137], v[140:141] neg_lo:[0,0,1] neg_hi:[0,0,1]
	v_mov_b32_e32 v137, v143
	s_delay_alu instid0(VALU_DEP_3) | instskip(NEXT) | instid1(VALU_DEP_2)
	v_cmp_lt_u32_e32 vcc_lo, 46, v135
	v_pk_add_f32 v[130:131], v[130:131], v[136:137]
	s_or_b32 s3, vcc_lo, s3
	s_delay_alu instid0(SALU_CYCLE_1)
	s_and_not1_b32 exec_lo, exec_lo, s3
	s_cbranch_execnz .LBB62_1097
; %bb.1098:
	s_or_b32 exec_lo, exec_lo, s3
.LBB62_1099:
	s_delay_alu instid0(SALU_CYCLE_1) | instskip(SKIP_4) | instid1(VALU_DEP_1)
	s_or_b32 exec_lo, exec_lo, s2
	v_mov_b32_e32 v133, 0
	ds_load_b64 v[134:135], v133 offset:384
	s_wait_dscnt 0x0
	v_pk_mul_f32 v[136:137], v[130:131], v[134:135] op_sel:[1,1] op_sel_hi:[0,1]
	v_pk_fma_f32 v[138:139], v[130:131], v[134:135], v[136:137] op_sel_hi:[1,0,1]
	v_pk_fma_f32 v[130:131], v[130:131], v[134:135], v[136:137] neg_lo:[0,0,1] neg_hi:[0,0,1]
	s_delay_alu instid0(VALU_DEP_2)
	v_mov_b32_e32 v131, v139
	scratch_store_b64 off, v[130:131], off offset:384
.LBB62_1100:
	s_wait_xcnt 0x0
	s_or_b32 exec_lo, exec_lo, s0
	scratch_load_b64 v[130:131], off, off offset:392
	s_mov_b32 s0, exec_lo
	s_wait_loadcnt 0x0
	ds_store_b64 v1, v[130:131]
	s_wait_storecnt_dscnt 0x0
	s_barrier_signal -1
	s_barrier_wait -1
	s_wait_xcnt 0x0
	v_cmpx_gt_u32_e32 49, v0
	s_cbranch_execz .LBB62_1110
; %bb.1101:
	v_cmp_ne_u32_e32 vcc_lo, 1, v132
	s_cbranch_vccnz .LBB62_1103
; %bb.1102:
	scratch_load_b64 v[130:131], v55, off
	ds_load_b64 v[134:135], v1
	s_wait_loadcnt_dscnt 0x0
	v_pk_mul_f32 v[136:137], v[134:135], v[130:131] op_sel:[1,1] op_sel_hi:[0,1]
	s_delay_alu instid0(VALU_DEP_1) | instskip(SKIP_1) | instid1(VALU_DEP_2)
	v_pk_fma_f32 v[138:139], v[134:135], v[130:131], v[136:137] op_sel_hi:[1,0,1]
	v_pk_fma_f32 v[130:131], v[134:135], v[130:131], v[136:137] neg_lo:[0,0,1] neg_hi:[0,0,1]
	v_mov_b32_e32 v131, v139
	s_cbranch_execz .LBB62_1104
	s_branch .LBB62_1105
.LBB62_1103:
                                        ; implicit-def: $vgpr130_vgpr131
.LBB62_1104:
	ds_load_b64 v[130:131], v1
.LBB62_1105:
	s_mov_b32 s2, exec_lo
	v_cmpx_ne_u32_e32 48, v0
	s_cbranch_execz .LBB62_1109
; %bb.1106:
	v_add_nc_u32_e32 v133, 0x208, v54
	v_add3_u32 v134, 0, v54, 8
	v_mov_b32_e32 v135, v0
	s_mov_b32 s3, 0
.LBB62_1107:                            ; =>This Inner Loop Header: Depth=1
	scratch_load_b64 v[136:137], v134, off
	ds_load_b64 v[138:139], v133
	s_wait_xcnt 0x0
	v_dual_add_nc_u32 v133, 8, v133 :: v_dual_add_nc_u32 v134, 8, v134
	s_wait_loadcnt_dscnt 0x0
	v_pk_mul_f32 v[140:141], v[138:139], v[136:137] op_sel:[1,1] op_sel_hi:[0,1]
	s_delay_alu instid0(VALU_DEP_1) | instskip(SKIP_2) | instid1(VALU_DEP_3)
	v_pk_fma_f32 v[142:143], v[138:139], v[136:137], v[140:141] op_sel_hi:[1,0,1]
	v_add_nc_u32_e32 v135, 1, v135
	v_pk_fma_f32 v[136:137], v[138:139], v[136:137], v[140:141] neg_lo:[0,0,1] neg_hi:[0,0,1]
	v_mov_b32_e32 v137, v143
	s_delay_alu instid0(VALU_DEP_3) | instskip(NEXT) | instid1(VALU_DEP_2)
	v_cmp_lt_u32_e32 vcc_lo, 47, v135
	v_pk_add_f32 v[130:131], v[130:131], v[136:137]
	s_or_b32 s3, vcc_lo, s3
	s_delay_alu instid0(SALU_CYCLE_1)
	s_and_not1_b32 exec_lo, exec_lo, s3
	s_cbranch_execnz .LBB62_1107
; %bb.1108:
	s_or_b32 exec_lo, exec_lo, s3
.LBB62_1109:
	s_delay_alu instid0(SALU_CYCLE_1) | instskip(SKIP_4) | instid1(VALU_DEP_1)
	s_or_b32 exec_lo, exec_lo, s2
	v_mov_b32_e32 v133, 0
	ds_load_b64 v[134:135], v133 offset:392
	s_wait_dscnt 0x0
	v_pk_mul_f32 v[136:137], v[130:131], v[134:135] op_sel:[1,1] op_sel_hi:[0,1]
	v_pk_fma_f32 v[138:139], v[130:131], v[134:135], v[136:137] op_sel_hi:[1,0,1]
	v_pk_fma_f32 v[130:131], v[130:131], v[134:135], v[136:137] neg_lo:[0,0,1] neg_hi:[0,0,1]
	s_delay_alu instid0(VALU_DEP_2)
	v_mov_b32_e32 v131, v139
	scratch_store_b64 off, v[130:131], off offset:392
.LBB62_1110:
	s_wait_xcnt 0x0
	s_or_b32 exec_lo, exec_lo, s0
	scratch_load_b64 v[130:131], off, off offset:400
	s_mov_b32 s0, exec_lo
	s_wait_loadcnt 0x0
	ds_store_b64 v1, v[130:131]
	s_wait_storecnt_dscnt 0x0
	s_barrier_signal -1
	s_barrier_wait -1
	s_wait_xcnt 0x0
	v_cmpx_gt_u32_e32 50, v0
	s_cbranch_execz .LBB62_1120
; %bb.1111:
	v_cmp_ne_u32_e32 vcc_lo, 1, v132
	s_cbranch_vccnz .LBB62_1113
; %bb.1112:
	scratch_load_b64 v[130:131], v55, off
	ds_load_b64 v[134:135], v1
	s_wait_loadcnt_dscnt 0x0
	v_pk_mul_f32 v[136:137], v[134:135], v[130:131] op_sel:[1,1] op_sel_hi:[0,1]
	s_delay_alu instid0(VALU_DEP_1) | instskip(SKIP_1) | instid1(VALU_DEP_2)
	v_pk_fma_f32 v[138:139], v[134:135], v[130:131], v[136:137] op_sel_hi:[1,0,1]
	v_pk_fma_f32 v[130:131], v[134:135], v[130:131], v[136:137] neg_lo:[0,0,1] neg_hi:[0,0,1]
	v_mov_b32_e32 v131, v139
	s_cbranch_execz .LBB62_1114
	s_branch .LBB62_1115
.LBB62_1113:
                                        ; implicit-def: $vgpr130_vgpr131
.LBB62_1114:
	ds_load_b64 v[130:131], v1
.LBB62_1115:
	s_mov_b32 s2, exec_lo
	v_cmpx_ne_u32_e32 49, v0
	s_cbranch_execz .LBB62_1119
; %bb.1116:
	v_add_nc_u32_e32 v133, 0x208, v54
	v_add3_u32 v134, 0, v54, 8
	v_mov_b32_e32 v135, v0
	s_mov_b32 s3, 0
.LBB62_1117:                            ; =>This Inner Loop Header: Depth=1
	scratch_load_b64 v[136:137], v134, off
	ds_load_b64 v[138:139], v133
	s_wait_xcnt 0x0
	v_dual_add_nc_u32 v133, 8, v133 :: v_dual_add_nc_u32 v134, 8, v134
	s_wait_loadcnt_dscnt 0x0
	v_pk_mul_f32 v[140:141], v[138:139], v[136:137] op_sel:[1,1] op_sel_hi:[0,1]
	s_delay_alu instid0(VALU_DEP_1) | instskip(SKIP_2) | instid1(VALU_DEP_3)
	v_pk_fma_f32 v[142:143], v[138:139], v[136:137], v[140:141] op_sel_hi:[1,0,1]
	v_add_nc_u32_e32 v135, 1, v135
	v_pk_fma_f32 v[136:137], v[138:139], v[136:137], v[140:141] neg_lo:[0,0,1] neg_hi:[0,0,1]
	v_mov_b32_e32 v137, v143
	s_delay_alu instid0(VALU_DEP_3) | instskip(NEXT) | instid1(VALU_DEP_2)
	v_cmp_lt_u32_e32 vcc_lo, 48, v135
	v_pk_add_f32 v[130:131], v[130:131], v[136:137]
	s_or_b32 s3, vcc_lo, s3
	s_delay_alu instid0(SALU_CYCLE_1)
	s_and_not1_b32 exec_lo, exec_lo, s3
	s_cbranch_execnz .LBB62_1117
; %bb.1118:
	s_or_b32 exec_lo, exec_lo, s3
.LBB62_1119:
	s_delay_alu instid0(SALU_CYCLE_1) | instskip(SKIP_4) | instid1(VALU_DEP_1)
	s_or_b32 exec_lo, exec_lo, s2
	v_mov_b32_e32 v133, 0
	ds_load_b64 v[134:135], v133 offset:400
	s_wait_dscnt 0x0
	v_pk_mul_f32 v[136:137], v[130:131], v[134:135] op_sel:[1,1] op_sel_hi:[0,1]
	v_pk_fma_f32 v[138:139], v[130:131], v[134:135], v[136:137] op_sel_hi:[1,0,1]
	v_pk_fma_f32 v[130:131], v[130:131], v[134:135], v[136:137] neg_lo:[0,0,1] neg_hi:[0,0,1]
	s_delay_alu instid0(VALU_DEP_2)
	v_mov_b32_e32 v131, v139
	scratch_store_b64 off, v[130:131], off offset:400
.LBB62_1120:
	s_wait_xcnt 0x0
	s_or_b32 exec_lo, exec_lo, s0
	scratch_load_b64 v[130:131], off, off offset:408
	s_mov_b32 s0, exec_lo
	s_wait_loadcnt 0x0
	ds_store_b64 v1, v[130:131]
	s_wait_storecnt_dscnt 0x0
	s_barrier_signal -1
	s_barrier_wait -1
	s_wait_xcnt 0x0
	v_cmpx_gt_u32_e32 51, v0
	s_cbranch_execz .LBB62_1130
; %bb.1121:
	v_cmp_ne_u32_e32 vcc_lo, 1, v132
	s_cbranch_vccnz .LBB62_1123
; %bb.1122:
	scratch_load_b64 v[130:131], v55, off
	ds_load_b64 v[134:135], v1
	s_wait_loadcnt_dscnt 0x0
	v_pk_mul_f32 v[136:137], v[134:135], v[130:131] op_sel:[1,1] op_sel_hi:[0,1]
	s_delay_alu instid0(VALU_DEP_1) | instskip(SKIP_1) | instid1(VALU_DEP_2)
	v_pk_fma_f32 v[138:139], v[134:135], v[130:131], v[136:137] op_sel_hi:[1,0,1]
	v_pk_fma_f32 v[130:131], v[134:135], v[130:131], v[136:137] neg_lo:[0,0,1] neg_hi:[0,0,1]
	v_mov_b32_e32 v131, v139
	s_cbranch_execz .LBB62_1124
	s_branch .LBB62_1125
.LBB62_1123:
                                        ; implicit-def: $vgpr130_vgpr131
.LBB62_1124:
	ds_load_b64 v[130:131], v1
.LBB62_1125:
	s_mov_b32 s2, exec_lo
	v_cmpx_ne_u32_e32 50, v0
	s_cbranch_execz .LBB62_1129
; %bb.1126:
	v_add_nc_u32_e32 v133, 0x208, v54
	v_add3_u32 v134, 0, v54, 8
	v_mov_b32_e32 v135, v0
	s_mov_b32 s3, 0
.LBB62_1127:                            ; =>This Inner Loop Header: Depth=1
	scratch_load_b64 v[136:137], v134, off
	ds_load_b64 v[138:139], v133
	s_wait_xcnt 0x0
	v_dual_add_nc_u32 v133, 8, v133 :: v_dual_add_nc_u32 v134, 8, v134
	s_wait_loadcnt_dscnt 0x0
	v_pk_mul_f32 v[140:141], v[138:139], v[136:137] op_sel:[1,1] op_sel_hi:[0,1]
	s_delay_alu instid0(VALU_DEP_1) | instskip(SKIP_2) | instid1(VALU_DEP_3)
	v_pk_fma_f32 v[142:143], v[138:139], v[136:137], v[140:141] op_sel_hi:[1,0,1]
	v_add_nc_u32_e32 v135, 1, v135
	v_pk_fma_f32 v[136:137], v[138:139], v[136:137], v[140:141] neg_lo:[0,0,1] neg_hi:[0,0,1]
	v_mov_b32_e32 v137, v143
	s_delay_alu instid0(VALU_DEP_3) | instskip(NEXT) | instid1(VALU_DEP_2)
	v_cmp_lt_u32_e32 vcc_lo, 49, v135
	v_pk_add_f32 v[130:131], v[130:131], v[136:137]
	s_or_b32 s3, vcc_lo, s3
	s_delay_alu instid0(SALU_CYCLE_1)
	s_and_not1_b32 exec_lo, exec_lo, s3
	s_cbranch_execnz .LBB62_1127
; %bb.1128:
	s_or_b32 exec_lo, exec_lo, s3
.LBB62_1129:
	s_delay_alu instid0(SALU_CYCLE_1) | instskip(SKIP_4) | instid1(VALU_DEP_1)
	s_or_b32 exec_lo, exec_lo, s2
	v_mov_b32_e32 v133, 0
	ds_load_b64 v[134:135], v133 offset:408
	s_wait_dscnt 0x0
	v_pk_mul_f32 v[136:137], v[130:131], v[134:135] op_sel:[1,1] op_sel_hi:[0,1]
	v_pk_fma_f32 v[138:139], v[130:131], v[134:135], v[136:137] op_sel_hi:[1,0,1]
	v_pk_fma_f32 v[130:131], v[130:131], v[134:135], v[136:137] neg_lo:[0,0,1] neg_hi:[0,0,1]
	s_delay_alu instid0(VALU_DEP_2)
	v_mov_b32_e32 v131, v139
	scratch_store_b64 off, v[130:131], off offset:408
.LBB62_1130:
	s_wait_xcnt 0x0
	s_or_b32 exec_lo, exec_lo, s0
	scratch_load_b64 v[130:131], off, off offset:416
	s_mov_b32 s0, exec_lo
	s_wait_loadcnt 0x0
	ds_store_b64 v1, v[130:131]
	s_wait_storecnt_dscnt 0x0
	s_barrier_signal -1
	s_barrier_wait -1
	s_wait_xcnt 0x0
	v_cmpx_gt_u32_e32 52, v0
	s_cbranch_execz .LBB62_1140
; %bb.1131:
	v_cmp_ne_u32_e32 vcc_lo, 1, v132
	s_cbranch_vccnz .LBB62_1133
; %bb.1132:
	scratch_load_b64 v[130:131], v55, off
	ds_load_b64 v[134:135], v1
	s_wait_loadcnt_dscnt 0x0
	v_pk_mul_f32 v[136:137], v[134:135], v[130:131] op_sel:[1,1] op_sel_hi:[0,1]
	s_delay_alu instid0(VALU_DEP_1) | instskip(SKIP_1) | instid1(VALU_DEP_2)
	v_pk_fma_f32 v[138:139], v[134:135], v[130:131], v[136:137] op_sel_hi:[1,0,1]
	v_pk_fma_f32 v[130:131], v[134:135], v[130:131], v[136:137] neg_lo:[0,0,1] neg_hi:[0,0,1]
	v_mov_b32_e32 v131, v139
	s_cbranch_execz .LBB62_1134
	s_branch .LBB62_1135
.LBB62_1133:
                                        ; implicit-def: $vgpr130_vgpr131
.LBB62_1134:
	ds_load_b64 v[130:131], v1
.LBB62_1135:
	s_mov_b32 s2, exec_lo
	v_cmpx_ne_u32_e32 51, v0
	s_cbranch_execz .LBB62_1139
; %bb.1136:
	v_add_nc_u32_e32 v133, 0x208, v54
	v_add3_u32 v134, 0, v54, 8
	v_mov_b32_e32 v135, v0
	s_mov_b32 s3, 0
.LBB62_1137:                            ; =>This Inner Loop Header: Depth=1
	scratch_load_b64 v[136:137], v134, off
	ds_load_b64 v[138:139], v133
	s_wait_xcnt 0x0
	v_dual_add_nc_u32 v133, 8, v133 :: v_dual_add_nc_u32 v134, 8, v134
	s_wait_loadcnt_dscnt 0x0
	v_pk_mul_f32 v[140:141], v[138:139], v[136:137] op_sel:[1,1] op_sel_hi:[0,1]
	s_delay_alu instid0(VALU_DEP_1) | instskip(SKIP_2) | instid1(VALU_DEP_3)
	v_pk_fma_f32 v[142:143], v[138:139], v[136:137], v[140:141] op_sel_hi:[1,0,1]
	v_add_nc_u32_e32 v135, 1, v135
	v_pk_fma_f32 v[136:137], v[138:139], v[136:137], v[140:141] neg_lo:[0,0,1] neg_hi:[0,0,1]
	v_mov_b32_e32 v137, v143
	s_delay_alu instid0(VALU_DEP_3) | instskip(NEXT) | instid1(VALU_DEP_2)
	v_cmp_lt_u32_e32 vcc_lo, 50, v135
	v_pk_add_f32 v[130:131], v[130:131], v[136:137]
	s_or_b32 s3, vcc_lo, s3
	s_delay_alu instid0(SALU_CYCLE_1)
	s_and_not1_b32 exec_lo, exec_lo, s3
	s_cbranch_execnz .LBB62_1137
; %bb.1138:
	s_or_b32 exec_lo, exec_lo, s3
.LBB62_1139:
	s_delay_alu instid0(SALU_CYCLE_1) | instskip(SKIP_4) | instid1(VALU_DEP_1)
	s_or_b32 exec_lo, exec_lo, s2
	v_mov_b32_e32 v133, 0
	ds_load_b64 v[134:135], v133 offset:416
	s_wait_dscnt 0x0
	v_pk_mul_f32 v[136:137], v[130:131], v[134:135] op_sel:[1,1] op_sel_hi:[0,1]
	v_pk_fma_f32 v[138:139], v[130:131], v[134:135], v[136:137] op_sel_hi:[1,0,1]
	v_pk_fma_f32 v[130:131], v[130:131], v[134:135], v[136:137] neg_lo:[0,0,1] neg_hi:[0,0,1]
	s_delay_alu instid0(VALU_DEP_2)
	v_mov_b32_e32 v131, v139
	scratch_store_b64 off, v[130:131], off offset:416
.LBB62_1140:
	s_wait_xcnt 0x0
	s_or_b32 exec_lo, exec_lo, s0
	scratch_load_b64 v[130:131], off, off offset:424
	s_mov_b32 s0, exec_lo
	s_wait_loadcnt 0x0
	ds_store_b64 v1, v[130:131]
	s_wait_storecnt_dscnt 0x0
	s_barrier_signal -1
	s_barrier_wait -1
	s_wait_xcnt 0x0
	v_cmpx_gt_u32_e32 53, v0
	s_cbranch_execz .LBB62_1150
; %bb.1141:
	v_cmp_ne_u32_e32 vcc_lo, 1, v132
	s_cbranch_vccnz .LBB62_1143
; %bb.1142:
	scratch_load_b64 v[130:131], v55, off
	ds_load_b64 v[134:135], v1
	s_wait_loadcnt_dscnt 0x0
	v_pk_mul_f32 v[136:137], v[134:135], v[130:131] op_sel:[1,1] op_sel_hi:[0,1]
	s_delay_alu instid0(VALU_DEP_1) | instskip(SKIP_1) | instid1(VALU_DEP_2)
	v_pk_fma_f32 v[138:139], v[134:135], v[130:131], v[136:137] op_sel_hi:[1,0,1]
	v_pk_fma_f32 v[130:131], v[134:135], v[130:131], v[136:137] neg_lo:[0,0,1] neg_hi:[0,0,1]
	v_mov_b32_e32 v131, v139
	s_cbranch_execz .LBB62_1144
	s_branch .LBB62_1145
.LBB62_1143:
                                        ; implicit-def: $vgpr130_vgpr131
.LBB62_1144:
	ds_load_b64 v[130:131], v1
.LBB62_1145:
	s_mov_b32 s2, exec_lo
	v_cmpx_ne_u32_e32 52, v0
	s_cbranch_execz .LBB62_1149
; %bb.1146:
	v_add_nc_u32_e32 v133, 0x208, v54
	v_add3_u32 v134, 0, v54, 8
	v_mov_b32_e32 v135, v0
	s_mov_b32 s3, 0
.LBB62_1147:                            ; =>This Inner Loop Header: Depth=1
	scratch_load_b64 v[136:137], v134, off
	ds_load_b64 v[138:139], v133
	s_wait_xcnt 0x0
	v_dual_add_nc_u32 v133, 8, v133 :: v_dual_add_nc_u32 v134, 8, v134
	s_wait_loadcnt_dscnt 0x0
	v_pk_mul_f32 v[140:141], v[138:139], v[136:137] op_sel:[1,1] op_sel_hi:[0,1]
	s_delay_alu instid0(VALU_DEP_1) | instskip(SKIP_2) | instid1(VALU_DEP_3)
	v_pk_fma_f32 v[142:143], v[138:139], v[136:137], v[140:141] op_sel_hi:[1,0,1]
	v_add_nc_u32_e32 v135, 1, v135
	v_pk_fma_f32 v[136:137], v[138:139], v[136:137], v[140:141] neg_lo:[0,0,1] neg_hi:[0,0,1]
	v_mov_b32_e32 v137, v143
	s_delay_alu instid0(VALU_DEP_3) | instskip(NEXT) | instid1(VALU_DEP_2)
	v_cmp_lt_u32_e32 vcc_lo, 51, v135
	v_pk_add_f32 v[130:131], v[130:131], v[136:137]
	s_or_b32 s3, vcc_lo, s3
	s_delay_alu instid0(SALU_CYCLE_1)
	s_and_not1_b32 exec_lo, exec_lo, s3
	s_cbranch_execnz .LBB62_1147
; %bb.1148:
	s_or_b32 exec_lo, exec_lo, s3
.LBB62_1149:
	s_delay_alu instid0(SALU_CYCLE_1) | instskip(SKIP_4) | instid1(VALU_DEP_1)
	s_or_b32 exec_lo, exec_lo, s2
	v_mov_b32_e32 v133, 0
	ds_load_b64 v[134:135], v133 offset:424
	s_wait_dscnt 0x0
	v_pk_mul_f32 v[136:137], v[130:131], v[134:135] op_sel:[1,1] op_sel_hi:[0,1]
	v_pk_fma_f32 v[138:139], v[130:131], v[134:135], v[136:137] op_sel_hi:[1,0,1]
	v_pk_fma_f32 v[130:131], v[130:131], v[134:135], v[136:137] neg_lo:[0,0,1] neg_hi:[0,0,1]
	s_delay_alu instid0(VALU_DEP_2)
	v_mov_b32_e32 v131, v139
	scratch_store_b64 off, v[130:131], off offset:424
.LBB62_1150:
	s_wait_xcnt 0x0
	s_or_b32 exec_lo, exec_lo, s0
	scratch_load_b64 v[130:131], off, off offset:432
	s_mov_b32 s0, exec_lo
	s_wait_loadcnt 0x0
	ds_store_b64 v1, v[130:131]
	s_wait_storecnt_dscnt 0x0
	s_barrier_signal -1
	s_barrier_wait -1
	s_wait_xcnt 0x0
	v_cmpx_gt_u32_e32 54, v0
	s_cbranch_execz .LBB62_1160
; %bb.1151:
	v_cmp_ne_u32_e32 vcc_lo, 1, v132
	s_cbranch_vccnz .LBB62_1153
; %bb.1152:
	scratch_load_b64 v[130:131], v55, off
	ds_load_b64 v[134:135], v1
	s_wait_loadcnt_dscnt 0x0
	v_pk_mul_f32 v[136:137], v[134:135], v[130:131] op_sel:[1,1] op_sel_hi:[0,1]
	s_delay_alu instid0(VALU_DEP_1) | instskip(SKIP_1) | instid1(VALU_DEP_2)
	v_pk_fma_f32 v[138:139], v[134:135], v[130:131], v[136:137] op_sel_hi:[1,0,1]
	v_pk_fma_f32 v[130:131], v[134:135], v[130:131], v[136:137] neg_lo:[0,0,1] neg_hi:[0,0,1]
	v_mov_b32_e32 v131, v139
	s_cbranch_execz .LBB62_1154
	s_branch .LBB62_1155
.LBB62_1153:
                                        ; implicit-def: $vgpr130_vgpr131
.LBB62_1154:
	ds_load_b64 v[130:131], v1
.LBB62_1155:
	s_mov_b32 s2, exec_lo
	v_cmpx_ne_u32_e32 53, v0
	s_cbranch_execz .LBB62_1159
; %bb.1156:
	v_add_nc_u32_e32 v133, 0x208, v54
	v_add3_u32 v134, 0, v54, 8
	v_mov_b32_e32 v135, v0
	s_mov_b32 s3, 0
.LBB62_1157:                            ; =>This Inner Loop Header: Depth=1
	scratch_load_b64 v[136:137], v134, off
	ds_load_b64 v[138:139], v133
	s_wait_xcnt 0x0
	v_dual_add_nc_u32 v133, 8, v133 :: v_dual_add_nc_u32 v134, 8, v134
	s_wait_loadcnt_dscnt 0x0
	v_pk_mul_f32 v[140:141], v[138:139], v[136:137] op_sel:[1,1] op_sel_hi:[0,1]
	s_delay_alu instid0(VALU_DEP_1) | instskip(SKIP_2) | instid1(VALU_DEP_3)
	v_pk_fma_f32 v[142:143], v[138:139], v[136:137], v[140:141] op_sel_hi:[1,0,1]
	v_add_nc_u32_e32 v135, 1, v135
	v_pk_fma_f32 v[136:137], v[138:139], v[136:137], v[140:141] neg_lo:[0,0,1] neg_hi:[0,0,1]
	v_mov_b32_e32 v137, v143
	s_delay_alu instid0(VALU_DEP_3) | instskip(NEXT) | instid1(VALU_DEP_2)
	v_cmp_lt_u32_e32 vcc_lo, 52, v135
	v_pk_add_f32 v[130:131], v[130:131], v[136:137]
	s_or_b32 s3, vcc_lo, s3
	s_delay_alu instid0(SALU_CYCLE_1)
	s_and_not1_b32 exec_lo, exec_lo, s3
	s_cbranch_execnz .LBB62_1157
; %bb.1158:
	s_or_b32 exec_lo, exec_lo, s3
.LBB62_1159:
	s_delay_alu instid0(SALU_CYCLE_1) | instskip(SKIP_4) | instid1(VALU_DEP_1)
	s_or_b32 exec_lo, exec_lo, s2
	v_mov_b32_e32 v133, 0
	ds_load_b64 v[134:135], v133 offset:432
	s_wait_dscnt 0x0
	v_pk_mul_f32 v[136:137], v[130:131], v[134:135] op_sel:[1,1] op_sel_hi:[0,1]
	v_pk_fma_f32 v[138:139], v[130:131], v[134:135], v[136:137] op_sel_hi:[1,0,1]
	v_pk_fma_f32 v[130:131], v[130:131], v[134:135], v[136:137] neg_lo:[0,0,1] neg_hi:[0,0,1]
	s_delay_alu instid0(VALU_DEP_2)
	v_mov_b32_e32 v131, v139
	scratch_store_b64 off, v[130:131], off offset:432
.LBB62_1160:
	s_wait_xcnt 0x0
	s_or_b32 exec_lo, exec_lo, s0
	scratch_load_b64 v[130:131], off, off offset:440
	s_mov_b32 s0, exec_lo
	s_wait_loadcnt 0x0
	ds_store_b64 v1, v[130:131]
	s_wait_storecnt_dscnt 0x0
	s_barrier_signal -1
	s_barrier_wait -1
	s_wait_xcnt 0x0
	v_cmpx_gt_u32_e32 55, v0
	s_cbranch_execz .LBB62_1170
; %bb.1161:
	v_cmp_ne_u32_e32 vcc_lo, 1, v132
	s_cbranch_vccnz .LBB62_1163
; %bb.1162:
	scratch_load_b64 v[130:131], v55, off
	ds_load_b64 v[134:135], v1
	s_wait_loadcnt_dscnt 0x0
	v_pk_mul_f32 v[136:137], v[134:135], v[130:131] op_sel:[1,1] op_sel_hi:[0,1]
	s_delay_alu instid0(VALU_DEP_1) | instskip(SKIP_1) | instid1(VALU_DEP_2)
	v_pk_fma_f32 v[138:139], v[134:135], v[130:131], v[136:137] op_sel_hi:[1,0,1]
	v_pk_fma_f32 v[130:131], v[134:135], v[130:131], v[136:137] neg_lo:[0,0,1] neg_hi:[0,0,1]
	v_mov_b32_e32 v131, v139
	s_cbranch_execz .LBB62_1164
	s_branch .LBB62_1165
.LBB62_1163:
                                        ; implicit-def: $vgpr130_vgpr131
.LBB62_1164:
	ds_load_b64 v[130:131], v1
.LBB62_1165:
	s_mov_b32 s2, exec_lo
	v_cmpx_ne_u32_e32 54, v0
	s_cbranch_execz .LBB62_1169
; %bb.1166:
	v_add_nc_u32_e32 v133, 0x208, v54
	v_add3_u32 v134, 0, v54, 8
	v_mov_b32_e32 v135, v0
	s_mov_b32 s3, 0
.LBB62_1167:                            ; =>This Inner Loop Header: Depth=1
	scratch_load_b64 v[136:137], v134, off
	ds_load_b64 v[138:139], v133
	s_wait_xcnt 0x0
	v_dual_add_nc_u32 v133, 8, v133 :: v_dual_add_nc_u32 v134, 8, v134
	s_wait_loadcnt_dscnt 0x0
	v_pk_mul_f32 v[140:141], v[138:139], v[136:137] op_sel:[1,1] op_sel_hi:[0,1]
	s_delay_alu instid0(VALU_DEP_1) | instskip(SKIP_2) | instid1(VALU_DEP_3)
	v_pk_fma_f32 v[142:143], v[138:139], v[136:137], v[140:141] op_sel_hi:[1,0,1]
	v_add_nc_u32_e32 v135, 1, v135
	v_pk_fma_f32 v[136:137], v[138:139], v[136:137], v[140:141] neg_lo:[0,0,1] neg_hi:[0,0,1]
	v_mov_b32_e32 v137, v143
	s_delay_alu instid0(VALU_DEP_3) | instskip(NEXT) | instid1(VALU_DEP_2)
	v_cmp_lt_u32_e32 vcc_lo, 53, v135
	v_pk_add_f32 v[130:131], v[130:131], v[136:137]
	s_or_b32 s3, vcc_lo, s3
	s_delay_alu instid0(SALU_CYCLE_1)
	s_and_not1_b32 exec_lo, exec_lo, s3
	s_cbranch_execnz .LBB62_1167
; %bb.1168:
	s_or_b32 exec_lo, exec_lo, s3
.LBB62_1169:
	s_delay_alu instid0(SALU_CYCLE_1) | instskip(SKIP_4) | instid1(VALU_DEP_1)
	s_or_b32 exec_lo, exec_lo, s2
	v_mov_b32_e32 v133, 0
	ds_load_b64 v[134:135], v133 offset:440
	s_wait_dscnt 0x0
	v_pk_mul_f32 v[136:137], v[130:131], v[134:135] op_sel:[1,1] op_sel_hi:[0,1]
	v_pk_fma_f32 v[138:139], v[130:131], v[134:135], v[136:137] op_sel_hi:[1,0,1]
	v_pk_fma_f32 v[130:131], v[130:131], v[134:135], v[136:137] neg_lo:[0,0,1] neg_hi:[0,0,1]
	s_delay_alu instid0(VALU_DEP_2)
	v_mov_b32_e32 v131, v139
	scratch_store_b64 off, v[130:131], off offset:440
.LBB62_1170:
	s_wait_xcnt 0x0
	s_or_b32 exec_lo, exec_lo, s0
	scratch_load_b64 v[130:131], off, off offset:448
	s_mov_b32 s0, exec_lo
	s_wait_loadcnt 0x0
	ds_store_b64 v1, v[130:131]
	s_wait_storecnt_dscnt 0x0
	s_barrier_signal -1
	s_barrier_wait -1
	s_wait_xcnt 0x0
	v_cmpx_gt_u32_e32 56, v0
	s_cbranch_execz .LBB62_1180
; %bb.1171:
	v_cmp_ne_u32_e32 vcc_lo, 1, v132
	s_cbranch_vccnz .LBB62_1173
; %bb.1172:
	scratch_load_b64 v[130:131], v55, off
	ds_load_b64 v[134:135], v1
	s_wait_loadcnt_dscnt 0x0
	v_pk_mul_f32 v[136:137], v[134:135], v[130:131] op_sel:[1,1] op_sel_hi:[0,1]
	s_delay_alu instid0(VALU_DEP_1) | instskip(SKIP_1) | instid1(VALU_DEP_2)
	v_pk_fma_f32 v[138:139], v[134:135], v[130:131], v[136:137] op_sel_hi:[1,0,1]
	v_pk_fma_f32 v[130:131], v[134:135], v[130:131], v[136:137] neg_lo:[0,0,1] neg_hi:[0,0,1]
	v_mov_b32_e32 v131, v139
	s_cbranch_execz .LBB62_1174
	s_branch .LBB62_1175
.LBB62_1173:
                                        ; implicit-def: $vgpr130_vgpr131
.LBB62_1174:
	ds_load_b64 v[130:131], v1
.LBB62_1175:
	s_mov_b32 s2, exec_lo
	v_cmpx_ne_u32_e32 55, v0
	s_cbranch_execz .LBB62_1179
; %bb.1176:
	v_add_nc_u32_e32 v133, 0x208, v54
	v_add3_u32 v134, 0, v54, 8
	v_mov_b32_e32 v135, v0
	s_mov_b32 s3, 0
.LBB62_1177:                            ; =>This Inner Loop Header: Depth=1
	scratch_load_b64 v[136:137], v134, off
	ds_load_b64 v[138:139], v133
	s_wait_xcnt 0x0
	v_dual_add_nc_u32 v133, 8, v133 :: v_dual_add_nc_u32 v134, 8, v134
	s_wait_loadcnt_dscnt 0x0
	v_pk_mul_f32 v[140:141], v[138:139], v[136:137] op_sel:[1,1] op_sel_hi:[0,1]
	s_delay_alu instid0(VALU_DEP_1) | instskip(SKIP_2) | instid1(VALU_DEP_3)
	v_pk_fma_f32 v[142:143], v[138:139], v[136:137], v[140:141] op_sel_hi:[1,0,1]
	v_add_nc_u32_e32 v135, 1, v135
	v_pk_fma_f32 v[136:137], v[138:139], v[136:137], v[140:141] neg_lo:[0,0,1] neg_hi:[0,0,1]
	v_mov_b32_e32 v137, v143
	s_delay_alu instid0(VALU_DEP_3) | instskip(NEXT) | instid1(VALU_DEP_2)
	v_cmp_lt_u32_e32 vcc_lo, 54, v135
	v_pk_add_f32 v[130:131], v[130:131], v[136:137]
	s_or_b32 s3, vcc_lo, s3
	s_delay_alu instid0(SALU_CYCLE_1)
	s_and_not1_b32 exec_lo, exec_lo, s3
	s_cbranch_execnz .LBB62_1177
; %bb.1178:
	s_or_b32 exec_lo, exec_lo, s3
.LBB62_1179:
	s_delay_alu instid0(SALU_CYCLE_1) | instskip(SKIP_4) | instid1(VALU_DEP_1)
	s_or_b32 exec_lo, exec_lo, s2
	v_mov_b32_e32 v133, 0
	ds_load_b64 v[134:135], v133 offset:448
	s_wait_dscnt 0x0
	v_pk_mul_f32 v[136:137], v[130:131], v[134:135] op_sel:[1,1] op_sel_hi:[0,1]
	v_pk_fma_f32 v[138:139], v[130:131], v[134:135], v[136:137] op_sel_hi:[1,0,1]
	v_pk_fma_f32 v[130:131], v[130:131], v[134:135], v[136:137] neg_lo:[0,0,1] neg_hi:[0,0,1]
	s_delay_alu instid0(VALU_DEP_2)
	v_mov_b32_e32 v131, v139
	scratch_store_b64 off, v[130:131], off offset:448
.LBB62_1180:
	s_wait_xcnt 0x0
	s_or_b32 exec_lo, exec_lo, s0
	scratch_load_b64 v[130:131], off, off offset:456
	s_mov_b32 s0, exec_lo
	s_wait_loadcnt 0x0
	ds_store_b64 v1, v[130:131]
	s_wait_storecnt_dscnt 0x0
	s_barrier_signal -1
	s_barrier_wait -1
	s_wait_xcnt 0x0
	v_cmpx_gt_u32_e32 57, v0
	s_cbranch_execz .LBB62_1190
; %bb.1181:
	v_cmp_ne_u32_e32 vcc_lo, 1, v132
	s_cbranch_vccnz .LBB62_1183
; %bb.1182:
	scratch_load_b64 v[130:131], v55, off
	ds_load_b64 v[134:135], v1
	s_wait_loadcnt_dscnt 0x0
	v_pk_mul_f32 v[136:137], v[134:135], v[130:131] op_sel:[1,1] op_sel_hi:[0,1]
	s_delay_alu instid0(VALU_DEP_1) | instskip(SKIP_1) | instid1(VALU_DEP_2)
	v_pk_fma_f32 v[138:139], v[134:135], v[130:131], v[136:137] op_sel_hi:[1,0,1]
	v_pk_fma_f32 v[130:131], v[134:135], v[130:131], v[136:137] neg_lo:[0,0,1] neg_hi:[0,0,1]
	v_mov_b32_e32 v131, v139
	s_cbranch_execz .LBB62_1184
	s_branch .LBB62_1185
.LBB62_1183:
                                        ; implicit-def: $vgpr130_vgpr131
.LBB62_1184:
	ds_load_b64 v[130:131], v1
.LBB62_1185:
	s_mov_b32 s2, exec_lo
	v_cmpx_ne_u32_e32 56, v0
	s_cbranch_execz .LBB62_1189
; %bb.1186:
	v_add_nc_u32_e32 v133, 0x208, v54
	v_add3_u32 v134, 0, v54, 8
	v_mov_b32_e32 v135, v0
	s_mov_b32 s3, 0
.LBB62_1187:                            ; =>This Inner Loop Header: Depth=1
	scratch_load_b64 v[136:137], v134, off
	ds_load_b64 v[138:139], v133
	s_wait_xcnt 0x0
	v_dual_add_nc_u32 v133, 8, v133 :: v_dual_add_nc_u32 v134, 8, v134
	s_wait_loadcnt_dscnt 0x0
	v_pk_mul_f32 v[140:141], v[138:139], v[136:137] op_sel:[1,1] op_sel_hi:[0,1]
	s_delay_alu instid0(VALU_DEP_1) | instskip(SKIP_2) | instid1(VALU_DEP_3)
	v_pk_fma_f32 v[142:143], v[138:139], v[136:137], v[140:141] op_sel_hi:[1,0,1]
	v_add_nc_u32_e32 v135, 1, v135
	v_pk_fma_f32 v[136:137], v[138:139], v[136:137], v[140:141] neg_lo:[0,0,1] neg_hi:[0,0,1]
	v_mov_b32_e32 v137, v143
	s_delay_alu instid0(VALU_DEP_3) | instskip(NEXT) | instid1(VALU_DEP_2)
	v_cmp_lt_u32_e32 vcc_lo, 55, v135
	v_pk_add_f32 v[130:131], v[130:131], v[136:137]
	s_or_b32 s3, vcc_lo, s3
	s_delay_alu instid0(SALU_CYCLE_1)
	s_and_not1_b32 exec_lo, exec_lo, s3
	s_cbranch_execnz .LBB62_1187
; %bb.1188:
	s_or_b32 exec_lo, exec_lo, s3
.LBB62_1189:
	s_delay_alu instid0(SALU_CYCLE_1) | instskip(SKIP_4) | instid1(VALU_DEP_1)
	s_or_b32 exec_lo, exec_lo, s2
	v_mov_b32_e32 v133, 0
	ds_load_b64 v[134:135], v133 offset:456
	s_wait_dscnt 0x0
	v_pk_mul_f32 v[136:137], v[130:131], v[134:135] op_sel:[1,1] op_sel_hi:[0,1]
	v_pk_fma_f32 v[138:139], v[130:131], v[134:135], v[136:137] op_sel_hi:[1,0,1]
	v_pk_fma_f32 v[130:131], v[130:131], v[134:135], v[136:137] neg_lo:[0,0,1] neg_hi:[0,0,1]
	s_delay_alu instid0(VALU_DEP_2)
	v_mov_b32_e32 v131, v139
	scratch_store_b64 off, v[130:131], off offset:456
.LBB62_1190:
	s_wait_xcnt 0x0
	s_or_b32 exec_lo, exec_lo, s0
	scratch_load_b64 v[130:131], off, off offset:464
	s_mov_b32 s0, exec_lo
	s_wait_loadcnt 0x0
	ds_store_b64 v1, v[130:131]
	s_wait_storecnt_dscnt 0x0
	s_barrier_signal -1
	s_barrier_wait -1
	s_wait_xcnt 0x0
	v_cmpx_gt_u32_e32 58, v0
	s_cbranch_execz .LBB62_1200
; %bb.1191:
	v_cmp_ne_u32_e32 vcc_lo, 1, v132
	s_cbranch_vccnz .LBB62_1193
; %bb.1192:
	scratch_load_b64 v[130:131], v55, off
	ds_load_b64 v[134:135], v1
	s_wait_loadcnt_dscnt 0x0
	v_pk_mul_f32 v[136:137], v[134:135], v[130:131] op_sel:[1,1] op_sel_hi:[0,1]
	s_delay_alu instid0(VALU_DEP_1) | instskip(SKIP_1) | instid1(VALU_DEP_2)
	v_pk_fma_f32 v[138:139], v[134:135], v[130:131], v[136:137] op_sel_hi:[1,0,1]
	v_pk_fma_f32 v[130:131], v[134:135], v[130:131], v[136:137] neg_lo:[0,0,1] neg_hi:[0,0,1]
	v_mov_b32_e32 v131, v139
	s_cbranch_execz .LBB62_1194
	s_branch .LBB62_1195
.LBB62_1193:
                                        ; implicit-def: $vgpr130_vgpr131
.LBB62_1194:
	ds_load_b64 v[130:131], v1
.LBB62_1195:
	s_mov_b32 s2, exec_lo
	v_cmpx_ne_u32_e32 57, v0
	s_cbranch_execz .LBB62_1199
; %bb.1196:
	v_add_nc_u32_e32 v133, 0x208, v54
	v_add3_u32 v134, 0, v54, 8
	v_mov_b32_e32 v135, v0
	s_mov_b32 s3, 0
.LBB62_1197:                            ; =>This Inner Loop Header: Depth=1
	scratch_load_b64 v[136:137], v134, off
	ds_load_b64 v[138:139], v133
	s_wait_xcnt 0x0
	v_dual_add_nc_u32 v133, 8, v133 :: v_dual_add_nc_u32 v134, 8, v134
	s_wait_loadcnt_dscnt 0x0
	v_pk_mul_f32 v[140:141], v[138:139], v[136:137] op_sel:[1,1] op_sel_hi:[0,1]
	s_delay_alu instid0(VALU_DEP_1) | instskip(SKIP_2) | instid1(VALU_DEP_3)
	v_pk_fma_f32 v[142:143], v[138:139], v[136:137], v[140:141] op_sel_hi:[1,0,1]
	v_add_nc_u32_e32 v135, 1, v135
	v_pk_fma_f32 v[136:137], v[138:139], v[136:137], v[140:141] neg_lo:[0,0,1] neg_hi:[0,0,1]
	v_mov_b32_e32 v137, v143
	s_delay_alu instid0(VALU_DEP_3) | instskip(NEXT) | instid1(VALU_DEP_2)
	v_cmp_lt_u32_e32 vcc_lo, 56, v135
	v_pk_add_f32 v[130:131], v[130:131], v[136:137]
	s_or_b32 s3, vcc_lo, s3
	s_delay_alu instid0(SALU_CYCLE_1)
	s_and_not1_b32 exec_lo, exec_lo, s3
	s_cbranch_execnz .LBB62_1197
; %bb.1198:
	s_or_b32 exec_lo, exec_lo, s3
.LBB62_1199:
	s_delay_alu instid0(SALU_CYCLE_1) | instskip(SKIP_4) | instid1(VALU_DEP_1)
	s_or_b32 exec_lo, exec_lo, s2
	v_mov_b32_e32 v133, 0
	ds_load_b64 v[134:135], v133 offset:464
	s_wait_dscnt 0x0
	v_pk_mul_f32 v[136:137], v[130:131], v[134:135] op_sel:[1,1] op_sel_hi:[0,1]
	v_pk_fma_f32 v[138:139], v[130:131], v[134:135], v[136:137] op_sel_hi:[1,0,1]
	v_pk_fma_f32 v[130:131], v[130:131], v[134:135], v[136:137] neg_lo:[0,0,1] neg_hi:[0,0,1]
	s_delay_alu instid0(VALU_DEP_2)
	v_mov_b32_e32 v131, v139
	scratch_store_b64 off, v[130:131], off offset:464
.LBB62_1200:
	s_wait_xcnt 0x0
	s_or_b32 exec_lo, exec_lo, s0
	scratch_load_b64 v[130:131], off, off offset:472
	s_mov_b32 s0, exec_lo
	s_wait_loadcnt 0x0
	ds_store_b64 v1, v[130:131]
	s_wait_storecnt_dscnt 0x0
	s_barrier_signal -1
	s_barrier_wait -1
	s_wait_xcnt 0x0
	v_cmpx_gt_u32_e32 59, v0
	s_cbranch_execz .LBB62_1210
; %bb.1201:
	v_cmp_ne_u32_e32 vcc_lo, 1, v132
	s_cbranch_vccnz .LBB62_1203
; %bb.1202:
	scratch_load_b64 v[130:131], v55, off
	ds_load_b64 v[134:135], v1
	s_wait_loadcnt_dscnt 0x0
	v_pk_mul_f32 v[136:137], v[134:135], v[130:131] op_sel:[1,1] op_sel_hi:[0,1]
	s_delay_alu instid0(VALU_DEP_1) | instskip(SKIP_1) | instid1(VALU_DEP_2)
	v_pk_fma_f32 v[138:139], v[134:135], v[130:131], v[136:137] op_sel_hi:[1,0,1]
	v_pk_fma_f32 v[130:131], v[134:135], v[130:131], v[136:137] neg_lo:[0,0,1] neg_hi:[0,0,1]
	v_mov_b32_e32 v131, v139
	s_cbranch_execz .LBB62_1204
	s_branch .LBB62_1205
.LBB62_1203:
                                        ; implicit-def: $vgpr130_vgpr131
.LBB62_1204:
	ds_load_b64 v[130:131], v1
.LBB62_1205:
	s_mov_b32 s2, exec_lo
	v_cmpx_ne_u32_e32 58, v0
	s_cbranch_execz .LBB62_1209
; %bb.1206:
	v_add_nc_u32_e32 v133, 0x208, v54
	v_add3_u32 v134, 0, v54, 8
	v_mov_b32_e32 v135, v0
	s_mov_b32 s3, 0
.LBB62_1207:                            ; =>This Inner Loop Header: Depth=1
	scratch_load_b64 v[136:137], v134, off
	ds_load_b64 v[138:139], v133
	s_wait_xcnt 0x0
	v_dual_add_nc_u32 v133, 8, v133 :: v_dual_add_nc_u32 v134, 8, v134
	s_wait_loadcnt_dscnt 0x0
	v_pk_mul_f32 v[140:141], v[138:139], v[136:137] op_sel:[1,1] op_sel_hi:[0,1]
	s_delay_alu instid0(VALU_DEP_1) | instskip(SKIP_2) | instid1(VALU_DEP_3)
	v_pk_fma_f32 v[142:143], v[138:139], v[136:137], v[140:141] op_sel_hi:[1,0,1]
	v_add_nc_u32_e32 v135, 1, v135
	v_pk_fma_f32 v[136:137], v[138:139], v[136:137], v[140:141] neg_lo:[0,0,1] neg_hi:[0,0,1]
	v_mov_b32_e32 v137, v143
	s_delay_alu instid0(VALU_DEP_3) | instskip(NEXT) | instid1(VALU_DEP_2)
	v_cmp_lt_u32_e32 vcc_lo, 57, v135
	v_pk_add_f32 v[130:131], v[130:131], v[136:137]
	s_or_b32 s3, vcc_lo, s3
	s_delay_alu instid0(SALU_CYCLE_1)
	s_and_not1_b32 exec_lo, exec_lo, s3
	s_cbranch_execnz .LBB62_1207
; %bb.1208:
	s_or_b32 exec_lo, exec_lo, s3
.LBB62_1209:
	s_delay_alu instid0(SALU_CYCLE_1) | instskip(SKIP_4) | instid1(VALU_DEP_1)
	s_or_b32 exec_lo, exec_lo, s2
	v_mov_b32_e32 v133, 0
	ds_load_b64 v[134:135], v133 offset:472
	s_wait_dscnt 0x0
	v_pk_mul_f32 v[136:137], v[130:131], v[134:135] op_sel:[1,1] op_sel_hi:[0,1]
	v_pk_fma_f32 v[138:139], v[130:131], v[134:135], v[136:137] op_sel_hi:[1,0,1]
	v_pk_fma_f32 v[130:131], v[130:131], v[134:135], v[136:137] neg_lo:[0,0,1] neg_hi:[0,0,1]
	s_delay_alu instid0(VALU_DEP_2)
	v_mov_b32_e32 v131, v139
	scratch_store_b64 off, v[130:131], off offset:472
.LBB62_1210:
	s_wait_xcnt 0x0
	s_or_b32 exec_lo, exec_lo, s0
	scratch_load_b64 v[130:131], off, off offset:480
	s_mov_b32 s0, exec_lo
	s_wait_loadcnt 0x0
	ds_store_b64 v1, v[130:131]
	s_wait_storecnt_dscnt 0x0
	s_barrier_signal -1
	s_barrier_wait -1
	s_wait_xcnt 0x0
	v_cmpx_gt_u32_e32 60, v0
	s_cbranch_execz .LBB62_1220
; %bb.1211:
	v_cmp_ne_u32_e32 vcc_lo, 1, v132
	s_cbranch_vccnz .LBB62_1213
; %bb.1212:
	scratch_load_b64 v[130:131], v55, off
	ds_load_b64 v[134:135], v1
	s_wait_loadcnt_dscnt 0x0
	v_pk_mul_f32 v[136:137], v[134:135], v[130:131] op_sel:[1,1] op_sel_hi:[0,1]
	s_delay_alu instid0(VALU_DEP_1) | instskip(SKIP_1) | instid1(VALU_DEP_2)
	v_pk_fma_f32 v[138:139], v[134:135], v[130:131], v[136:137] op_sel_hi:[1,0,1]
	v_pk_fma_f32 v[130:131], v[134:135], v[130:131], v[136:137] neg_lo:[0,0,1] neg_hi:[0,0,1]
	v_mov_b32_e32 v131, v139
	s_cbranch_execz .LBB62_1214
	s_branch .LBB62_1215
.LBB62_1213:
                                        ; implicit-def: $vgpr130_vgpr131
.LBB62_1214:
	ds_load_b64 v[130:131], v1
.LBB62_1215:
	s_mov_b32 s2, exec_lo
	v_cmpx_ne_u32_e32 59, v0
	s_cbranch_execz .LBB62_1219
; %bb.1216:
	v_add_nc_u32_e32 v133, 0x208, v54
	v_add3_u32 v134, 0, v54, 8
	v_mov_b32_e32 v135, v0
	s_mov_b32 s3, 0
.LBB62_1217:                            ; =>This Inner Loop Header: Depth=1
	scratch_load_b64 v[136:137], v134, off
	ds_load_b64 v[138:139], v133
	s_wait_xcnt 0x0
	v_dual_add_nc_u32 v133, 8, v133 :: v_dual_add_nc_u32 v134, 8, v134
	s_wait_loadcnt_dscnt 0x0
	v_pk_mul_f32 v[140:141], v[138:139], v[136:137] op_sel:[1,1] op_sel_hi:[0,1]
	s_delay_alu instid0(VALU_DEP_1) | instskip(SKIP_2) | instid1(VALU_DEP_3)
	v_pk_fma_f32 v[142:143], v[138:139], v[136:137], v[140:141] op_sel_hi:[1,0,1]
	v_add_nc_u32_e32 v135, 1, v135
	v_pk_fma_f32 v[136:137], v[138:139], v[136:137], v[140:141] neg_lo:[0,0,1] neg_hi:[0,0,1]
	v_mov_b32_e32 v137, v143
	s_delay_alu instid0(VALU_DEP_3) | instskip(NEXT) | instid1(VALU_DEP_2)
	v_cmp_lt_u32_e32 vcc_lo, 58, v135
	v_pk_add_f32 v[130:131], v[130:131], v[136:137]
	s_or_b32 s3, vcc_lo, s3
	s_delay_alu instid0(SALU_CYCLE_1)
	s_and_not1_b32 exec_lo, exec_lo, s3
	s_cbranch_execnz .LBB62_1217
; %bb.1218:
	s_or_b32 exec_lo, exec_lo, s3
.LBB62_1219:
	s_delay_alu instid0(SALU_CYCLE_1) | instskip(SKIP_4) | instid1(VALU_DEP_1)
	s_or_b32 exec_lo, exec_lo, s2
	v_mov_b32_e32 v133, 0
	ds_load_b64 v[134:135], v133 offset:480
	s_wait_dscnt 0x0
	v_pk_mul_f32 v[136:137], v[130:131], v[134:135] op_sel:[1,1] op_sel_hi:[0,1]
	v_pk_fma_f32 v[138:139], v[130:131], v[134:135], v[136:137] op_sel_hi:[1,0,1]
	v_pk_fma_f32 v[130:131], v[130:131], v[134:135], v[136:137] neg_lo:[0,0,1] neg_hi:[0,0,1]
	s_delay_alu instid0(VALU_DEP_2)
	v_mov_b32_e32 v131, v139
	scratch_store_b64 off, v[130:131], off offset:480
.LBB62_1220:
	s_wait_xcnt 0x0
	s_or_b32 exec_lo, exec_lo, s0
	scratch_load_b64 v[130:131], off, off offset:488
	v_cmp_gt_u32_e64 s0, 61, v0
	s_wait_loadcnt 0x0
	ds_store_b64 v1, v[130:131]
	s_wait_storecnt_dscnt 0x0
	s_barrier_signal -1
	s_barrier_wait -1
	s_wait_xcnt 0x0
	s_and_saveexec_b32 s2, s0
	s_cbranch_execz .LBB62_1230
; %bb.1221:
	v_cmp_ne_u32_e32 vcc_lo, 1, v132
	s_cbranch_vccnz .LBB62_1223
; %bb.1222:
	scratch_load_b64 v[130:131], v55, off
	ds_load_b64 v[134:135], v1
	s_wait_loadcnt_dscnt 0x0
	v_pk_mul_f32 v[136:137], v[134:135], v[130:131] op_sel:[1,1] op_sel_hi:[0,1]
	s_delay_alu instid0(VALU_DEP_1) | instskip(SKIP_1) | instid1(VALU_DEP_2)
	v_pk_fma_f32 v[138:139], v[134:135], v[130:131], v[136:137] op_sel_hi:[1,0,1]
	v_pk_fma_f32 v[130:131], v[134:135], v[130:131], v[136:137] neg_lo:[0,0,1] neg_hi:[0,0,1]
	v_mov_b32_e32 v131, v139
	s_cbranch_execz .LBB62_1224
	s_branch .LBB62_1225
.LBB62_1223:
                                        ; implicit-def: $vgpr130_vgpr131
.LBB62_1224:
	ds_load_b64 v[130:131], v1
.LBB62_1225:
	s_mov_b32 s3, exec_lo
	v_cmpx_ne_u32_e32 60, v0
	s_cbranch_execz .LBB62_1229
; %bb.1226:
	v_add_nc_u32_e32 v133, 0x208, v54
	v_add3_u32 v134, 0, v54, 8
	v_mov_b32_e32 v135, v0
	s_mov_b32 s4, 0
.LBB62_1227:                            ; =>This Inner Loop Header: Depth=1
	scratch_load_b64 v[136:137], v134, off
	ds_load_b64 v[138:139], v133
	s_wait_xcnt 0x0
	v_dual_add_nc_u32 v133, 8, v133 :: v_dual_add_nc_u32 v134, 8, v134
	s_wait_loadcnt_dscnt 0x0
	v_pk_mul_f32 v[140:141], v[138:139], v[136:137] op_sel:[1,1] op_sel_hi:[0,1]
	s_delay_alu instid0(VALU_DEP_1) | instskip(SKIP_2) | instid1(VALU_DEP_3)
	v_pk_fma_f32 v[142:143], v[138:139], v[136:137], v[140:141] op_sel_hi:[1,0,1]
	v_add_nc_u32_e32 v135, 1, v135
	v_pk_fma_f32 v[136:137], v[138:139], v[136:137], v[140:141] neg_lo:[0,0,1] neg_hi:[0,0,1]
	v_mov_b32_e32 v137, v143
	s_delay_alu instid0(VALU_DEP_3) | instskip(NEXT) | instid1(VALU_DEP_2)
	v_cmp_lt_u32_e32 vcc_lo, 59, v135
	v_pk_add_f32 v[130:131], v[130:131], v[136:137]
	s_or_b32 s4, vcc_lo, s4
	s_delay_alu instid0(SALU_CYCLE_1)
	s_and_not1_b32 exec_lo, exec_lo, s4
	s_cbranch_execnz .LBB62_1227
; %bb.1228:
	s_or_b32 exec_lo, exec_lo, s4
.LBB62_1229:
	s_delay_alu instid0(SALU_CYCLE_1) | instskip(SKIP_4) | instid1(VALU_DEP_1)
	s_or_b32 exec_lo, exec_lo, s3
	v_mov_b32_e32 v133, 0
	ds_load_b64 v[134:135], v133 offset:488
	s_wait_dscnt 0x0
	v_pk_mul_f32 v[136:137], v[130:131], v[134:135] op_sel:[1,1] op_sel_hi:[0,1]
	v_pk_fma_f32 v[138:139], v[130:131], v[134:135], v[136:137] op_sel_hi:[1,0,1]
	v_pk_fma_f32 v[130:131], v[130:131], v[134:135], v[136:137] neg_lo:[0,0,1] neg_hi:[0,0,1]
	s_delay_alu instid0(VALU_DEP_2)
	v_mov_b32_e32 v131, v139
	scratch_store_b64 off, v[130:131], off offset:488
.LBB62_1230:
	s_wait_xcnt 0x0
	s_or_b32 exec_lo, exec_lo, s2
	scratch_load_b64 v[130:131], off, off offset:496
	s_mov_b32 s2, exec_lo
                                        ; implicit-def: $vgpr174
                                        ; implicit-def: $sgpr4
	s_wait_loadcnt 0x0
	ds_store_b64 v1, v[130:131]
	s_wait_storecnt_dscnt 0x0
	s_barrier_signal -1
	s_barrier_wait -1
	s_wait_xcnt 0x0
	v_cmpx_ne_u32_e32 62, v0
	s_cbranch_execz .LBB62_1240
; %bb.1231:
	v_cmp_ne_u32_e32 vcc_lo, 1, v132
	s_cbranch_vccnz .LBB62_1233
; %bb.1232:
	scratch_load_b64 v[132:133], v55, off
	ds_load_b64 v[134:135], v1
	s_wait_loadcnt_dscnt 0x0
	v_dual_mul_f32 v55, v135, v133 :: v_dual_mul_f32 v131, v134, v133
	s_delay_alu instid0(VALU_DEP_1) | instskip(NEXT) | instid1(VALU_DEP_2)
	v_fma_f32 v130, v134, v132, -v55
	v_fmac_f32_e32 v131, v135, v132
	s_cbranch_execz .LBB62_1234
	s_branch .LBB62_1235
.LBB62_1233:
                                        ; implicit-def: $vgpr131
.LBB62_1234:
	ds_load_b64 v[130:131], v1
.LBB62_1235:
	s_and_saveexec_b32 s3, s0
	s_cbranch_execz .LBB62_1239
; %bb.1236:
	v_add_nc_u32_e32 v1, 0x208, v54
	v_add3_u32 v54, 0, v54, 8
	s_mov_b32 s0, 0
.LBB62_1237:                            ; =>This Inner Loop Header: Depth=1
	scratch_load_b64 v[132:133], v54, off
	ds_load_b64 v[134:135], v1
	v_dual_add_nc_u32 v0, 1, v0 :: v_dual_add_nc_u32 v1, 8, v1
	s_delay_alu instid0(VALU_DEP_1) | instskip(SKIP_3) | instid1(VALU_DEP_1)
	v_cmp_lt_u32_e32 vcc_lo, 60, v0
	s_or_b32 s0, vcc_lo, s0
	s_wait_loadcnt_dscnt 0x0
	v_dual_mul_f32 v55, v135, v133 :: v_dual_mul_f32 v133, v134, v133
	v_dual_fma_f32 v55, v134, v132, -v55 :: v_dual_fmac_f32 v133, v135, v132
	s_delay_alu instid0(VALU_DEP_1) | instskip(NEXT) | instid1(VALU_DEP_2)
	v_dual_add_nc_u32 v54, 8, v54 :: v_dual_add_f32 v130, v130, v55
	v_add_f32_e32 v131, v131, v133
	s_and_not1_b32 exec_lo, exec_lo, s0
	s_cbranch_execnz .LBB62_1237
; %bb.1238:
	s_or_b32 exec_lo, exec_lo, s0
.LBB62_1239:
	s_delay_alu instid0(SALU_CYCLE_1)
	s_or_b32 exec_lo, exec_lo, s3
	v_mov_b32_e32 v0, 0
	s_movk_i32 s4, 0x1f4
	s_or_b32 s1, s1, exec_lo
	ds_load_b64 v[0:1], v0 offset:496
	s_wait_dscnt 0x0
	v_dual_mul_f32 v54, v131, v1 :: v_dual_mul_f32 v174, v130, v1
	s_delay_alu instid0(VALU_DEP_1) | instskip(NEXT) | instid1(VALU_DEP_2)
	v_fma_f32 v1, v130, v0, -v54
	v_fmac_f32_e32 v174, v131, v0
	scratch_store_b32 off, v1, off offset:496
.LBB62_1240:
	s_wait_xcnt 0x0
	s_or_b32 exec_lo, exec_lo, s2
.LBB62_1241:
	v_lshl_add_u64 v[172:173], v[6:7], 3, s[6:7]
	v_lshl_add_u64 v[170:171], v[8:9], 3, s[6:7]
	;; [unrolled: 1-line block ×61, first 2 shown]
	s_and_saveexec_b32 s0, s1
	s_cbranch_execz .LBB62_1243
; %bb.1242:
	scratch_store_b32 off, v174, s4
.LBB62_1243:
	s_wait_xcnt 0x0
	s_or_b32 exec_lo, exec_lo, s0
	s_clause 0xb
	scratch_load_b128 v[82:85], off, off
	scratch_load_b128 v[86:89], off, off offset:16
	scratch_load_b128 v[90:93], off, off offset:32
	;; [unrolled: 1-line block ×11, first 2 shown]
	s_wait_loadcnt 0xb
	s_clause 0x1
	global_store_b64 v[2:3], v[82:83], off
	global_store_b64 v[4:5], v[84:85], off
	scratch_load_b128 v[2:5], off, off offset:128
	s_wait_loadcnt 0xb
	global_store_b64 v[172:173], v[86:87], off
	scratch_load_b128 v[82:85], off, off offset:144
	global_store_b64 v[170:171], v[88:89], off
	scratch_load_b128 v[86:89], off, off offset:160
	s_wait_loadcnt 0xc
	s_clause 0x1
	global_store_b64 v[168:169], v[90:91], off
	global_store_b64 v[166:167], v[92:93], off
	scratch_load_b128 v[90:93], off, off offset:192
	s_wait_loadcnt 0xc
	s_clause 0x1
	global_store_b64 v[164:165], v[94:95], off
	global_store_b64 v[162:163], v[96:97], off
	s_wait_loadcnt 0xb
	s_clause 0x1
	global_store_b64 v[160:161], v[98:99], off
	global_store_b64 v[158:159], v[100:101], off
	;; [unrolled: 4-line block ×5, first 2 shown]
	s_clause 0x6
	scratch_load_b128 v[94:97], off, off offset:224
	scratch_load_b128 v[98:101], off, off offset:256
	;; [unrolled: 1-line block ×7, first 2 shown]
	s_wait_loadcnt 0xa
	s_clause 0x1
	global_store_b64 v[144:145], v[2:3], off
	global_store_b64 v[142:143], v[4:5], off
	s_wait_loadcnt 0x9
	s_clause 0x1
	global_store_b64 v[140:141], v[82:83], off
	global_store_b64 v[138:139], v[84:85], off
	;; [unrolled: 4-line block ×3, first 2 shown]
	global_store_b64 v[132:133], v[114:115], off
	global_store_b64 v[130:131], v[116:117], off
	s_clause 0x8
	scratch_load_b128 v[144:147], off, off offset:368
	scratch_load_b128 v[2:5], off, off offset:384
	;; [unrolled: 1-line block ×8, first 2 shown]
	scratch_load_b64 v[130:131], off, off offset:496
	s_wait_loadcnt 0x10
	s_clause 0x3
	global_store_b64 v[0:1], v[90:91], off
	global_store_b64 v[6:7], v[92:93], off
	global_store_b64 v[8:9], v[118:119], off
	global_store_b64 v[10:11], v[120:121], off
	s_wait_loadcnt 0xf
	s_clause 0x3
	global_store_b64 v[12:13], v[94:95], off
	global_store_b64 v[14:15], v[96:97], off
	global_store_b64 v[16:17], v[122:123], off
	global_store_b64 v[18:19], v[124:125], off
	;; [unrolled: 6-line block ×3, first 2 shown]
	s_wait_loadcnt 0xd
	s_clause 0x1
	global_store_b64 v[28:29], v[102:103], off
	global_store_b64 v[30:31], v[104:105], off
	s_wait_loadcnt 0xc
	s_clause 0x1
	global_store_b64 v[32:33], v[152:153], off
	global_store_b64 v[34:35], v[154:155], off
	;; [unrolled: 4-line block ×13, first 2 shown]
	s_wait_loadcnt 0x0
	global_store_b64 v[80:81], v[130:131], off
.LBB62_1244:
	s_sendmsg sendmsg(MSG_DEALLOC_VGPRS)
	s_endpgm
	.section	.rodata,"a",@progbits
	.p2align	6, 0x0
	.amdhsa_kernel _ZN9rocsolver6v33100L18trti2_kernel_smallILi63E19rocblas_complex_numIfEPS3_EEv13rocblas_fill_17rocblas_diagonal_T1_iil
		.amdhsa_group_segment_fixed_size 1016
		.amdhsa_private_segment_fixed_size 512
		.amdhsa_kernarg_size 32
		.amdhsa_user_sgpr_count 2
		.amdhsa_user_sgpr_dispatch_ptr 0
		.amdhsa_user_sgpr_queue_ptr 0
		.amdhsa_user_sgpr_kernarg_segment_ptr 1
		.amdhsa_user_sgpr_dispatch_id 0
		.amdhsa_user_sgpr_kernarg_preload_length 0
		.amdhsa_user_sgpr_kernarg_preload_offset 0
		.amdhsa_user_sgpr_private_segment_size 0
		.amdhsa_wavefront_size32 1
		.amdhsa_uses_dynamic_stack 0
		.amdhsa_enable_private_segment 1
		.amdhsa_system_sgpr_workgroup_id_x 1
		.amdhsa_system_sgpr_workgroup_id_y 0
		.amdhsa_system_sgpr_workgroup_id_z 0
		.amdhsa_system_sgpr_workgroup_info 0
		.amdhsa_system_vgpr_workitem_id 0
		.amdhsa_next_free_vgpr 184
		.amdhsa_next_free_sgpr 39
		.amdhsa_named_barrier_count 0
		.amdhsa_reserve_vcc 1
		.amdhsa_float_round_mode_32 0
		.amdhsa_float_round_mode_16_64 0
		.amdhsa_float_denorm_mode_32 3
		.amdhsa_float_denorm_mode_16_64 3
		.amdhsa_fp16_overflow 0
		.amdhsa_memory_ordered 1
		.amdhsa_forward_progress 1
		.amdhsa_inst_pref_size 255
		.amdhsa_round_robin_scheduling 0
		.amdhsa_exception_fp_ieee_invalid_op 0
		.amdhsa_exception_fp_denorm_src 0
		.amdhsa_exception_fp_ieee_div_zero 0
		.amdhsa_exception_fp_ieee_overflow 0
		.amdhsa_exception_fp_ieee_underflow 0
		.amdhsa_exception_fp_ieee_inexact 0
		.amdhsa_exception_int_div_zero 0
	.end_amdhsa_kernel
	.section	.text._ZN9rocsolver6v33100L18trti2_kernel_smallILi63E19rocblas_complex_numIfEPS3_EEv13rocblas_fill_17rocblas_diagonal_T1_iil,"axG",@progbits,_ZN9rocsolver6v33100L18trti2_kernel_smallILi63E19rocblas_complex_numIfEPS3_EEv13rocblas_fill_17rocblas_diagonal_T1_iil,comdat
.Lfunc_end62:
	.size	_ZN9rocsolver6v33100L18trti2_kernel_smallILi63E19rocblas_complex_numIfEPS3_EEv13rocblas_fill_17rocblas_diagonal_T1_iil, .Lfunc_end62-_ZN9rocsolver6v33100L18trti2_kernel_smallILi63E19rocblas_complex_numIfEPS3_EEv13rocblas_fill_17rocblas_diagonal_T1_iil
                                        ; -- End function
	.set _ZN9rocsolver6v33100L18trti2_kernel_smallILi63E19rocblas_complex_numIfEPS3_EEv13rocblas_fill_17rocblas_diagonal_T1_iil.num_vgpr, 184
	.set _ZN9rocsolver6v33100L18trti2_kernel_smallILi63E19rocblas_complex_numIfEPS3_EEv13rocblas_fill_17rocblas_diagonal_T1_iil.num_agpr, 0
	.set _ZN9rocsolver6v33100L18trti2_kernel_smallILi63E19rocblas_complex_numIfEPS3_EEv13rocblas_fill_17rocblas_diagonal_T1_iil.numbered_sgpr, 39
	.set _ZN9rocsolver6v33100L18trti2_kernel_smallILi63E19rocblas_complex_numIfEPS3_EEv13rocblas_fill_17rocblas_diagonal_T1_iil.num_named_barrier, 0
	.set _ZN9rocsolver6v33100L18trti2_kernel_smallILi63E19rocblas_complex_numIfEPS3_EEv13rocblas_fill_17rocblas_diagonal_T1_iil.private_seg_size, 512
	.set _ZN9rocsolver6v33100L18trti2_kernel_smallILi63E19rocblas_complex_numIfEPS3_EEv13rocblas_fill_17rocblas_diagonal_T1_iil.uses_vcc, 1
	.set _ZN9rocsolver6v33100L18trti2_kernel_smallILi63E19rocblas_complex_numIfEPS3_EEv13rocblas_fill_17rocblas_diagonal_T1_iil.uses_flat_scratch, 1
	.set _ZN9rocsolver6v33100L18trti2_kernel_smallILi63E19rocblas_complex_numIfEPS3_EEv13rocblas_fill_17rocblas_diagonal_T1_iil.has_dyn_sized_stack, 0
	.set _ZN9rocsolver6v33100L18trti2_kernel_smallILi63E19rocblas_complex_numIfEPS3_EEv13rocblas_fill_17rocblas_diagonal_T1_iil.has_recursion, 0
	.set _ZN9rocsolver6v33100L18trti2_kernel_smallILi63E19rocblas_complex_numIfEPS3_EEv13rocblas_fill_17rocblas_diagonal_T1_iil.has_indirect_call, 0
	.section	.AMDGPU.csdata,"",@progbits
; Kernel info:
; codeLenInByte = 47752
; TotalNumSgprs: 41
; NumVgprs: 184
; ScratchSize: 512
; MemoryBound: 0
; FloatMode: 240
; IeeeMode: 1
; LDSByteSize: 1016 bytes/workgroup (compile time only)
; SGPRBlocks: 0
; VGPRBlocks: 11
; NumSGPRsForWavesPerEU: 41
; NumVGPRsForWavesPerEU: 184
; NamedBarCnt: 0
; Occupancy: 5
; WaveLimiterHint : 0
; COMPUTE_PGM_RSRC2:SCRATCH_EN: 1
; COMPUTE_PGM_RSRC2:USER_SGPR: 2
; COMPUTE_PGM_RSRC2:TRAP_HANDLER: 0
; COMPUTE_PGM_RSRC2:TGID_X_EN: 1
; COMPUTE_PGM_RSRC2:TGID_Y_EN: 0
; COMPUTE_PGM_RSRC2:TGID_Z_EN: 0
; COMPUTE_PGM_RSRC2:TIDIG_COMP_CNT: 0
	.section	.text._ZN9rocsolver6v33100L18trti2_kernel_smallILi64E19rocblas_complex_numIfEPS3_EEv13rocblas_fill_17rocblas_diagonal_T1_iil,"axG",@progbits,_ZN9rocsolver6v33100L18trti2_kernel_smallILi64E19rocblas_complex_numIfEPS3_EEv13rocblas_fill_17rocblas_diagonal_T1_iil,comdat
	.globl	_ZN9rocsolver6v33100L18trti2_kernel_smallILi64E19rocblas_complex_numIfEPS3_EEv13rocblas_fill_17rocblas_diagonal_T1_iil ; -- Begin function _ZN9rocsolver6v33100L18trti2_kernel_smallILi64E19rocblas_complex_numIfEPS3_EEv13rocblas_fill_17rocblas_diagonal_T1_iil
	.p2align	8
	.type	_ZN9rocsolver6v33100L18trti2_kernel_smallILi64E19rocblas_complex_numIfEPS3_EEv13rocblas_fill_17rocblas_diagonal_T1_iil,@function
_ZN9rocsolver6v33100L18trti2_kernel_smallILi64E19rocblas_complex_numIfEPS3_EEv13rocblas_fill_17rocblas_diagonal_T1_iil: ; @_ZN9rocsolver6v33100L18trti2_kernel_smallILi64E19rocblas_complex_numIfEPS3_EEv13rocblas_fill_17rocblas_diagonal_T1_iil
; %bb.0:
	s_mov_b32 s2, exec_lo
	v_cmpx_gt_u32_e32 64, v0
	s_cbranch_execz .LBB63_1264
; %bb.1:
	s_load_b256 s[4:11], s[0:1], 0x0
	s_wait_xcnt 0x0
	s_bfe_u32 s0, ttmp6, 0x4000c
	s_and_b32 s1, ttmp6, 15
	s_add_co_i32 s0, s0, 1
	s_getreg_b32 s2, hwreg(HW_REG_IB_STS2, 6, 4)
	s_mul_i32 s0, ttmp9, s0
	v_mov_b32_e32 v59, 0
	s_add_co_i32 s0, s1, s0
	s_wait_kmcnt 0x0
	v_add3_u32 v4, s9, s9, v0
	s_ashr_i32 s1, s8, 31
	s_cmp_eq_u32 s2, 0
	s_cselect_b32 s2, ttmp9, s0
	s_delay_alu instid0(VALU_DEP_1)
	v_add_nc_u32_e32 v6, s9, v4
	s_ashr_i32 s3, s2, 31
	s_mov_b32 s0, s8
	s_mul_u64 s[2:3], s[10:11], s[2:3]
	s_lshl_b64 s[0:1], s[0:1], 3
	v_add_nc_u32_e32 v8, s9, v6
	s_lshl_b64 s[2:3], s[2:3], 3
	s_delay_alu instid0(SALU_CYCLE_1) | instskip(NEXT) | instid1(VALU_DEP_1)
	s_add_nc_u64 s[2:3], s[6:7], s[2:3]
	v_add_nc_u32_e32 v12, s9, v8
	s_add_nc_u64 s[6:7], s[2:3], s[0:1]
	s_mov_b32 s0, s9
	s_ashr_i32 s1, s9, 31
	s_cmp_lg_u32 s5, 0x84
	v_add_nc_u32_e32 v14, s9, v12
	s_cselect_b32 s3, -1, 0
	s_delay_alu instid0(SALU_CYCLE_1) | instskip(NEXT) | instid1(VALU_DEP_1)
	s_and_b32 vcc_lo, exec_lo, s3
	v_add_nc_u32_e32 v16, s9, v14
	s_delay_alu instid0(VALU_DEP_1) | instskip(NEXT) | instid1(VALU_DEP_1)
	v_add_nc_u32_e32 v18, s9, v16
	v_add_nc_u32_e32 v20, s9, v18
	s_clause 0x1
	global_load_b64 v[92:93], v8, s[6:7] scale_offset
	global_load_b64 v[94:95], v12, s[6:7] scale_offset
	v_add_nc_u32_e32 v22, s9, v20
	s_delay_alu instid0(VALU_DEP_1) | instskip(NEXT) | instid1(VALU_DEP_1)
	v_add_nc_u32_e32 v24, s9, v22
	v_add_nc_u32_e32 v26, s9, v24
	s_delay_alu instid0(VALU_DEP_1) | instskip(NEXT) | instid1(VALU_DEP_1)
	v_add_nc_u32_e32 v28, s9, v26
	;; [unrolled: 3-line block ×3, first 2 shown]
	v_add_nc_u32_e32 v34, s9, v32
	s_delay_alu instid0(VALU_DEP_1) | instskip(NEXT) | instid1(VALU_DEP_1)
	v_dual_lshlrev_b32 v58, 3, v0 :: v_dual_add_nc_u32 v36, s9, v34
	v_add_nc_u64_e32 v[2:3], s[6:7], v[58:59]
	s_delay_alu instid0(VALU_DEP_2) | instskip(NEXT) | instid1(VALU_DEP_2)
	v_add_nc_u32_e32 v38, s9, v36
	v_lshl_add_u64 v[10:11], s[0:1], 3, v[2:3]
	s_mov_b32 s0, -1
	s_delay_alu instid0(VALU_DEP_2)
	v_add_nc_u32_e32 v40, s9, v38
	s_clause 0x5
	global_load_b64 v[96:97], v0, s[6:7] scale_offset
	global_load_b64 v[98:99], v[10:11], off
	global_load_b64 v[100:101], v4, s[6:7] scale_offset
	global_load_b64 v[102:103], v6, s[6:7] scale_offset
	;; [unrolled: 1-line block ×4, first 2 shown]
	v_add_nc_u32_e32 v42, s9, v40
	s_clause 0x7
	global_load_b64 v[108:109], v18, s[6:7] scale_offset
	global_load_b64 v[110:111], v20, s[6:7] scale_offset
	;; [unrolled: 1-line block ×8, first 2 shown]
	v_add_nc_u32_e32 v44, s9, v42
	s_clause 0x3
	global_load_b64 v[124:125], v34, s[6:7] scale_offset
	global_load_b64 v[126:127], v36, s[6:7] scale_offset
	;; [unrolled: 1-line block ×4, first 2 shown]
	v_add_nc_u32_e32 v46, s9, v44
	s_delay_alu instid0(VALU_DEP_1) | instskip(NEXT) | instid1(VALU_DEP_1)
	v_add_nc_u32_e32 v48, s9, v46
	v_add_nc_u32_e32 v50, s9, v48
	s_delay_alu instid0(VALU_DEP_1)
	v_add_nc_u32_e32 v52, s9, v50
	s_clause 0x3
	global_load_b64 v[132:133], v42, s[6:7] scale_offset
	global_load_b64 v[134:135], v44, s[6:7] scale_offset
	;; [unrolled: 1-line block ×4, first 2 shown]
	v_add_nc_u32_e32 v54, s9, v52
	s_delay_alu instid0(VALU_DEP_1) | instskip(NEXT) | instid1(VALU_DEP_1)
	v_add_nc_u32_e32 v56, s9, v54
	v_add_nc_u32_e32 v60, s9, v56
	s_delay_alu instid0(VALU_DEP_1) | instskip(NEXT) | instid1(VALU_DEP_1)
	v_add_nc_u32_e32 v62, s9, v60
	v_add_nc_u32_e32 v64, s9, v62
	s_clause 0x3
	global_load_b64 v[140:141], v50, s[6:7] scale_offset
	global_load_b64 v[142:143], v52, s[6:7] scale_offset
	;; [unrolled: 1-line block ×4, first 2 shown]
	v_add_nc_u32_e32 v66, s9, v64
	s_delay_alu instid0(VALU_DEP_1) | instskip(NEXT) | instid1(VALU_DEP_1)
	v_add_nc_u32_e32 v68, s9, v66
	v_add_nc_u32_e32 v70, s9, v68
	s_delay_alu instid0(VALU_DEP_1) | instskip(SKIP_4) | instid1(VALU_DEP_1)
	v_add_nc_u32_e32 v72, s9, v70
	s_clause 0x1
	global_load_b64 v[148:149], v60, s[6:7] scale_offset
	global_load_b64 v[150:151], v62, s[6:7] scale_offset
	v_add_nc_u32_e32 v74, s9, v72
	v_add_nc_u32_e32 v76, s9, v74
	s_clause 0x1
	global_load_b64 v[152:153], v64, s[6:7] scale_offset
	global_load_b64 v[154:155], v66, s[6:7] scale_offset
	v_add_nc_u32_e32 v78, s9, v76
	s_delay_alu instid0(VALU_DEP_1) | instskip(NEXT) | instid1(VALU_DEP_1)
	v_add_nc_u32_e32 v80, s9, v78
	v_add_nc_u32_e32 v82, s9, v80
	s_delay_alu instid0(VALU_DEP_1) | instskip(NEXT) | instid1(VALU_DEP_1)
	v_add_nc_u32_e32 v84, s9, v82
	;; [unrolled: 3-line block ×3, first 2 shown]
	v_add_nc_u32_e32 v90, s9, v88
	s_wait_loadcnt 0x1e
	scratch_store_b128 off, v[92:95], off offset:32
	s_wait_xcnt 0x0
	v_add_nc_u32_e32 v92, s9, v90
	s_delay_alu instid0(VALU_DEP_1)
	v_add_nc_u32_e32 v94, s9, v92
	s_wait_loadcnt 0x1c
	scratch_store_b128 off, v[96:99], off
	s_wait_xcnt 0x0
	v_add_nc_u32_e32 v96, s9, v94
	s_clause 0x1
	global_load_b64 v[156:157], v68, s[6:7] scale_offset
	global_load_b64 v[158:159], v70, s[6:7] scale_offset
	s_wait_loadcnt 0x1c
	scratch_store_b128 off, v[100:103], off offset:16
	s_wait_loadcnt 0x1a
	scratch_store_b128 off, v[104:107], off offset:48
	s_clause 0x1
	global_load_b64 v[160:161], v72, s[6:7] scale_offset
	global_load_b64 v[162:163], v74, s[6:7] scale_offset
	v_add_nc_u32_e32 v98, s9, v96
	s_wait_loadcnt 0x1a
	scratch_store_b128 off, v[108:111], off offset:64
	s_wait_loadcnt 0x18
	scratch_store_b128 off, v[112:115], off offset:80
	;; [unrolled: 2-line block ×3, first 2 shown]
	s_clause 0x3
	global_load_b64 v[164:165], v76, s[6:7] scale_offset
	global_load_b64 v[166:167], v78, s[6:7] scale_offset
	;; [unrolled: 1-line block ×4, first 2 shown]
	s_wait_loadcnt 0x18
	scratch_store_b128 off, v[120:123], off offset:112
	s_wait_loadcnt 0x16
	scratch_store_b128 off, v[124:127], off offset:128
	s_wait_xcnt 0xc
	v_add_nc_u32_e32 v100, s9, v98
	s_clause 0x3
	global_load_b64 v[172:173], v84, s[6:7] scale_offset
	global_load_b64 v[174:175], v86, s[6:7] scale_offset
	;; [unrolled: 1-line block ×4, first 2 shown]
	s_wait_loadcnt 0x18
	scratch_store_b128 off, v[128:131], off offset:144
	s_wait_loadcnt 0x16
	scratch_store_b128 off, v[132:135], off offset:160
	;; [unrolled: 2-line block ×3, first 2 shown]
	v_add_nc_u32_e32 v102, s9, v100
	s_wait_xcnt 0x12
	s_delay_alu instid0(VALU_DEP_1) | instskip(NEXT) | instid1(VALU_DEP_1)
	v_add_nc_u32_e32 v104, s9, v102
	v_add_nc_u32_e32 v106, s9, v104
	s_wait_xcnt 0xf
	s_delay_alu instid0(VALU_DEP_1)
	v_add_nc_u32_e32 v108, s9, v106
	s_clause 0x3
	global_load_b64 v[130:131], v92, s[6:7] scale_offset
	global_load_b64 v[132:133], v94, s[6:7] scale_offset
	;; [unrolled: 1-line block ×4, first 2 shown]
	s_wait_loadcnt 0x16
	scratch_store_b128 off, v[140:143], off offset:192
	s_wait_loadcnt 0x14
	scratch_store_b128 off, v[144:147], off offset:208
	v_add_nc_u32_e32 v110, s9, v108
	s_delay_alu instid0(VALU_DEP_1) | instskip(NEXT) | instid1(VALU_DEP_1)
	v_add_nc_u32_e32 v112, s9, v110
	v_add_nc_u32_e32 v114, s9, v112
	s_delay_alu instid0(VALU_DEP_1)
	v_add_nc_u32_e32 v116, s9, v114
	s_clause 0x3
	global_load_b64 v[138:139], v100, s[6:7] scale_offset
	global_load_b64 v[140:141], v102, s[6:7] scale_offset
	;; [unrolled: 1-line block ×4, first 2 shown]
	s_wait_loadcnt 0x16
	scratch_store_b128 off, v[148:151], off offset:224
	v_add_nc_u32_e32 v118, s9, v116
	s_delay_alu instid0(VALU_DEP_1) | instskip(SKIP_3) | instid1(VALU_DEP_1)
	v_add_nc_u32_e32 v120, s9, v118
	s_wait_loadcnt 0x14
	scratch_store_b128 off, v[152:155], off offset:240
	v_add_nc_u32_e32 v122, s9, v120
	v_add_nc_u32_e32 v124, s9, v122
	s_delay_alu instid0(VALU_DEP_1) | instskip(NEXT) | instid1(VALU_DEP_1)
	v_add_nc_u32_e32 v126, s9, v124
	v_add_nc_u32_e32 v128, s9, v126
	s_wait_loadcnt 0x12
	scratch_store_b128 off, v[156:159], off offset:256
	s_wait_loadcnt 0x10
	scratch_store_b128 off, v[160:163], off offset:272
	;; [unrolled: 2-line block ×5, first 2 shown]
	s_clause 0x3
	global_load_b64 v[146:147], v108, s[6:7] scale_offset
	global_load_b64 v[148:149], v110, s[6:7] scale_offset
	;; [unrolled: 1-line block ×4, first 2 shown]
	s_wait_loadcnt 0xc
	scratch_store_b128 off, v[176:179], off offset:336
	s_wait_loadcnt 0xa
	scratch_store_b128 off, v[130:133], off offset:352
	;; [unrolled: 2-line block ×3, first 2 shown]
	s_wait_xcnt 0x1
	v_add_nc_u32_e32 v130, s9, v128
	s_clause 0x3
	global_load_b64 v[132:133], v116, s[6:7] scale_offset
	global_load_b64 v[134:135], v118, s[6:7] scale_offset
	;; [unrolled: 1-line block ×4, first 2 shown]
	s_wait_loadcnt 0xa
	scratch_store_b128 off, v[138:141], off offset:384
	s_wait_loadcnt 0x8
	scratch_store_b128 off, v[142:145], off offset:400
	s_clause 0x3
	global_load_b64 v[136:137], v124, s[6:7] scale_offset
	global_load_b64 v[138:139], v126, s[6:7] scale_offset
	global_load_b64 v[140:141], v128, s[6:7] scale_offset
	global_load_b64 v[142:143], v130, s[6:7] scale_offset
	s_wait_loadcnt 0xa
	scratch_store_b128 off, v[146:149], off offset:416
	s_wait_loadcnt 0x8
	scratch_store_b128 off, v[150:153], off offset:432
	;; [unrolled: 2-line block ×6, first 2 shown]
	s_cbranch_vccz .LBB63_7
; %bb.2:
	scratch_load_b64 v[132:133], v0, off scale_offset
                                        ; implicit-def: $vgpr137
                                        ; implicit-def: $vgpr134
	s_wait_loadcnt 0x0
	v_cmp_ngt_f32_e64 s0, |v132|, |v133|
	s_wait_xcnt 0x0
	s_and_saveexec_b32 s1, s0
	s_delay_alu instid0(SALU_CYCLE_1)
	s_xor_b32 s0, exec_lo, s1
	s_cbranch_execz .LBB63_4
; %bb.3:
	v_div_scale_f32 v1, null, v133, v133, v132
	v_div_scale_f32 v9, vcc_lo, v132, v133, v132
	s_delay_alu instid0(VALU_DEP_2) | instskip(SKIP_1) | instid1(TRANS32_DEP_1)
	v_rcp_f32_e32 v5, v1
	v_nop
	v_fma_f32 v7, -v1, v5, 1.0
	s_delay_alu instid0(VALU_DEP_1) | instskip(NEXT) | instid1(VALU_DEP_1)
	v_fmac_f32_e32 v5, v7, v5
	v_mul_f32_e32 v7, v9, v5
	s_delay_alu instid0(VALU_DEP_1) | instskip(NEXT) | instid1(VALU_DEP_1)
	v_fma_f32 v13, -v1, v7, v9
	v_fmac_f32_e32 v7, v13, v5
	s_delay_alu instid0(VALU_DEP_1) | instskip(NEXT) | instid1(VALU_DEP_1)
	v_fma_f32 v1, -v1, v7, v9
	v_div_fmas_f32 v1, v1, v5, v7
	s_delay_alu instid0(VALU_DEP_1) | instskip(NEXT) | instid1(VALU_DEP_1)
	v_div_fixup_f32 v1, v1, v133, v132
	v_fmac_f32_e32 v133, v132, v1
	s_delay_alu instid0(VALU_DEP_1) | instskip(NEXT) | instid1(VALU_DEP_1)
	v_div_scale_f32 v5, null, v133, v133, -1.0
	v_rcp_f32_e32 v7, v5
	v_nop
	s_delay_alu instid0(TRANS32_DEP_1) | instskip(NEXT) | instid1(VALU_DEP_1)
	v_fma_f32 v9, -v5, v7, 1.0
	v_fmac_f32_e32 v7, v9, v7
	v_div_scale_f32 v9, vcc_lo, -1.0, v133, -1.0
	s_delay_alu instid0(VALU_DEP_1) | instskip(NEXT) | instid1(VALU_DEP_1)
	v_mul_f32_e32 v13, v9, v7
	v_fma_f32 v15, -v5, v13, v9
	s_delay_alu instid0(VALU_DEP_1) | instskip(NEXT) | instid1(VALU_DEP_1)
	v_fmac_f32_e32 v13, v15, v7
	v_fma_f32 v5, -v5, v13, v9
	s_delay_alu instid0(VALU_DEP_1) | instskip(NEXT) | instid1(VALU_DEP_1)
	v_div_fmas_f32 v5, v5, v7, v13
	v_div_fixup_f32 v137, v5, v133, -1.0
                                        ; implicit-def: $vgpr132_vgpr133
	s_delay_alu instid0(VALU_DEP_1) | instskip(NEXT) | instid1(VALU_DEP_1)
	v_mul_f32_e32 v134, v1, v137
	v_xor_b32_e32 v136, 0x80000000, v134
.LBB63_4:
	s_or_saveexec_b32 s0, s0
	v_lshl_add_u32 v1, v0, 3, 0
	s_xor_b32 exec_lo, exec_lo, s0
	s_cbranch_execz .LBB63_6
; %bb.5:
	v_div_scale_f32 v5, null, v132, v132, v133
	v_div_scale_f32 v13, vcc_lo, v133, v132, v133
	s_delay_alu instid0(VALU_DEP_2) | instskip(SKIP_1) | instid1(TRANS32_DEP_1)
	v_rcp_f32_e32 v7, v5
	v_nop
	v_fma_f32 v9, -v5, v7, 1.0
	s_delay_alu instid0(VALU_DEP_1) | instskip(NEXT) | instid1(VALU_DEP_1)
	v_fmac_f32_e32 v7, v9, v7
	v_mul_f32_e32 v9, v13, v7
	s_delay_alu instid0(VALU_DEP_1) | instskip(NEXT) | instid1(VALU_DEP_1)
	v_fma_f32 v15, -v5, v9, v13
	v_fmac_f32_e32 v9, v15, v7
	s_delay_alu instid0(VALU_DEP_1) | instskip(NEXT) | instid1(VALU_DEP_1)
	v_fma_f32 v5, -v5, v9, v13
	v_div_fmas_f32 v5, v5, v7, v9
	s_delay_alu instid0(VALU_DEP_1) | instskip(NEXT) | instid1(VALU_DEP_1)
	v_div_fixup_f32 v5, v5, v132, v133
	v_fmac_f32_e32 v132, v133, v5
	s_delay_alu instid0(VALU_DEP_1) | instskip(SKIP_1) | instid1(VALU_DEP_2)
	v_div_scale_f32 v7, null, v132, v132, 1.0
	v_div_scale_f32 v15, vcc_lo, 1.0, v132, 1.0
	v_rcp_f32_e32 v9, v7
	v_nop
	s_delay_alu instid0(TRANS32_DEP_1) | instskip(NEXT) | instid1(VALU_DEP_1)
	v_fma_f32 v13, -v7, v9, 1.0
	v_fmac_f32_e32 v9, v13, v9
	s_delay_alu instid0(VALU_DEP_1) | instskip(NEXT) | instid1(VALU_DEP_1)
	v_mul_f32_e32 v13, v15, v9
	v_fma_f32 v17, -v7, v13, v15
	s_delay_alu instid0(VALU_DEP_1) | instskip(NEXT) | instid1(VALU_DEP_1)
	v_fmac_f32_e32 v13, v17, v9
	v_fma_f32 v7, -v7, v13, v15
	s_delay_alu instid0(VALU_DEP_1) | instskip(NEXT) | instid1(VALU_DEP_1)
	v_div_fmas_f32 v7, v7, v9, v13
	v_div_fixup_f32 v136, v7, v132, 1.0
	s_delay_alu instid0(VALU_DEP_1)
	v_xor_b32_e32 v134, 0x80000000, v136
	v_mul_f32_e64 v137, v5, -v136
.LBB63_6:
	s_or_b32 exec_lo, exec_lo, s0
	s_delay_alu instid0(VALU_DEP_1)
	v_xor_b32_e32 v135, 0x80000000, v137
	s_mov_b32 s0, 0
	scratch_store_b64 v1, v[136:137], off
	ds_store_b64 v58, v[134:135]
.LBB63_7:
	s_and_b32 vcc_lo, exec_lo, s0
	s_cbranch_vccz .LBB63_9
; %bb.8:
	s_mov_b64 s[0:1], 0xbf800000
	s_wait_xcnt 0x3
	v_mov_b64_e32 v[132:133], s[0:1]
	ds_store_b64 v58, v[132:133]
.LBB63_9:
	v_dual_ashrrev_i32 v5, 31, v4 :: v_dual_ashrrev_i32 v7, 31, v6
	v_dual_ashrrev_i32 v9, 31, v8 :: v_dual_ashrrev_i32 v15, 31, v14
	;; [unrolled: 1-line block ×30, first 2 shown]
	v_dual_ashrrev_i32 v125, 31, v124 :: v_dual_mov_b32 v59, v58
	v_ashrrev_i32_e32 v129, 31, v128
	s_wait_xcnt 0x0
	v_or_b32_e32 v1, 0x200, v58
	s_cmp_eq_u32 s4, 0x79
	s_cbranch_scc1 .LBB63_13
; %bb.10:
	scratch_load_b64 v[132:133], off, off offset:496
	v_cmp_eq_u32_e64 s0, 63, v0
	s_movk_i32 s1, 0x50
	s_movk_i32 s10, 0x60
	;; [unrolled: 1-line block ×26, first 2 shown]
	s_wait_loadcnt 0x0
	ds_store_b64 v1, v[132:133]
	s_wait_storecnt_dscnt 0x0
	s_barrier_signal -1
	s_barrier_wait -1
	s_wait_xcnt 0x0
	s_and_saveexec_b32 s2, s0
	s_cbranch_execz .LBB63_17
; %bb.11:
	s_and_b32 vcc_lo, exec_lo, s3
	s_cbranch_vccz .LBB63_14
; %bb.12:
	scratch_load_b64 v[132:133], v59, off
	ds_load_b64 v[134:135], v1
	s_wait_loadcnt_dscnt 0x0
	v_pk_mul_f32 v[136:137], v[134:135], v[132:133] op_sel:[1,1] op_sel_hi:[0,1]
	v_pk_mul_f32 v[138:139], v[134:135], v[132:133] op_sel_hi:[1,0]
	s_delay_alu instid0(VALU_DEP_2) | instskip(NEXT) | instid1(VALU_DEP_2)
	v_pk_fma_f32 v[132:133], v[134:135], v[132:133], v[136:137] op_sel_hi:[1,0,1]
	v_sub_f32_e32 v132, v138, v136
	s_cbranch_execz .LBB63_15
	s_branch .LBB63_16
.LBB63_13:
	s_mov_b32 s1, 0
                                        ; implicit-def: $vgpr180
                                        ; implicit-def: $sgpr4
	s_cbranch_execnz .LBB63_636
	s_branch .LBB63_1261
.LBB63_14:
                                        ; implicit-def: $vgpr133
.LBB63_15:
	ds_load_b64 v[132:133], v1
.LBB63_16:
	s_wait_dscnt 0x0
	v_dual_mov_b32 v134, 0 :: v_dual_mov_b32 v136, v133
	v_mov_b32_e32 v137, v132
	ds_load_b64 v[134:135], v134 offset:496
	s_wait_dscnt 0x0
	v_pk_mul_f32 v[136:137], v[136:137], v[134:135] op_sel:[0,1]
	s_delay_alu instid0(VALU_DEP_1) | instskip(SKIP_1) | instid1(VALU_DEP_2)
	v_pk_fma_f32 v[138:139], v[132:133], v[134:135], v[136:137] op_sel_hi:[1,0,1]
	v_pk_fma_f32 v[132:133], v[132:133], v[134:135], v[136:137] neg_lo:[0,0,1] neg_hi:[0,0,1]
	v_mov_b32_e32 v133, v139
	scratch_store_b64 off, v[132:133], off offset:496
.LBB63_17:
	s_wait_xcnt 0x0
	s_or_b32 exec_lo, exec_lo, s2
	scratch_load_b64 v[132:133], off, off offset:488
	s_mov_b32 s9, s1
	v_cmp_lt_u32_e64 s1, 61, v0
	s_mov_b32 s4, 16
	s_mov_b32 s5, 32
	s_mov_b32 s2, 48
	s_mov_b32 s8, 64
	s_wait_loadcnt 0x0
	ds_store_b64 v1, v[132:133]
	s_wait_storecnt_dscnt 0x0
	s_barrier_signal -1
	s_barrier_wait -1
	s_wait_xcnt 0x0
	s_and_saveexec_b32 s36, s1
	s_cbranch_execz .LBB63_25
; %bb.18:
	s_and_not1_b32 vcc_lo, exec_lo, s3
	s_cbranch_vccnz .LBB63_20
; %bb.19:
	scratch_load_b64 v[132:133], v59, off
	ds_load_b64 v[134:135], v1
	s_wait_loadcnt_dscnt 0x0
	v_pk_mul_f32 v[136:137], v[134:135], v[132:133] op_sel:[1,1] op_sel_hi:[0,1]
	s_delay_alu instid0(VALU_DEP_1) | instskip(SKIP_1) | instid1(VALU_DEP_2)
	v_pk_fma_f32 v[138:139], v[134:135], v[132:133], v[136:137] op_sel_hi:[1,0,1]
	v_pk_fma_f32 v[132:133], v[134:135], v[132:133], v[136:137] neg_lo:[0,0,1] neg_hi:[0,0,1]
	v_mov_b32_e32 v133, v139
	s_cbranch_execz .LBB63_21
	s_branch .LBB63_22
.LBB63_20:
                                        ; implicit-def: $vgpr132_vgpr133
.LBB63_21:
	ds_load_b64 v[132:133], v1
.LBB63_22:
	s_and_saveexec_b32 s37, s0
	s_cbranch_execz .LBB63_24
; %bb.23:
	scratch_load_b64 v[134:135], off, off offset:496
	v_mov_b32_e32 v136, 0
	ds_load_b64 v[136:137], v136 offset:1008
	s_wait_loadcnt_dscnt 0x0
	v_pk_mul_f32 v[138:139], v[136:137], v[134:135] op_sel:[1,1] op_sel_hi:[0,1]
	s_delay_alu instid0(VALU_DEP_1) | instskip(SKIP_1) | instid1(VALU_DEP_2)
	v_pk_fma_f32 v[140:141], v[136:137], v[134:135], v[138:139] op_sel_hi:[1,0,1]
	v_pk_fma_f32 v[134:135], v[136:137], v[134:135], v[138:139] neg_lo:[0,0,1] neg_hi:[0,0,1]
	v_mov_b32_e32 v135, v141
	s_delay_alu instid0(VALU_DEP_1)
	v_pk_add_f32 v[132:133], v[132:133], v[134:135]
.LBB63_24:
	s_or_b32 exec_lo, exec_lo, s37
	v_mov_b32_e32 v134, 0
	ds_load_b64 v[134:135], v134 offset:488
	s_wait_dscnt 0x0
	v_pk_mul_f32 v[136:137], v[132:133], v[134:135] op_sel:[1,1] op_sel_hi:[0,1]
	s_delay_alu instid0(VALU_DEP_1) | instskip(SKIP_1) | instid1(VALU_DEP_2)
	v_pk_fma_f32 v[138:139], v[132:133], v[134:135], v[136:137] op_sel_hi:[1,0,1]
	v_pk_fma_f32 v[132:133], v[132:133], v[134:135], v[136:137] neg_lo:[0,0,1] neg_hi:[0,0,1]
	v_mov_b32_e32 v133, v139
	scratch_store_b64 off, v[132:133], off offset:488
.LBB63_25:
	s_wait_xcnt 0x0
	s_or_b32 exec_lo, exec_lo, s36
	scratch_load_b64 v[132:133], off, off offset:480
	v_cmp_lt_u32_e64 s0, 60, v0
	s_wait_loadcnt 0x0
	ds_store_b64 v1, v[132:133]
	s_wait_storecnt_dscnt 0x0
	s_barrier_signal -1
	s_barrier_wait -1
	s_wait_xcnt 0x0
	s_and_saveexec_b32 s36, s0
	s_cbranch_execz .LBB63_35
; %bb.26:
	s_and_not1_b32 vcc_lo, exec_lo, s3
	s_cbranch_vccnz .LBB63_28
; %bb.27:
	scratch_load_b64 v[132:133], v59, off
	ds_load_b64 v[134:135], v1
	s_wait_loadcnt_dscnt 0x0
	v_pk_mul_f32 v[136:137], v[134:135], v[132:133] op_sel:[1,1] op_sel_hi:[0,1]
	s_delay_alu instid0(VALU_DEP_1) | instskip(SKIP_1) | instid1(VALU_DEP_2)
	v_pk_fma_f32 v[138:139], v[134:135], v[132:133], v[136:137] op_sel_hi:[1,0,1]
	v_pk_fma_f32 v[132:133], v[134:135], v[132:133], v[136:137] neg_lo:[0,0,1] neg_hi:[0,0,1]
	v_mov_b32_e32 v133, v139
	s_cbranch_execz .LBB63_29
	s_branch .LBB63_30
.LBB63_28:
                                        ; implicit-def: $vgpr132_vgpr133
.LBB63_29:
	ds_load_b64 v[132:133], v1
.LBB63_30:
	s_and_saveexec_b32 s37, s1
	s_cbranch_execz .LBB63_34
; %bb.31:
	v_subrev_nc_u32_e32 v134, 61, v0
	s_movk_i32 s1, 0x1e8
	s_movk_i32 s39, 0x3e8
	s_mov_b32 s38, 0
.LBB63_32:                              ; =>This Inner Loop Header: Depth=1
	scratch_load_b64 v[136:137], off, s1
	v_dual_mov_b32 v135, s39 :: v_dual_add_nc_u32 v134, -1, v134
	s_add_co_i32 s39, s39, 8
	s_wait_xcnt 0x0
	s_add_co_i32 s1, s1, 8
	ds_load_b64 v[138:139], v135
	v_cmp_eq_u32_e32 vcc_lo, 0, v134
	s_or_b32 s38, vcc_lo, s38
	s_wait_loadcnt_dscnt 0x0
	v_pk_mul_f32 v[140:141], v[138:139], v[136:137] op_sel:[1,1] op_sel_hi:[0,1]
	s_delay_alu instid0(VALU_DEP_1) | instskip(SKIP_1) | instid1(VALU_DEP_2)
	v_pk_fma_f32 v[142:143], v[138:139], v[136:137], v[140:141] op_sel_hi:[1,0,1]
	v_pk_fma_f32 v[136:137], v[138:139], v[136:137], v[140:141] neg_lo:[0,0,1] neg_hi:[0,0,1]
	v_mov_b32_e32 v137, v143
	s_delay_alu instid0(VALU_DEP_1)
	v_pk_add_f32 v[132:133], v[132:133], v[136:137]
	s_and_not1_b32 exec_lo, exec_lo, s38
	s_cbranch_execnz .LBB63_32
; %bb.33:
	s_or_b32 exec_lo, exec_lo, s38
.LBB63_34:
	s_delay_alu instid0(SALU_CYCLE_1) | instskip(SKIP_4) | instid1(VALU_DEP_1)
	s_or_b32 exec_lo, exec_lo, s37
	v_mov_b32_e32 v134, 0
	ds_load_b64 v[134:135], v134 offset:480
	s_wait_dscnt 0x0
	v_pk_mul_f32 v[136:137], v[132:133], v[134:135] op_sel:[1,1] op_sel_hi:[0,1]
	v_pk_fma_f32 v[138:139], v[132:133], v[134:135], v[136:137] op_sel_hi:[1,0,1]
	v_pk_fma_f32 v[132:133], v[132:133], v[134:135], v[136:137] neg_lo:[0,0,1] neg_hi:[0,0,1]
	s_delay_alu instid0(VALU_DEP_2)
	v_mov_b32_e32 v133, v139
	scratch_store_b64 off, v[132:133], off offset:480
.LBB63_35:
	s_wait_xcnt 0x0
	s_or_b32 exec_lo, exec_lo, s36
	scratch_load_b64 v[132:133], off, off offset:472
	v_cmp_lt_u32_e64 s1, 59, v0
	s_wait_loadcnt 0x0
	ds_store_b64 v1, v[132:133]
	s_wait_storecnt_dscnt 0x0
	s_barrier_signal -1
	s_barrier_wait -1
	s_wait_xcnt 0x0
	s_and_saveexec_b32 s36, s1
	s_cbranch_execz .LBB63_45
; %bb.36:
	s_and_not1_b32 vcc_lo, exec_lo, s3
	s_cbranch_vccnz .LBB63_38
; %bb.37:
	scratch_load_b64 v[132:133], v59, off
	ds_load_b64 v[134:135], v1
	s_wait_loadcnt_dscnt 0x0
	v_pk_mul_f32 v[136:137], v[134:135], v[132:133] op_sel:[1,1] op_sel_hi:[0,1]
	s_delay_alu instid0(VALU_DEP_1) | instskip(SKIP_1) | instid1(VALU_DEP_2)
	v_pk_fma_f32 v[138:139], v[134:135], v[132:133], v[136:137] op_sel_hi:[1,0,1]
	v_pk_fma_f32 v[132:133], v[134:135], v[132:133], v[136:137] neg_lo:[0,0,1] neg_hi:[0,0,1]
	v_mov_b32_e32 v133, v139
	s_cbranch_execz .LBB63_39
	s_branch .LBB63_40
.LBB63_38:
                                        ; implicit-def: $vgpr132_vgpr133
.LBB63_39:
	ds_load_b64 v[132:133], v1
.LBB63_40:
	s_and_saveexec_b32 s37, s0
	s_cbranch_execz .LBB63_44
; %bb.41:
	v_subrev_nc_u32_e32 v134, 60, v0
	s_movk_i32 s38, 0x3e0
	s_mov_b32 s0, 0
.LBB63_42:                              ; =>This Inner Loop Header: Depth=1
	scratch_load_b64 v[136:137], off, s35
	v_dual_mov_b32 v135, s38 :: v_dual_add_nc_u32 v134, -1, v134
	s_add_co_i32 s38, s38, 8
	s_wait_xcnt 0x0
	s_add_co_i32 s35, s35, 8
	ds_load_b64 v[138:139], v135
	v_cmp_eq_u32_e32 vcc_lo, 0, v134
	s_or_b32 s0, vcc_lo, s0
	s_wait_loadcnt_dscnt 0x0
	v_pk_mul_f32 v[140:141], v[138:139], v[136:137] op_sel:[1,1] op_sel_hi:[0,1]
	s_delay_alu instid0(VALU_DEP_1) | instskip(SKIP_1) | instid1(VALU_DEP_2)
	v_pk_fma_f32 v[142:143], v[138:139], v[136:137], v[140:141] op_sel_hi:[1,0,1]
	v_pk_fma_f32 v[136:137], v[138:139], v[136:137], v[140:141] neg_lo:[0,0,1] neg_hi:[0,0,1]
	v_mov_b32_e32 v137, v143
	s_delay_alu instid0(VALU_DEP_1)
	v_pk_add_f32 v[132:133], v[132:133], v[136:137]
	s_and_not1_b32 exec_lo, exec_lo, s0
	s_cbranch_execnz .LBB63_42
; %bb.43:
	s_or_b32 exec_lo, exec_lo, s0
.LBB63_44:
	s_delay_alu instid0(SALU_CYCLE_1) | instskip(SKIP_4) | instid1(VALU_DEP_1)
	s_or_b32 exec_lo, exec_lo, s37
	v_mov_b32_e32 v134, 0
	ds_load_b64 v[134:135], v134 offset:472
	s_wait_dscnt 0x0
	v_pk_mul_f32 v[136:137], v[132:133], v[134:135] op_sel:[1,1] op_sel_hi:[0,1]
	v_pk_fma_f32 v[138:139], v[132:133], v[134:135], v[136:137] op_sel_hi:[1,0,1]
	v_pk_fma_f32 v[132:133], v[132:133], v[134:135], v[136:137] neg_lo:[0,0,1] neg_hi:[0,0,1]
	s_delay_alu instid0(VALU_DEP_2)
	v_mov_b32_e32 v133, v139
	scratch_store_b64 off, v[132:133], off offset:472
.LBB63_45:
	s_wait_xcnt 0x0
	s_or_b32 exec_lo, exec_lo, s36
	scratch_load_b64 v[132:133], off, off offset:464
	v_cmp_lt_u32_e64 s0, 58, v0
	s_wait_loadcnt 0x0
	ds_store_b64 v1, v[132:133]
	s_wait_storecnt_dscnt 0x0
	s_barrier_signal -1
	s_barrier_wait -1
	s_wait_xcnt 0x0
	s_and_saveexec_b32 s35, s0
	s_cbranch_execz .LBB63_55
; %bb.46:
	s_and_not1_b32 vcc_lo, exec_lo, s3
	s_cbranch_vccnz .LBB63_48
; %bb.47:
	scratch_load_b64 v[132:133], v59, off
	ds_load_b64 v[134:135], v1
	s_wait_loadcnt_dscnt 0x0
	v_pk_mul_f32 v[136:137], v[134:135], v[132:133] op_sel:[1,1] op_sel_hi:[0,1]
	s_delay_alu instid0(VALU_DEP_1) | instskip(SKIP_1) | instid1(VALU_DEP_2)
	v_pk_fma_f32 v[138:139], v[134:135], v[132:133], v[136:137] op_sel_hi:[1,0,1]
	v_pk_fma_f32 v[132:133], v[134:135], v[132:133], v[136:137] neg_lo:[0,0,1] neg_hi:[0,0,1]
	v_mov_b32_e32 v133, v139
	s_cbranch_execz .LBB63_49
	s_branch .LBB63_50
.LBB63_48:
                                        ; implicit-def: $vgpr132_vgpr133
.LBB63_49:
	ds_load_b64 v[132:133], v1
.LBB63_50:
	s_and_saveexec_b32 s36, s1
	s_cbranch_execz .LBB63_54
; %bb.51:
	v_subrev_nc_u32_e32 v134, 59, v0
	s_movk_i32 s1, 0x1d8
	s_movk_i32 s38, 0x3d8
	s_mov_b32 s37, 0
.LBB63_52:                              ; =>This Inner Loop Header: Depth=1
	scratch_load_b64 v[136:137], off, s1
	v_dual_mov_b32 v135, s38 :: v_dual_add_nc_u32 v134, -1, v134
	s_add_co_i32 s38, s38, 8
	s_wait_xcnt 0x0
	s_add_co_i32 s1, s1, 8
	ds_load_b64 v[138:139], v135
	v_cmp_eq_u32_e32 vcc_lo, 0, v134
	s_or_b32 s37, vcc_lo, s37
	s_wait_loadcnt_dscnt 0x0
	v_pk_mul_f32 v[140:141], v[138:139], v[136:137] op_sel:[1,1] op_sel_hi:[0,1]
	s_delay_alu instid0(VALU_DEP_1) | instskip(SKIP_1) | instid1(VALU_DEP_2)
	v_pk_fma_f32 v[142:143], v[138:139], v[136:137], v[140:141] op_sel_hi:[1,0,1]
	v_pk_fma_f32 v[136:137], v[138:139], v[136:137], v[140:141] neg_lo:[0,0,1] neg_hi:[0,0,1]
	v_mov_b32_e32 v137, v143
	s_delay_alu instid0(VALU_DEP_1)
	v_pk_add_f32 v[132:133], v[132:133], v[136:137]
	s_and_not1_b32 exec_lo, exec_lo, s37
	s_cbranch_execnz .LBB63_52
; %bb.53:
	s_or_b32 exec_lo, exec_lo, s37
.LBB63_54:
	s_delay_alu instid0(SALU_CYCLE_1) | instskip(SKIP_4) | instid1(VALU_DEP_1)
	s_or_b32 exec_lo, exec_lo, s36
	v_mov_b32_e32 v134, 0
	ds_load_b64 v[134:135], v134 offset:464
	s_wait_dscnt 0x0
	v_pk_mul_f32 v[136:137], v[132:133], v[134:135] op_sel:[1,1] op_sel_hi:[0,1]
	v_pk_fma_f32 v[138:139], v[132:133], v[134:135], v[136:137] op_sel_hi:[1,0,1]
	v_pk_fma_f32 v[132:133], v[132:133], v[134:135], v[136:137] neg_lo:[0,0,1] neg_hi:[0,0,1]
	s_delay_alu instid0(VALU_DEP_2)
	v_mov_b32_e32 v133, v139
	scratch_store_b64 off, v[132:133], off offset:464
.LBB63_55:
	s_wait_xcnt 0x0
	s_or_b32 exec_lo, exec_lo, s35
	scratch_load_b64 v[132:133], off, off offset:456
	v_cmp_lt_u32_e64 s1, 57, v0
	s_wait_loadcnt 0x0
	ds_store_b64 v1, v[132:133]
	s_wait_storecnt_dscnt 0x0
	s_barrier_signal -1
	s_barrier_wait -1
	s_wait_xcnt 0x0
	s_and_saveexec_b32 s35, s1
	s_cbranch_execz .LBB63_65
; %bb.56:
	s_and_not1_b32 vcc_lo, exec_lo, s3
	s_cbranch_vccnz .LBB63_58
; %bb.57:
	scratch_load_b64 v[132:133], v59, off
	ds_load_b64 v[134:135], v1
	s_wait_loadcnt_dscnt 0x0
	v_pk_mul_f32 v[136:137], v[134:135], v[132:133] op_sel:[1,1] op_sel_hi:[0,1]
	s_delay_alu instid0(VALU_DEP_1) | instskip(SKIP_1) | instid1(VALU_DEP_2)
	v_pk_fma_f32 v[138:139], v[134:135], v[132:133], v[136:137] op_sel_hi:[1,0,1]
	v_pk_fma_f32 v[132:133], v[134:135], v[132:133], v[136:137] neg_lo:[0,0,1] neg_hi:[0,0,1]
	v_mov_b32_e32 v133, v139
	s_cbranch_execz .LBB63_59
	s_branch .LBB63_60
.LBB63_58:
                                        ; implicit-def: $vgpr132_vgpr133
.LBB63_59:
	ds_load_b64 v[132:133], v1
.LBB63_60:
	s_and_saveexec_b32 s36, s0
	s_cbranch_execz .LBB63_64
; %bb.61:
	v_subrev_nc_u32_e32 v134, 58, v0
	s_movk_i32 s37, 0x3d0
	s_mov_b32 s0, 0
.LBB63_62:                              ; =>This Inner Loop Header: Depth=1
	scratch_load_b64 v[136:137], off, s34
	v_dual_mov_b32 v135, s37 :: v_dual_add_nc_u32 v134, -1, v134
	s_add_co_i32 s37, s37, 8
	s_wait_xcnt 0x0
	s_add_co_i32 s34, s34, 8
	ds_load_b64 v[138:139], v135
	v_cmp_eq_u32_e32 vcc_lo, 0, v134
	s_or_b32 s0, vcc_lo, s0
	s_wait_loadcnt_dscnt 0x0
	v_pk_mul_f32 v[140:141], v[138:139], v[136:137] op_sel:[1,1] op_sel_hi:[0,1]
	s_delay_alu instid0(VALU_DEP_1) | instskip(SKIP_1) | instid1(VALU_DEP_2)
	v_pk_fma_f32 v[142:143], v[138:139], v[136:137], v[140:141] op_sel_hi:[1,0,1]
	v_pk_fma_f32 v[136:137], v[138:139], v[136:137], v[140:141] neg_lo:[0,0,1] neg_hi:[0,0,1]
	v_mov_b32_e32 v137, v143
	s_delay_alu instid0(VALU_DEP_1)
	v_pk_add_f32 v[132:133], v[132:133], v[136:137]
	s_and_not1_b32 exec_lo, exec_lo, s0
	s_cbranch_execnz .LBB63_62
; %bb.63:
	s_or_b32 exec_lo, exec_lo, s0
.LBB63_64:
	s_delay_alu instid0(SALU_CYCLE_1) | instskip(SKIP_4) | instid1(VALU_DEP_1)
	s_or_b32 exec_lo, exec_lo, s36
	v_mov_b32_e32 v134, 0
	ds_load_b64 v[134:135], v134 offset:456
	s_wait_dscnt 0x0
	v_pk_mul_f32 v[136:137], v[132:133], v[134:135] op_sel:[1,1] op_sel_hi:[0,1]
	v_pk_fma_f32 v[138:139], v[132:133], v[134:135], v[136:137] op_sel_hi:[1,0,1]
	v_pk_fma_f32 v[132:133], v[132:133], v[134:135], v[136:137] neg_lo:[0,0,1] neg_hi:[0,0,1]
	s_delay_alu instid0(VALU_DEP_2)
	v_mov_b32_e32 v133, v139
	scratch_store_b64 off, v[132:133], off offset:456
.LBB63_65:
	s_wait_xcnt 0x0
	s_or_b32 exec_lo, exec_lo, s35
	scratch_load_b64 v[132:133], off, off offset:448
	v_cmp_lt_u32_e64 s0, 56, v0
	s_wait_loadcnt 0x0
	ds_store_b64 v1, v[132:133]
	s_wait_storecnt_dscnt 0x0
	s_barrier_signal -1
	s_barrier_wait -1
	s_wait_xcnt 0x0
	s_and_saveexec_b32 s34, s0
	s_cbranch_execz .LBB63_75
; %bb.66:
	s_and_not1_b32 vcc_lo, exec_lo, s3
	s_cbranch_vccnz .LBB63_68
; %bb.67:
	scratch_load_b64 v[132:133], v59, off
	ds_load_b64 v[134:135], v1
	s_wait_loadcnt_dscnt 0x0
	v_pk_mul_f32 v[136:137], v[134:135], v[132:133] op_sel:[1,1] op_sel_hi:[0,1]
	s_delay_alu instid0(VALU_DEP_1) | instskip(SKIP_1) | instid1(VALU_DEP_2)
	v_pk_fma_f32 v[138:139], v[134:135], v[132:133], v[136:137] op_sel_hi:[1,0,1]
	v_pk_fma_f32 v[132:133], v[134:135], v[132:133], v[136:137] neg_lo:[0,0,1] neg_hi:[0,0,1]
	v_mov_b32_e32 v133, v139
	s_cbranch_execz .LBB63_69
	s_branch .LBB63_70
.LBB63_68:
                                        ; implicit-def: $vgpr132_vgpr133
.LBB63_69:
	ds_load_b64 v[132:133], v1
.LBB63_70:
	s_and_saveexec_b32 s35, s1
	s_cbranch_execz .LBB63_74
; %bb.71:
	v_subrev_nc_u32_e32 v134, 57, v0
	s_movk_i32 s1, 0x1c8
	s_movk_i32 s37, 0x3c8
	s_mov_b32 s36, 0
.LBB63_72:                              ; =>This Inner Loop Header: Depth=1
	scratch_load_b64 v[136:137], off, s1
	v_dual_mov_b32 v135, s37 :: v_dual_add_nc_u32 v134, -1, v134
	s_add_co_i32 s37, s37, 8
	s_wait_xcnt 0x0
	s_add_co_i32 s1, s1, 8
	ds_load_b64 v[138:139], v135
	v_cmp_eq_u32_e32 vcc_lo, 0, v134
	s_or_b32 s36, vcc_lo, s36
	s_wait_loadcnt_dscnt 0x0
	v_pk_mul_f32 v[140:141], v[138:139], v[136:137] op_sel:[1,1] op_sel_hi:[0,1]
	s_delay_alu instid0(VALU_DEP_1) | instskip(SKIP_1) | instid1(VALU_DEP_2)
	v_pk_fma_f32 v[142:143], v[138:139], v[136:137], v[140:141] op_sel_hi:[1,0,1]
	v_pk_fma_f32 v[136:137], v[138:139], v[136:137], v[140:141] neg_lo:[0,0,1] neg_hi:[0,0,1]
	v_mov_b32_e32 v137, v143
	s_delay_alu instid0(VALU_DEP_1)
	v_pk_add_f32 v[132:133], v[132:133], v[136:137]
	s_and_not1_b32 exec_lo, exec_lo, s36
	s_cbranch_execnz .LBB63_72
; %bb.73:
	s_or_b32 exec_lo, exec_lo, s36
.LBB63_74:
	s_delay_alu instid0(SALU_CYCLE_1) | instskip(SKIP_4) | instid1(VALU_DEP_1)
	s_or_b32 exec_lo, exec_lo, s35
	v_mov_b32_e32 v134, 0
	ds_load_b64 v[134:135], v134 offset:448
	s_wait_dscnt 0x0
	v_pk_mul_f32 v[136:137], v[132:133], v[134:135] op_sel:[1,1] op_sel_hi:[0,1]
	v_pk_fma_f32 v[138:139], v[132:133], v[134:135], v[136:137] op_sel_hi:[1,0,1]
	v_pk_fma_f32 v[132:133], v[132:133], v[134:135], v[136:137] neg_lo:[0,0,1] neg_hi:[0,0,1]
	s_delay_alu instid0(VALU_DEP_2)
	v_mov_b32_e32 v133, v139
	scratch_store_b64 off, v[132:133], off offset:448
.LBB63_75:
	s_wait_xcnt 0x0
	s_or_b32 exec_lo, exec_lo, s34
	scratch_load_b64 v[132:133], off, off offset:440
	v_cmp_lt_u32_e64 s1, 55, v0
	s_wait_loadcnt 0x0
	ds_store_b64 v1, v[132:133]
	s_wait_storecnt_dscnt 0x0
	s_barrier_signal -1
	s_barrier_wait -1
	s_wait_xcnt 0x0
	s_and_saveexec_b32 s34, s1
	s_cbranch_execz .LBB63_85
; %bb.76:
	s_and_not1_b32 vcc_lo, exec_lo, s3
	s_cbranch_vccnz .LBB63_78
; %bb.77:
	scratch_load_b64 v[132:133], v59, off
	ds_load_b64 v[134:135], v1
	s_wait_loadcnt_dscnt 0x0
	v_pk_mul_f32 v[136:137], v[134:135], v[132:133] op_sel:[1,1] op_sel_hi:[0,1]
	s_delay_alu instid0(VALU_DEP_1) | instskip(SKIP_1) | instid1(VALU_DEP_2)
	v_pk_fma_f32 v[138:139], v[134:135], v[132:133], v[136:137] op_sel_hi:[1,0,1]
	v_pk_fma_f32 v[132:133], v[134:135], v[132:133], v[136:137] neg_lo:[0,0,1] neg_hi:[0,0,1]
	v_mov_b32_e32 v133, v139
	s_cbranch_execz .LBB63_79
	s_branch .LBB63_80
.LBB63_78:
                                        ; implicit-def: $vgpr132_vgpr133
.LBB63_79:
	ds_load_b64 v[132:133], v1
.LBB63_80:
	s_and_saveexec_b32 s35, s0
	s_cbranch_execz .LBB63_84
; %bb.81:
	v_subrev_nc_u32_e32 v134, 56, v0
	s_movk_i32 s36, 0x3c0
	s_mov_b32 s0, 0
.LBB63_82:                              ; =>This Inner Loop Header: Depth=1
	scratch_load_b64 v[136:137], off, s33
	v_dual_mov_b32 v135, s36 :: v_dual_add_nc_u32 v134, -1, v134
	s_add_co_i32 s36, s36, 8
	s_wait_xcnt 0x0
	s_add_co_i32 s33, s33, 8
	ds_load_b64 v[138:139], v135
	v_cmp_eq_u32_e32 vcc_lo, 0, v134
	s_or_b32 s0, vcc_lo, s0
	s_wait_loadcnt_dscnt 0x0
	v_pk_mul_f32 v[140:141], v[138:139], v[136:137] op_sel:[1,1] op_sel_hi:[0,1]
	s_delay_alu instid0(VALU_DEP_1) | instskip(SKIP_1) | instid1(VALU_DEP_2)
	v_pk_fma_f32 v[142:143], v[138:139], v[136:137], v[140:141] op_sel_hi:[1,0,1]
	v_pk_fma_f32 v[136:137], v[138:139], v[136:137], v[140:141] neg_lo:[0,0,1] neg_hi:[0,0,1]
	v_mov_b32_e32 v137, v143
	s_delay_alu instid0(VALU_DEP_1)
	v_pk_add_f32 v[132:133], v[132:133], v[136:137]
	s_and_not1_b32 exec_lo, exec_lo, s0
	s_cbranch_execnz .LBB63_82
; %bb.83:
	s_or_b32 exec_lo, exec_lo, s0
.LBB63_84:
	s_delay_alu instid0(SALU_CYCLE_1) | instskip(SKIP_4) | instid1(VALU_DEP_1)
	s_or_b32 exec_lo, exec_lo, s35
	v_mov_b32_e32 v134, 0
	ds_load_b64 v[134:135], v134 offset:440
	s_wait_dscnt 0x0
	v_pk_mul_f32 v[136:137], v[132:133], v[134:135] op_sel:[1,1] op_sel_hi:[0,1]
	v_pk_fma_f32 v[138:139], v[132:133], v[134:135], v[136:137] op_sel_hi:[1,0,1]
	v_pk_fma_f32 v[132:133], v[132:133], v[134:135], v[136:137] neg_lo:[0,0,1] neg_hi:[0,0,1]
	s_delay_alu instid0(VALU_DEP_2)
	v_mov_b32_e32 v133, v139
	scratch_store_b64 off, v[132:133], off offset:440
.LBB63_85:
	s_wait_xcnt 0x0
	s_or_b32 exec_lo, exec_lo, s34
	scratch_load_b64 v[132:133], off, off offset:432
	v_cmp_lt_u32_e64 s0, 54, v0
	s_wait_loadcnt 0x0
	ds_store_b64 v1, v[132:133]
	s_wait_storecnt_dscnt 0x0
	s_barrier_signal -1
	s_barrier_wait -1
	s_wait_xcnt 0x0
	s_and_saveexec_b32 s33, s0
	s_cbranch_execz .LBB63_95
; %bb.86:
	s_and_not1_b32 vcc_lo, exec_lo, s3
	s_cbranch_vccnz .LBB63_88
; %bb.87:
	scratch_load_b64 v[132:133], v59, off
	ds_load_b64 v[134:135], v1
	s_wait_loadcnt_dscnt 0x0
	v_pk_mul_f32 v[136:137], v[134:135], v[132:133] op_sel:[1,1] op_sel_hi:[0,1]
	s_delay_alu instid0(VALU_DEP_1) | instskip(SKIP_1) | instid1(VALU_DEP_2)
	v_pk_fma_f32 v[138:139], v[134:135], v[132:133], v[136:137] op_sel_hi:[1,0,1]
	v_pk_fma_f32 v[132:133], v[134:135], v[132:133], v[136:137] neg_lo:[0,0,1] neg_hi:[0,0,1]
	v_mov_b32_e32 v133, v139
	s_cbranch_execz .LBB63_89
	s_branch .LBB63_90
.LBB63_88:
                                        ; implicit-def: $vgpr132_vgpr133
.LBB63_89:
	ds_load_b64 v[132:133], v1
.LBB63_90:
	s_and_saveexec_b32 s34, s1
	s_cbranch_execz .LBB63_94
; %bb.91:
	v_subrev_nc_u32_e32 v134, 55, v0
	s_movk_i32 s1, 0x1b8
	s_movk_i32 s36, 0x3b8
	s_mov_b32 s35, 0
.LBB63_92:                              ; =>This Inner Loop Header: Depth=1
	scratch_load_b64 v[136:137], off, s1
	v_dual_mov_b32 v135, s36 :: v_dual_add_nc_u32 v134, -1, v134
	s_add_co_i32 s36, s36, 8
	s_wait_xcnt 0x0
	s_add_co_i32 s1, s1, 8
	ds_load_b64 v[138:139], v135
	v_cmp_eq_u32_e32 vcc_lo, 0, v134
	s_or_b32 s35, vcc_lo, s35
	s_wait_loadcnt_dscnt 0x0
	v_pk_mul_f32 v[140:141], v[138:139], v[136:137] op_sel:[1,1] op_sel_hi:[0,1]
	s_delay_alu instid0(VALU_DEP_1) | instskip(SKIP_1) | instid1(VALU_DEP_2)
	v_pk_fma_f32 v[142:143], v[138:139], v[136:137], v[140:141] op_sel_hi:[1,0,1]
	v_pk_fma_f32 v[136:137], v[138:139], v[136:137], v[140:141] neg_lo:[0,0,1] neg_hi:[0,0,1]
	v_mov_b32_e32 v137, v143
	s_delay_alu instid0(VALU_DEP_1)
	v_pk_add_f32 v[132:133], v[132:133], v[136:137]
	s_and_not1_b32 exec_lo, exec_lo, s35
	s_cbranch_execnz .LBB63_92
; %bb.93:
	s_or_b32 exec_lo, exec_lo, s35
.LBB63_94:
	s_delay_alu instid0(SALU_CYCLE_1) | instskip(SKIP_4) | instid1(VALU_DEP_1)
	s_or_b32 exec_lo, exec_lo, s34
	v_mov_b32_e32 v134, 0
	ds_load_b64 v[134:135], v134 offset:432
	s_wait_dscnt 0x0
	v_pk_mul_f32 v[136:137], v[132:133], v[134:135] op_sel:[1,1] op_sel_hi:[0,1]
	v_pk_fma_f32 v[138:139], v[132:133], v[134:135], v[136:137] op_sel_hi:[1,0,1]
	v_pk_fma_f32 v[132:133], v[132:133], v[134:135], v[136:137] neg_lo:[0,0,1] neg_hi:[0,0,1]
	s_delay_alu instid0(VALU_DEP_2)
	v_mov_b32_e32 v133, v139
	scratch_store_b64 off, v[132:133], off offset:432
.LBB63_95:
	s_wait_xcnt 0x0
	s_or_b32 exec_lo, exec_lo, s33
	scratch_load_b64 v[132:133], off, off offset:424
	v_cmp_lt_u32_e64 s1, 53, v0
	s_wait_loadcnt 0x0
	ds_store_b64 v1, v[132:133]
	s_wait_storecnt_dscnt 0x0
	s_barrier_signal -1
	s_barrier_wait -1
	s_wait_xcnt 0x0
	s_and_saveexec_b32 s33, s1
	s_cbranch_execz .LBB63_105
; %bb.96:
	s_and_not1_b32 vcc_lo, exec_lo, s3
	s_cbranch_vccnz .LBB63_98
; %bb.97:
	scratch_load_b64 v[132:133], v59, off
	ds_load_b64 v[134:135], v1
	s_wait_loadcnt_dscnt 0x0
	v_pk_mul_f32 v[136:137], v[134:135], v[132:133] op_sel:[1,1] op_sel_hi:[0,1]
	s_delay_alu instid0(VALU_DEP_1) | instskip(SKIP_1) | instid1(VALU_DEP_2)
	v_pk_fma_f32 v[138:139], v[134:135], v[132:133], v[136:137] op_sel_hi:[1,0,1]
	v_pk_fma_f32 v[132:133], v[134:135], v[132:133], v[136:137] neg_lo:[0,0,1] neg_hi:[0,0,1]
	v_mov_b32_e32 v133, v139
	s_cbranch_execz .LBB63_99
	s_branch .LBB63_100
.LBB63_98:
                                        ; implicit-def: $vgpr132_vgpr133
.LBB63_99:
	ds_load_b64 v[132:133], v1
.LBB63_100:
	s_and_saveexec_b32 s34, s0
	s_cbranch_execz .LBB63_104
; %bb.101:
	v_subrev_nc_u32_e32 v134, 54, v0
	s_movk_i32 s35, 0x3b0
	s_mov_b32 s0, 0
.LBB63_102:                             ; =>This Inner Loop Header: Depth=1
	scratch_load_b64 v[136:137], off, s31
	v_dual_mov_b32 v135, s35 :: v_dual_add_nc_u32 v134, -1, v134
	s_add_co_i32 s35, s35, 8
	s_wait_xcnt 0x0
	s_add_co_i32 s31, s31, 8
	ds_load_b64 v[138:139], v135
	v_cmp_eq_u32_e32 vcc_lo, 0, v134
	s_or_b32 s0, vcc_lo, s0
	s_wait_loadcnt_dscnt 0x0
	v_pk_mul_f32 v[140:141], v[138:139], v[136:137] op_sel:[1,1] op_sel_hi:[0,1]
	s_delay_alu instid0(VALU_DEP_1) | instskip(SKIP_1) | instid1(VALU_DEP_2)
	v_pk_fma_f32 v[142:143], v[138:139], v[136:137], v[140:141] op_sel_hi:[1,0,1]
	v_pk_fma_f32 v[136:137], v[138:139], v[136:137], v[140:141] neg_lo:[0,0,1] neg_hi:[0,0,1]
	v_mov_b32_e32 v137, v143
	s_delay_alu instid0(VALU_DEP_1)
	v_pk_add_f32 v[132:133], v[132:133], v[136:137]
	s_and_not1_b32 exec_lo, exec_lo, s0
	s_cbranch_execnz .LBB63_102
; %bb.103:
	s_or_b32 exec_lo, exec_lo, s0
.LBB63_104:
	s_delay_alu instid0(SALU_CYCLE_1) | instskip(SKIP_4) | instid1(VALU_DEP_1)
	s_or_b32 exec_lo, exec_lo, s34
	v_mov_b32_e32 v134, 0
	ds_load_b64 v[134:135], v134 offset:424
	s_wait_dscnt 0x0
	v_pk_mul_f32 v[136:137], v[132:133], v[134:135] op_sel:[1,1] op_sel_hi:[0,1]
	v_pk_fma_f32 v[138:139], v[132:133], v[134:135], v[136:137] op_sel_hi:[1,0,1]
	v_pk_fma_f32 v[132:133], v[132:133], v[134:135], v[136:137] neg_lo:[0,0,1] neg_hi:[0,0,1]
	s_delay_alu instid0(VALU_DEP_2)
	v_mov_b32_e32 v133, v139
	scratch_store_b64 off, v[132:133], off offset:424
.LBB63_105:
	s_wait_xcnt 0x0
	s_or_b32 exec_lo, exec_lo, s33
	scratch_load_b64 v[132:133], off, off offset:416
	v_cmp_lt_u32_e64 s0, 52, v0
	s_wait_loadcnt 0x0
	ds_store_b64 v1, v[132:133]
	s_wait_storecnt_dscnt 0x0
	s_barrier_signal -1
	s_barrier_wait -1
	s_wait_xcnt 0x0
	s_and_saveexec_b32 s31, s0
	s_cbranch_execz .LBB63_115
; %bb.106:
	s_and_not1_b32 vcc_lo, exec_lo, s3
	s_cbranch_vccnz .LBB63_108
; %bb.107:
	scratch_load_b64 v[132:133], v59, off
	ds_load_b64 v[134:135], v1
	s_wait_loadcnt_dscnt 0x0
	v_pk_mul_f32 v[136:137], v[134:135], v[132:133] op_sel:[1,1] op_sel_hi:[0,1]
	s_delay_alu instid0(VALU_DEP_1) | instskip(SKIP_1) | instid1(VALU_DEP_2)
	v_pk_fma_f32 v[138:139], v[134:135], v[132:133], v[136:137] op_sel_hi:[1,0,1]
	v_pk_fma_f32 v[132:133], v[134:135], v[132:133], v[136:137] neg_lo:[0,0,1] neg_hi:[0,0,1]
	v_mov_b32_e32 v133, v139
	s_cbranch_execz .LBB63_109
	s_branch .LBB63_110
.LBB63_108:
                                        ; implicit-def: $vgpr132_vgpr133
.LBB63_109:
	ds_load_b64 v[132:133], v1
.LBB63_110:
	s_and_saveexec_b32 s33, s1
	s_cbranch_execz .LBB63_114
; %bb.111:
	v_subrev_nc_u32_e32 v134, 53, v0
	s_movk_i32 s1, 0x1a8
	s_movk_i32 s35, 0x3a8
	s_mov_b32 s34, 0
.LBB63_112:                             ; =>This Inner Loop Header: Depth=1
	scratch_load_b64 v[136:137], off, s1
	v_dual_mov_b32 v135, s35 :: v_dual_add_nc_u32 v134, -1, v134
	s_add_co_i32 s35, s35, 8
	s_wait_xcnt 0x0
	s_add_co_i32 s1, s1, 8
	ds_load_b64 v[138:139], v135
	v_cmp_eq_u32_e32 vcc_lo, 0, v134
	s_or_b32 s34, vcc_lo, s34
	s_wait_loadcnt_dscnt 0x0
	v_pk_mul_f32 v[140:141], v[138:139], v[136:137] op_sel:[1,1] op_sel_hi:[0,1]
	s_delay_alu instid0(VALU_DEP_1) | instskip(SKIP_1) | instid1(VALU_DEP_2)
	v_pk_fma_f32 v[142:143], v[138:139], v[136:137], v[140:141] op_sel_hi:[1,0,1]
	v_pk_fma_f32 v[136:137], v[138:139], v[136:137], v[140:141] neg_lo:[0,0,1] neg_hi:[0,0,1]
	v_mov_b32_e32 v137, v143
	s_delay_alu instid0(VALU_DEP_1)
	v_pk_add_f32 v[132:133], v[132:133], v[136:137]
	s_and_not1_b32 exec_lo, exec_lo, s34
	s_cbranch_execnz .LBB63_112
; %bb.113:
	s_or_b32 exec_lo, exec_lo, s34
.LBB63_114:
	s_delay_alu instid0(SALU_CYCLE_1) | instskip(SKIP_4) | instid1(VALU_DEP_1)
	s_or_b32 exec_lo, exec_lo, s33
	v_mov_b32_e32 v134, 0
	ds_load_b64 v[134:135], v134 offset:416
	s_wait_dscnt 0x0
	v_pk_mul_f32 v[136:137], v[132:133], v[134:135] op_sel:[1,1] op_sel_hi:[0,1]
	v_pk_fma_f32 v[138:139], v[132:133], v[134:135], v[136:137] op_sel_hi:[1,0,1]
	v_pk_fma_f32 v[132:133], v[132:133], v[134:135], v[136:137] neg_lo:[0,0,1] neg_hi:[0,0,1]
	s_delay_alu instid0(VALU_DEP_2)
	v_mov_b32_e32 v133, v139
	scratch_store_b64 off, v[132:133], off offset:416
.LBB63_115:
	s_wait_xcnt 0x0
	s_or_b32 exec_lo, exec_lo, s31
	scratch_load_b64 v[132:133], off, off offset:408
	v_cmp_lt_u32_e64 s1, 51, v0
	s_wait_loadcnt 0x0
	ds_store_b64 v1, v[132:133]
	s_wait_storecnt_dscnt 0x0
	s_barrier_signal -1
	s_barrier_wait -1
	s_wait_xcnt 0x0
	s_and_saveexec_b32 s31, s1
	s_cbranch_execz .LBB63_125
; %bb.116:
	s_and_not1_b32 vcc_lo, exec_lo, s3
	s_cbranch_vccnz .LBB63_118
; %bb.117:
	scratch_load_b64 v[132:133], v59, off
	ds_load_b64 v[134:135], v1
	s_wait_loadcnt_dscnt 0x0
	v_pk_mul_f32 v[136:137], v[134:135], v[132:133] op_sel:[1,1] op_sel_hi:[0,1]
	s_delay_alu instid0(VALU_DEP_1) | instskip(SKIP_1) | instid1(VALU_DEP_2)
	v_pk_fma_f32 v[138:139], v[134:135], v[132:133], v[136:137] op_sel_hi:[1,0,1]
	v_pk_fma_f32 v[132:133], v[134:135], v[132:133], v[136:137] neg_lo:[0,0,1] neg_hi:[0,0,1]
	v_mov_b32_e32 v133, v139
	s_cbranch_execz .LBB63_119
	s_branch .LBB63_120
.LBB63_118:
                                        ; implicit-def: $vgpr132_vgpr133
.LBB63_119:
	ds_load_b64 v[132:133], v1
.LBB63_120:
	s_and_saveexec_b32 s33, s0
	s_cbranch_execz .LBB63_124
; %bb.121:
	v_subrev_nc_u32_e32 v134, 52, v0
	s_movk_i32 s34, 0x3a0
	s_mov_b32 s0, 0
.LBB63_122:                             ; =>This Inner Loop Header: Depth=1
	scratch_load_b64 v[136:137], off, s30
	v_dual_mov_b32 v135, s34 :: v_dual_add_nc_u32 v134, -1, v134
	s_add_co_i32 s34, s34, 8
	s_wait_xcnt 0x0
	s_add_co_i32 s30, s30, 8
	ds_load_b64 v[138:139], v135
	v_cmp_eq_u32_e32 vcc_lo, 0, v134
	s_or_b32 s0, vcc_lo, s0
	s_wait_loadcnt_dscnt 0x0
	v_pk_mul_f32 v[140:141], v[138:139], v[136:137] op_sel:[1,1] op_sel_hi:[0,1]
	s_delay_alu instid0(VALU_DEP_1) | instskip(SKIP_1) | instid1(VALU_DEP_2)
	v_pk_fma_f32 v[142:143], v[138:139], v[136:137], v[140:141] op_sel_hi:[1,0,1]
	v_pk_fma_f32 v[136:137], v[138:139], v[136:137], v[140:141] neg_lo:[0,0,1] neg_hi:[0,0,1]
	v_mov_b32_e32 v137, v143
	s_delay_alu instid0(VALU_DEP_1)
	v_pk_add_f32 v[132:133], v[132:133], v[136:137]
	s_and_not1_b32 exec_lo, exec_lo, s0
	s_cbranch_execnz .LBB63_122
; %bb.123:
	s_or_b32 exec_lo, exec_lo, s0
.LBB63_124:
	s_delay_alu instid0(SALU_CYCLE_1) | instskip(SKIP_4) | instid1(VALU_DEP_1)
	s_or_b32 exec_lo, exec_lo, s33
	v_mov_b32_e32 v134, 0
	ds_load_b64 v[134:135], v134 offset:408
	s_wait_dscnt 0x0
	v_pk_mul_f32 v[136:137], v[132:133], v[134:135] op_sel:[1,1] op_sel_hi:[0,1]
	v_pk_fma_f32 v[138:139], v[132:133], v[134:135], v[136:137] op_sel_hi:[1,0,1]
	v_pk_fma_f32 v[132:133], v[132:133], v[134:135], v[136:137] neg_lo:[0,0,1] neg_hi:[0,0,1]
	s_delay_alu instid0(VALU_DEP_2)
	v_mov_b32_e32 v133, v139
	scratch_store_b64 off, v[132:133], off offset:408
.LBB63_125:
	s_wait_xcnt 0x0
	s_or_b32 exec_lo, exec_lo, s31
	scratch_load_b64 v[132:133], off, off offset:400
	v_cmp_lt_u32_e64 s0, 50, v0
	s_wait_loadcnt 0x0
	ds_store_b64 v1, v[132:133]
	s_wait_storecnt_dscnt 0x0
	s_barrier_signal -1
	s_barrier_wait -1
	s_wait_xcnt 0x0
	s_and_saveexec_b32 s30, s0
	s_cbranch_execz .LBB63_135
; %bb.126:
	s_and_not1_b32 vcc_lo, exec_lo, s3
	s_cbranch_vccnz .LBB63_128
; %bb.127:
	scratch_load_b64 v[132:133], v59, off
	ds_load_b64 v[134:135], v1
	s_wait_loadcnt_dscnt 0x0
	v_pk_mul_f32 v[136:137], v[134:135], v[132:133] op_sel:[1,1] op_sel_hi:[0,1]
	s_delay_alu instid0(VALU_DEP_1) | instskip(SKIP_1) | instid1(VALU_DEP_2)
	v_pk_fma_f32 v[138:139], v[134:135], v[132:133], v[136:137] op_sel_hi:[1,0,1]
	v_pk_fma_f32 v[132:133], v[134:135], v[132:133], v[136:137] neg_lo:[0,0,1] neg_hi:[0,0,1]
	v_mov_b32_e32 v133, v139
	s_cbranch_execz .LBB63_129
	s_branch .LBB63_130
.LBB63_128:
                                        ; implicit-def: $vgpr132_vgpr133
.LBB63_129:
	ds_load_b64 v[132:133], v1
.LBB63_130:
	s_and_saveexec_b32 s31, s1
	s_cbranch_execz .LBB63_134
; %bb.131:
	v_subrev_nc_u32_e32 v134, 51, v0
	s_movk_i32 s1, 0x198
	s_movk_i32 s34, 0x398
	s_mov_b32 s33, 0
.LBB63_132:                             ; =>This Inner Loop Header: Depth=1
	scratch_load_b64 v[136:137], off, s1
	v_dual_mov_b32 v135, s34 :: v_dual_add_nc_u32 v134, -1, v134
	s_add_co_i32 s34, s34, 8
	s_wait_xcnt 0x0
	s_add_co_i32 s1, s1, 8
	ds_load_b64 v[138:139], v135
	v_cmp_eq_u32_e32 vcc_lo, 0, v134
	s_or_b32 s33, vcc_lo, s33
	s_wait_loadcnt_dscnt 0x0
	v_pk_mul_f32 v[140:141], v[138:139], v[136:137] op_sel:[1,1] op_sel_hi:[0,1]
	s_delay_alu instid0(VALU_DEP_1) | instskip(SKIP_1) | instid1(VALU_DEP_2)
	v_pk_fma_f32 v[142:143], v[138:139], v[136:137], v[140:141] op_sel_hi:[1,0,1]
	v_pk_fma_f32 v[136:137], v[138:139], v[136:137], v[140:141] neg_lo:[0,0,1] neg_hi:[0,0,1]
	v_mov_b32_e32 v137, v143
	s_delay_alu instid0(VALU_DEP_1)
	v_pk_add_f32 v[132:133], v[132:133], v[136:137]
	s_and_not1_b32 exec_lo, exec_lo, s33
	s_cbranch_execnz .LBB63_132
; %bb.133:
	s_or_b32 exec_lo, exec_lo, s33
.LBB63_134:
	s_delay_alu instid0(SALU_CYCLE_1) | instskip(SKIP_4) | instid1(VALU_DEP_1)
	s_or_b32 exec_lo, exec_lo, s31
	v_mov_b32_e32 v134, 0
	ds_load_b64 v[134:135], v134 offset:400
	s_wait_dscnt 0x0
	v_pk_mul_f32 v[136:137], v[132:133], v[134:135] op_sel:[1,1] op_sel_hi:[0,1]
	v_pk_fma_f32 v[138:139], v[132:133], v[134:135], v[136:137] op_sel_hi:[1,0,1]
	v_pk_fma_f32 v[132:133], v[132:133], v[134:135], v[136:137] neg_lo:[0,0,1] neg_hi:[0,0,1]
	s_delay_alu instid0(VALU_DEP_2)
	v_mov_b32_e32 v133, v139
	scratch_store_b64 off, v[132:133], off offset:400
.LBB63_135:
	s_wait_xcnt 0x0
	s_or_b32 exec_lo, exec_lo, s30
	scratch_load_b64 v[132:133], off, off offset:392
	v_cmp_lt_u32_e64 s1, 49, v0
	s_wait_loadcnt 0x0
	ds_store_b64 v1, v[132:133]
	s_wait_storecnt_dscnt 0x0
	s_barrier_signal -1
	s_barrier_wait -1
	s_wait_xcnt 0x0
	s_and_saveexec_b32 s30, s1
	s_cbranch_execz .LBB63_145
; %bb.136:
	s_and_not1_b32 vcc_lo, exec_lo, s3
	s_cbranch_vccnz .LBB63_138
; %bb.137:
	scratch_load_b64 v[132:133], v59, off
	ds_load_b64 v[134:135], v1
	s_wait_loadcnt_dscnt 0x0
	v_pk_mul_f32 v[136:137], v[134:135], v[132:133] op_sel:[1,1] op_sel_hi:[0,1]
	s_delay_alu instid0(VALU_DEP_1) | instskip(SKIP_1) | instid1(VALU_DEP_2)
	v_pk_fma_f32 v[138:139], v[134:135], v[132:133], v[136:137] op_sel_hi:[1,0,1]
	v_pk_fma_f32 v[132:133], v[134:135], v[132:133], v[136:137] neg_lo:[0,0,1] neg_hi:[0,0,1]
	v_mov_b32_e32 v133, v139
	s_cbranch_execz .LBB63_139
	s_branch .LBB63_140
.LBB63_138:
                                        ; implicit-def: $vgpr132_vgpr133
.LBB63_139:
	ds_load_b64 v[132:133], v1
.LBB63_140:
	s_and_saveexec_b32 s31, s0
	s_cbranch_execz .LBB63_144
; %bb.141:
	v_subrev_nc_u32_e32 v134, 50, v0
	s_movk_i32 s33, 0x390
	s_mov_b32 s0, 0
.LBB63_142:                             ; =>This Inner Loop Header: Depth=1
	scratch_load_b64 v[136:137], off, s29
	v_dual_mov_b32 v135, s33 :: v_dual_add_nc_u32 v134, -1, v134
	s_add_co_i32 s33, s33, 8
	s_wait_xcnt 0x0
	s_add_co_i32 s29, s29, 8
	ds_load_b64 v[138:139], v135
	v_cmp_eq_u32_e32 vcc_lo, 0, v134
	s_or_b32 s0, vcc_lo, s0
	s_wait_loadcnt_dscnt 0x0
	v_pk_mul_f32 v[140:141], v[138:139], v[136:137] op_sel:[1,1] op_sel_hi:[0,1]
	s_delay_alu instid0(VALU_DEP_1) | instskip(SKIP_1) | instid1(VALU_DEP_2)
	v_pk_fma_f32 v[142:143], v[138:139], v[136:137], v[140:141] op_sel_hi:[1,0,1]
	v_pk_fma_f32 v[136:137], v[138:139], v[136:137], v[140:141] neg_lo:[0,0,1] neg_hi:[0,0,1]
	v_mov_b32_e32 v137, v143
	s_delay_alu instid0(VALU_DEP_1)
	v_pk_add_f32 v[132:133], v[132:133], v[136:137]
	s_and_not1_b32 exec_lo, exec_lo, s0
	s_cbranch_execnz .LBB63_142
; %bb.143:
	s_or_b32 exec_lo, exec_lo, s0
.LBB63_144:
	s_delay_alu instid0(SALU_CYCLE_1) | instskip(SKIP_4) | instid1(VALU_DEP_1)
	s_or_b32 exec_lo, exec_lo, s31
	v_mov_b32_e32 v134, 0
	ds_load_b64 v[134:135], v134 offset:392
	s_wait_dscnt 0x0
	v_pk_mul_f32 v[136:137], v[132:133], v[134:135] op_sel:[1,1] op_sel_hi:[0,1]
	v_pk_fma_f32 v[138:139], v[132:133], v[134:135], v[136:137] op_sel_hi:[1,0,1]
	v_pk_fma_f32 v[132:133], v[132:133], v[134:135], v[136:137] neg_lo:[0,0,1] neg_hi:[0,0,1]
	s_delay_alu instid0(VALU_DEP_2)
	v_mov_b32_e32 v133, v139
	scratch_store_b64 off, v[132:133], off offset:392
.LBB63_145:
	s_wait_xcnt 0x0
	s_or_b32 exec_lo, exec_lo, s30
	scratch_load_b64 v[132:133], off, off offset:384
	v_cmp_lt_u32_e64 s0, 48, v0
	s_wait_loadcnt 0x0
	ds_store_b64 v1, v[132:133]
	s_wait_storecnt_dscnt 0x0
	s_barrier_signal -1
	s_barrier_wait -1
	s_wait_xcnt 0x0
	s_and_saveexec_b32 s29, s0
	s_cbranch_execz .LBB63_155
; %bb.146:
	s_and_not1_b32 vcc_lo, exec_lo, s3
	s_cbranch_vccnz .LBB63_148
; %bb.147:
	scratch_load_b64 v[132:133], v59, off
	ds_load_b64 v[134:135], v1
	s_wait_loadcnt_dscnt 0x0
	v_pk_mul_f32 v[136:137], v[134:135], v[132:133] op_sel:[1,1] op_sel_hi:[0,1]
	s_delay_alu instid0(VALU_DEP_1) | instskip(SKIP_1) | instid1(VALU_DEP_2)
	v_pk_fma_f32 v[138:139], v[134:135], v[132:133], v[136:137] op_sel_hi:[1,0,1]
	v_pk_fma_f32 v[132:133], v[134:135], v[132:133], v[136:137] neg_lo:[0,0,1] neg_hi:[0,0,1]
	v_mov_b32_e32 v133, v139
	s_cbranch_execz .LBB63_149
	s_branch .LBB63_150
.LBB63_148:
                                        ; implicit-def: $vgpr132_vgpr133
.LBB63_149:
	ds_load_b64 v[132:133], v1
.LBB63_150:
	s_and_saveexec_b32 s30, s1
	s_cbranch_execz .LBB63_154
; %bb.151:
	v_subrev_nc_u32_e32 v134, 49, v0
	s_movk_i32 s1, 0x188
	s_movk_i32 s33, 0x388
	s_mov_b32 s31, 0
.LBB63_152:                             ; =>This Inner Loop Header: Depth=1
	scratch_load_b64 v[136:137], off, s1
	v_dual_mov_b32 v135, s33 :: v_dual_add_nc_u32 v134, -1, v134
	s_add_co_i32 s33, s33, 8
	s_wait_xcnt 0x0
	s_add_co_i32 s1, s1, 8
	ds_load_b64 v[138:139], v135
	v_cmp_eq_u32_e32 vcc_lo, 0, v134
	s_or_b32 s31, vcc_lo, s31
	s_wait_loadcnt_dscnt 0x0
	v_pk_mul_f32 v[140:141], v[138:139], v[136:137] op_sel:[1,1] op_sel_hi:[0,1]
	s_delay_alu instid0(VALU_DEP_1) | instskip(SKIP_1) | instid1(VALU_DEP_2)
	v_pk_fma_f32 v[142:143], v[138:139], v[136:137], v[140:141] op_sel_hi:[1,0,1]
	v_pk_fma_f32 v[136:137], v[138:139], v[136:137], v[140:141] neg_lo:[0,0,1] neg_hi:[0,0,1]
	v_mov_b32_e32 v137, v143
	s_delay_alu instid0(VALU_DEP_1)
	v_pk_add_f32 v[132:133], v[132:133], v[136:137]
	s_and_not1_b32 exec_lo, exec_lo, s31
	s_cbranch_execnz .LBB63_152
; %bb.153:
	s_or_b32 exec_lo, exec_lo, s31
.LBB63_154:
	s_delay_alu instid0(SALU_CYCLE_1) | instskip(SKIP_4) | instid1(VALU_DEP_1)
	s_or_b32 exec_lo, exec_lo, s30
	v_mov_b32_e32 v134, 0
	ds_load_b64 v[134:135], v134 offset:384
	s_wait_dscnt 0x0
	v_pk_mul_f32 v[136:137], v[132:133], v[134:135] op_sel:[1,1] op_sel_hi:[0,1]
	v_pk_fma_f32 v[138:139], v[132:133], v[134:135], v[136:137] op_sel_hi:[1,0,1]
	v_pk_fma_f32 v[132:133], v[132:133], v[134:135], v[136:137] neg_lo:[0,0,1] neg_hi:[0,0,1]
	s_delay_alu instid0(VALU_DEP_2)
	v_mov_b32_e32 v133, v139
	scratch_store_b64 off, v[132:133], off offset:384
.LBB63_155:
	s_wait_xcnt 0x0
	s_or_b32 exec_lo, exec_lo, s29
	scratch_load_b64 v[132:133], off, off offset:376
	v_cmp_lt_u32_e64 s1, 47, v0
	s_wait_loadcnt 0x0
	ds_store_b64 v1, v[132:133]
	s_wait_storecnt_dscnt 0x0
	s_barrier_signal -1
	s_barrier_wait -1
	s_wait_xcnt 0x0
	s_and_saveexec_b32 s29, s1
	s_cbranch_execz .LBB63_165
; %bb.156:
	s_and_not1_b32 vcc_lo, exec_lo, s3
	s_cbranch_vccnz .LBB63_158
; %bb.157:
	scratch_load_b64 v[132:133], v59, off
	ds_load_b64 v[134:135], v1
	s_wait_loadcnt_dscnt 0x0
	v_pk_mul_f32 v[136:137], v[134:135], v[132:133] op_sel:[1,1] op_sel_hi:[0,1]
	s_delay_alu instid0(VALU_DEP_1) | instskip(SKIP_1) | instid1(VALU_DEP_2)
	v_pk_fma_f32 v[138:139], v[134:135], v[132:133], v[136:137] op_sel_hi:[1,0,1]
	v_pk_fma_f32 v[132:133], v[134:135], v[132:133], v[136:137] neg_lo:[0,0,1] neg_hi:[0,0,1]
	v_mov_b32_e32 v133, v139
	s_cbranch_execz .LBB63_159
	s_branch .LBB63_160
.LBB63_158:
                                        ; implicit-def: $vgpr132_vgpr133
.LBB63_159:
	ds_load_b64 v[132:133], v1
.LBB63_160:
	s_and_saveexec_b32 s30, s0
	s_cbranch_execz .LBB63_164
; %bb.161:
	v_subrev_nc_u32_e32 v134, 48, v0
	s_movk_i32 s31, 0x380
	s_mov_b32 s0, 0
.LBB63_162:                             ; =>This Inner Loop Header: Depth=1
	scratch_load_b64 v[136:137], off, s28
	v_dual_mov_b32 v135, s31 :: v_dual_add_nc_u32 v134, -1, v134
	s_add_co_i32 s31, s31, 8
	s_wait_xcnt 0x0
	s_add_co_i32 s28, s28, 8
	ds_load_b64 v[138:139], v135
	v_cmp_eq_u32_e32 vcc_lo, 0, v134
	s_or_b32 s0, vcc_lo, s0
	s_wait_loadcnt_dscnt 0x0
	v_pk_mul_f32 v[140:141], v[138:139], v[136:137] op_sel:[1,1] op_sel_hi:[0,1]
	s_delay_alu instid0(VALU_DEP_1) | instskip(SKIP_1) | instid1(VALU_DEP_2)
	v_pk_fma_f32 v[142:143], v[138:139], v[136:137], v[140:141] op_sel_hi:[1,0,1]
	v_pk_fma_f32 v[136:137], v[138:139], v[136:137], v[140:141] neg_lo:[0,0,1] neg_hi:[0,0,1]
	v_mov_b32_e32 v137, v143
	s_delay_alu instid0(VALU_DEP_1)
	v_pk_add_f32 v[132:133], v[132:133], v[136:137]
	s_and_not1_b32 exec_lo, exec_lo, s0
	s_cbranch_execnz .LBB63_162
; %bb.163:
	s_or_b32 exec_lo, exec_lo, s0
.LBB63_164:
	s_delay_alu instid0(SALU_CYCLE_1) | instskip(SKIP_4) | instid1(VALU_DEP_1)
	s_or_b32 exec_lo, exec_lo, s30
	v_mov_b32_e32 v134, 0
	ds_load_b64 v[134:135], v134 offset:376
	s_wait_dscnt 0x0
	v_pk_mul_f32 v[136:137], v[132:133], v[134:135] op_sel:[1,1] op_sel_hi:[0,1]
	v_pk_fma_f32 v[138:139], v[132:133], v[134:135], v[136:137] op_sel_hi:[1,0,1]
	v_pk_fma_f32 v[132:133], v[132:133], v[134:135], v[136:137] neg_lo:[0,0,1] neg_hi:[0,0,1]
	s_delay_alu instid0(VALU_DEP_2)
	v_mov_b32_e32 v133, v139
	scratch_store_b64 off, v[132:133], off offset:376
.LBB63_165:
	s_wait_xcnt 0x0
	s_or_b32 exec_lo, exec_lo, s29
	scratch_load_b64 v[132:133], off, off offset:368
	v_cmp_lt_u32_e64 s0, 46, v0
	s_wait_loadcnt 0x0
	ds_store_b64 v1, v[132:133]
	s_wait_storecnt_dscnt 0x0
	s_barrier_signal -1
	s_barrier_wait -1
	s_wait_xcnt 0x0
	s_and_saveexec_b32 s28, s0
	s_cbranch_execz .LBB63_175
; %bb.166:
	s_and_not1_b32 vcc_lo, exec_lo, s3
	s_cbranch_vccnz .LBB63_168
; %bb.167:
	scratch_load_b64 v[132:133], v59, off
	ds_load_b64 v[134:135], v1
	s_wait_loadcnt_dscnt 0x0
	v_pk_mul_f32 v[136:137], v[134:135], v[132:133] op_sel:[1,1] op_sel_hi:[0,1]
	s_delay_alu instid0(VALU_DEP_1) | instskip(SKIP_1) | instid1(VALU_DEP_2)
	v_pk_fma_f32 v[138:139], v[134:135], v[132:133], v[136:137] op_sel_hi:[1,0,1]
	v_pk_fma_f32 v[132:133], v[134:135], v[132:133], v[136:137] neg_lo:[0,0,1] neg_hi:[0,0,1]
	v_mov_b32_e32 v133, v139
	s_cbranch_execz .LBB63_169
	s_branch .LBB63_170
.LBB63_168:
                                        ; implicit-def: $vgpr132_vgpr133
.LBB63_169:
	ds_load_b64 v[132:133], v1
.LBB63_170:
	s_and_saveexec_b32 s29, s1
	s_cbranch_execz .LBB63_174
; %bb.171:
	v_subrev_nc_u32_e32 v134, 47, v0
	s_movk_i32 s1, 0x178
	s_movk_i32 s31, 0x378
	s_mov_b32 s30, 0
.LBB63_172:                             ; =>This Inner Loop Header: Depth=1
	scratch_load_b64 v[136:137], off, s1
	v_dual_mov_b32 v135, s31 :: v_dual_add_nc_u32 v134, -1, v134
	s_add_co_i32 s31, s31, 8
	s_wait_xcnt 0x0
	s_add_co_i32 s1, s1, 8
	ds_load_b64 v[138:139], v135
	v_cmp_eq_u32_e32 vcc_lo, 0, v134
	s_or_b32 s30, vcc_lo, s30
	s_wait_loadcnt_dscnt 0x0
	v_pk_mul_f32 v[140:141], v[138:139], v[136:137] op_sel:[1,1] op_sel_hi:[0,1]
	s_delay_alu instid0(VALU_DEP_1) | instskip(SKIP_1) | instid1(VALU_DEP_2)
	v_pk_fma_f32 v[142:143], v[138:139], v[136:137], v[140:141] op_sel_hi:[1,0,1]
	v_pk_fma_f32 v[136:137], v[138:139], v[136:137], v[140:141] neg_lo:[0,0,1] neg_hi:[0,0,1]
	v_mov_b32_e32 v137, v143
	s_delay_alu instid0(VALU_DEP_1)
	v_pk_add_f32 v[132:133], v[132:133], v[136:137]
	s_and_not1_b32 exec_lo, exec_lo, s30
	s_cbranch_execnz .LBB63_172
; %bb.173:
	s_or_b32 exec_lo, exec_lo, s30
.LBB63_174:
	s_delay_alu instid0(SALU_CYCLE_1) | instskip(SKIP_4) | instid1(VALU_DEP_1)
	s_or_b32 exec_lo, exec_lo, s29
	v_mov_b32_e32 v134, 0
	ds_load_b64 v[134:135], v134 offset:368
	s_wait_dscnt 0x0
	v_pk_mul_f32 v[136:137], v[132:133], v[134:135] op_sel:[1,1] op_sel_hi:[0,1]
	v_pk_fma_f32 v[138:139], v[132:133], v[134:135], v[136:137] op_sel_hi:[1,0,1]
	v_pk_fma_f32 v[132:133], v[132:133], v[134:135], v[136:137] neg_lo:[0,0,1] neg_hi:[0,0,1]
	s_delay_alu instid0(VALU_DEP_2)
	v_mov_b32_e32 v133, v139
	scratch_store_b64 off, v[132:133], off offset:368
.LBB63_175:
	s_wait_xcnt 0x0
	s_or_b32 exec_lo, exec_lo, s28
	scratch_load_b64 v[132:133], off, off offset:360
	v_cmp_lt_u32_e64 s1, 45, v0
	s_wait_loadcnt 0x0
	ds_store_b64 v1, v[132:133]
	s_wait_storecnt_dscnt 0x0
	s_barrier_signal -1
	s_barrier_wait -1
	s_wait_xcnt 0x0
	s_and_saveexec_b32 s28, s1
	s_cbranch_execz .LBB63_185
; %bb.176:
	s_and_not1_b32 vcc_lo, exec_lo, s3
	s_cbranch_vccnz .LBB63_178
; %bb.177:
	scratch_load_b64 v[132:133], v59, off
	ds_load_b64 v[134:135], v1
	s_wait_loadcnt_dscnt 0x0
	v_pk_mul_f32 v[136:137], v[134:135], v[132:133] op_sel:[1,1] op_sel_hi:[0,1]
	s_delay_alu instid0(VALU_DEP_1) | instskip(SKIP_1) | instid1(VALU_DEP_2)
	v_pk_fma_f32 v[138:139], v[134:135], v[132:133], v[136:137] op_sel_hi:[1,0,1]
	v_pk_fma_f32 v[132:133], v[134:135], v[132:133], v[136:137] neg_lo:[0,0,1] neg_hi:[0,0,1]
	v_mov_b32_e32 v133, v139
	s_cbranch_execz .LBB63_179
	s_branch .LBB63_180
.LBB63_178:
                                        ; implicit-def: $vgpr132_vgpr133
.LBB63_179:
	ds_load_b64 v[132:133], v1
.LBB63_180:
	s_and_saveexec_b32 s29, s0
	s_cbranch_execz .LBB63_184
; %bb.181:
	v_subrev_nc_u32_e32 v134, 46, v0
	s_movk_i32 s30, 0x370
	s_mov_b32 s0, 0
.LBB63_182:                             ; =>This Inner Loop Header: Depth=1
	scratch_load_b64 v[136:137], off, s27
	v_dual_mov_b32 v135, s30 :: v_dual_add_nc_u32 v134, -1, v134
	s_add_co_i32 s30, s30, 8
	s_wait_xcnt 0x0
	s_add_co_i32 s27, s27, 8
	ds_load_b64 v[138:139], v135
	v_cmp_eq_u32_e32 vcc_lo, 0, v134
	s_or_b32 s0, vcc_lo, s0
	s_wait_loadcnt_dscnt 0x0
	v_pk_mul_f32 v[140:141], v[138:139], v[136:137] op_sel:[1,1] op_sel_hi:[0,1]
	s_delay_alu instid0(VALU_DEP_1) | instskip(SKIP_1) | instid1(VALU_DEP_2)
	v_pk_fma_f32 v[142:143], v[138:139], v[136:137], v[140:141] op_sel_hi:[1,0,1]
	v_pk_fma_f32 v[136:137], v[138:139], v[136:137], v[140:141] neg_lo:[0,0,1] neg_hi:[0,0,1]
	v_mov_b32_e32 v137, v143
	s_delay_alu instid0(VALU_DEP_1)
	v_pk_add_f32 v[132:133], v[132:133], v[136:137]
	s_and_not1_b32 exec_lo, exec_lo, s0
	s_cbranch_execnz .LBB63_182
; %bb.183:
	s_or_b32 exec_lo, exec_lo, s0
.LBB63_184:
	s_delay_alu instid0(SALU_CYCLE_1) | instskip(SKIP_4) | instid1(VALU_DEP_1)
	s_or_b32 exec_lo, exec_lo, s29
	v_mov_b32_e32 v134, 0
	ds_load_b64 v[134:135], v134 offset:360
	s_wait_dscnt 0x0
	v_pk_mul_f32 v[136:137], v[132:133], v[134:135] op_sel:[1,1] op_sel_hi:[0,1]
	v_pk_fma_f32 v[138:139], v[132:133], v[134:135], v[136:137] op_sel_hi:[1,0,1]
	v_pk_fma_f32 v[132:133], v[132:133], v[134:135], v[136:137] neg_lo:[0,0,1] neg_hi:[0,0,1]
	s_delay_alu instid0(VALU_DEP_2)
	v_mov_b32_e32 v133, v139
	scratch_store_b64 off, v[132:133], off offset:360
.LBB63_185:
	s_wait_xcnt 0x0
	s_or_b32 exec_lo, exec_lo, s28
	scratch_load_b64 v[132:133], off, off offset:352
	v_cmp_lt_u32_e64 s0, 44, v0
	s_wait_loadcnt 0x0
	ds_store_b64 v1, v[132:133]
	s_wait_storecnt_dscnt 0x0
	s_barrier_signal -1
	s_barrier_wait -1
	s_wait_xcnt 0x0
	s_and_saveexec_b32 s27, s0
	s_cbranch_execz .LBB63_195
; %bb.186:
	s_and_not1_b32 vcc_lo, exec_lo, s3
	s_cbranch_vccnz .LBB63_188
; %bb.187:
	scratch_load_b64 v[132:133], v59, off
	ds_load_b64 v[134:135], v1
	s_wait_loadcnt_dscnt 0x0
	v_pk_mul_f32 v[136:137], v[134:135], v[132:133] op_sel:[1,1] op_sel_hi:[0,1]
	s_delay_alu instid0(VALU_DEP_1) | instskip(SKIP_1) | instid1(VALU_DEP_2)
	v_pk_fma_f32 v[138:139], v[134:135], v[132:133], v[136:137] op_sel_hi:[1,0,1]
	v_pk_fma_f32 v[132:133], v[134:135], v[132:133], v[136:137] neg_lo:[0,0,1] neg_hi:[0,0,1]
	v_mov_b32_e32 v133, v139
	s_cbranch_execz .LBB63_189
	s_branch .LBB63_190
.LBB63_188:
                                        ; implicit-def: $vgpr132_vgpr133
.LBB63_189:
	ds_load_b64 v[132:133], v1
.LBB63_190:
	s_and_saveexec_b32 s28, s1
	s_cbranch_execz .LBB63_194
; %bb.191:
	v_subrev_nc_u32_e32 v134, 45, v0
	s_movk_i32 s1, 0x168
	s_movk_i32 s30, 0x368
	s_mov_b32 s29, 0
.LBB63_192:                             ; =>This Inner Loop Header: Depth=1
	scratch_load_b64 v[136:137], off, s1
	v_dual_mov_b32 v135, s30 :: v_dual_add_nc_u32 v134, -1, v134
	s_add_co_i32 s30, s30, 8
	s_wait_xcnt 0x0
	s_add_co_i32 s1, s1, 8
	ds_load_b64 v[138:139], v135
	v_cmp_eq_u32_e32 vcc_lo, 0, v134
	s_or_b32 s29, vcc_lo, s29
	s_wait_loadcnt_dscnt 0x0
	v_pk_mul_f32 v[140:141], v[138:139], v[136:137] op_sel:[1,1] op_sel_hi:[0,1]
	s_delay_alu instid0(VALU_DEP_1) | instskip(SKIP_1) | instid1(VALU_DEP_2)
	v_pk_fma_f32 v[142:143], v[138:139], v[136:137], v[140:141] op_sel_hi:[1,0,1]
	v_pk_fma_f32 v[136:137], v[138:139], v[136:137], v[140:141] neg_lo:[0,0,1] neg_hi:[0,0,1]
	v_mov_b32_e32 v137, v143
	s_delay_alu instid0(VALU_DEP_1)
	v_pk_add_f32 v[132:133], v[132:133], v[136:137]
	s_and_not1_b32 exec_lo, exec_lo, s29
	s_cbranch_execnz .LBB63_192
; %bb.193:
	s_or_b32 exec_lo, exec_lo, s29
.LBB63_194:
	s_delay_alu instid0(SALU_CYCLE_1) | instskip(SKIP_4) | instid1(VALU_DEP_1)
	s_or_b32 exec_lo, exec_lo, s28
	v_mov_b32_e32 v134, 0
	ds_load_b64 v[134:135], v134 offset:352
	s_wait_dscnt 0x0
	v_pk_mul_f32 v[136:137], v[132:133], v[134:135] op_sel:[1,1] op_sel_hi:[0,1]
	v_pk_fma_f32 v[138:139], v[132:133], v[134:135], v[136:137] op_sel_hi:[1,0,1]
	v_pk_fma_f32 v[132:133], v[132:133], v[134:135], v[136:137] neg_lo:[0,0,1] neg_hi:[0,0,1]
	s_delay_alu instid0(VALU_DEP_2)
	v_mov_b32_e32 v133, v139
	scratch_store_b64 off, v[132:133], off offset:352
.LBB63_195:
	s_wait_xcnt 0x0
	s_or_b32 exec_lo, exec_lo, s27
	scratch_load_b64 v[132:133], off, off offset:344
	v_cmp_lt_u32_e64 s1, 43, v0
	s_wait_loadcnt 0x0
	ds_store_b64 v1, v[132:133]
	s_wait_storecnt_dscnt 0x0
	s_barrier_signal -1
	s_barrier_wait -1
	s_wait_xcnt 0x0
	s_and_saveexec_b32 s27, s1
	s_cbranch_execz .LBB63_205
; %bb.196:
	s_and_not1_b32 vcc_lo, exec_lo, s3
	s_cbranch_vccnz .LBB63_198
; %bb.197:
	scratch_load_b64 v[132:133], v59, off
	ds_load_b64 v[134:135], v1
	s_wait_loadcnt_dscnt 0x0
	v_pk_mul_f32 v[136:137], v[134:135], v[132:133] op_sel:[1,1] op_sel_hi:[0,1]
	s_delay_alu instid0(VALU_DEP_1) | instskip(SKIP_1) | instid1(VALU_DEP_2)
	v_pk_fma_f32 v[138:139], v[134:135], v[132:133], v[136:137] op_sel_hi:[1,0,1]
	v_pk_fma_f32 v[132:133], v[134:135], v[132:133], v[136:137] neg_lo:[0,0,1] neg_hi:[0,0,1]
	v_mov_b32_e32 v133, v139
	s_cbranch_execz .LBB63_199
	s_branch .LBB63_200
.LBB63_198:
                                        ; implicit-def: $vgpr132_vgpr133
.LBB63_199:
	ds_load_b64 v[132:133], v1
.LBB63_200:
	s_and_saveexec_b32 s28, s0
	s_cbranch_execz .LBB63_204
; %bb.201:
	v_subrev_nc_u32_e32 v134, 44, v0
	s_movk_i32 s29, 0x360
	s_mov_b32 s0, 0
.LBB63_202:                             ; =>This Inner Loop Header: Depth=1
	scratch_load_b64 v[136:137], off, s26
	v_dual_mov_b32 v135, s29 :: v_dual_add_nc_u32 v134, -1, v134
	s_add_co_i32 s29, s29, 8
	s_wait_xcnt 0x0
	s_add_co_i32 s26, s26, 8
	ds_load_b64 v[138:139], v135
	v_cmp_eq_u32_e32 vcc_lo, 0, v134
	s_or_b32 s0, vcc_lo, s0
	s_wait_loadcnt_dscnt 0x0
	v_pk_mul_f32 v[140:141], v[138:139], v[136:137] op_sel:[1,1] op_sel_hi:[0,1]
	s_delay_alu instid0(VALU_DEP_1) | instskip(SKIP_1) | instid1(VALU_DEP_2)
	v_pk_fma_f32 v[142:143], v[138:139], v[136:137], v[140:141] op_sel_hi:[1,0,1]
	v_pk_fma_f32 v[136:137], v[138:139], v[136:137], v[140:141] neg_lo:[0,0,1] neg_hi:[0,0,1]
	v_mov_b32_e32 v137, v143
	s_delay_alu instid0(VALU_DEP_1)
	v_pk_add_f32 v[132:133], v[132:133], v[136:137]
	s_and_not1_b32 exec_lo, exec_lo, s0
	s_cbranch_execnz .LBB63_202
; %bb.203:
	s_or_b32 exec_lo, exec_lo, s0
.LBB63_204:
	s_delay_alu instid0(SALU_CYCLE_1) | instskip(SKIP_4) | instid1(VALU_DEP_1)
	s_or_b32 exec_lo, exec_lo, s28
	v_mov_b32_e32 v134, 0
	ds_load_b64 v[134:135], v134 offset:344
	s_wait_dscnt 0x0
	v_pk_mul_f32 v[136:137], v[132:133], v[134:135] op_sel:[1,1] op_sel_hi:[0,1]
	v_pk_fma_f32 v[138:139], v[132:133], v[134:135], v[136:137] op_sel_hi:[1,0,1]
	v_pk_fma_f32 v[132:133], v[132:133], v[134:135], v[136:137] neg_lo:[0,0,1] neg_hi:[0,0,1]
	s_delay_alu instid0(VALU_DEP_2)
	v_mov_b32_e32 v133, v139
	scratch_store_b64 off, v[132:133], off offset:344
.LBB63_205:
	s_wait_xcnt 0x0
	s_or_b32 exec_lo, exec_lo, s27
	scratch_load_b64 v[132:133], off, off offset:336
	v_cmp_lt_u32_e64 s0, 42, v0
	s_wait_loadcnt 0x0
	ds_store_b64 v1, v[132:133]
	s_wait_storecnt_dscnt 0x0
	s_barrier_signal -1
	s_barrier_wait -1
	s_wait_xcnt 0x0
	s_and_saveexec_b32 s26, s0
	s_cbranch_execz .LBB63_215
; %bb.206:
	s_and_not1_b32 vcc_lo, exec_lo, s3
	s_cbranch_vccnz .LBB63_208
; %bb.207:
	scratch_load_b64 v[132:133], v59, off
	ds_load_b64 v[134:135], v1
	s_wait_loadcnt_dscnt 0x0
	v_pk_mul_f32 v[136:137], v[134:135], v[132:133] op_sel:[1,1] op_sel_hi:[0,1]
	s_delay_alu instid0(VALU_DEP_1) | instskip(SKIP_1) | instid1(VALU_DEP_2)
	v_pk_fma_f32 v[138:139], v[134:135], v[132:133], v[136:137] op_sel_hi:[1,0,1]
	v_pk_fma_f32 v[132:133], v[134:135], v[132:133], v[136:137] neg_lo:[0,0,1] neg_hi:[0,0,1]
	v_mov_b32_e32 v133, v139
	s_cbranch_execz .LBB63_209
	s_branch .LBB63_210
.LBB63_208:
                                        ; implicit-def: $vgpr132_vgpr133
.LBB63_209:
	ds_load_b64 v[132:133], v1
.LBB63_210:
	s_and_saveexec_b32 s27, s1
	s_cbranch_execz .LBB63_214
; %bb.211:
	v_subrev_nc_u32_e32 v134, 43, v0
	s_movk_i32 s1, 0x158
	s_movk_i32 s29, 0x358
	s_mov_b32 s28, 0
.LBB63_212:                             ; =>This Inner Loop Header: Depth=1
	scratch_load_b64 v[136:137], off, s1
	v_dual_mov_b32 v135, s29 :: v_dual_add_nc_u32 v134, -1, v134
	s_add_co_i32 s29, s29, 8
	s_wait_xcnt 0x0
	s_add_co_i32 s1, s1, 8
	ds_load_b64 v[138:139], v135
	v_cmp_eq_u32_e32 vcc_lo, 0, v134
	s_or_b32 s28, vcc_lo, s28
	s_wait_loadcnt_dscnt 0x0
	v_pk_mul_f32 v[140:141], v[138:139], v[136:137] op_sel:[1,1] op_sel_hi:[0,1]
	s_delay_alu instid0(VALU_DEP_1) | instskip(SKIP_1) | instid1(VALU_DEP_2)
	v_pk_fma_f32 v[142:143], v[138:139], v[136:137], v[140:141] op_sel_hi:[1,0,1]
	v_pk_fma_f32 v[136:137], v[138:139], v[136:137], v[140:141] neg_lo:[0,0,1] neg_hi:[0,0,1]
	v_mov_b32_e32 v137, v143
	s_delay_alu instid0(VALU_DEP_1)
	v_pk_add_f32 v[132:133], v[132:133], v[136:137]
	s_and_not1_b32 exec_lo, exec_lo, s28
	s_cbranch_execnz .LBB63_212
; %bb.213:
	s_or_b32 exec_lo, exec_lo, s28
.LBB63_214:
	s_delay_alu instid0(SALU_CYCLE_1) | instskip(SKIP_4) | instid1(VALU_DEP_1)
	s_or_b32 exec_lo, exec_lo, s27
	v_mov_b32_e32 v134, 0
	ds_load_b64 v[134:135], v134 offset:336
	s_wait_dscnt 0x0
	v_pk_mul_f32 v[136:137], v[132:133], v[134:135] op_sel:[1,1] op_sel_hi:[0,1]
	v_pk_fma_f32 v[138:139], v[132:133], v[134:135], v[136:137] op_sel_hi:[1,0,1]
	v_pk_fma_f32 v[132:133], v[132:133], v[134:135], v[136:137] neg_lo:[0,0,1] neg_hi:[0,0,1]
	s_delay_alu instid0(VALU_DEP_2)
	v_mov_b32_e32 v133, v139
	scratch_store_b64 off, v[132:133], off offset:336
.LBB63_215:
	s_wait_xcnt 0x0
	s_or_b32 exec_lo, exec_lo, s26
	scratch_load_b64 v[132:133], off, off offset:328
	v_cmp_lt_u32_e64 s1, 41, v0
	s_wait_loadcnt 0x0
	ds_store_b64 v1, v[132:133]
	s_wait_storecnt_dscnt 0x0
	s_barrier_signal -1
	s_barrier_wait -1
	s_wait_xcnt 0x0
	s_and_saveexec_b32 s26, s1
	s_cbranch_execz .LBB63_225
; %bb.216:
	s_and_not1_b32 vcc_lo, exec_lo, s3
	s_cbranch_vccnz .LBB63_218
; %bb.217:
	scratch_load_b64 v[132:133], v59, off
	ds_load_b64 v[134:135], v1
	s_wait_loadcnt_dscnt 0x0
	v_pk_mul_f32 v[136:137], v[134:135], v[132:133] op_sel:[1,1] op_sel_hi:[0,1]
	s_delay_alu instid0(VALU_DEP_1) | instskip(SKIP_1) | instid1(VALU_DEP_2)
	v_pk_fma_f32 v[138:139], v[134:135], v[132:133], v[136:137] op_sel_hi:[1,0,1]
	v_pk_fma_f32 v[132:133], v[134:135], v[132:133], v[136:137] neg_lo:[0,0,1] neg_hi:[0,0,1]
	v_mov_b32_e32 v133, v139
	s_cbranch_execz .LBB63_219
	s_branch .LBB63_220
.LBB63_218:
                                        ; implicit-def: $vgpr132_vgpr133
.LBB63_219:
	ds_load_b64 v[132:133], v1
.LBB63_220:
	s_and_saveexec_b32 s27, s0
	s_cbranch_execz .LBB63_224
; %bb.221:
	v_subrev_nc_u32_e32 v134, 42, v0
	s_movk_i32 s28, 0x350
	s_mov_b32 s0, 0
.LBB63_222:                             ; =>This Inner Loop Header: Depth=1
	scratch_load_b64 v[136:137], off, s25
	v_dual_mov_b32 v135, s28 :: v_dual_add_nc_u32 v134, -1, v134
	s_add_co_i32 s28, s28, 8
	s_wait_xcnt 0x0
	s_add_co_i32 s25, s25, 8
	ds_load_b64 v[138:139], v135
	v_cmp_eq_u32_e32 vcc_lo, 0, v134
	s_or_b32 s0, vcc_lo, s0
	s_wait_loadcnt_dscnt 0x0
	v_pk_mul_f32 v[140:141], v[138:139], v[136:137] op_sel:[1,1] op_sel_hi:[0,1]
	s_delay_alu instid0(VALU_DEP_1) | instskip(SKIP_1) | instid1(VALU_DEP_2)
	v_pk_fma_f32 v[142:143], v[138:139], v[136:137], v[140:141] op_sel_hi:[1,0,1]
	v_pk_fma_f32 v[136:137], v[138:139], v[136:137], v[140:141] neg_lo:[0,0,1] neg_hi:[0,0,1]
	v_mov_b32_e32 v137, v143
	s_delay_alu instid0(VALU_DEP_1)
	v_pk_add_f32 v[132:133], v[132:133], v[136:137]
	s_and_not1_b32 exec_lo, exec_lo, s0
	s_cbranch_execnz .LBB63_222
; %bb.223:
	s_or_b32 exec_lo, exec_lo, s0
.LBB63_224:
	s_delay_alu instid0(SALU_CYCLE_1) | instskip(SKIP_4) | instid1(VALU_DEP_1)
	s_or_b32 exec_lo, exec_lo, s27
	v_mov_b32_e32 v134, 0
	ds_load_b64 v[134:135], v134 offset:328
	s_wait_dscnt 0x0
	v_pk_mul_f32 v[136:137], v[132:133], v[134:135] op_sel:[1,1] op_sel_hi:[0,1]
	v_pk_fma_f32 v[138:139], v[132:133], v[134:135], v[136:137] op_sel_hi:[1,0,1]
	v_pk_fma_f32 v[132:133], v[132:133], v[134:135], v[136:137] neg_lo:[0,0,1] neg_hi:[0,0,1]
	s_delay_alu instid0(VALU_DEP_2)
	v_mov_b32_e32 v133, v139
	scratch_store_b64 off, v[132:133], off offset:328
.LBB63_225:
	s_wait_xcnt 0x0
	s_or_b32 exec_lo, exec_lo, s26
	scratch_load_b64 v[132:133], off, off offset:320
	v_cmp_lt_u32_e64 s0, 40, v0
	s_wait_loadcnt 0x0
	ds_store_b64 v1, v[132:133]
	s_wait_storecnt_dscnt 0x0
	s_barrier_signal -1
	s_barrier_wait -1
	s_wait_xcnt 0x0
	s_and_saveexec_b32 s25, s0
	s_cbranch_execz .LBB63_235
; %bb.226:
	s_and_not1_b32 vcc_lo, exec_lo, s3
	s_cbranch_vccnz .LBB63_228
; %bb.227:
	scratch_load_b64 v[132:133], v59, off
	ds_load_b64 v[134:135], v1
	s_wait_loadcnt_dscnt 0x0
	v_pk_mul_f32 v[136:137], v[134:135], v[132:133] op_sel:[1,1] op_sel_hi:[0,1]
	s_delay_alu instid0(VALU_DEP_1) | instskip(SKIP_1) | instid1(VALU_DEP_2)
	v_pk_fma_f32 v[138:139], v[134:135], v[132:133], v[136:137] op_sel_hi:[1,0,1]
	v_pk_fma_f32 v[132:133], v[134:135], v[132:133], v[136:137] neg_lo:[0,0,1] neg_hi:[0,0,1]
	v_mov_b32_e32 v133, v139
	s_cbranch_execz .LBB63_229
	s_branch .LBB63_230
.LBB63_228:
                                        ; implicit-def: $vgpr132_vgpr133
.LBB63_229:
	ds_load_b64 v[132:133], v1
.LBB63_230:
	s_and_saveexec_b32 s26, s1
	s_cbranch_execz .LBB63_234
; %bb.231:
	v_subrev_nc_u32_e32 v134, 41, v0
	s_movk_i32 s1, 0x148
	s_movk_i32 s28, 0x348
	s_mov_b32 s27, 0
.LBB63_232:                             ; =>This Inner Loop Header: Depth=1
	scratch_load_b64 v[136:137], off, s1
	v_dual_mov_b32 v135, s28 :: v_dual_add_nc_u32 v134, -1, v134
	s_add_co_i32 s28, s28, 8
	s_wait_xcnt 0x0
	s_add_co_i32 s1, s1, 8
	ds_load_b64 v[138:139], v135
	v_cmp_eq_u32_e32 vcc_lo, 0, v134
	s_or_b32 s27, vcc_lo, s27
	s_wait_loadcnt_dscnt 0x0
	v_pk_mul_f32 v[140:141], v[138:139], v[136:137] op_sel:[1,1] op_sel_hi:[0,1]
	s_delay_alu instid0(VALU_DEP_1) | instskip(SKIP_1) | instid1(VALU_DEP_2)
	v_pk_fma_f32 v[142:143], v[138:139], v[136:137], v[140:141] op_sel_hi:[1,0,1]
	v_pk_fma_f32 v[136:137], v[138:139], v[136:137], v[140:141] neg_lo:[0,0,1] neg_hi:[0,0,1]
	v_mov_b32_e32 v137, v143
	s_delay_alu instid0(VALU_DEP_1)
	v_pk_add_f32 v[132:133], v[132:133], v[136:137]
	s_and_not1_b32 exec_lo, exec_lo, s27
	s_cbranch_execnz .LBB63_232
; %bb.233:
	s_or_b32 exec_lo, exec_lo, s27
.LBB63_234:
	s_delay_alu instid0(SALU_CYCLE_1) | instskip(SKIP_4) | instid1(VALU_DEP_1)
	s_or_b32 exec_lo, exec_lo, s26
	v_mov_b32_e32 v134, 0
	ds_load_b64 v[134:135], v134 offset:320
	s_wait_dscnt 0x0
	v_pk_mul_f32 v[136:137], v[132:133], v[134:135] op_sel:[1,1] op_sel_hi:[0,1]
	v_pk_fma_f32 v[138:139], v[132:133], v[134:135], v[136:137] op_sel_hi:[1,0,1]
	v_pk_fma_f32 v[132:133], v[132:133], v[134:135], v[136:137] neg_lo:[0,0,1] neg_hi:[0,0,1]
	s_delay_alu instid0(VALU_DEP_2)
	v_mov_b32_e32 v133, v139
	scratch_store_b64 off, v[132:133], off offset:320
.LBB63_235:
	s_wait_xcnt 0x0
	s_or_b32 exec_lo, exec_lo, s25
	scratch_load_b64 v[132:133], off, off offset:312
	v_cmp_lt_u32_e64 s1, 39, v0
	s_wait_loadcnt 0x0
	ds_store_b64 v1, v[132:133]
	s_wait_storecnt_dscnt 0x0
	s_barrier_signal -1
	s_barrier_wait -1
	s_wait_xcnt 0x0
	s_and_saveexec_b32 s25, s1
	s_cbranch_execz .LBB63_245
; %bb.236:
	s_and_not1_b32 vcc_lo, exec_lo, s3
	s_cbranch_vccnz .LBB63_238
; %bb.237:
	scratch_load_b64 v[132:133], v59, off
	ds_load_b64 v[134:135], v1
	s_wait_loadcnt_dscnt 0x0
	v_pk_mul_f32 v[136:137], v[134:135], v[132:133] op_sel:[1,1] op_sel_hi:[0,1]
	s_delay_alu instid0(VALU_DEP_1) | instskip(SKIP_1) | instid1(VALU_DEP_2)
	v_pk_fma_f32 v[138:139], v[134:135], v[132:133], v[136:137] op_sel_hi:[1,0,1]
	v_pk_fma_f32 v[132:133], v[134:135], v[132:133], v[136:137] neg_lo:[0,0,1] neg_hi:[0,0,1]
	v_mov_b32_e32 v133, v139
	s_cbranch_execz .LBB63_239
	s_branch .LBB63_240
.LBB63_238:
                                        ; implicit-def: $vgpr132_vgpr133
.LBB63_239:
	ds_load_b64 v[132:133], v1
.LBB63_240:
	s_and_saveexec_b32 s26, s0
	s_cbranch_execz .LBB63_244
; %bb.241:
	v_subrev_nc_u32_e32 v134, 40, v0
	s_movk_i32 s27, 0x340
	s_mov_b32 s0, 0
.LBB63_242:                             ; =>This Inner Loop Header: Depth=1
	scratch_load_b64 v[136:137], off, s24
	v_dual_mov_b32 v135, s27 :: v_dual_add_nc_u32 v134, -1, v134
	s_add_co_i32 s27, s27, 8
	s_wait_xcnt 0x0
	s_add_co_i32 s24, s24, 8
	ds_load_b64 v[138:139], v135
	v_cmp_eq_u32_e32 vcc_lo, 0, v134
	s_or_b32 s0, vcc_lo, s0
	s_wait_loadcnt_dscnt 0x0
	v_pk_mul_f32 v[140:141], v[138:139], v[136:137] op_sel:[1,1] op_sel_hi:[0,1]
	s_delay_alu instid0(VALU_DEP_1) | instskip(SKIP_1) | instid1(VALU_DEP_2)
	v_pk_fma_f32 v[142:143], v[138:139], v[136:137], v[140:141] op_sel_hi:[1,0,1]
	v_pk_fma_f32 v[136:137], v[138:139], v[136:137], v[140:141] neg_lo:[0,0,1] neg_hi:[0,0,1]
	v_mov_b32_e32 v137, v143
	s_delay_alu instid0(VALU_DEP_1)
	v_pk_add_f32 v[132:133], v[132:133], v[136:137]
	s_and_not1_b32 exec_lo, exec_lo, s0
	s_cbranch_execnz .LBB63_242
; %bb.243:
	s_or_b32 exec_lo, exec_lo, s0
.LBB63_244:
	s_delay_alu instid0(SALU_CYCLE_1) | instskip(SKIP_4) | instid1(VALU_DEP_1)
	s_or_b32 exec_lo, exec_lo, s26
	v_mov_b32_e32 v134, 0
	ds_load_b64 v[134:135], v134 offset:312
	s_wait_dscnt 0x0
	v_pk_mul_f32 v[136:137], v[132:133], v[134:135] op_sel:[1,1] op_sel_hi:[0,1]
	v_pk_fma_f32 v[138:139], v[132:133], v[134:135], v[136:137] op_sel_hi:[1,0,1]
	v_pk_fma_f32 v[132:133], v[132:133], v[134:135], v[136:137] neg_lo:[0,0,1] neg_hi:[0,0,1]
	s_delay_alu instid0(VALU_DEP_2)
	v_mov_b32_e32 v133, v139
	scratch_store_b64 off, v[132:133], off offset:312
.LBB63_245:
	s_wait_xcnt 0x0
	s_or_b32 exec_lo, exec_lo, s25
	scratch_load_b64 v[132:133], off, off offset:304
	v_cmp_lt_u32_e64 s0, 38, v0
	s_wait_loadcnt 0x0
	ds_store_b64 v1, v[132:133]
	s_wait_storecnt_dscnt 0x0
	s_barrier_signal -1
	s_barrier_wait -1
	s_wait_xcnt 0x0
	s_and_saveexec_b32 s24, s0
	s_cbranch_execz .LBB63_255
; %bb.246:
	s_and_not1_b32 vcc_lo, exec_lo, s3
	s_cbranch_vccnz .LBB63_248
; %bb.247:
	scratch_load_b64 v[132:133], v59, off
	ds_load_b64 v[134:135], v1
	s_wait_loadcnt_dscnt 0x0
	v_pk_mul_f32 v[136:137], v[134:135], v[132:133] op_sel:[1,1] op_sel_hi:[0,1]
	s_delay_alu instid0(VALU_DEP_1) | instskip(SKIP_1) | instid1(VALU_DEP_2)
	v_pk_fma_f32 v[138:139], v[134:135], v[132:133], v[136:137] op_sel_hi:[1,0,1]
	v_pk_fma_f32 v[132:133], v[134:135], v[132:133], v[136:137] neg_lo:[0,0,1] neg_hi:[0,0,1]
	v_mov_b32_e32 v133, v139
	s_cbranch_execz .LBB63_249
	s_branch .LBB63_250
.LBB63_248:
                                        ; implicit-def: $vgpr132_vgpr133
.LBB63_249:
	ds_load_b64 v[132:133], v1
.LBB63_250:
	s_and_saveexec_b32 s25, s1
	s_cbranch_execz .LBB63_254
; %bb.251:
	v_subrev_nc_u32_e32 v134, 39, v0
	s_movk_i32 s1, 0x138
	s_movk_i32 s27, 0x338
	s_mov_b32 s26, 0
.LBB63_252:                             ; =>This Inner Loop Header: Depth=1
	scratch_load_b64 v[136:137], off, s1
	v_dual_mov_b32 v135, s27 :: v_dual_add_nc_u32 v134, -1, v134
	s_add_co_i32 s27, s27, 8
	s_wait_xcnt 0x0
	s_add_co_i32 s1, s1, 8
	ds_load_b64 v[138:139], v135
	v_cmp_eq_u32_e32 vcc_lo, 0, v134
	s_or_b32 s26, vcc_lo, s26
	s_wait_loadcnt_dscnt 0x0
	v_pk_mul_f32 v[140:141], v[138:139], v[136:137] op_sel:[1,1] op_sel_hi:[0,1]
	s_delay_alu instid0(VALU_DEP_1) | instskip(SKIP_1) | instid1(VALU_DEP_2)
	v_pk_fma_f32 v[142:143], v[138:139], v[136:137], v[140:141] op_sel_hi:[1,0,1]
	v_pk_fma_f32 v[136:137], v[138:139], v[136:137], v[140:141] neg_lo:[0,0,1] neg_hi:[0,0,1]
	v_mov_b32_e32 v137, v143
	s_delay_alu instid0(VALU_DEP_1)
	v_pk_add_f32 v[132:133], v[132:133], v[136:137]
	s_and_not1_b32 exec_lo, exec_lo, s26
	s_cbranch_execnz .LBB63_252
; %bb.253:
	s_or_b32 exec_lo, exec_lo, s26
.LBB63_254:
	s_delay_alu instid0(SALU_CYCLE_1) | instskip(SKIP_4) | instid1(VALU_DEP_1)
	s_or_b32 exec_lo, exec_lo, s25
	v_mov_b32_e32 v134, 0
	ds_load_b64 v[134:135], v134 offset:304
	s_wait_dscnt 0x0
	v_pk_mul_f32 v[136:137], v[132:133], v[134:135] op_sel:[1,1] op_sel_hi:[0,1]
	v_pk_fma_f32 v[138:139], v[132:133], v[134:135], v[136:137] op_sel_hi:[1,0,1]
	v_pk_fma_f32 v[132:133], v[132:133], v[134:135], v[136:137] neg_lo:[0,0,1] neg_hi:[0,0,1]
	s_delay_alu instid0(VALU_DEP_2)
	v_mov_b32_e32 v133, v139
	scratch_store_b64 off, v[132:133], off offset:304
.LBB63_255:
	s_wait_xcnt 0x0
	s_or_b32 exec_lo, exec_lo, s24
	scratch_load_b64 v[132:133], off, off offset:296
	v_cmp_lt_u32_e64 s1, 37, v0
	s_wait_loadcnt 0x0
	ds_store_b64 v1, v[132:133]
	s_wait_storecnt_dscnt 0x0
	s_barrier_signal -1
	s_barrier_wait -1
	s_wait_xcnt 0x0
	s_and_saveexec_b32 s24, s1
	s_cbranch_execz .LBB63_265
; %bb.256:
	s_and_not1_b32 vcc_lo, exec_lo, s3
	s_cbranch_vccnz .LBB63_258
; %bb.257:
	scratch_load_b64 v[132:133], v59, off
	ds_load_b64 v[134:135], v1
	s_wait_loadcnt_dscnt 0x0
	v_pk_mul_f32 v[136:137], v[134:135], v[132:133] op_sel:[1,1] op_sel_hi:[0,1]
	s_delay_alu instid0(VALU_DEP_1) | instskip(SKIP_1) | instid1(VALU_DEP_2)
	v_pk_fma_f32 v[138:139], v[134:135], v[132:133], v[136:137] op_sel_hi:[1,0,1]
	v_pk_fma_f32 v[132:133], v[134:135], v[132:133], v[136:137] neg_lo:[0,0,1] neg_hi:[0,0,1]
	v_mov_b32_e32 v133, v139
	s_cbranch_execz .LBB63_259
	s_branch .LBB63_260
.LBB63_258:
                                        ; implicit-def: $vgpr132_vgpr133
.LBB63_259:
	ds_load_b64 v[132:133], v1
.LBB63_260:
	s_and_saveexec_b32 s25, s0
	s_cbranch_execz .LBB63_264
; %bb.261:
	v_subrev_nc_u32_e32 v134, 38, v0
	s_movk_i32 s26, 0x330
	s_mov_b32 s0, 0
.LBB63_262:                             ; =>This Inner Loop Header: Depth=1
	scratch_load_b64 v[136:137], off, s23
	v_dual_mov_b32 v135, s26 :: v_dual_add_nc_u32 v134, -1, v134
	s_add_co_i32 s26, s26, 8
	s_wait_xcnt 0x0
	s_add_co_i32 s23, s23, 8
	ds_load_b64 v[138:139], v135
	v_cmp_eq_u32_e32 vcc_lo, 0, v134
	s_or_b32 s0, vcc_lo, s0
	s_wait_loadcnt_dscnt 0x0
	v_pk_mul_f32 v[140:141], v[138:139], v[136:137] op_sel:[1,1] op_sel_hi:[0,1]
	s_delay_alu instid0(VALU_DEP_1) | instskip(SKIP_1) | instid1(VALU_DEP_2)
	v_pk_fma_f32 v[142:143], v[138:139], v[136:137], v[140:141] op_sel_hi:[1,0,1]
	v_pk_fma_f32 v[136:137], v[138:139], v[136:137], v[140:141] neg_lo:[0,0,1] neg_hi:[0,0,1]
	v_mov_b32_e32 v137, v143
	s_delay_alu instid0(VALU_DEP_1)
	v_pk_add_f32 v[132:133], v[132:133], v[136:137]
	s_and_not1_b32 exec_lo, exec_lo, s0
	s_cbranch_execnz .LBB63_262
; %bb.263:
	s_or_b32 exec_lo, exec_lo, s0
.LBB63_264:
	s_delay_alu instid0(SALU_CYCLE_1) | instskip(SKIP_4) | instid1(VALU_DEP_1)
	s_or_b32 exec_lo, exec_lo, s25
	v_mov_b32_e32 v134, 0
	ds_load_b64 v[134:135], v134 offset:296
	s_wait_dscnt 0x0
	v_pk_mul_f32 v[136:137], v[132:133], v[134:135] op_sel:[1,1] op_sel_hi:[0,1]
	v_pk_fma_f32 v[138:139], v[132:133], v[134:135], v[136:137] op_sel_hi:[1,0,1]
	v_pk_fma_f32 v[132:133], v[132:133], v[134:135], v[136:137] neg_lo:[0,0,1] neg_hi:[0,0,1]
	s_delay_alu instid0(VALU_DEP_2)
	v_mov_b32_e32 v133, v139
	scratch_store_b64 off, v[132:133], off offset:296
.LBB63_265:
	s_wait_xcnt 0x0
	s_or_b32 exec_lo, exec_lo, s24
	scratch_load_b64 v[132:133], off, off offset:288
	v_cmp_lt_u32_e64 s0, 36, v0
	s_wait_loadcnt 0x0
	ds_store_b64 v1, v[132:133]
	s_wait_storecnt_dscnt 0x0
	s_barrier_signal -1
	s_barrier_wait -1
	s_wait_xcnt 0x0
	s_and_saveexec_b32 s23, s0
	s_cbranch_execz .LBB63_275
; %bb.266:
	s_and_not1_b32 vcc_lo, exec_lo, s3
	s_cbranch_vccnz .LBB63_268
; %bb.267:
	scratch_load_b64 v[132:133], v59, off
	ds_load_b64 v[134:135], v1
	s_wait_loadcnt_dscnt 0x0
	v_pk_mul_f32 v[136:137], v[134:135], v[132:133] op_sel:[1,1] op_sel_hi:[0,1]
	s_delay_alu instid0(VALU_DEP_1) | instskip(SKIP_1) | instid1(VALU_DEP_2)
	v_pk_fma_f32 v[138:139], v[134:135], v[132:133], v[136:137] op_sel_hi:[1,0,1]
	v_pk_fma_f32 v[132:133], v[134:135], v[132:133], v[136:137] neg_lo:[0,0,1] neg_hi:[0,0,1]
	v_mov_b32_e32 v133, v139
	s_cbranch_execz .LBB63_269
	s_branch .LBB63_270
.LBB63_268:
                                        ; implicit-def: $vgpr132_vgpr133
.LBB63_269:
	ds_load_b64 v[132:133], v1
.LBB63_270:
	s_and_saveexec_b32 s24, s1
	s_cbranch_execz .LBB63_274
; %bb.271:
	v_subrev_nc_u32_e32 v134, 37, v0
	s_movk_i32 s1, 0x128
	s_movk_i32 s26, 0x328
	s_mov_b32 s25, 0
.LBB63_272:                             ; =>This Inner Loop Header: Depth=1
	scratch_load_b64 v[136:137], off, s1
	v_dual_mov_b32 v135, s26 :: v_dual_add_nc_u32 v134, -1, v134
	s_add_co_i32 s26, s26, 8
	s_wait_xcnt 0x0
	s_add_co_i32 s1, s1, 8
	ds_load_b64 v[138:139], v135
	v_cmp_eq_u32_e32 vcc_lo, 0, v134
	s_or_b32 s25, vcc_lo, s25
	s_wait_loadcnt_dscnt 0x0
	v_pk_mul_f32 v[140:141], v[138:139], v[136:137] op_sel:[1,1] op_sel_hi:[0,1]
	s_delay_alu instid0(VALU_DEP_1) | instskip(SKIP_1) | instid1(VALU_DEP_2)
	v_pk_fma_f32 v[142:143], v[138:139], v[136:137], v[140:141] op_sel_hi:[1,0,1]
	v_pk_fma_f32 v[136:137], v[138:139], v[136:137], v[140:141] neg_lo:[0,0,1] neg_hi:[0,0,1]
	v_mov_b32_e32 v137, v143
	s_delay_alu instid0(VALU_DEP_1)
	v_pk_add_f32 v[132:133], v[132:133], v[136:137]
	s_and_not1_b32 exec_lo, exec_lo, s25
	s_cbranch_execnz .LBB63_272
; %bb.273:
	s_or_b32 exec_lo, exec_lo, s25
.LBB63_274:
	s_delay_alu instid0(SALU_CYCLE_1) | instskip(SKIP_4) | instid1(VALU_DEP_1)
	s_or_b32 exec_lo, exec_lo, s24
	v_mov_b32_e32 v134, 0
	ds_load_b64 v[134:135], v134 offset:288
	s_wait_dscnt 0x0
	v_pk_mul_f32 v[136:137], v[132:133], v[134:135] op_sel:[1,1] op_sel_hi:[0,1]
	v_pk_fma_f32 v[138:139], v[132:133], v[134:135], v[136:137] op_sel_hi:[1,0,1]
	v_pk_fma_f32 v[132:133], v[132:133], v[134:135], v[136:137] neg_lo:[0,0,1] neg_hi:[0,0,1]
	s_delay_alu instid0(VALU_DEP_2)
	v_mov_b32_e32 v133, v139
	scratch_store_b64 off, v[132:133], off offset:288
.LBB63_275:
	s_wait_xcnt 0x0
	s_or_b32 exec_lo, exec_lo, s23
	scratch_load_b64 v[132:133], off, off offset:280
	v_cmp_lt_u32_e64 s1, 35, v0
	s_wait_loadcnt 0x0
	ds_store_b64 v1, v[132:133]
	s_wait_storecnt_dscnt 0x0
	s_barrier_signal -1
	s_barrier_wait -1
	s_wait_xcnt 0x0
	s_and_saveexec_b32 s23, s1
	s_cbranch_execz .LBB63_285
; %bb.276:
	s_and_not1_b32 vcc_lo, exec_lo, s3
	s_cbranch_vccnz .LBB63_278
; %bb.277:
	scratch_load_b64 v[132:133], v59, off
	ds_load_b64 v[134:135], v1
	s_wait_loadcnt_dscnt 0x0
	v_pk_mul_f32 v[136:137], v[134:135], v[132:133] op_sel:[1,1] op_sel_hi:[0,1]
	s_delay_alu instid0(VALU_DEP_1) | instskip(SKIP_1) | instid1(VALU_DEP_2)
	v_pk_fma_f32 v[138:139], v[134:135], v[132:133], v[136:137] op_sel_hi:[1,0,1]
	v_pk_fma_f32 v[132:133], v[134:135], v[132:133], v[136:137] neg_lo:[0,0,1] neg_hi:[0,0,1]
	v_mov_b32_e32 v133, v139
	s_cbranch_execz .LBB63_279
	s_branch .LBB63_280
.LBB63_278:
                                        ; implicit-def: $vgpr132_vgpr133
.LBB63_279:
	ds_load_b64 v[132:133], v1
.LBB63_280:
	s_and_saveexec_b32 s24, s0
	s_cbranch_execz .LBB63_284
; %bb.281:
	v_subrev_nc_u32_e32 v134, 36, v0
	s_movk_i32 s25, 0x320
	s_mov_b32 s0, 0
.LBB63_282:                             ; =>This Inner Loop Header: Depth=1
	scratch_load_b64 v[136:137], off, s22
	v_dual_mov_b32 v135, s25 :: v_dual_add_nc_u32 v134, -1, v134
	s_add_co_i32 s25, s25, 8
	s_wait_xcnt 0x0
	s_add_co_i32 s22, s22, 8
	ds_load_b64 v[138:139], v135
	v_cmp_eq_u32_e32 vcc_lo, 0, v134
	s_or_b32 s0, vcc_lo, s0
	s_wait_loadcnt_dscnt 0x0
	v_pk_mul_f32 v[140:141], v[138:139], v[136:137] op_sel:[1,1] op_sel_hi:[0,1]
	s_delay_alu instid0(VALU_DEP_1) | instskip(SKIP_1) | instid1(VALU_DEP_2)
	v_pk_fma_f32 v[142:143], v[138:139], v[136:137], v[140:141] op_sel_hi:[1,0,1]
	v_pk_fma_f32 v[136:137], v[138:139], v[136:137], v[140:141] neg_lo:[0,0,1] neg_hi:[0,0,1]
	v_mov_b32_e32 v137, v143
	s_delay_alu instid0(VALU_DEP_1)
	v_pk_add_f32 v[132:133], v[132:133], v[136:137]
	s_and_not1_b32 exec_lo, exec_lo, s0
	s_cbranch_execnz .LBB63_282
; %bb.283:
	s_or_b32 exec_lo, exec_lo, s0
.LBB63_284:
	s_delay_alu instid0(SALU_CYCLE_1) | instskip(SKIP_4) | instid1(VALU_DEP_1)
	s_or_b32 exec_lo, exec_lo, s24
	v_mov_b32_e32 v134, 0
	ds_load_b64 v[134:135], v134 offset:280
	s_wait_dscnt 0x0
	v_pk_mul_f32 v[136:137], v[132:133], v[134:135] op_sel:[1,1] op_sel_hi:[0,1]
	v_pk_fma_f32 v[138:139], v[132:133], v[134:135], v[136:137] op_sel_hi:[1,0,1]
	v_pk_fma_f32 v[132:133], v[132:133], v[134:135], v[136:137] neg_lo:[0,0,1] neg_hi:[0,0,1]
	s_delay_alu instid0(VALU_DEP_2)
	v_mov_b32_e32 v133, v139
	scratch_store_b64 off, v[132:133], off offset:280
.LBB63_285:
	s_wait_xcnt 0x0
	s_or_b32 exec_lo, exec_lo, s23
	scratch_load_b64 v[132:133], off, off offset:272
	v_cmp_lt_u32_e64 s0, 34, v0
	s_wait_loadcnt 0x0
	ds_store_b64 v1, v[132:133]
	s_wait_storecnt_dscnt 0x0
	s_barrier_signal -1
	s_barrier_wait -1
	s_wait_xcnt 0x0
	s_and_saveexec_b32 s22, s0
	s_cbranch_execz .LBB63_295
; %bb.286:
	s_and_not1_b32 vcc_lo, exec_lo, s3
	s_cbranch_vccnz .LBB63_288
; %bb.287:
	scratch_load_b64 v[132:133], v59, off
	ds_load_b64 v[134:135], v1
	s_wait_loadcnt_dscnt 0x0
	v_pk_mul_f32 v[136:137], v[134:135], v[132:133] op_sel:[1,1] op_sel_hi:[0,1]
	s_delay_alu instid0(VALU_DEP_1) | instskip(SKIP_1) | instid1(VALU_DEP_2)
	v_pk_fma_f32 v[138:139], v[134:135], v[132:133], v[136:137] op_sel_hi:[1,0,1]
	v_pk_fma_f32 v[132:133], v[134:135], v[132:133], v[136:137] neg_lo:[0,0,1] neg_hi:[0,0,1]
	v_mov_b32_e32 v133, v139
	s_cbranch_execz .LBB63_289
	s_branch .LBB63_290
.LBB63_288:
                                        ; implicit-def: $vgpr132_vgpr133
.LBB63_289:
	ds_load_b64 v[132:133], v1
.LBB63_290:
	s_and_saveexec_b32 s23, s1
	s_cbranch_execz .LBB63_294
; %bb.291:
	v_subrev_nc_u32_e32 v134, 35, v0
	s_movk_i32 s1, 0x118
	s_movk_i32 s25, 0x318
	s_mov_b32 s24, 0
.LBB63_292:                             ; =>This Inner Loop Header: Depth=1
	scratch_load_b64 v[136:137], off, s1
	v_dual_mov_b32 v135, s25 :: v_dual_add_nc_u32 v134, -1, v134
	s_add_co_i32 s25, s25, 8
	s_wait_xcnt 0x0
	s_add_co_i32 s1, s1, 8
	ds_load_b64 v[138:139], v135
	v_cmp_eq_u32_e32 vcc_lo, 0, v134
	s_or_b32 s24, vcc_lo, s24
	s_wait_loadcnt_dscnt 0x0
	v_pk_mul_f32 v[140:141], v[138:139], v[136:137] op_sel:[1,1] op_sel_hi:[0,1]
	s_delay_alu instid0(VALU_DEP_1) | instskip(SKIP_1) | instid1(VALU_DEP_2)
	v_pk_fma_f32 v[142:143], v[138:139], v[136:137], v[140:141] op_sel_hi:[1,0,1]
	v_pk_fma_f32 v[136:137], v[138:139], v[136:137], v[140:141] neg_lo:[0,0,1] neg_hi:[0,0,1]
	v_mov_b32_e32 v137, v143
	s_delay_alu instid0(VALU_DEP_1)
	v_pk_add_f32 v[132:133], v[132:133], v[136:137]
	s_and_not1_b32 exec_lo, exec_lo, s24
	s_cbranch_execnz .LBB63_292
; %bb.293:
	s_or_b32 exec_lo, exec_lo, s24
.LBB63_294:
	s_delay_alu instid0(SALU_CYCLE_1) | instskip(SKIP_4) | instid1(VALU_DEP_1)
	s_or_b32 exec_lo, exec_lo, s23
	v_mov_b32_e32 v134, 0
	ds_load_b64 v[134:135], v134 offset:272
	s_wait_dscnt 0x0
	v_pk_mul_f32 v[136:137], v[132:133], v[134:135] op_sel:[1,1] op_sel_hi:[0,1]
	v_pk_fma_f32 v[138:139], v[132:133], v[134:135], v[136:137] op_sel_hi:[1,0,1]
	v_pk_fma_f32 v[132:133], v[132:133], v[134:135], v[136:137] neg_lo:[0,0,1] neg_hi:[0,0,1]
	s_delay_alu instid0(VALU_DEP_2)
	v_mov_b32_e32 v133, v139
	scratch_store_b64 off, v[132:133], off offset:272
.LBB63_295:
	s_wait_xcnt 0x0
	s_or_b32 exec_lo, exec_lo, s22
	scratch_load_b64 v[132:133], off, off offset:264
	v_cmp_lt_u32_e64 s1, 33, v0
	s_wait_loadcnt 0x0
	ds_store_b64 v1, v[132:133]
	s_wait_storecnt_dscnt 0x0
	s_barrier_signal -1
	s_barrier_wait -1
	s_wait_xcnt 0x0
	s_and_saveexec_b32 s22, s1
	s_cbranch_execz .LBB63_305
; %bb.296:
	s_and_not1_b32 vcc_lo, exec_lo, s3
	s_cbranch_vccnz .LBB63_298
; %bb.297:
	scratch_load_b64 v[132:133], v59, off
	ds_load_b64 v[134:135], v1
	s_wait_loadcnt_dscnt 0x0
	v_pk_mul_f32 v[136:137], v[134:135], v[132:133] op_sel:[1,1] op_sel_hi:[0,1]
	s_delay_alu instid0(VALU_DEP_1) | instskip(SKIP_1) | instid1(VALU_DEP_2)
	v_pk_fma_f32 v[138:139], v[134:135], v[132:133], v[136:137] op_sel_hi:[1,0,1]
	v_pk_fma_f32 v[132:133], v[134:135], v[132:133], v[136:137] neg_lo:[0,0,1] neg_hi:[0,0,1]
	v_mov_b32_e32 v133, v139
	s_cbranch_execz .LBB63_299
	s_branch .LBB63_300
.LBB63_298:
                                        ; implicit-def: $vgpr132_vgpr133
.LBB63_299:
	ds_load_b64 v[132:133], v1
.LBB63_300:
	s_and_saveexec_b32 s23, s0
	s_cbranch_execz .LBB63_304
; %bb.301:
	v_subrev_nc_u32_e32 v134, 34, v0
	s_movk_i32 s24, 0x310
	s_mov_b32 s0, 0
.LBB63_302:                             ; =>This Inner Loop Header: Depth=1
	scratch_load_b64 v[136:137], off, s21
	v_dual_mov_b32 v135, s24 :: v_dual_add_nc_u32 v134, -1, v134
	s_add_co_i32 s24, s24, 8
	s_wait_xcnt 0x0
	s_add_co_i32 s21, s21, 8
	ds_load_b64 v[138:139], v135
	v_cmp_eq_u32_e32 vcc_lo, 0, v134
	s_or_b32 s0, vcc_lo, s0
	s_wait_loadcnt_dscnt 0x0
	v_pk_mul_f32 v[140:141], v[138:139], v[136:137] op_sel:[1,1] op_sel_hi:[0,1]
	s_delay_alu instid0(VALU_DEP_1) | instskip(SKIP_1) | instid1(VALU_DEP_2)
	v_pk_fma_f32 v[142:143], v[138:139], v[136:137], v[140:141] op_sel_hi:[1,0,1]
	v_pk_fma_f32 v[136:137], v[138:139], v[136:137], v[140:141] neg_lo:[0,0,1] neg_hi:[0,0,1]
	v_mov_b32_e32 v137, v143
	s_delay_alu instid0(VALU_DEP_1)
	v_pk_add_f32 v[132:133], v[132:133], v[136:137]
	s_and_not1_b32 exec_lo, exec_lo, s0
	s_cbranch_execnz .LBB63_302
; %bb.303:
	s_or_b32 exec_lo, exec_lo, s0
.LBB63_304:
	s_delay_alu instid0(SALU_CYCLE_1) | instskip(SKIP_4) | instid1(VALU_DEP_1)
	s_or_b32 exec_lo, exec_lo, s23
	v_mov_b32_e32 v134, 0
	ds_load_b64 v[134:135], v134 offset:264
	s_wait_dscnt 0x0
	v_pk_mul_f32 v[136:137], v[132:133], v[134:135] op_sel:[1,1] op_sel_hi:[0,1]
	v_pk_fma_f32 v[138:139], v[132:133], v[134:135], v[136:137] op_sel_hi:[1,0,1]
	v_pk_fma_f32 v[132:133], v[132:133], v[134:135], v[136:137] neg_lo:[0,0,1] neg_hi:[0,0,1]
	s_delay_alu instid0(VALU_DEP_2)
	v_mov_b32_e32 v133, v139
	scratch_store_b64 off, v[132:133], off offset:264
.LBB63_305:
	s_wait_xcnt 0x0
	s_or_b32 exec_lo, exec_lo, s22
	scratch_load_b64 v[132:133], off, off offset:256
	v_cmp_lt_u32_e64 s0, 32, v0
	s_wait_loadcnt 0x0
	ds_store_b64 v1, v[132:133]
	s_wait_storecnt_dscnt 0x0
	s_barrier_signal -1
	s_barrier_wait -1
	s_wait_xcnt 0x0
	s_and_saveexec_b32 s21, s0
	s_cbranch_execz .LBB63_315
; %bb.306:
	s_and_not1_b32 vcc_lo, exec_lo, s3
	s_cbranch_vccnz .LBB63_308
; %bb.307:
	scratch_load_b64 v[132:133], v59, off
	ds_load_b64 v[134:135], v1
	s_wait_loadcnt_dscnt 0x0
	v_pk_mul_f32 v[136:137], v[134:135], v[132:133] op_sel:[1,1] op_sel_hi:[0,1]
	s_delay_alu instid0(VALU_DEP_1) | instskip(SKIP_1) | instid1(VALU_DEP_2)
	v_pk_fma_f32 v[138:139], v[134:135], v[132:133], v[136:137] op_sel_hi:[1,0,1]
	v_pk_fma_f32 v[132:133], v[134:135], v[132:133], v[136:137] neg_lo:[0,0,1] neg_hi:[0,0,1]
	v_mov_b32_e32 v133, v139
	s_cbranch_execz .LBB63_309
	s_branch .LBB63_310
.LBB63_308:
                                        ; implicit-def: $vgpr132_vgpr133
.LBB63_309:
	ds_load_b64 v[132:133], v1
.LBB63_310:
	s_and_saveexec_b32 s22, s1
	s_cbranch_execz .LBB63_314
; %bb.311:
	v_subrev_nc_u32_e32 v134, 33, v0
	s_movk_i32 s1, 0x108
	s_movk_i32 s24, 0x308
	s_mov_b32 s23, 0
.LBB63_312:                             ; =>This Inner Loop Header: Depth=1
	scratch_load_b64 v[136:137], off, s1
	v_dual_mov_b32 v135, s24 :: v_dual_add_nc_u32 v134, -1, v134
	s_add_co_i32 s24, s24, 8
	s_wait_xcnt 0x0
	s_add_co_i32 s1, s1, 8
	ds_load_b64 v[138:139], v135
	v_cmp_eq_u32_e32 vcc_lo, 0, v134
	s_or_b32 s23, vcc_lo, s23
	s_wait_loadcnt_dscnt 0x0
	v_pk_mul_f32 v[140:141], v[138:139], v[136:137] op_sel:[1,1] op_sel_hi:[0,1]
	s_delay_alu instid0(VALU_DEP_1) | instskip(SKIP_1) | instid1(VALU_DEP_2)
	v_pk_fma_f32 v[142:143], v[138:139], v[136:137], v[140:141] op_sel_hi:[1,0,1]
	v_pk_fma_f32 v[136:137], v[138:139], v[136:137], v[140:141] neg_lo:[0,0,1] neg_hi:[0,0,1]
	v_mov_b32_e32 v137, v143
	s_delay_alu instid0(VALU_DEP_1)
	v_pk_add_f32 v[132:133], v[132:133], v[136:137]
	s_and_not1_b32 exec_lo, exec_lo, s23
	s_cbranch_execnz .LBB63_312
; %bb.313:
	s_or_b32 exec_lo, exec_lo, s23
.LBB63_314:
	s_delay_alu instid0(SALU_CYCLE_1) | instskip(SKIP_4) | instid1(VALU_DEP_1)
	s_or_b32 exec_lo, exec_lo, s22
	v_mov_b32_e32 v134, 0
	ds_load_b64 v[134:135], v134 offset:256
	s_wait_dscnt 0x0
	v_pk_mul_f32 v[136:137], v[132:133], v[134:135] op_sel:[1,1] op_sel_hi:[0,1]
	v_pk_fma_f32 v[138:139], v[132:133], v[134:135], v[136:137] op_sel_hi:[1,0,1]
	v_pk_fma_f32 v[132:133], v[132:133], v[134:135], v[136:137] neg_lo:[0,0,1] neg_hi:[0,0,1]
	s_delay_alu instid0(VALU_DEP_2)
	v_mov_b32_e32 v133, v139
	scratch_store_b64 off, v[132:133], off offset:256
.LBB63_315:
	s_wait_xcnt 0x0
	s_or_b32 exec_lo, exec_lo, s21
	scratch_load_b64 v[132:133], off, off offset:248
	v_cmp_lt_u32_e64 s1, 31, v0
	s_wait_loadcnt 0x0
	ds_store_b64 v1, v[132:133]
	s_wait_storecnt_dscnt 0x0
	s_barrier_signal -1
	s_barrier_wait -1
	s_wait_xcnt 0x0
	s_and_saveexec_b32 s21, s1
	s_cbranch_execz .LBB63_325
; %bb.316:
	s_and_not1_b32 vcc_lo, exec_lo, s3
	s_cbranch_vccnz .LBB63_318
; %bb.317:
	scratch_load_b64 v[132:133], v59, off
	ds_load_b64 v[134:135], v1
	s_wait_loadcnt_dscnt 0x0
	v_pk_mul_f32 v[136:137], v[134:135], v[132:133] op_sel:[1,1] op_sel_hi:[0,1]
	s_delay_alu instid0(VALU_DEP_1) | instskip(SKIP_1) | instid1(VALU_DEP_2)
	v_pk_fma_f32 v[138:139], v[134:135], v[132:133], v[136:137] op_sel_hi:[1,0,1]
	v_pk_fma_f32 v[132:133], v[134:135], v[132:133], v[136:137] neg_lo:[0,0,1] neg_hi:[0,0,1]
	v_mov_b32_e32 v133, v139
	s_cbranch_execz .LBB63_319
	s_branch .LBB63_320
.LBB63_318:
                                        ; implicit-def: $vgpr132_vgpr133
.LBB63_319:
	ds_load_b64 v[132:133], v1
.LBB63_320:
	s_and_saveexec_b32 s22, s0
	s_cbranch_execz .LBB63_324
; %bb.321:
	v_subrev_nc_u32_e32 v134, 32, v0
	s_movk_i32 s23, 0x300
	s_mov_b32 s0, 0
.LBB63_322:                             ; =>This Inner Loop Header: Depth=1
	scratch_load_b64 v[136:137], off, s20
	v_dual_mov_b32 v135, s23 :: v_dual_add_nc_u32 v134, -1, v134
	s_add_co_i32 s23, s23, 8
	s_wait_xcnt 0x0
	s_add_co_i32 s20, s20, 8
	ds_load_b64 v[138:139], v135
	v_cmp_eq_u32_e32 vcc_lo, 0, v134
	s_or_b32 s0, vcc_lo, s0
	s_wait_loadcnt_dscnt 0x0
	v_pk_mul_f32 v[140:141], v[138:139], v[136:137] op_sel:[1,1] op_sel_hi:[0,1]
	s_delay_alu instid0(VALU_DEP_1) | instskip(SKIP_1) | instid1(VALU_DEP_2)
	v_pk_fma_f32 v[142:143], v[138:139], v[136:137], v[140:141] op_sel_hi:[1,0,1]
	v_pk_fma_f32 v[136:137], v[138:139], v[136:137], v[140:141] neg_lo:[0,0,1] neg_hi:[0,0,1]
	v_mov_b32_e32 v137, v143
	s_delay_alu instid0(VALU_DEP_1)
	v_pk_add_f32 v[132:133], v[132:133], v[136:137]
	s_and_not1_b32 exec_lo, exec_lo, s0
	s_cbranch_execnz .LBB63_322
; %bb.323:
	s_or_b32 exec_lo, exec_lo, s0
.LBB63_324:
	s_delay_alu instid0(SALU_CYCLE_1) | instskip(SKIP_4) | instid1(VALU_DEP_1)
	s_or_b32 exec_lo, exec_lo, s22
	v_mov_b32_e32 v134, 0
	ds_load_b64 v[134:135], v134 offset:248
	s_wait_dscnt 0x0
	v_pk_mul_f32 v[136:137], v[132:133], v[134:135] op_sel:[1,1] op_sel_hi:[0,1]
	v_pk_fma_f32 v[138:139], v[132:133], v[134:135], v[136:137] op_sel_hi:[1,0,1]
	v_pk_fma_f32 v[132:133], v[132:133], v[134:135], v[136:137] neg_lo:[0,0,1] neg_hi:[0,0,1]
	s_delay_alu instid0(VALU_DEP_2)
	v_mov_b32_e32 v133, v139
	scratch_store_b64 off, v[132:133], off offset:248
.LBB63_325:
	s_wait_xcnt 0x0
	s_or_b32 exec_lo, exec_lo, s21
	scratch_load_b64 v[132:133], off, off offset:240
	v_cmp_lt_u32_e64 s0, 30, v0
	s_wait_loadcnt 0x0
	ds_store_b64 v1, v[132:133]
	s_wait_storecnt_dscnt 0x0
	s_barrier_signal -1
	s_barrier_wait -1
	s_wait_xcnt 0x0
	s_and_saveexec_b32 s20, s0
	s_cbranch_execz .LBB63_335
; %bb.326:
	s_and_not1_b32 vcc_lo, exec_lo, s3
	s_cbranch_vccnz .LBB63_328
; %bb.327:
	scratch_load_b64 v[132:133], v59, off
	ds_load_b64 v[134:135], v1
	s_wait_loadcnt_dscnt 0x0
	v_pk_mul_f32 v[136:137], v[134:135], v[132:133] op_sel:[1,1] op_sel_hi:[0,1]
	s_delay_alu instid0(VALU_DEP_1) | instskip(SKIP_1) | instid1(VALU_DEP_2)
	v_pk_fma_f32 v[138:139], v[134:135], v[132:133], v[136:137] op_sel_hi:[1,0,1]
	v_pk_fma_f32 v[132:133], v[134:135], v[132:133], v[136:137] neg_lo:[0,0,1] neg_hi:[0,0,1]
	v_mov_b32_e32 v133, v139
	s_cbranch_execz .LBB63_329
	s_branch .LBB63_330
.LBB63_328:
                                        ; implicit-def: $vgpr132_vgpr133
.LBB63_329:
	ds_load_b64 v[132:133], v1
.LBB63_330:
	s_and_saveexec_b32 s21, s1
	s_cbranch_execz .LBB63_334
; %bb.331:
	v_subrev_nc_u32_e32 v134, 31, v0
	s_movk_i32 s1, 0xf8
	s_movk_i32 s23, 0x2f8
	s_mov_b32 s22, 0
.LBB63_332:                             ; =>This Inner Loop Header: Depth=1
	scratch_load_b64 v[136:137], off, s1
	v_dual_mov_b32 v135, s23 :: v_dual_add_nc_u32 v134, -1, v134
	s_add_co_i32 s23, s23, 8
	s_wait_xcnt 0x0
	s_add_co_i32 s1, s1, 8
	ds_load_b64 v[138:139], v135
	v_cmp_eq_u32_e32 vcc_lo, 0, v134
	s_or_b32 s22, vcc_lo, s22
	s_wait_loadcnt_dscnt 0x0
	v_pk_mul_f32 v[140:141], v[138:139], v[136:137] op_sel:[1,1] op_sel_hi:[0,1]
	s_delay_alu instid0(VALU_DEP_1) | instskip(SKIP_1) | instid1(VALU_DEP_2)
	v_pk_fma_f32 v[142:143], v[138:139], v[136:137], v[140:141] op_sel_hi:[1,0,1]
	v_pk_fma_f32 v[136:137], v[138:139], v[136:137], v[140:141] neg_lo:[0,0,1] neg_hi:[0,0,1]
	v_mov_b32_e32 v137, v143
	s_delay_alu instid0(VALU_DEP_1)
	v_pk_add_f32 v[132:133], v[132:133], v[136:137]
	s_and_not1_b32 exec_lo, exec_lo, s22
	s_cbranch_execnz .LBB63_332
; %bb.333:
	s_or_b32 exec_lo, exec_lo, s22
.LBB63_334:
	s_delay_alu instid0(SALU_CYCLE_1) | instskip(SKIP_4) | instid1(VALU_DEP_1)
	s_or_b32 exec_lo, exec_lo, s21
	v_mov_b32_e32 v134, 0
	ds_load_b64 v[134:135], v134 offset:240
	s_wait_dscnt 0x0
	v_pk_mul_f32 v[136:137], v[132:133], v[134:135] op_sel:[1,1] op_sel_hi:[0,1]
	v_pk_fma_f32 v[138:139], v[132:133], v[134:135], v[136:137] op_sel_hi:[1,0,1]
	v_pk_fma_f32 v[132:133], v[132:133], v[134:135], v[136:137] neg_lo:[0,0,1] neg_hi:[0,0,1]
	s_delay_alu instid0(VALU_DEP_2)
	v_mov_b32_e32 v133, v139
	scratch_store_b64 off, v[132:133], off offset:240
.LBB63_335:
	s_wait_xcnt 0x0
	s_or_b32 exec_lo, exec_lo, s20
	scratch_load_b64 v[132:133], off, off offset:232
	v_cmp_lt_u32_e64 s1, 29, v0
	s_wait_loadcnt 0x0
	ds_store_b64 v1, v[132:133]
	s_wait_storecnt_dscnt 0x0
	s_barrier_signal -1
	s_barrier_wait -1
	s_wait_xcnt 0x0
	s_and_saveexec_b32 s20, s1
	s_cbranch_execz .LBB63_345
; %bb.336:
	s_and_not1_b32 vcc_lo, exec_lo, s3
	s_cbranch_vccnz .LBB63_338
; %bb.337:
	scratch_load_b64 v[132:133], v59, off
	ds_load_b64 v[134:135], v1
	s_wait_loadcnt_dscnt 0x0
	v_pk_mul_f32 v[136:137], v[134:135], v[132:133] op_sel:[1,1] op_sel_hi:[0,1]
	s_delay_alu instid0(VALU_DEP_1) | instskip(SKIP_1) | instid1(VALU_DEP_2)
	v_pk_fma_f32 v[138:139], v[134:135], v[132:133], v[136:137] op_sel_hi:[1,0,1]
	v_pk_fma_f32 v[132:133], v[134:135], v[132:133], v[136:137] neg_lo:[0,0,1] neg_hi:[0,0,1]
	v_mov_b32_e32 v133, v139
	s_cbranch_execz .LBB63_339
	s_branch .LBB63_340
.LBB63_338:
                                        ; implicit-def: $vgpr132_vgpr133
.LBB63_339:
	ds_load_b64 v[132:133], v1
.LBB63_340:
	s_and_saveexec_b32 s21, s0
	s_cbranch_execz .LBB63_344
; %bb.341:
	v_subrev_nc_u32_e32 v134, 30, v0
	s_movk_i32 s22, 0x2f0
	s_mov_b32 s0, 0
.LBB63_342:                             ; =>This Inner Loop Header: Depth=1
	scratch_load_b64 v[136:137], off, s19
	v_dual_mov_b32 v135, s22 :: v_dual_add_nc_u32 v134, -1, v134
	s_add_co_i32 s22, s22, 8
	s_wait_xcnt 0x0
	s_add_co_i32 s19, s19, 8
	ds_load_b64 v[138:139], v135
	v_cmp_eq_u32_e32 vcc_lo, 0, v134
	s_or_b32 s0, vcc_lo, s0
	s_wait_loadcnt_dscnt 0x0
	v_pk_mul_f32 v[140:141], v[138:139], v[136:137] op_sel:[1,1] op_sel_hi:[0,1]
	s_delay_alu instid0(VALU_DEP_1) | instskip(SKIP_1) | instid1(VALU_DEP_2)
	v_pk_fma_f32 v[142:143], v[138:139], v[136:137], v[140:141] op_sel_hi:[1,0,1]
	v_pk_fma_f32 v[136:137], v[138:139], v[136:137], v[140:141] neg_lo:[0,0,1] neg_hi:[0,0,1]
	v_mov_b32_e32 v137, v143
	s_delay_alu instid0(VALU_DEP_1)
	v_pk_add_f32 v[132:133], v[132:133], v[136:137]
	s_and_not1_b32 exec_lo, exec_lo, s0
	s_cbranch_execnz .LBB63_342
; %bb.343:
	s_or_b32 exec_lo, exec_lo, s0
.LBB63_344:
	s_delay_alu instid0(SALU_CYCLE_1) | instskip(SKIP_4) | instid1(VALU_DEP_1)
	s_or_b32 exec_lo, exec_lo, s21
	v_mov_b32_e32 v134, 0
	ds_load_b64 v[134:135], v134 offset:232
	s_wait_dscnt 0x0
	v_pk_mul_f32 v[136:137], v[132:133], v[134:135] op_sel:[1,1] op_sel_hi:[0,1]
	v_pk_fma_f32 v[138:139], v[132:133], v[134:135], v[136:137] op_sel_hi:[1,0,1]
	v_pk_fma_f32 v[132:133], v[132:133], v[134:135], v[136:137] neg_lo:[0,0,1] neg_hi:[0,0,1]
	s_delay_alu instid0(VALU_DEP_2)
	v_mov_b32_e32 v133, v139
	scratch_store_b64 off, v[132:133], off offset:232
.LBB63_345:
	s_wait_xcnt 0x0
	s_or_b32 exec_lo, exec_lo, s20
	scratch_load_b64 v[132:133], off, off offset:224
	v_cmp_lt_u32_e64 s0, 28, v0
	s_wait_loadcnt 0x0
	ds_store_b64 v1, v[132:133]
	s_wait_storecnt_dscnt 0x0
	s_barrier_signal -1
	s_barrier_wait -1
	s_wait_xcnt 0x0
	s_and_saveexec_b32 s19, s0
	s_cbranch_execz .LBB63_355
; %bb.346:
	s_and_not1_b32 vcc_lo, exec_lo, s3
	s_cbranch_vccnz .LBB63_348
; %bb.347:
	scratch_load_b64 v[132:133], v59, off
	ds_load_b64 v[134:135], v1
	s_wait_loadcnt_dscnt 0x0
	v_pk_mul_f32 v[136:137], v[134:135], v[132:133] op_sel:[1,1] op_sel_hi:[0,1]
	s_delay_alu instid0(VALU_DEP_1) | instskip(SKIP_1) | instid1(VALU_DEP_2)
	v_pk_fma_f32 v[138:139], v[134:135], v[132:133], v[136:137] op_sel_hi:[1,0,1]
	v_pk_fma_f32 v[132:133], v[134:135], v[132:133], v[136:137] neg_lo:[0,0,1] neg_hi:[0,0,1]
	v_mov_b32_e32 v133, v139
	s_cbranch_execz .LBB63_349
	s_branch .LBB63_350
.LBB63_348:
                                        ; implicit-def: $vgpr132_vgpr133
.LBB63_349:
	ds_load_b64 v[132:133], v1
.LBB63_350:
	s_and_saveexec_b32 s20, s1
	s_cbranch_execz .LBB63_354
; %bb.351:
	v_subrev_nc_u32_e32 v134, 29, v0
	s_movk_i32 s1, 0xe8
	s_movk_i32 s22, 0x2e8
	s_mov_b32 s21, 0
.LBB63_352:                             ; =>This Inner Loop Header: Depth=1
	scratch_load_b64 v[136:137], off, s1
	v_dual_mov_b32 v135, s22 :: v_dual_add_nc_u32 v134, -1, v134
	s_add_co_i32 s22, s22, 8
	s_wait_xcnt 0x0
	s_add_co_i32 s1, s1, 8
	ds_load_b64 v[138:139], v135
	v_cmp_eq_u32_e32 vcc_lo, 0, v134
	s_or_b32 s21, vcc_lo, s21
	s_wait_loadcnt_dscnt 0x0
	v_pk_mul_f32 v[140:141], v[138:139], v[136:137] op_sel:[1,1] op_sel_hi:[0,1]
	s_delay_alu instid0(VALU_DEP_1) | instskip(SKIP_1) | instid1(VALU_DEP_2)
	v_pk_fma_f32 v[142:143], v[138:139], v[136:137], v[140:141] op_sel_hi:[1,0,1]
	v_pk_fma_f32 v[136:137], v[138:139], v[136:137], v[140:141] neg_lo:[0,0,1] neg_hi:[0,0,1]
	v_mov_b32_e32 v137, v143
	s_delay_alu instid0(VALU_DEP_1)
	v_pk_add_f32 v[132:133], v[132:133], v[136:137]
	s_and_not1_b32 exec_lo, exec_lo, s21
	s_cbranch_execnz .LBB63_352
; %bb.353:
	s_or_b32 exec_lo, exec_lo, s21
.LBB63_354:
	s_delay_alu instid0(SALU_CYCLE_1) | instskip(SKIP_4) | instid1(VALU_DEP_1)
	s_or_b32 exec_lo, exec_lo, s20
	v_mov_b32_e32 v134, 0
	ds_load_b64 v[134:135], v134 offset:224
	s_wait_dscnt 0x0
	v_pk_mul_f32 v[136:137], v[132:133], v[134:135] op_sel:[1,1] op_sel_hi:[0,1]
	v_pk_fma_f32 v[138:139], v[132:133], v[134:135], v[136:137] op_sel_hi:[1,0,1]
	v_pk_fma_f32 v[132:133], v[132:133], v[134:135], v[136:137] neg_lo:[0,0,1] neg_hi:[0,0,1]
	s_delay_alu instid0(VALU_DEP_2)
	v_mov_b32_e32 v133, v139
	scratch_store_b64 off, v[132:133], off offset:224
.LBB63_355:
	s_wait_xcnt 0x0
	s_or_b32 exec_lo, exec_lo, s19
	scratch_load_b64 v[132:133], off, off offset:216
	v_cmp_lt_u32_e64 s1, 27, v0
	s_wait_loadcnt 0x0
	ds_store_b64 v1, v[132:133]
	s_wait_storecnt_dscnt 0x0
	s_barrier_signal -1
	s_barrier_wait -1
	s_wait_xcnt 0x0
	s_and_saveexec_b32 s19, s1
	s_cbranch_execz .LBB63_365
; %bb.356:
	s_and_not1_b32 vcc_lo, exec_lo, s3
	s_cbranch_vccnz .LBB63_358
; %bb.357:
	scratch_load_b64 v[132:133], v59, off
	ds_load_b64 v[134:135], v1
	s_wait_loadcnt_dscnt 0x0
	v_pk_mul_f32 v[136:137], v[134:135], v[132:133] op_sel:[1,1] op_sel_hi:[0,1]
	s_delay_alu instid0(VALU_DEP_1) | instskip(SKIP_1) | instid1(VALU_DEP_2)
	v_pk_fma_f32 v[138:139], v[134:135], v[132:133], v[136:137] op_sel_hi:[1,0,1]
	v_pk_fma_f32 v[132:133], v[134:135], v[132:133], v[136:137] neg_lo:[0,0,1] neg_hi:[0,0,1]
	v_mov_b32_e32 v133, v139
	s_cbranch_execz .LBB63_359
	s_branch .LBB63_360
.LBB63_358:
                                        ; implicit-def: $vgpr132_vgpr133
.LBB63_359:
	ds_load_b64 v[132:133], v1
.LBB63_360:
	s_and_saveexec_b32 s20, s0
	s_cbranch_execz .LBB63_364
; %bb.361:
	v_subrev_nc_u32_e32 v134, 28, v0
	s_movk_i32 s21, 0x2e0
	s_mov_b32 s0, 0
.LBB63_362:                             ; =>This Inner Loop Header: Depth=1
	scratch_load_b64 v[136:137], off, s18
	v_dual_mov_b32 v135, s21 :: v_dual_add_nc_u32 v134, -1, v134
	s_add_co_i32 s21, s21, 8
	s_wait_xcnt 0x0
	s_add_co_i32 s18, s18, 8
	ds_load_b64 v[138:139], v135
	v_cmp_eq_u32_e32 vcc_lo, 0, v134
	s_or_b32 s0, vcc_lo, s0
	s_wait_loadcnt_dscnt 0x0
	v_pk_mul_f32 v[140:141], v[138:139], v[136:137] op_sel:[1,1] op_sel_hi:[0,1]
	s_delay_alu instid0(VALU_DEP_1) | instskip(SKIP_1) | instid1(VALU_DEP_2)
	v_pk_fma_f32 v[142:143], v[138:139], v[136:137], v[140:141] op_sel_hi:[1,0,1]
	v_pk_fma_f32 v[136:137], v[138:139], v[136:137], v[140:141] neg_lo:[0,0,1] neg_hi:[0,0,1]
	v_mov_b32_e32 v137, v143
	s_delay_alu instid0(VALU_DEP_1)
	v_pk_add_f32 v[132:133], v[132:133], v[136:137]
	s_and_not1_b32 exec_lo, exec_lo, s0
	s_cbranch_execnz .LBB63_362
; %bb.363:
	s_or_b32 exec_lo, exec_lo, s0
.LBB63_364:
	s_delay_alu instid0(SALU_CYCLE_1) | instskip(SKIP_4) | instid1(VALU_DEP_1)
	s_or_b32 exec_lo, exec_lo, s20
	v_mov_b32_e32 v134, 0
	ds_load_b64 v[134:135], v134 offset:216
	s_wait_dscnt 0x0
	v_pk_mul_f32 v[136:137], v[132:133], v[134:135] op_sel:[1,1] op_sel_hi:[0,1]
	v_pk_fma_f32 v[138:139], v[132:133], v[134:135], v[136:137] op_sel_hi:[1,0,1]
	v_pk_fma_f32 v[132:133], v[132:133], v[134:135], v[136:137] neg_lo:[0,0,1] neg_hi:[0,0,1]
	s_delay_alu instid0(VALU_DEP_2)
	v_mov_b32_e32 v133, v139
	scratch_store_b64 off, v[132:133], off offset:216
.LBB63_365:
	s_wait_xcnt 0x0
	s_or_b32 exec_lo, exec_lo, s19
	scratch_load_b64 v[132:133], off, off offset:208
	v_cmp_lt_u32_e64 s0, 26, v0
	s_wait_loadcnt 0x0
	ds_store_b64 v1, v[132:133]
	s_wait_storecnt_dscnt 0x0
	s_barrier_signal -1
	s_barrier_wait -1
	s_wait_xcnt 0x0
	s_and_saveexec_b32 s18, s0
	s_cbranch_execz .LBB63_375
; %bb.366:
	s_and_not1_b32 vcc_lo, exec_lo, s3
	s_cbranch_vccnz .LBB63_368
; %bb.367:
	scratch_load_b64 v[132:133], v59, off
	ds_load_b64 v[134:135], v1
	s_wait_loadcnt_dscnt 0x0
	v_pk_mul_f32 v[136:137], v[134:135], v[132:133] op_sel:[1,1] op_sel_hi:[0,1]
	s_delay_alu instid0(VALU_DEP_1) | instskip(SKIP_1) | instid1(VALU_DEP_2)
	v_pk_fma_f32 v[138:139], v[134:135], v[132:133], v[136:137] op_sel_hi:[1,0,1]
	v_pk_fma_f32 v[132:133], v[134:135], v[132:133], v[136:137] neg_lo:[0,0,1] neg_hi:[0,0,1]
	v_mov_b32_e32 v133, v139
	s_cbranch_execz .LBB63_369
	s_branch .LBB63_370
.LBB63_368:
                                        ; implicit-def: $vgpr132_vgpr133
.LBB63_369:
	ds_load_b64 v[132:133], v1
.LBB63_370:
	s_and_saveexec_b32 s19, s1
	s_cbranch_execz .LBB63_374
; %bb.371:
	v_subrev_nc_u32_e32 v134, 27, v0
	s_movk_i32 s1, 0xd8
	s_movk_i32 s21, 0x2d8
	s_mov_b32 s20, 0
.LBB63_372:                             ; =>This Inner Loop Header: Depth=1
	scratch_load_b64 v[136:137], off, s1
	v_dual_mov_b32 v135, s21 :: v_dual_add_nc_u32 v134, -1, v134
	s_add_co_i32 s21, s21, 8
	s_wait_xcnt 0x0
	s_add_co_i32 s1, s1, 8
	ds_load_b64 v[138:139], v135
	v_cmp_eq_u32_e32 vcc_lo, 0, v134
	s_or_b32 s20, vcc_lo, s20
	s_wait_loadcnt_dscnt 0x0
	v_pk_mul_f32 v[140:141], v[138:139], v[136:137] op_sel:[1,1] op_sel_hi:[0,1]
	s_delay_alu instid0(VALU_DEP_1) | instskip(SKIP_1) | instid1(VALU_DEP_2)
	v_pk_fma_f32 v[142:143], v[138:139], v[136:137], v[140:141] op_sel_hi:[1,0,1]
	v_pk_fma_f32 v[136:137], v[138:139], v[136:137], v[140:141] neg_lo:[0,0,1] neg_hi:[0,0,1]
	v_mov_b32_e32 v137, v143
	s_delay_alu instid0(VALU_DEP_1)
	v_pk_add_f32 v[132:133], v[132:133], v[136:137]
	s_and_not1_b32 exec_lo, exec_lo, s20
	s_cbranch_execnz .LBB63_372
; %bb.373:
	s_or_b32 exec_lo, exec_lo, s20
.LBB63_374:
	s_delay_alu instid0(SALU_CYCLE_1) | instskip(SKIP_4) | instid1(VALU_DEP_1)
	s_or_b32 exec_lo, exec_lo, s19
	v_mov_b32_e32 v134, 0
	ds_load_b64 v[134:135], v134 offset:208
	s_wait_dscnt 0x0
	v_pk_mul_f32 v[136:137], v[132:133], v[134:135] op_sel:[1,1] op_sel_hi:[0,1]
	v_pk_fma_f32 v[138:139], v[132:133], v[134:135], v[136:137] op_sel_hi:[1,0,1]
	v_pk_fma_f32 v[132:133], v[132:133], v[134:135], v[136:137] neg_lo:[0,0,1] neg_hi:[0,0,1]
	s_delay_alu instid0(VALU_DEP_2)
	v_mov_b32_e32 v133, v139
	scratch_store_b64 off, v[132:133], off offset:208
.LBB63_375:
	s_wait_xcnt 0x0
	s_or_b32 exec_lo, exec_lo, s18
	scratch_load_b64 v[132:133], off, off offset:200
	v_cmp_lt_u32_e64 s1, 25, v0
	s_wait_loadcnt 0x0
	ds_store_b64 v1, v[132:133]
	s_wait_storecnt_dscnt 0x0
	s_barrier_signal -1
	s_barrier_wait -1
	s_wait_xcnt 0x0
	s_and_saveexec_b32 s18, s1
	s_cbranch_execz .LBB63_385
; %bb.376:
	s_and_not1_b32 vcc_lo, exec_lo, s3
	s_cbranch_vccnz .LBB63_378
; %bb.377:
	scratch_load_b64 v[132:133], v59, off
	ds_load_b64 v[134:135], v1
	s_wait_loadcnt_dscnt 0x0
	v_pk_mul_f32 v[136:137], v[134:135], v[132:133] op_sel:[1,1] op_sel_hi:[0,1]
	s_delay_alu instid0(VALU_DEP_1) | instskip(SKIP_1) | instid1(VALU_DEP_2)
	v_pk_fma_f32 v[138:139], v[134:135], v[132:133], v[136:137] op_sel_hi:[1,0,1]
	v_pk_fma_f32 v[132:133], v[134:135], v[132:133], v[136:137] neg_lo:[0,0,1] neg_hi:[0,0,1]
	v_mov_b32_e32 v133, v139
	s_cbranch_execz .LBB63_379
	s_branch .LBB63_380
.LBB63_378:
                                        ; implicit-def: $vgpr132_vgpr133
.LBB63_379:
	ds_load_b64 v[132:133], v1
.LBB63_380:
	s_and_saveexec_b32 s19, s0
	s_cbranch_execz .LBB63_384
; %bb.381:
	v_subrev_nc_u32_e32 v134, 26, v0
	s_movk_i32 s20, 0x2d0
	s_mov_b32 s0, 0
.LBB63_382:                             ; =>This Inner Loop Header: Depth=1
	scratch_load_b64 v[136:137], off, s17
	v_dual_mov_b32 v135, s20 :: v_dual_add_nc_u32 v134, -1, v134
	s_add_co_i32 s20, s20, 8
	s_wait_xcnt 0x0
	s_add_co_i32 s17, s17, 8
	ds_load_b64 v[138:139], v135
	v_cmp_eq_u32_e32 vcc_lo, 0, v134
	s_or_b32 s0, vcc_lo, s0
	s_wait_loadcnt_dscnt 0x0
	v_pk_mul_f32 v[140:141], v[138:139], v[136:137] op_sel:[1,1] op_sel_hi:[0,1]
	s_delay_alu instid0(VALU_DEP_1) | instskip(SKIP_1) | instid1(VALU_DEP_2)
	v_pk_fma_f32 v[142:143], v[138:139], v[136:137], v[140:141] op_sel_hi:[1,0,1]
	v_pk_fma_f32 v[136:137], v[138:139], v[136:137], v[140:141] neg_lo:[0,0,1] neg_hi:[0,0,1]
	v_mov_b32_e32 v137, v143
	s_delay_alu instid0(VALU_DEP_1)
	v_pk_add_f32 v[132:133], v[132:133], v[136:137]
	s_and_not1_b32 exec_lo, exec_lo, s0
	s_cbranch_execnz .LBB63_382
; %bb.383:
	s_or_b32 exec_lo, exec_lo, s0
.LBB63_384:
	s_delay_alu instid0(SALU_CYCLE_1) | instskip(SKIP_4) | instid1(VALU_DEP_1)
	s_or_b32 exec_lo, exec_lo, s19
	v_mov_b32_e32 v134, 0
	ds_load_b64 v[134:135], v134 offset:200
	s_wait_dscnt 0x0
	v_pk_mul_f32 v[136:137], v[132:133], v[134:135] op_sel:[1,1] op_sel_hi:[0,1]
	v_pk_fma_f32 v[138:139], v[132:133], v[134:135], v[136:137] op_sel_hi:[1,0,1]
	v_pk_fma_f32 v[132:133], v[132:133], v[134:135], v[136:137] neg_lo:[0,0,1] neg_hi:[0,0,1]
	s_delay_alu instid0(VALU_DEP_2)
	v_mov_b32_e32 v133, v139
	scratch_store_b64 off, v[132:133], off offset:200
.LBB63_385:
	s_wait_xcnt 0x0
	s_or_b32 exec_lo, exec_lo, s18
	scratch_load_b64 v[132:133], off, off offset:192
	v_cmp_lt_u32_e64 s0, 24, v0
	s_wait_loadcnt 0x0
	ds_store_b64 v1, v[132:133]
	s_wait_storecnt_dscnt 0x0
	s_barrier_signal -1
	s_barrier_wait -1
	s_wait_xcnt 0x0
	s_and_saveexec_b32 s17, s0
	s_cbranch_execz .LBB63_395
; %bb.386:
	s_and_not1_b32 vcc_lo, exec_lo, s3
	s_cbranch_vccnz .LBB63_388
; %bb.387:
	scratch_load_b64 v[132:133], v59, off
	ds_load_b64 v[134:135], v1
	s_wait_loadcnt_dscnt 0x0
	v_pk_mul_f32 v[136:137], v[134:135], v[132:133] op_sel:[1,1] op_sel_hi:[0,1]
	s_delay_alu instid0(VALU_DEP_1) | instskip(SKIP_1) | instid1(VALU_DEP_2)
	v_pk_fma_f32 v[138:139], v[134:135], v[132:133], v[136:137] op_sel_hi:[1,0,1]
	v_pk_fma_f32 v[132:133], v[134:135], v[132:133], v[136:137] neg_lo:[0,0,1] neg_hi:[0,0,1]
	v_mov_b32_e32 v133, v139
	s_cbranch_execz .LBB63_389
	s_branch .LBB63_390
.LBB63_388:
                                        ; implicit-def: $vgpr132_vgpr133
.LBB63_389:
	ds_load_b64 v[132:133], v1
.LBB63_390:
	s_and_saveexec_b32 s18, s1
	s_cbranch_execz .LBB63_394
; %bb.391:
	v_subrev_nc_u32_e32 v134, 25, v0
	s_movk_i32 s1, 0xc8
	s_movk_i32 s20, 0x2c8
	s_mov_b32 s19, 0
.LBB63_392:                             ; =>This Inner Loop Header: Depth=1
	scratch_load_b64 v[136:137], off, s1
	v_dual_mov_b32 v135, s20 :: v_dual_add_nc_u32 v134, -1, v134
	s_add_co_i32 s20, s20, 8
	s_wait_xcnt 0x0
	s_add_co_i32 s1, s1, 8
	ds_load_b64 v[138:139], v135
	v_cmp_eq_u32_e32 vcc_lo, 0, v134
	s_or_b32 s19, vcc_lo, s19
	s_wait_loadcnt_dscnt 0x0
	v_pk_mul_f32 v[140:141], v[138:139], v[136:137] op_sel:[1,1] op_sel_hi:[0,1]
	s_delay_alu instid0(VALU_DEP_1) | instskip(SKIP_1) | instid1(VALU_DEP_2)
	v_pk_fma_f32 v[142:143], v[138:139], v[136:137], v[140:141] op_sel_hi:[1,0,1]
	v_pk_fma_f32 v[136:137], v[138:139], v[136:137], v[140:141] neg_lo:[0,0,1] neg_hi:[0,0,1]
	v_mov_b32_e32 v137, v143
	s_delay_alu instid0(VALU_DEP_1)
	v_pk_add_f32 v[132:133], v[132:133], v[136:137]
	s_and_not1_b32 exec_lo, exec_lo, s19
	s_cbranch_execnz .LBB63_392
; %bb.393:
	s_or_b32 exec_lo, exec_lo, s19
.LBB63_394:
	s_delay_alu instid0(SALU_CYCLE_1) | instskip(SKIP_4) | instid1(VALU_DEP_1)
	s_or_b32 exec_lo, exec_lo, s18
	v_mov_b32_e32 v134, 0
	ds_load_b64 v[134:135], v134 offset:192
	s_wait_dscnt 0x0
	v_pk_mul_f32 v[136:137], v[132:133], v[134:135] op_sel:[1,1] op_sel_hi:[0,1]
	v_pk_fma_f32 v[138:139], v[132:133], v[134:135], v[136:137] op_sel_hi:[1,0,1]
	v_pk_fma_f32 v[132:133], v[132:133], v[134:135], v[136:137] neg_lo:[0,0,1] neg_hi:[0,0,1]
	s_delay_alu instid0(VALU_DEP_2)
	v_mov_b32_e32 v133, v139
	scratch_store_b64 off, v[132:133], off offset:192
.LBB63_395:
	s_wait_xcnt 0x0
	s_or_b32 exec_lo, exec_lo, s17
	scratch_load_b64 v[132:133], off, off offset:184
	v_cmp_lt_u32_e64 s1, 23, v0
	s_wait_loadcnt 0x0
	ds_store_b64 v1, v[132:133]
	s_wait_storecnt_dscnt 0x0
	s_barrier_signal -1
	s_barrier_wait -1
	s_wait_xcnt 0x0
	s_and_saveexec_b32 s17, s1
	s_cbranch_execz .LBB63_405
; %bb.396:
	s_and_not1_b32 vcc_lo, exec_lo, s3
	s_cbranch_vccnz .LBB63_398
; %bb.397:
	scratch_load_b64 v[132:133], v59, off
	ds_load_b64 v[134:135], v1
	s_wait_loadcnt_dscnt 0x0
	v_pk_mul_f32 v[136:137], v[134:135], v[132:133] op_sel:[1,1] op_sel_hi:[0,1]
	s_delay_alu instid0(VALU_DEP_1) | instskip(SKIP_1) | instid1(VALU_DEP_2)
	v_pk_fma_f32 v[138:139], v[134:135], v[132:133], v[136:137] op_sel_hi:[1,0,1]
	v_pk_fma_f32 v[132:133], v[134:135], v[132:133], v[136:137] neg_lo:[0,0,1] neg_hi:[0,0,1]
	v_mov_b32_e32 v133, v139
	s_cbranch_execz .LBB63_399
	s_branch .LBB63_400
.LBB63_398:
                                        ; implicit-def: $vgpr132_vgpr133
.LBB63_399:
	ds_load_b64 v[132:133], v1
.LBB63_400:
	s_and_saveexec_b32 s18, s0
	s_cbranch_execz .LBB63_404
; %bb.401:
	v_subrev_nc_u32_e32 v134, 24, v0
	s_movk_i32 s19, 0x2c0
	s_mov_b32 s0, 0
.LBB63_402:                             ; =>This Inner Loop Header: Depth=1
	scratch_load_b64 v[136:137], off, s16
	v_dual_mov_b32 v135, s19 :: v_dual_add_nc_u32 v134, -1, v134
	s_add_co_i32 s19, s19, 8
	s_wait_xcnt 0x0
	s_add_co_i32 s16, s16, 8
	ds_load_b64 v[138:139], v135
	v_cmp_eq_u32_e32 vcc_lo, 0, v134
	s_or_b32 s0, vcc_lo, s0
	s_wait_loadcnt_dscnt 0x0
	v_pk_mul_f32 v[140:141], v[138:139], v[136:137] op_sel:[1,1] op_sel_hi:[0,1]
	s_delay_alu instid0(VALU_DEP_1) | instskip(SKIP_1) | instid1(VALU_DEP_2)
	v_pk_fma_f32 v[142:143], v[138:139], v[136:137], v[140:141] op_sel_hi:[1,0,1]
	v_pk_fma_f32 v[136:137], v[138:139], v[136:137], v[140:141] neg_lo:[0,0,1] neg_hi:[0,0,1]
	v_mov_b32_e32 v137, v143
	s_delay_alu instid0(VALU_DEP_1)
	v_pk_add_f32 v[132:133], v[132:133], v[136:137]
	s_and_not1_b32 exec_lo, exec_lo, s0
	s_cbranch_execnz .LBB63_402
; %bb.403:
	s_or_b32 exec_lo, exec_lo, s0
.LBB63_404:
	s_delay_alu instid0(SALU_CYCLE_1) | instskip(SKIP_4) | instid1(VALU_DEP_1)
	s_or_b32 exec_lo, exec_lo, s18
	v_mov_b32_e32 v134, 0
	ds_load_b64 v[134:135], v134 offset:184
	s_wait_dscnt 0x0
	v_pk_mul_f32 v[136:137], v[132:133], v[134:135] op_sel:[1,1] op_sel_hi:[0,1]
	v_pk_fma_f32 v[138:139], v[132:133], v[134:135], v[136:137] op_sel_hi:[1,0,1]
	v_pk_fma_f32 v[132:133], v[132:133], v[134:135], v[136:137] neg_lo:[0,0,1] neg_hi:[0,0,1]
	s_delay_alu instid0(VALU_DEP_2)
	v_mov_b32_e32 v133, v139
	scratch_store_b64 off, v[132:133], off offset:184
.LBB63_405:
	s_wait_xcnt 0x0
	s_or_b32 exec_lo, exec_lo, s17
	scratch_load_b64 v[132:133], off, off offset:176
	v_cmp_lt_u32_e64 s0, 22, v0
	s_wait_loadcnt 0x0
	ds_store_b64 v1, v[132:133]
	s_wait_storecnt_dscnt 0x0
	s_barrier_signal -1
	s_barrier_wait -1
	s_wait_xcnt 0x0
	s_and_saveexec_b32 s16, s0
	s_cbranch_execz .LBB63_415
; %bb.406:
	s_and_not1_b32 vcc_lo, exec_lo, s3
	s_cbranch_vccnz .LBB63_408
; %bb.407:
	scratch_load_b64 v[132:133], v59, off
	ds_load_b64 v[134:135], v1
	s_wait_loadcnt_dscnt 0x0
	v_pk_mul_f32 v[136:137], v[134:135], v[132:133] op_sel:[1,1] op_sel_hi:[0,1]
	s_delay_alu instid0(VALU_DEP_1) | instskip(SKIP_1) | instid1(VALU_DEP_2)
	v_pk_fma_f32 v[138:139], v[134:135], v[132:133], v[136:137] op_sel_hi:[1,0,1]
	v_pk_fma_f32 v[132:133], v[134:135], v[132:133], v[136:137] neg_lo:[0,0,1] neg_hi:[0,0,1]
	v_mov_b32_e32 v133, v139
	s_cbranch_execz .LBB63_409
	s_branch .LBB63_410
.LBB63_408:
                                        ; implicit-def: $vgpr132_vgpr133
.LBB63_409:
	ds_load_b64 v[132:133], v1
.LBB63_410:
	s_and_saveexec_b32 s17, s1
	s_cbranch_execz .LBB63_414
; %bb.411:
	v_subrev_nc_u32_e32 v134, 23, v0
	s_movk_i32 s1, 0xb8
	s_movk_i32 s19, 0x2b8
	s_mov_b32 s18, 0
.LBB63_412:                             ; =>This Inner Loop Header: Depth=1
	scratch_load_b64 v[136:137], off, s1
	v_dual_mov_b32 v135, s19 :: v_dual_add_nc_u32 v134, -1, v134
	s_add_co_i32 s19, s19, 8
	s_wait_xcnt 0x0
	s_add_co_i32 s1, s1, 8
	ds_load_b64 v[138:139], v135
	v_cmp_eq_u32_e32 vcc_lo, 0, v134
	s_or_b32 s18, vcc_lo, s18
	s_wait_loadcnt_dscnt 0x0
	v_pk_mul_f32 v[140:141], v[138:139], v[136:137] op_sel:[1,1] op_sel_hi:[0,1]
	s_delay_alu instid0(VALU_DEP_1) | instskip(SKIP_1) | instid1(VALU_DEP_2)
	v_pk_fma_f32 v[142:143], v[138:139], v[136:137], v[140:141] op_sel_hi:[1,0,1]
	v_pk_fma_f32 v[136:137], v[138:139], v[136:137], v[140:141] neg_lo:[0,0,1] neg_hi:[0,0,1]
	v_mov_b32_e32 v137, v143
	s_delay_alu instid0(VALU_DEP_1)
	v_pk_add_f32 v[132:133], v[132:133], v[136:137]
	s_and_not1_b32 exec_lo, exec_lo, s18
	s_cbranch_execnz .LBB63_412
; %bb.413:
	s_or_b32 exec_lo, exec_lo, s18
.LBB63_414:
	s_delay_alu instid0(SALU_CYCLE_1) | instskip(SKIP_4) | instid1(VALU_DEP_1)
	s_or_b32 exec_lo, exec_lo, s17
	v_mov_b32_e32 v134, 0
	ds_load_b64 v[134:135], v134 offset:176
	s_wait_dscnt 0x0
	v_pk_mul_f32 v[136:137], v[132:133], v[134:135] op_sel:[1,1] op_sel_hi:[0,1]
	v_pk_fma_f32 v[138:139], v[132:133], v[134:135], v[136:137] op_sel_hi:[1,0,1]
	v_pk_fma_f32 v[132:133], v[132:133], v[134:135], v[136:137] neg_lo:[0,0,1] neg_hi:[0,0,1]
	s_delay_alu instid0(VALU_DEP_2)
	v_mov_b32_e32 v133, v139
	scratch_store_b64 off, v[132:133], off offset:176
.LBB63_415:
	s_wait_xcnt 0x0
	s_or_b32 exec_lo, exec_lo, s16
	scratch_load_b64 v[132:133], off, off offset:168
	v_cmp_lt_u32_e64 s1, 21, v0
	s_wait_loadcnt 0x0
	ds_store_b64 v1, v[132:133]
	s_wait_storecnt_dscnt 0x0
	s_barrier_signal -1
	s_barrier_wait -1
	s_wait_xcnt 0x0
	s_and_saveexec_b32 s16, s1
	s_cbranch_execz .LBB63_425
; %bb.416:
	s_and_not1_b32 vcc_lo, exec_lo, s3
	s_cbranch_vccnz .LBB63_418
; %bb.417:
	scratch_load_b64 v[132:133], v59, off
	ds_load_b64 v[134:135], v1
	s_wait_loadcnt_dscnt 0x0
	v_pk_mul_f32 v[136:137], v[134:135], v[132:133] op_sel:[1,1] op_sel_hi:[0,1]
	s_delay_alu instid0(VALU_DEP_1) | instskip(SKIP_1) | instid1(VALU_DEP_2)
	v_pk_fma_f32 v[138:139], v[134:135], v[132:133], v[136:137] op_sel_hi:[1,0,1]
	v_pk_fma_f32 v[132:133], v[134:135], v[132:133], v[136:137] neg_lo:[0,0,1] neg_hi:[0,0,1]
	v_mov_b32_e32 v133, v139
	s_cbranch_execz .LBB63_419
	s_branch .LBB63_420
.LBB63_418:
                                        ; implicit-def: $vgpr132_vgpr133
.LBB63_419:
	ds_load_b64 v[132:133], v1
.LBB63_420:
	s_and_saveexec_b32 s17, s0
	s_cbranch_execz .LBB63_424
; %bb.421:
	v_subrev_nc_u32_e32 v134, 22, v0
	s_movk_i32 s18, 0x2b0
	s_mov_b32 s0, 0
.LBB63_422:                             ; =>This Inner Loop Header: Depth=1
	scratch_load_b64 v[136:137], off, s15
	v_dual_mov_b32 v135, s18 :: v_dual_add_nc_u32 v134, -1, v134
	s_add_co_i32 s18, s18, 8
	s_wait_xcnt 0x0
	s_add_co_i32 s15, s15, 8
	ds_load_b64 v[138:139], v135
	v_cmp_eq_u32_e32 vcc_lo, 0, v134
	s_or_b32 s0, vcc_lo, s0
	s_wait_loadcnt_dscnt 0x0
	v_pk_mul_f32 v[140:141], v[138:139], v[136:137] op_sel:[1,1] op_sel_hi:[0,1]
	s_delay_alu instid0(VALU_DEP_1) | instskip(SKIP_1) | instid1(VALU_DEP_2)
	v_pk_fma_f32 v[142:143], v[138:139], v[136:137], v[140:141] op_sel_hi:[1,0,1]
	v_pk_fma_f32 v[136:137], v[138:139], v[136:137], v[140:141] neg_lo:[0,0,1] neg_hi:[0,0,1]
	v_mov_b32_e32 v137, v143
	s_delay_alu instid0(VALU_DEP_1)
	v_pk_add_f32 v[132:133], v[132:133], v[136:137]
	s_and_not1_b32 exec_lo, exec_lo, s0
	s_cbranch_execnz .LBB63_422
; %bb.423:
	s_or_b32 exec_lo, exec_lo, s0
.LBB63_424:
	s_delay_alu instid0(SALU_CYCLE_1) | instskip(SKIP_4) | instid1(VALU_DEP_1)
	s_or_b32 exec_lo, exec_lo, s17
	v_mov_b32_e32 v134, 0
	ds_load_b64 v[134:135], v134 offset:168
	s_wait_dscnt 0x0
	v_pk_mul_f32 v[136:137], v[132:133], v[134:135] op_sel:[1,1] op_sel_hi:[0,1]
	v_pk_fma_f32 v[138:139], v[132:133], v[134:135], v[136:137] op_sel_hi:[1,0,1]
	v_pk_fma_f32 v[132:133], v[132:133], v[134:135], v[136:137] neg_lo:[0,0,1] neg_hi:[0,0,1]
	s_delay_alu instid0(VALU_DEP_2)
	v_mov_b32_e32 v133, v139
	scratch_store_b64 off, v[132:133], off offset:168
.LBB63_425:
	s_wait_xcnt 0x0
	s_or_b32 exec_lo, exec_lo, s16
	scratch_load_b64 v[132:133], off, off offset:160
	v_cmp_lt_u32_e64 s0, 20, v0
	s_wait_loadcnt 0x0
	ds_store_b64 v1, v[132:133]
	s_wait_storecnt_dscnt 0x0
	s_barrier_signal -1
	s_barrier_wait -1
	s_wait_xcnt 0x0
	s_and_saveexec_b32 s15, s0
	s_cbranch_execz .LBB63_435
; %bb.426:
	s_and_not1_b32 vcc_lo, exec_lo, s3
	s_cbranch_vccnz .LBB63_428
; %bb.427:
	scratch_load_b64 v[132:133], v59, off
	ds_load_b64 v[134:135], v1
	s_wait_loadcnt_dscnt 0x0
	v_pk_mul_f32 v[136:137], v[134:135], v[132:133] op_sel:[1,1] op_sel_hi:[0,1]
	s_delay_alu instid0(VALU_DEP_1) | instskip(SKIP_1) | instid1(VALU_DEP_2)
	v_pk_fma_f32 v[138:139], v[134:135], v[132:133], v[136:137] op_sel_hi:[1,0,1]
	v_pk_fma_f32 v[132:133], v[134:135], v[132:133], v[136:137] neg_lo:[0,0,1] neg_hi:[0,0,1]
	v_mov_b32_e32 v133, v139
	s_cbranch_execz .LBB63_429
	s_branch .LBB63_430
.LBB63_428:
                                        ; implicit-def: $vgpr132_vgpr133
.LBB63_429:
	ds_load_b64 v[132:133], v1
.LBB63_430:
	s_and_saveexec_b32 s16, s1
	s_cbranch_execz .LBB63_434
; %bb.431:
	v_subrev_nc_u32_e32 v134, 21, v0
	s_movk_i32 s1, 0xa8
	s_movk_i32 s18, 0x2a8
	s_mov_b32 s17, 0
.LBB63_432:                             ; =>This Inner Loop Header: Depth=1
	scratch_load_b64 v[136:137], off, s1
	v_dual_mov_b32 v135, s18 :: v_dual_add_nc_u32 v134, -1, v134
	s_add_co_i32 s18, s18, 8
	s_wait_xcnt 0x0
	s_add_co_i32 s1, s1, 8
	ds_load_b64 v[138:139], v135
	v_cmp_eq_u32_e32 vcc_lo, 0, v134
	s_or_b32 s17, vcc_lo, s17
	s_wait_loadcnt_dscnt 0x0
	v_pk_mul_f32 v[140:141], v[138:139], v[136:137] op_sel:[1,1] op_sel_hi:[0,1]
	s_delay_alu instid0(VALU_DEP_1) | instskip(SKIP_1) | instid1(VALU_DEP_2)
	v_pk_fma_f32 v[142:143], v[138:139], v[136:137], v[140:141] op_sel_hi:[1,0,1]
	v_pk_fma_f32 v[136:137], v[138:139], v[136:137], v[140:141] neg_lo:[0,0,1] neg_hi:[0,0,1]
	v_mov_b32_e32 v137, v143
	s_delay_alu instid0(VALU_DEP_1)
	v_pk_add_f32 v[132:133], v[132:133], v[136:137]
	s_and_not1_b32 exec_lo, exec_lo, s17
	s_cbranch_execnz .LBB63_432
; %bb.433:
	s_or_b32 exec_lo, exec_lo, s17
.LBB63_434:
	s_delay_alu instid0(SALU_CYCLE_1) | instskip(SKIP_4) | instid1(VALU_DEP_1)
	s_or_b32 exec_lo, exec_lo, s16
	v_mov_b32_e32 v134, 0
	ds_load_b64 v[134:135], v134 offset:160
	s_wait_dscnt 0x0
	v_pk_mul_f32 v[136:137], v[132:133], v[134:135] op_sel:[1,1] op_sel_hi:[0,1]
	v_pk_fma_f32 v[138:139], v[132:133], v[134:135], v[136:137] op_sel_hi:[1,0,1]
	v_pk_fma_f32 v[132:133], v[132:133], v[134:135], v[136:137] neg_lo:[0,0,1] neg_hi:[0,0,1]
	s_delay_alu instid0(VALU_DEP_2)
	v_mov_b32_e32 v133, v139
	scratch_store_b64 off, v[132:133], off offset:160
.LBB63_435:
	s_wait_xcnt 0x0
	s_or_b32 exec_lo, exec_lo, s15
	scratch_load_b64 v[132:133], off, off offset:152
	v_cmp_lt_u32_e64 s1, 19, v0
	s_wait_loadcnt 0x0
	ds_store_b64 v1, v[132:133]
	s_wait_storecnt_dscnt 0x0
	s_barrier_signal -1
	s_barrier_wait -1
	s_wait_xcnt 0x0
	s_and_saveexec_b32 s15, s1
	s_cbranch_execz .LBB63_445
; %bb.436:
	s_and_not1_b32 vcc_lo, exec_lo, s3
	s_cbranch_vccnz .LBB63_438
; %bb.437:
	scratch_load_b64 v[132:133], v59, off
	ds_load_b64 v[134:135], v1
	s_wait_loadcnt_dscnt 0x0
	v_pk_mul_f32 v[136:137], v[134:135], v[132:133] op_sel:[1,1] op_sel_hi:[0,1]
	s_delay_alu instid0(VALU_DEP_1) | instskip(SKIP_1) | instid1(VALU_DEP_2)
	v_pk_fma_f32 v[138:139], v[134:135], v[132:133], v[136:137] op_sel_hi:[1,0,1]
	v_pk_fma_f32 v[132:133], v[134:135], v[132:133], v[136:137] neg_lo:[0,0,1] neg_hi:[0,0,1]
	v_mov_b32_e32 v133, v139
	s_cbranch_execz .LBB63_439
	s_branch .LBB63_440
.LBB63_438:
                                        ; implicit-def: $vgpr132_vgpr133
.LBB63_439:
	ds_load_b64 v[132:133], v1
.LBB63_440:
	s_and_saveexec_b32 s16, s0
	s_cbranch_execz .LBB63_444
; %bb.441:
	v_subrev_nc_u32_e32 v134, 20, v0
	s_movk_i32 s17, 0x2a0
	s_mov_b32 s0, 0
.LBB63_442:                             ; =>This Inner Loop Header: Depth=1
	scratch_load_b64 v[136:137], off, s14
	v_dual_mov_b32 v135, s17 :: v_dual_add_nc_u32 v134, -1, v134
	s_add_co_i32 s17, s17, 8
	s_wait_xcnt 0x0
	s_add_co_i32 s14, s14, 8
	ds_load_b64 v[138:139], v135
	v_cmp_eq_u32_e32 vcc_lo, 0, v134
	s_or_b32 s0, vcc_lo, s0
	s_wait_loadcnt_dscnt 0x0
	v_pk_mul_f32 v[140:141], v[138:139], v[136:137] op_sel:[1,1] op_sel_hi:[0,1]
	s_delay_alu instid0(VALU_DEP_1) | instskip(SKIP_1) | instid1(VALU_DEP_2)
	v_pk_fma_f32 v[142:143], v[138:139], v[136:137], v[140:141] op_sel_hi:[1,0,1]
	v_pk_fma_f32 v[136:137], v[138:139], v[136:137], v[140:141] neg_lo:[0,0,1] neg_hi:[0,0,1]
	v_mov_b32_e32 v137, v143
	s_delay_alu instid0(VALU_DEP_1)
	v_pk_add_f32 v[132:133], v[132:133], v[136:137]
	s_and_not1_b32 exec_lo, exec_lo, s0
	s_cbranch_execnz .LBB63_442
; %bb.443:
	s_or_b32 exec_lo, exec_lo, s0
.LBB63_444:
	s_delay_alu instid0(SALU_CYCLE_1) | instskip(SKIP_4) | instid1(VALU_DEP_1)
	s_or_b32 exec_lo, exec_lo, s16
	v_mov_b32_e32 v134, 0
	ds_load_b64 v[134:135], v134 offset:152
	s_wait_dscnt 0x0
	v_pk_mul_f32 v[136:137], v[132:133], v[134:135] op_sel:[1,1] op_sel_hi:[0,1]
	v_pk_fma_f32 v[138:139], v[132:133], v[134:135], v[136:137] op_sel_hi:[1,0,1]
	v_pk_fma_f32 v[132:133], v[132:133], v[134:135], v[136:137] neg_lo:[0,0,1] neg_hi:[0,0,1]
	s_delay_alu instid0(VALU_DEP_2)
	v_mov_b32_e32 v133, v139
	scratch_store_b64 off, v[132:133], off offset:152
.LBB63_445:
	s_wait_xcnt 0x0
	s_or_b32 exec_lo, exec_lo, s15
	scratch_load_b64 v[132:133], off, off offset:144
	v_cmp_lt_u32_e64 s0, 18, v0
	s_wait_loadcnt 0x0
	ds_store_b64 v1, v[132:133]
	s_wait_storecnt_dscnt 0x0
	s_barrier_signal -1
	s_barrier_wait -1
	s_wait_xcnt 0x0
	s_and_saveexec_b32 s14, s0
	s_cbranch_execz .LBB63_455
; %bb.446:
	s_and_not1_b32 vcc_lo, exec_lo, s3
	s_cbranch_vccnz .LBB63_448
; %bb.447:
	scratch_load_b64 v[132:133], v59, off
	ds_load_b64 v[134:135], v1
	s_wait_loadcnt_dscnt 0x0
	v_pk_mul_f32 v[136:137], v[134:135], v[132:133] op_sel:[1,1] op_sel_hi:[0,1]
	s_delay_alu instid0(VALU_DEP_1) | instskip(SKIP_1) | instid1(VALU_DEP_2)
	v_pk_fma_f32 v[138:139], v[134:135], v[132:133], v[136:137] op_sel_hi:[1,0,1]
	v_pk_fma_f32 v[132:133], v[134:135], v[132:133], v[136:137] neg_lo:[0,0,1] neg_hi:[0,0,1]
	v_mov_b32_e32 v133, v139
	s_cbranch_execz .LBB63_449
	s_branch .LBB63_450
.LBB63_448:
                                        ; implicit-def: $vgpr132_vgpr133
.LBB63_449:
	ds_load_b64 v[132:133], v1
.LBB63_450:
	s_and_saveexec_b32 s15, s1
	s_cbranch_execz .LBB63_454
; %bb.451:
	v_subrev_nc_u32_e32 v134, 19, v0
	s_movk_i32 s1, 0x98
	s_movk_i32 s17, 0x298
	s_mov_b32 s16, 0
.LBB63_452:                             ; =>This Inner Loop Header: Depth=1
	scratch_load_b64 v[136:137], off, s1
	v_dual_mov_b32 v135, s17 :: v_dual_add_nc_u32 v134, -1, v134
	s_add_co_i32 s17, s17, 8
	s_wait_xcnt 0x0
	s_add_co_i32 s1, s1, 8
	ds_load_b64 v[138:139], v135
	v_cmp_eq_u32_e32 vcc_lo, 0, v134
	s_or_b32 s16, vcc_lo, s16
	s_wait_loadcnt_dscnt 0x0
	v_pk_mul_f32 v[140:141], v[138:139], v[136:137] op_sel:[1,1] op_sel_hi:[0,1]
	s_delay_alu instid0(VALU_DEP_1) | instskip(SKIP_1) | instid1(VALU_DEP_2)
	v_pk_fma_f32 v[142:143], v[138:139], v[136:137], v[140:141] op_sel_hi:[1,0,1]
	v_pk_fma_f32 v[136:137], v[138:139], v[136:137], v[140:141] neg_lo:[0,0,1] neg_hi:[0,0,1]
	v_mov_b32_e32 v137, v143
	s_delay_alu instid0(VALU_DEP_1)
	v_pk_add_f32 v[132:133], v[132:133], v[136:137]
	s_and_not1_b32 exec_lo, exec_lo, s16
	s_cbranch_execnz .LBB63_452
; %bb.453:
	s_or_b32 exec_lo, exec_lo, s16
.LBB63_454:
	s_delay_alu instid0(SALU_CYCLE_1) | instskip(SKIP_4) | instid1(VALU_DEP_1)
	s_or_b32 exec_lo, exec_lo, s15
	v_mov_b32_e32 v134, 0
	ds_load_b64 v[134:135], v134 offset:144
	s_wait_dscnt 0x0
	v_pk_mul_f32 v[136:137], v[132:133], v[134:135] op_sel:[1,1] op_sel_hi:[0,1]
	v_pk_fma_f32 v[138:139], v[132:133], v[134:135], v[136:137] op_sel_hi:[1,0,1]
	v_pk_fma_f32 v[132:133], v[132:133], v[134:135], v[136:137] neg_lo:[0,0,1] neg_hi:[0,0,1]
	s_delay_alu instid0(VALU_DEP_2)
	v_mov_b32_e32 v133, v139
	scratch_store_b64 off, v[132:133], off offset:144
.LBB63_455:
	s_wait_xcnt 0x0
	s_or_b32 exec_lo, exec_lo, s14
	scratch_load_b64 v[132:133], off, off offset:136
	v_cmp_lt_u32_e64 s1, 17, v0
	s_wait_loadcnt 0x0
	ds_store_b64 v1, v[132:133]
	s_wait_storecnt_dscnt 0x0
	s_barrier_signal -1
	s_barrier_wait -1
	s_wait_xcnt 0x0
	s_and_saveexec_b32 s14, s1
	s_cbranch_execz .LBB63_465
; %bb.456:
	s_and_not1_b32 vcc_lo, exec_lo, s3
	s_cbranch_vccnz .LBB63_458
; %bb.457:
	scratch_load_b64 v[132:133], v59, off
	ds_load_b64 v[134:135], v1
	s_wait_loadcnt_dscnt 0x0
	v_pk_mul_f32 v[136:137], v[134:135], v[132:133] op_sel:[1,1] op_sel_hi:[0,1]
	s_delay_alu instid0(VALU_DEP_1) | instskip(SKIP_1) | instid1(VALU_DEP_2)
	v_pk_fma_f32 v[138:139], v[134:135], v[132:133], v[136:137] op_sel_hi:[1,0,1]
	v_pk_fma_f32 v[132:133], v[134:135], v[132:133], v[136:137] neg_lo:[0,0,1] neg_hi:[0,0,1]
	v_mov_b32_e32 v133, v139
	s_cbranch_execz .LBB63_459
	s_branch .LBB63_460
.LBB63_458:
                                        ; implicit-def: $vgpr132_vgpr133
.LBB63_459:
	ds_load_b64 v[132:133], v1
.LBB63_460:
	s_and_saveexec_b32 s15, s0
	s_cbranch_execz .LBB63_464
; %bb.461:
	v_subrev_nc_u32_e32 v134, 18, v0
	s_movk_i32 s16, 0x290
	s_mov_b32 s0, 0
.LBB63_462:                             ; =>This Inner Loop Header: Depth=1
	scratch_load_b64 v[136:137], off, s13
	v_dual_mov_b32 v135, s16 :: v_dual_add_nc_u32 v134, -1, v134
	s_add_co_i32 s16, s16, 8
	s_wait_xcnt 0x0
	s_add_co_i32 s13, s13, 8
	ds_load_b64 v[138:139], v135
	v_cmp_eq_u32_e32 vcc_lo, 0, v134
	s_or_b32 s0, vcc_lo, s0
	s_wait_loadcnt_dscnt 0x0
	v_pk_mul_f32 v[140:141], v[138:139], v[136:137] op_sel:[1,1] op_sel_hi:[0,1]
	s_delay_alu instid0(VALU_DEP_1) | instskip(SKIP_1) | instid1(VALU_DEP_2)
	v_pk_fma_f32 v[142:143], v[138:139], v[136:137], v[140:141] op_sel_hi:[1,0,1]
	v_pk_fma_f32 v[136:137], v[138:139], v[136:137], v[140:141] neg_lo:[0,0,1] neg_hi:[0,0,1]
	v_mov_b32_e32 v137, v143
	s_delay_alu instid0(VALU_DEP_1)
	v_pk_add_f32 v[132:133], v[132:133], v[136:137]
	s_and_not1_b32 exec_lo, exec_lo, s0
	s_cbranch_execnz .LBB63_462
; %bb.463:
	s_or_b32 exec_lo, exec_lo, s0
.LBB63_464:
	s_delay_alu instid0(SALU_CYCLE_1) | instskip(SKIP_4) | instid1(VALU_DEP_1)
	s_or_b32 exec_lo, exec_lo, s15
	v_mov_b32_e32 v134, 0
	ds_load_b64 v[134:135], v134 offset:136
	s_wait_dscnt 0x0
	v_pk_mul_f32 v[136:137], v[132:133], v[134:135] op_sel:[1,1] op_sel_hi:[0,1]
	v_pk_fma_f32 v[138:139], v[132:133], v[134:135], v[136:137] op_sel_hi:[1,0,1]
	v_pk_fma_f32 v[132:133], v[132:133], v[134:135], v[136:137] neg_lo:[0,0,1] neg_hi:[0,0,1]
	s_delay_alu instid0(VALU_DEP_2)
	v_mov_b32_e32 v133, v139
	scratch_store_b64 off, v[132:133], off offset:136
.LBB63_465:
	s_wait_xcnt 0x0
	s_or_b32 exec_lo, exec_lo, s14
	scratch_load_b64 v[132:133], off, off offset:128
	v_cmp_lt_u32_e64 s0, 16, v0
	s_wait_loadcnt 0x0
	ds_store_b64 v1, v[132:133]
	s_wait_storecnt_dscnt 0x0
	s_barrier_signal -1
	s_barrier_wait -1
	s_wait_xcnt 0x0
	s_and_saveexec_b32 s13, s0
	s_cbranch_execz .LBB63_475
; %bb.466:
	s_and_not1_b32 vcc_lo, exec_lo, s3
	s_cbranch_vccnz .LBB63_468
; %bb.467:
	scratch_load_b64 v[132:133], v59, off
	ds_load_b64 v[134:135], v1
	s_wait_loadcnt_dscnt 0x0
	v_pk_mul_f32 v[136:137], v[134:135], v[132:133] op_sel:[1,1] op_sel_hi:[0,1]
	s_delay_alu instid0(VALU_DEP_1) | instskip(SKIP_1) | instid1(VALU_DEP_2)
	v_pk_fma_f32 v[138:139], v[134:135], v[132:133], v[136:137] op_sel_hi:[1,0,1]
	v_pk_fma_f32 v[132:133], v[134:135], v[132:133], v[136:137] neg_lo:[0,0,1] neg_hi:[0,0,1]
	v_mov_b32_e32 v133, v139
	s_cbranch_execz .LBB63_469
	s_branch .LBB63_470
.LBB63_468:
                                        ; implicit-def: $vgpr132_vgpr133
.LBB63_469:
	ds_load_b64 v[132:133], v1
.LBB63_470:
	s_and_saveexec_b32 s14, s1
	s_cbranch_execz .LBB63_474
; %bb.471:
	v_subrev_nc_u32_e32 v134, 17, v0
	s_movk_i32 s1, 0x88
	s_movk_i32 s16, 0x288
	s_mov_b32 s15, 0
.LBB63_472:                             ; =>This Inner Loop Header: Depth=1
	scratch_load_b64 v[136:137], off, s1
	v_dual_mov_b32 v135, s16 :: v_dual_add_nc_u32 v134, -1, v134
	s_add_co_i32 s16, s16, 8
	s_wait_xcnt 0x0
	s_add_co_i32 s1, s1, 8
	ds_load_b64 v[138:139], v135
	v_cmp_eq_u32_e32 vcc_lo, 0, v134
	s_or_b32 s15, vcc_lo, s15
	s_wait_loadcnt_dscnt 0x0
	v_pk_mul_f32 v[140:141], v[138:139], v[136:137] op_sel:[1,1] op_sel_hi:[0,1]
	s_delay_alu instid0(VALU_DEP_1) | instskip(SKIP_1) | instid1(VALU_DEP_2)
	v_pk_fma_f32 v[142:143], v[138:139], v[136:137], v[140:141] op_sel_hi:[1,0,1]
	v_pk_fma_f32 v[136:137], v[138:139], v[136:137], v[140:141] neg_lo:[0,0,1] neg_hi:[0,0,1]
	v_mov_b32_e32 v137, v143
	s_delay_alu instid0(VALU_DEP_1)
	v_pk_add_f32 v[132:133], v[132:133], v[136:137]
	s_and_not1_b32 exec_lo, exec_lo, s15
	s_cbranch_execnz .LBB63_472
; %bb.473:
	s_or_b32 exec_lo, exec_lo, s15
.LBB63_474:
	s_delay_alu instid0(SALU_CYCLE_1) | instskip(SKIP_4) | instid1(VALU_DEP_1)
	s_or_b32 exec_lo, exec_lo, s14
	v_mov_b32_e32 v134, 0
	ds_load_b64 v[134:135], v134 offset:128
	s_wait_dscnt 0x0
	v_pk_mul_f32 v[136:137], v[132:133], v[134:135] op_sel:[1,1] op_sel_hi:[0,1]
	v_pk_fma_f32 v[138:139], v[132:133], v[134:135], v[136:137] op_sel_hi:[1,0,1]
	v_pk_fma_f32 v[132:133], v[132:133], v[134:135], v[136:137] neg_lo:[0,0,1] neg_hi:[0,0,1]
	s_delay_alu instid0(VALU_DEP_2)
	v_mov_b32_e32 v133, v139
	scratch_store_b64 off, v[132:133], off offset:128
.LBB63_475:
	s_wait_xcnt 0x0
	s_or_b32 exec_lo, exec_lo, s13
	scratch_load_b64 v[132:133], off, off offset:120
	v_cmp_lt_u32_e64 s1, 15, v0
	s_wait_loadcnt 0x0
	ds_store_b64 v1, v[132:133]
	s_wait_storecnt_dscnt 0x0
	s_barrier_signal -1
	s_barrier_wait -1
	s_wait_xcnt 0x0
	s_and_saveexec_b32 s13, s1
	s_cbranch_execz .LBB63_485
; %bb.476:
	s_and_not1_b32 vcc_lo, exec_lo, s3
	s_cbranch_vccnz .LBB63_478
; %bb.477:
	scratch_load_b64 v[132:133], v59, off
	ds_load_b64 v[134:135], v1
	s_wait_loadcnt_dscnt 0x0
	v_pk_mul_f32 v[136:137], v[134:135], v[132:133] op_sel:[1,1] op_sel_hi:[0,1]
	s_delay_alu instid0(VALU_DEP_1) | instskip(SKIP_1) | instid1(VALU_DEP_2)
	v_pk_fma_f32 v[138:139], v[134:135], v[132:133], v[136:137] op_sel_hi:[1,0,1]
	v_pk_fma_f32 v[132:133], v[134:135], v[132:133], v[136:137] neg_lo:[0,0,1] neg_hi:[0,0,1]
	v_mov_b32_e32 v133, v139
	s_cbranch_execz .LBB63_479
	s_branch .LBB63_480
.LBB63_478:
                                        ; implicit-def: $vgpr132_vgpr133
.LBB63_479:
	ds_load_b64 v[132:133], v1
.LBB63_480:
	s_and_saveexec_b32 s14, s0
	s_cbranch_execz .LBB63_484
; %bb.481:
	v_add_nc_u32_e32 v134, -16, v0
	s_movk_i32 s15, 0x280
	s_mov_b32 s0, 0
.LBB63_482:                             ; =>This Inner Loop Header: Depth=1
	scratch_load_b64 v[136:137], off, s12
	v_dual_mov_b32 v135, s15 :: v_dual_add_nc_u32 v134, -1, v134
	s_add_co_i32 s15, s15, 8
	s_wait_xcnt 0x0
	s_add_co_i32 s12, s12, 8
	ds_load_b64 v[138:139], v135
	v_cmp_eq_u32_e32 vcc_lo, 0, v134
	s_or_b32 s0, vcc_lo, s0
	s_wait_loadcnt_dscnt 0x0
	v_pk_mul_f32 v[140:141], v[138:139], v[136:137] op_sel:[1,1] op_sel_hi:[0,1]
	s_delay_alu instid0(VALU_DEP_1) | instskip(SKIP_1) | instid1(VALU_DEP_2)
	v_pk_fma_f32 v[142:143], v[138:139], v[136:137], v[140:141] op_sel_hi:[1,0,1]
	v_pk_fma_f32 v[136:137], v[138:139], v[136:137], v[140:141] neg_lo:[0,0,1] neg_hi:[0,0,1]
	v_mov_b32_e32 v137, v143
	s_delay_alu instid0(VALU_DEP_1)
	v_pk_add_f32 v[132:133], v[132:133], v[136:137]
	s_and_not1_b32 exec_lo, exec_lo, s0
	s_cbranch_execnz .LBB63_482
; %bb.483:
	s_or_b32 exec_lo, exec_lo, s0
.LBB63_484:
	s_delay_alu instid0(SALU_CYCLE_1) | instskip(SKIP_4) | instid1(VALU_DEP_1)
	s_or_b32 exec_lo, exec_lo, s14
	v_mov_b32_e32 v134, 0
	ds_load_b64 v[134:135], v134 offset:120
	s_wait_dscnt 0x0
	v_pk_mul_f32 v[136:137], v[132:133], v[134:135] op_sel:[1,1] op_sel_hi:[0,1]
	v_pk_fma_f32 v[138:139], v[132:133], v[134:135], v[136:137] op_sel_hi:[1,0,1]
	v_pk_fma_f32 v[132:133], v[132:133], v[134:135], v[136:137] neg_lo:[0,0,1] neg_hi:[0,0,1]
	s_delay_alu instid0(VALU_DEP_2)
	v_mov_b32_e32 v133, v139
	scratch_store_b64 off, v[132:133], off offset:120
.LBB63_485:
	s_wait_xcnt 0x0
	s_or_b32 exec_lo, exec_lo, s13
	scratch_load_b64 v[132:133], off, off offset:112
	v_cmp_lt_u32_e64 s0, 14, v0
	s_wait_loadcnt 0x0
	ds_store_b64 v1, v[132:133]
	s_wait_storecnt_dscnt 0x0
	s_barrier_signal -1
	s_barrier_wait -1
	s_wait_xcnt 0x0
	s_and_saveexec_b32 s12, s0
	s_cbranch_execz .LBB63_495
; %bb.486:
	s_and_not1_b32 vcc_lo, exec_lo, s3
	s_cbranch_vccnz .LBB63_488
; %bb.487:
	scratch_load_b64 v[132:133], v59, off
	ds_load_b64 v[134:135], v1
	s_wait_loadcnt_dscnt 0x0
	v_pk_mul_f32 v[136:137], v[134:135], v[132:133] op_sel:[1,1] op_sel_hi:[0,1]
	s_delay_alu instid0(VALU_DEP_1) | instskip(SKIP_1) | instid1(VALU_DEP_2)
	v_pk_fma_f32 v[138:139], v[134:135], v[132:133], v[136:137] op_sel_hi:[1,0,1]
	v_pk_fma_f32 v[132:133], v[134:135], v[132:133], v[136:137] neg_lo:[0,0,1] neg_hi:[0,0,1]
	v_mov_b32_e32 v133, v139
	s_cbranch_execz .LBB63_489
	s_branch .LBB63_490
.LBB63_488:
                                        ; implicit-def: $vgpr132_vgpr133
.LBB63_489:
	ds_load_b64 v[132:133], v1
.LBB63_490:
	s_and_saveexec_b32 s13, s1
	s_cbranch_execz .LBB63_494
; %bb.491:
	v_add_nc_u32_e32 v134, -15, v0
	s_movk_i32 s1, 0x78
	s_movk_i32 s15, 0x278
	s_mov_b32 s14, 0
.LBB63_492:                             ; =>This Inner Loop Header: Depth=1
	scratch_load_b64 v[136:137], off, s1
	v_dual_mov_b32 v135, s15 :: v_dual_add_nc_u32 v134, -1, v134
	s_add_co_i32 s15, s15, 8
	s_wait_xcnt 0x0
	s_add_co_i32 s1, s1, 8
	ds_load_b64 v[138:139], v135
	v_cmp_eq_u32_e32 vcc_lo, 0, v134
	s_or_b32 s14, vcc_lo, s14
	s_wait_loadcnt_dscnt 0x0
	v_pk_mul_f32 v[140:141], v[138:139], v[136:137] op_sel:[1,1] op_sel_hi:[0,1]
	s_delay_alu instid0(VALU_DEP_1) | instskip(SKIP_1) | instid1(VALU_DEP_2)
	v_pk_fma_f32 v[142:143], v[138:139], v[136:137], v[140:141] op_sel_hi:[1,0,1]
	v_pk_fma_f32 v[136:137], v[138:139], v[136:137], v[140:141] neg_lo:[0,0,1] neg_hi:[0,0,1]
	v_mov_b32_e32 v137, v143
	s_delay_alu instid0(VALU_DEP_1)
	v_pk_add_f32 v[132:133], v[132:133], v[136:137]
	s_and_not1_b32 exec_lo, exec_lo, s14
	s_cbranch_execnz .LBB63_492
; %bb.493:
	s_or_b32 exec_lo, exec_lo, s14
.LBB63_494:
	s_delay_alu instid0(SALU_CYCLE_1) | instskip(SKIP_4) | instid1(VALU_DEP_1)
	s_or_b32 exec_lo, exec_lo, s13
	v_mov_b32_e32 v134, 0
	ds_load_b64 v[134:135], v134 offset:112
	s_wait_dscnt 0x0
	v_pk_mul_f32 v[136:137], v[132:133], v[134:135] op_sel:[1,1] op_sel_hi:[0,1]
	v_pk_fma_f32 v[138:139], v[132:133], v[134:135], v[136:137] op_sel_hi:[1,0,1]
	v_pk_fma_f32 v[132:133], v[132:133], v[134:135], v[136:137] neg_lo:[0,0,1] neg_hi:[0,0,1]
	s_delay_alu instid0(VALU_DEP_2)
	v_mov_b32_e32 v133, v139
	scratch_store_b64 off, v[132:133], off offset:112
.LBB63_495:
	s_wait_xcnt 0x0
	s_or_b32 exec_lo, exec_lo, s12
	scratch_load_b64 v[132:133], off, off offset:104
	v_cmp_lt_u32_e64 s1, 13, v0
	s_wait_loadcnt 0x0
	ds_store_b64 v1, v[132:133]
	s_wait_storecnt_dscnt 0x0
	s_barrier_signal -1
	s_barrier_wait -1
	s_wait_xcnt 0x0
	s_and_saveexec_b32 s12, s1
	s_cbranch_execz .LBB63_505
; %bb.496:
	s_and_not1_b32 vcc_lo, exec_lo, s3
	s_cbranch_vccnz .LBB63_498
; %bb.497:
	scratch_load_b64 v[132:133], v59, off
	ds_load_b64 v[134:135], v1
	s_wait_loadcnt_dscnt 0x0
	v_pk_mul_f32 v[136:137], v[134:135], v[132:133] op_sel:[1,1] op_sel_hi:[0,1]
	s_delay_alu instid0(VALU_DEP_1) | instskip(SKIP_1) | instid1(VALU_DEP_2)
	v_pk_fma_f32 v[138:139], v[134:135], v[132:133], v[136:137] op_sel_hi:[1,0,1]
	v_pk_fma_f32 v[132:133], v[134:135], v[132:133], v[136:137] neg_lo:[0,0,1] neg_hi:[0,0,1]
	v_mov_b32_e32 v133, v139
	s_cbranch_execz .LBB63_499
	s_branch .LBB63_500
.LBB63_498:
                                        ; implicit-def: $vgpr132_vgpr133
.LBB63_499:
	ds_load_b64 v[132:133], v1
.LBB63_500:
	s_and_saveexec_b32 s13, s0
	s_cbranch_execz .LBB63_504
; %bb.501:
	v_add_nc_u32_e32 v134, -14, v0
	s_movk_i32 s14, 0x270
	s_mov_b32 s0, 0
.LBB63_502:                             ; =>This Inner Loop Header: Depth=1
	scratch_load_b64 v[136:137], off, s11
	v_dual_mov_b32 v135, s14 :: v_dual_add_nc_u32 v134, -1, v134
	s_add_co_i32 s14, s14, 8
	s_wait_xcnt 0x0
	s_add_co_i32 s11, s11, 8
	ds_load_b64 v[138:139], v135
	v_cmp_eq_u32_e32 vcc_lo, 0, v134
	s_or_b32 s0, vcc_lo, s0
	s_wait_loadcnt_dscnt 0x0
	v_pk_mul_f32 v[140:141], v[138:139], v[136:137] op_sel:[1,1] op_sel_hi:[0,1]
	s_delay_alu instid0(VALU_DEP_1) | instskip(SKIP_1) | instid1(VALU_DEP_2)
	v_pk_fma_f32 v[142:143], v[138:139], v[136:137], v[140:141] op_sel_hi:[1,0,1]
	v_pk_fma_f32 v[136:137], v[138:139], v[136:137], v[140:141] neg_lo:[0,0,1] neg_hi:[0,0,1]
	v_mov_b32_e32 v137, v143
	s_delay_alu instid0(VALU_DEP_1)
	v_pk_add_f32 v[132:133], v[132:133], v[136:137]
	s_and_not1_b32 exec_lo, exec_lo, s0
	s_cbranch_execnz .LBB63_502
; %bb.503:
	s_or_b32 exec_lo, exec_lo, s0
.LBB63_504:
	s_delay_alu instid0(SALU_CYCLE_1) | instskip(SKIP_4) | instid1(VALU_DEP_1)
	s_or_b32 exec_lo, exec_lo, s13
	v_mov_b32_e32 v134, 0
	ds_load_b64 v[134:135], v134 offset:104
	s_wait_dscnt 0x0
	v_pk_mul_f32 v[136:137], v[132:133], v[134:135] op_sel:[1,1] op_sel_hi:[0,1]
	v_pk_fma_f32 v[138:139], v[132:133], v[134:135], v[136:137] op_sel_hi:[1,0,1]
	v_pk_fma_f32 v[132:133], v[132:133], v[134:135], v[136:137] neg_lo:[0,0,1] neg_hi:[0,0,1]
	s_delay_alu instid0(VALU_DEP_2)
	v_mov_b32_e32 v133, v139
	scratch_store_b64 off, v[132:133], off offset:104
.LBB63_505:
	s_wait_xcnt 0x0
	s_or_b32 exec_lo, exec_lo, s12
	scratch_load_b64 v[132:133], off, off offset:96
	v_cmp_lt_u32_e64 s0, 12, v0
	s_wait_loadcnt 0x0
	ds_store_b64 v1, v[132:133]
	s_wait_storecnt_dscnt 0x0
	s_barrier_signal -1
	s_barrier_wait -1
	s_wait_xcnt 0x0
	s_and_saveexec_b32 s11, s0
	s_cbranch_execz .LBB63_515
; %bb.506:
	s_and_not1_b32 vcc_lo, exec_lo, s3
	s_cbranch_vccnz .LBB63_508
; %bb.507:
	scratch_load_b64 v[132:133], v59, off
	ds_load_b64 v[134:135], v1
	s_wait_loadcnt_dscnt 0x0
	v_pk_mul_f32 v[136:137], v[134:135], v[132:133] op_sel:[1,1] op_sel_hi:[0,1]
	s_delay_alu instid0(VALU_DEP_1) | instskip(SKIP_1) | instid1(VALU_DEP_2)
	v_pk_fma_f32 v[138:139], v[134:135], v[132:133], v[136:137] op_sel_hi:[1,0,1]
	v_pk_fma_f32 v[132:133], v[134:135], v[132:133], v[136:137] neg_lo:[0,0,1] neg_hi:[0,0,1]
	v_mov_b32_e32 v133, v139
	s_cbranch_execz .LBB63_509
	s_branch .LBB63_510
.LBB63_508:
                                        ; implicit-def: $vgpr132_vgpr133
.LBB63_509:
	ds_load_b64 v[132:133], v1
.LBB63_510:
	s_and_saveexec_b32 s12, s1
	s_cbranch_execz .LBB63_514
; %bb.511:
	v_add_nc_u32_e32 v134, -13, v0
	s_movk_i32 s1, 0x68
	s_movk_i32 s14, 0x268
	s_mov_b32 s13, 0
.LBB63_512:                             ; =>This Inner Loop Header: Depth=1
	scratch_load_b64 v[136:137], off, s1
	v_dual_mov_b32 v135, s14 :: v_dual_add_nc_u32 v134, -1, v134
	s_add_co_i32 s14, s14, 8
	s_wait_xcnt 0x0
	s_add_co_i32 s1, s1, 8
	ds_load_b64 v[138:139], v135
	v_cmp_eq_u32_e32 vcc_lo, 0, v134
	s_or_b32 s13, vcc_lo, s13
	s_wait_loadcnt_dscnt 0x0
	v_pk_mul_f32 v[140:141], v[138:139], v[136:137] op_sel:[1,1] op_sel_hi:[0,1]
	s_delay_alu instid0(VALU_DEP_1) | instskip(SKIP_1) | instid1(VALU_DEP_2)
	v_pk_fma_f32 v[142:143], v[138:139], v[136:137], v[140:141] op_sel_hi:[1,0,1]
	v_pk_fma_f32 v[136:137], v[138:139], v[136:137], v[140:141] neg_lo:[0,0,1] neg_hi:[0,0,1]
	v_mov_b32_e32 v137, v143
	s_delay_alu instid0(VALU_DEP_1)
	v_pk_add_f32 v[132:133], v[132:133], v[136:137]
	s_and_not1_b32 exec_lo, exec_lo, s13
	s_cbranch_execnz .LBB63_512
; %bb.513:
	s_or_b32 exec_lo, exec_lo, s13
.LBB63_514:
	s_delay_alu instid0(SALU_CYCLE_1) | instskip(SKIP_4) | instid1(VALU_DEP_1)
	s_or_b32 exec_lo, exec_lo, s12
	v_mov_b32_e32 v134, 0
	ds_load_b64 v[134:135], v134 offset:96
	s_wait_dscnt 0x0
	v_pk_mul_f32 v[136:137], v[132:133], v[134:135] op_sel:[1,1] op_sel_hi:[0,1]
	v_pk_fma_f32 v[138:139], v[132:133], v[134:135], v[136:137] op_sel_hi:[1,0,1]
	v_pk_fma_f32 v[132:133], v[132:133], v[134:135], v[136:137] neg_lo:[0,0,1] neg_hi:[0,0,1]
	s_delay_alu instid0(VALU_DEP_2)
	v_mov_b32_e32 v133, v139
	scratch_store_b64 off, v[132:133], off offset:96
.LBB63_515:
	s_wait_xcnt 0x0
	s_or_b32 exec_lo, exec_lo, s11
	scratch_load_b64 v[132:133], off, off offset:88
	v_cmp_lt_u32_e64 s1, 11, v0
	s_wait_loadcnt 0x0
	ds_store_b64 v1, v[132:133]
	s_wait_storecnt_dscnt 0x0
	s_barrier_signal -1
	s_barrier_wait -1
	s_wait_xcnt 0x0
	s_and_saveexec_b32 s11, s1
	s_cbranch_execz .LBB63_525
; %bb.516:
	s_and_not1_b32 vcc_lo, exec_lo, s3
	s_cbranch_vccnz .LBB63_518
; %bb.517:
	scratch_load_b64 v[132:133], v59, off
	ds_load_b64 v[134:135], v1
	s_wait_loadcnt_dscnt 0x0
	v_pk_mul_f32 v[136:137], v[134:135], v[132:133] op_sel:[1,1] op_sel_hi:[0,1]
	s_delay_alu instid0(VALU_DEP_1) | instskip(SKIP_1) | instid1(VALU_DEP_2)
	v_pk_fma_f32 v[138:139], v[134:135], v[132:133], v[136:137] op_sel_hi:[1,0,1]
	v_pk_fma_f32 v[132:133], v[134:135], v[132:133], v[136:137] neg_lo:[0,0,1] neg_hi:[0,0,1]
	v_mov_b32_e32 v133, v139
	s_cbranch_execz .LBB63_519
	s_branch .LBB63_520
.LBB63_518:
                                        ; implicit-def: $vgpr132_vgpr133
.LBB63_519:
	ds_load_b64 v[132:133], v1
.LBB63_520:
	s_and_saveexec_b32 s12, s0
	s_cbranch_execz .LBB63_524
; %bb.521:
	v_add_nc_u32_e32 v134, -12, v0
	s_movk_i32 s13, 0x260
	s_mov_b32 s0, 0
.LBB63_522:                             ; =>This Inner Loop Header: Depth=1
	scratch_load_b64 v[136:137], off, s10
	v_dual_mov_b32 v135, s13 :: v_dual_add_nc_u32 v134, -1, v134
	s_add_co_i32 s13, s13, 8
	s_wait_xcnt 0x0
	s_add_co_i32 s10, s10, 8
	ds_load_b64 v[138:139], v135
	v_cmp_eq_u32_e32 vcc_lo, 0, v134
	s_or_b32 s0, vcc_lo, s0
	s_wait_loadcnt_dscnt 0x0
	v_pk_mul_f32 v[140:141], v[138:139], v[136:137] op_sel:[1,1] op_sel_hi:[0,1]
	s_delay_alu instid0(VALU_DEP_1) | instskip(SKIP_1) | instid1(VALU_DEP_2)
	v_pk_fma_f32 v[142:143], v[138:139], v[136:137], v[140:141] op_sel_hi:[1,0,1]
	v_pk_fma_f32 v[136:137], v[138:139], v[136:137], v[140:141] neg_lo:[0,0,1] neg_hi:[0,0,1]
	v_mov_b32_e32 v137, v143
	s_delay_alu instid0(VALU_DEP_1)
	v_pk_add_f32 v[132:133], v[132:133], v[136:137]
	s_and_not1_b32 exec_lo, exec_lo, s0
	s_cbranch_execnz .LBB63_522
; %bb.523:
	s_or_b32 exec_lo, exec_lo, s0
.LBB63_524:
	s_delay_alu instid0(SALU_CYCLE_1) | instskip(SKIP_4) | instid1(VALU_DEP_1)
	s_or_b32 exec_lo, exec_lo, s12
	v_mov_b32_e32 v134, 0
	ds_load_b64 v[134:135], v134 offset:88
	s_wait_dscnt 0x0
	v_pk_mul_f32 v[136:137], v[132:133], v[134:135] op_sel:[1,1] op_sel_hi:[0,1]
	v_pk_fma_f32 v[138:139], v[132:133], v[134:135], v[136:137] op_sel_hi:[1,0,1]
	v_pk_fma_f32 v[132:133], v[132:133], v[134:135], v[136:137] neg_lo:[0,0,1] neg_hi:[0,0,1]
	s_delay_alu instid0(VALU_DEP_2)
	v_mov_b32_e32 v133, v139
	scratch_store_b64 off, v[132:133], off offset:88
.LBB63_525:
	s_wait_xcnt 0x0
	s_or_b32 exec_lo, exec_lo, s11
	scratch_load_b64 v[132:133], off, off offset:80
	v_cmp_lt_u32_e64 s0, 10, v0
	s_wait_loadcnt 0x0
	ds_store_b64 v1, v[132:133]
	s_wait_storecnt_dscnt 0x0
	s_barrier_signal -1
	s_barrier_wait -1
	s_wait_xcnt 0x0
	s_and_saveexec_b32 s10, s0
	s_cbranch_execz .LBB63_535
; %bb.526:
	s_and_not1_b32 vcc_lo, exec_lo, s3
	s_cbranch_vccnz .LBB63_528
; %bb.527:
	scratch_load_b64 v[132:133], v59, off
	ds_load_b64 v[134:135], v1
	s_wait_loadcnt_dscnt 0x0
	v_pk_mul_f32 v[136:137], v[134:135], v[132:133] op_sel:[1,1] op_sel_hi:[0,1]
	s_delay_alu instid0(VALU_DEP_1) | instskip(SKIP_1) | instid1(VALU_DEP_2)
	v_pk_fma_f32 v[138:139], v[134:135], v[132:133], v[136:137] op_sel_hi:[1,0,1]
	v_pk_fma_f32 v[132:133], v[134:135], v[132:133], v[136:137] neg_lo:[0,0,1] neg_hi:[0,0,1]
	v_mov_b32_e32 v133, v139
	s_cbranch_execz .LBB63_529
	s_branch .LBB63_530
.LBB63_528:
                                        ; implicit-def: $vgpr132_vgpr133
.LBB63_529:
	ds_load_b64 v[132:133], v1
.LBB63_530:
	s_and_saveexec_b32 s11, s1
	s_cbranch_execz .LBB63_534
; %bb.531:
	v_add_nc_u32_e32 v134, -11, v0
	s_movk_i32 s1, 0x58
	s_movk_i32 s13, 0x258
	s_mov_b32 s12, 0
.LBB63_532:                             ; =>This Inner Loop Header: Depth=1
	scratch_load_b64 v[136:137], off, s1
	v_dual_mov_b32 v135, s13 :: v_dual_add_nc_u32 v134, -1, v134
	s_add_co_i32 s13, s13, 8
	s_wait_xcnt 0x0
	s_add_co_i32 s1, s1, 8
	ds_load_b64 v[138:139], v135
	v_cmp_eq_u32_e32 vcc_lo, 0, v134
	s_or_b32 s12, vcc_lo, s12
	s_wait_loadcnt_dscnt 0x0
	v_pk_mul_f32 v[140:141], v[138:139], v[136:137] op_sel:[1,1] op_sel_hi:[0,1]
	s_delay_alu instid0(VALU_DEP_1) | instskip(SKIP_1) | instid1(VALU_DEP_2)
	v_pk_fma_f32 v[142:143], v[138:139], v[136:137], v[140:141] op_sel_hi:[1,0,1]
	v_pk_fma_f32 v[136:137], v[138:139], v[136:137], v[140:141] neg_lo:[0,0,1] neg_hi:[0,0,1]
	v_mov_b32_e32 v137, v143
	s_delay_alu instid0(VALU_DEP_1)
	v_pk_add_f32 v[132:133], v[132:133], v[136:137]
	s_and_not1_b32 exec_lo, exec_lo, s12
	s_cbranch_execnz .LBB63_532
; %bb.533:
	s_or_b32 exec_lo, exec_lo, s12
.LBB63_534:
	s_delay_alu instid0(SALU_CYCLE_1) | instskip(SKIP_4) | instid1(VALU_DEP_1)
	s_or_b32 exec_lo, exec_lo, s11
	v_mov_b32_e32 v134, 0
	ds_load_b64 v[134:135], v134 offset:80
	s_wait_dscnt 0x0
	v_pk_mul_f32 v[136:137], v[132:133], v[134:135] op_sel:[1,1] op_sel_hi:[0,1]
	v_pk_fma_f32 v[138:139], v[132:133], v[134:135], v[136:137] op_sel_hi:[1,0,1]
	v_pk_fma_f32 v[132:133], v[132:133], v[134:135], v[136:137] neg_lo:[0,0,1] neg_hi:[0,0,1]
	s_delay_alu instid0(VALU_DEP_2)
	v_mov_b32_e32 v133, v139
	scratch_store_b64 off, v[132:133], off offset:80
.LBB63_535:
	s_wait_xcnt 0x0
	s_or_b32 exec_lo, exec_lo, s10
	scratch_load_b64 v[132:133], off, off offset:72
	v_cmp_lt_u32_e64 s1, 9, v0
	s_wait_loadcnt 0x0
	ds_store_b64 v1, v[132:133]
	s_wait_storecnt_dscnt 0x0
	s_barrier_signal -1
	s_barrier_wait -1
	s_wait_xcnt 0x0
	s_and_saveexec_b32 s10, s1
	s_cbranch_execz .LBB63_545
; %bb.536:
	s_and_not1_b32 vcc_lo, exec_lo, s3
	s_cbranch_vccnz .LBB63_538
; %bb.537:
	scratch_load_b64 v[132:133], v59, off
	ds_load_b64 v[134:135], v1
	s_wait_loadcnt_dscnt 0x0
	v_pk_mul_f32 v[136:137], v[134:135], v[132:133] op_sel:[1,1] op_sel_hi:[0,1]
	s_delay_alu instid0(VALU_DEP_1) | instskip(SKIP_1) | instid1(VALU_DEP_2)
	v_pk_fma_f32 v[138:139], v[134:135], v[132:133], v[136:137] op_sel_hi:[1,0,1]
	v_pk_fma_f32 v[132:133], v[134:135], v[132:133], v[136:137] neg_lo:[0,0,1] neg_hi:[0,0,1]
	v_mov_b32_e32 v133, v139
	s_cbranch_execz .LBB63_539
	s_branch .LBB63_540
.LBB63_538:
                                        ; implicit-def: $vgpr132_vgpr133
.LBB63_539:
	ds_load_b64 v[132:133], v1
.LBB63_540:
	s_and_saveexec_b32 s11, s0
	s_cbranch_execz .LBB63_544
; %bb.541:
	v_add_nc_u32_e32 v134, -10, v0
	s_movk_i32 s12, 0x250
	s_mov_b32 s0, 0
.LBB63_542:                             ; =>This Inner Loop Header: Depth=1
	scratch_load_b64 v[136:137], off, s9
	v_dual_mov_b32 v135, s12 :: v_dual_add_nc_u32 v134, -1, v134
	s_add_co_i32 s12, s12, 8
	s_wait_xcnt 0x0
	s_add_co_i32 s9, s9, 8
	ds_load_b64 v[138:139], v135
	v_cmp_eq_u32_e32 vcc_lo, 0, v134
	s_or_b32 s0, vcc_lo, s0
	s_wait_loadcnt_dscnt 0x0
	v_pk_mul_f32 v[140:141], v[138:139], v[136:137] op_sel:[1,1] op_sel_hi:[0,1]
	s_delay_alu instid0(VALU_DEP_1) | instskip(SKIP_1) | instid1(VALU_DEP_2)
	v_pk_fma_f32 v[142:143], v[138:139], v[136:137], v[140:141] op_sel_hi:[1,0,1]
	v_pk_fma_f32 v[136:137], v[138:139], v[136:137], v[140:141] neg_lo:[0,0,1] neg_hi:[0,0,1]
	v_mov_b32_e32 v137, v143
	s_delay_alu instid0(VALU_DEP_1)
	v_pk_add_f32 v[132:133], v[132:133], v[136:137]
	s_and_not1_b32 exec_lo, exec_lo, s0
	s_cbranch_execnz .LBB63_542
; %bb.543:
	s_or_b32 exec_lo, exec_lo, s0
.LBB63_544:
	s_delay_alu instid0(SALU_CYCLE_1) | instskip(SKIP_4) | instid1(VALU_DEP_1)
	s_or_b32 exec_lo, exec_lo, s11
	v_mov_b32_e32 v134, 0
	ds_load_b64 v[134:135], v134 offset:72
	s_wait_dscnt 0x0
	v_pk_mul_f32 v[136:137], v[132:133], v[134:135] op_sel:[1,1] op_sel_hi:[0,1]
	v_pk_fma_f32 v[138:139], v[132:133], v[134:135], v[136:137] op_sel_hi:[1,0,1]
	v_pk_fma_f32 v[132:133], v[132:133], v[134:135], v[136:137] neg_lo:[0,0,1] neg_hi:[0,0,1]
	s_delay_alu instid0(VALU_DEP_2)
	v_mov_b32_e32 v133, v139
	scratch_store_b64 off, v[132:133], off offset:72
.LBB63_545:
	s_wait_xcnt 0x0
	s_or_b32 exec_lo, exec_lo, s10
	scratch_load_b64 v[132:133], off, off offset:64
	v_cmp_lt_u32_e64 s0, 8, v0
	s_wait_loadcnt 0x0
	ds_store_b64 v1, v[132:133]
	s_wait_storecnt_dscnt 0x0
	s_barrier_signal -1
	s_barrier_wait -1
	s_wait_xcnt 0x0
	s_and_saveexec_b32 s9, s0
	s_cbranch_execz .LBB63_555
; %bb.546:
	s_and_not1_b32 vcc_lo, exec_lo, s3
	s_cbranch_vccnz .LBB63_548
; %bb.547:
	scratch_load_b64 v[132:133], v59, off
	ds_load_b64 v[134:135], v1
	s_wait_loadcnt_dscnt 0x0
	v_pk_mul_f32 v[136:137], v[134:135], v[132:133] op_sel:[1,1] op_sel_hi:[0,1]
	s_delay_alu instid0(VALU_DEP_1) | instskip(SKIP_1) | instid1(VALU_DEP_2)
	v_pk_fma_f32 v[138:139], v[134:135], v[132:133], v[136:137] op_sel_hi:[1,0,1]
	v_pk_fma_f32 v[132:133], v[134:135], v[132:133], v[136:137] neg_lo:[0,0,1] neg_hi:[0,0,1]
	v_mov_b32_e32 v133, v139
	s_cbranch_execz .LBB63_549
	s_branch .LBB63_550
.LBB63_548:
                                        ; implicit-def: $vgpr132_vgpr133
.LBB63_549:
	ds_load_b64 v[132:133], v1
.LBB63_550:
	s_and_saveexec_b32 s10, s1
	s_cbranch_execz .LBB63_554
; %bb.551:
	v_add_nc_u32_e32 v134, -9, v0
	s_movk_i32 s1, 0x48
	s_movk_i32 s12, 0x248
	s_mov_b32 s11, 0
.LBB63_552:                             ; =>This Inner Loop Header: Depth=1
	scratch_load_b64 v[136:137], off, s1
	v_dual_mov_b32 v135, s12 :: v_dual_add_nc_u32 v134, -1, v134
	s_add_co_i32 s12, s12, 8
	s_wait_xcnt 0x0
	s_add_co_i32 s1, s1, 8
	ds_load_b64 v[138:139], v135
	v_cmp_eq_u32_e32 vcc_lo, 0, v134
	s_or_b32 s11, vcc_lo, s11
	s_wait_loadcnt_dscnt 0x0
	v_pk_mul_f32 v[140:141], v[138:139], v[136:137] op_sel:[1,1] op_sel_hi:[0,1]
	s_delay_alu instid0(VALU_DEP_1) | instskip(SKIP_1) | instid1(VALU_DEP_2)
	v_pk_fma_f32 v[142:143], v[138:139], v[136:137], v[140:141] op_sel_hi:[1,0,1]
	v_pk_fma_f32 v[136:137], v[138:139], v[136:137], v[140:141] neg_lo:[0,0,1] neg_hi:[0,0,1]
	v_mov_b32_e32 v137, v143
	s_delay_alu instid0(VALU_DEP_1)
	v_pk_add_f32 v[132:133], v[132:133], v[136:137]
	s_and_not1_b32 exec_lo, exec_lo, s11
	s_cbranch_execnz .LBB63_552
; %bb.553:
	s_or_b32 exec_lo, exec_lo, s11
.LBB63_554:
	s_delay_alu instid0(SALU_CYCLE_1) | instskip(SKIP_4) | instid1(VALU_DEP_1)
	s_or_b32 exec_lo, exec_lo, s10
	v_mov_b32_e32 v134, 0
	ds_load_b64 v[134:135], v134 offset:64
	s_wait_dscnt 0x0
	v_pk_mul_f32 v[136:137], v[132:133], v[134:135] op_sel:[1,1] op_sel_hi:[0,1]
	v_pk_fma_f32 v[138:139], v[132:133], v[134:135], v[136:137] op_sel_hi:[1,0,1]
	v_pk_fma_f32 v[132:133], v[132:133], v[134:135], v[136:137] neg_lo:[0,0,1] neg_hi:[0,0,1]
	s_delay_alu instid0(VALU_DEP_2)
	v_mov_b32_e32 v133, v139
	scratch_store_b64 off, v[132:133], off offset:64
.LBB63_555:
	s_wait_xcnt 0x0
	s_or_b32 exec_lo, exec_lo, s9
	scratch_load_b64 v[132:133], off, off offset:56
	v_cmp_lt_u32_e64 s1, 7, v0
	s_wait_loadcnt 0x0
	ds_store_b64 v1, v[132:133]
	s_wait_storecnt_dscnt 0x0
	s_barrier_signal -1
	s_barrier_wait -1
	s_wait_xcnt 0x0
	s_and_saveexec_b32 s9, s1
	s_cbranch_execz .LBB63_565
; %bb.556:
	s_and_not1_b32 vcc_lo, exec_lo, s3
	s_cbranch_vccnz .LBB63_558
; %bb.557:
	scratch_load_b64 v[132:133], v59, off
	ds_load_b64 v[134:135], v1
	s_wait_loadcnt_dscnt 0x0
	v_pk_mul_f32 v[136:137], v[134:135], v[132:133] op_sel:[1,1] op_sel_hi:[0,1]
	s_delay_alu instid0(VALU_DEP_1) | instskip(SKIP_1) | instid1(VALU_DEP_2)
	v_pk_fma_f32 v[138:139], v[134:135], v[132:133], v[136:137] op_sel_hi:[1,0,1]
	v_pk_fma_f32 v[132:133], v[134:135], v[132:133], v[136:137] neg_lo:[0,0,1] neg_hi:[0,0,1]
	v_mov_b32_e32 v133, v139
	s_cbranch_execz .LBB63_559
	s_branch .LBB63_560
.LBB63_558:
                                        ; implicit-def: $vgpr132_vgpr133
.LBB63_559:
	ds_load_b64 v[132:133], v1
.LBB63_560:
	s_and_saveexec_b32 s10, s0
	s_cbranch_execz .LBB63_564
; %bb.561:
	v_add_nc_u32_e32 v134, -8, v0
	s_movk_i32 s11, 0x240
	s_mov_b32 s0, 0
.LBB63_562:                             ; =>This Inner Loop Header: Depth=1
	scratch_load_b64 v[136:137], off, s8
	v_dual_mov_b32 v135, s11 :: v_dual_add_nc_u32 v134, -1, v134
	s_add_co_i32 s11, s11, 8
	s_wait_xcnt 0x0
	s_add_co_i32 s8, s8, 8
	ds_load_b64 v[138:139], v135
	v_cmp_eq_u32_e32 vcc_lo, 0, v134
	s_or_b32 s0, vcc_lo, s0
	s_wait_loadcnt_dscnt 0x0
	v_pk_mul_f32 v[140:141], v[138:139], v[136:137] op_sel:[1,1] op_sel_hi:[0,1]
	s_delay_alu instid0(VALU_DEP_1) | instskip(SKIP_1) | instid1(VALU_DEP_2)
	v_pk_fma_f32 v[142:143], v[138:139], v[136:137], v[140:141] op_sel_hi:[1,0,1]
	v_pk_fma_f32 v[136:137], v[138:139], v[136:137], v[140:141] neg_lo:[0,0,1] neg_hi:[0,0,1]
	v_mov_b32_e32 v137, v143
	s_delay_alu instid0(VALU_DEP_1)
	v_pk_add_f32 v[132:133], v[132:133], v[136:137]
	s_and_not1_b32 exec_lo, exec_lo, s0
	s_cbranch_execnz .LBB63_562
; %bb.563:
	s_or_b32 exec_lo, exec_lo, s0
.LBB63_564:
	s_delay_alu instid0(SALU_CYCLE_1) | instskip(SKIP_4) | instid1(VALU_DEP_1)
	s_or_b32 exec_lo, exec_lo, s10
	v_mov_b32_e32 v134, 0
	ds_load_b64 v[134:135], v134 offset:56
	s_wait_dscnt 0x0
	v_pk_mul_f32 v[136:137], v[132:133], v[134:135] op_sel:[1,1] op_sel_hi:[0,1]
	v_pk_fma_f32 v[138:139], v[132:133], v[134:135], v[136:137] op_sel_hi:[1,0,1]
	v_pk_fma_f32 v[132:133], v[132:133], v[134:135], v[136:137] neg_lo:[0,0,1] neg_hi:[0,0,1]
	s_delay_alu instid0(VALU_DEP_2)
	v_mov_b32_e32 v133, v139
	scratch_store_b64 off, v[132:133], off offset:56
.LBB63_565:
	s_wait_xcnt 0x0
	s_or_b32 exec_lo, exec_lo, s9
	scratch_load_b64 v[132:133], off, off offset:48
	v_cmp_lt_u32_e64 s0, 6, v0
	s_wait_loadcnt 0x0
	ds_store_b64 v1, v[132:133]
	s_wait_storecnt_dscnt 0x0
	s_barrier_signal -1
	s_barrier_wait -1
	s_wait_xcnt 0x0
	s_and_saveexec_b32 s8, s0
	s_cbranch_execz .LBB63_575
; %bb.566:
	s_and_not1_b32 vcc_lo, exec_lo, s3
	s_cbranch_vccnz .LBB63_568
; %bb.567:
	scratch_load_b64 v[132:133], v59, off
	ds_load_b64 v[134:135], v1
	s_wait_loadcnt_dscnt 0x0
	v_pk_mul_f32 v[136:137], v[134:135], v[132:133] op_sel:[1,1] op_sel_hi:[0,1]
	s_delay_alu instid0(VALU_DEP_1) | instskip(SKIP_1) | instid1(VALU_DEP_2)
	v_pk_fma_f32 v[138:139], v[134:135], v[132:133], v[136:137] op_sel_hi:[1,0,1]
	v_pk_fma_f32 v[132:133], v[134:135], v[132:133], v[136:137] neg_lo:[0,0,1] neg_hi:[0,0,1]
	v_mov_b32_e32 v133, v139
	s_cbranch_execz .LBB63_569
	s_branch .LBB63_570
.LBB63_568:
                                        ; implicit-def: $vgpr132_vgpr133
.LBB63_569:
	ds_load_b64 v[132:133], v1
.LBB63_570:
	s_and_saveexec_b32 s9, s1
	s_cbranch_execz .LBB63_574
; %bb.571:
	v_add_nc_u32_e32 v134, -7, v0
	s_mov_b32 s1, 56
	s_movk_i32 s11, 0x238
	s_mov_b32 s10, 0
.LBB63_572:                             ; =>This Inner Loop Header: Depth=1
	scratch_load_b64 v[136:137], off, s1
	v_dual_mov_b32 v135, s11 :: v_dual_add_nc_u32 v134, -1, v134
	s_add_co_i32 s11, s11, 8
	s_wait_xcnt 0x0
	s_add_co_i32 s1, s1, 8
	ds_load_b64 v[138:139], v135
	v_cmp_eq_u32_e32 vcc_lo, 0, v134
	s_or_b32 s10, vcc_lo, s10
	s_wait_loadcnt_dscnt 0x0
	v_pk_mul_f32 v[140:141], v[138:139], v[136:137] op_sel:[1,1] op_sel_hi:[0,1]
	s_delay_alu instid0(VALU_DEP_1) | instskip(SKIP_1) | instid1(VALU_DEP_2)
	v_pk_fma_f32 v[142:143], v[138:139], v[136:137], v[140:141] op_sel_hi:[1,0,1]
	v_pk_fma_f32 v[136:137], v[138:139], v[136:137], v[140:141] neg_lo:[0,0,1] neg_hi:[0,0,1]
	v_mov_b32_e32 v137, v143
	s_delay_alu instid0(VALU_DEP_1)
	v_pk_add_f32 v[132:133], v[132:133], v[136:137]
	s_and_not1_b32 exec_lo, exec_lo, s10
	s_cbranch_execnz .LBB63_572
; %bb.573:
	s_or_b32 exec_lo, exec_lo, s10
.LBB63_574:
	s_delay_alu instid0(SALU_CYCLE_1) | instskip(SKIP_4) | instid1(VALU_DEP_1)
	s_or_b32 exec_lo, exec_lo, s9
	v_mov_b32_e32 v134, 0
	ds_load_b64 v[134:135], v134 offset:48
	s_wait_dscnt 0x0
	v_pk_mul_f32 v[136:137], v[132:133], v[134:135] op_sel:[1,1] op_sel_hi:[0,1]
	v_pk_fma_f32 v[138:139], v[132:133], v[134:135], v[136:137] op_sel_hi:[1,0,1]
	v_pk_fma_f32 v[132:133], v[132:133], v[134:135], v[136:137] neg_lo:[0,0,1] neg_hi:[0,0,1]
	s_delay_alu instid0(VALU_DEP_2)
	v_mov_b32_e32 v133, v139
	scratch_store_b64 off, v[132:133], off offset:48
.LBB63_575:
	s_wait_xcnt 0x0
	s_or_b32 exec_lo, exec_lo, s8
	scratch_load_b64 v[132:133], off, off offset:40
	v_cmp_lt_u32_e64 s1, 5, v0
	s_wait_loadcnt 0x0
	ds_store_b64 v1, v[132:133]
	s_wait_storecnt_dscnt 0x0
	s_barrier_signal -1
	s_barrier_wait -1
	s_wait_xcnt 0x0
	s_and_saveexec_b32 s8, s1
	s_cbranch_execz .LBB63_585
; %bb.576:
	s_and_not1_b32 vcc_lo, exec_lo, s3
	s_cbranch_vccnz .LBB63_578
; %bb.577:
	scratch_load_b64 v[132:133], v59, off
	ds_load_b64 v[134:135], v1
	s_wait_loadcnt_dscnt 0x0
	v_pk_mul_f32 v[136:137], v[134:135], v[132:133] op_sel:[1,1] op_sel_hi:[0,1]
	s_delay_alu instid0(VALU_DEP_1) | instskip(SKIP_1) | instid1(VALU_DEP_2)
	v_pk_fma_f32 v[138:139], v[134:135], v[132:133], v[136:137] op_sel_hi:[1,0,1]
	v_pk_fma_f32 v[132:133], v[134:135], v[132:133], v[136:137] neg_lo:[0,0,1] neg_hi:[0,0,1]
	v_mov_b32_e32 v133, v139
	s_cbranch_execz .LBB63_579
	s_branch .LBB63_580
.LBB63_578:
                                        ; implicit-def: $vgpr132_vgpr133
.LBB63_579:
	ds_load_b64 v[132:133], v1
.LBB63_580:
	s_and_saveexec_b32 s9, s0
	s_cbranch_execz .LBB63_584
; %bb.581:
	v_add_nc_u32_e32 v134, -6, v0
	s_movk_i32 s10, 0x230
	s_mov_b32 s0, 0
.LBB63_582:                             ; =>This Inner Loop Header: Depth=1
	scratch_load_b64 v[136:137], off, s2
	v_dual_mov_b32 v135, s10 :: v_dual_add_nc_u32 v134, -1, v134
	s_add_co_i32 s10, s10, 8
	s_wait_xcnt 0x0
	s_add_co_i32 s2, s2, 8
	ds_load_b64 v[138:139], v135
	v_cmp_eq_u32_e32 vcc_lo, 0, v134
	s_or_b32 s0, vcc_lo, s0
	s_wait_loadcnt_dscnt 0x0
	v_pk_mul_f32 v[140:141], v[138:139], v[136:137] op_sel:[1,1] op_sel_hi:[0,1]
	s_delay_alu instid0(VALU_DEP_1) | instskip(SKIP_1) | instid1(VALU_DEP_2)
	v_pk_fma_f32 v[142:143], v[138:139], v[136:137], v[140:141] op_sel_hi:[1,0,1]
	v_pk_fma_f32 v[136:137], v[138:139], v[136:137], v[140:141] neg_lo:[0,0,1] neg_hi:[0,0,1]
	v_mov_b32_e32 v137, v143
	s_delay_alu instid0(VALU_DEP_1)
	v_pk_add_f32 v[132:133], v[132:133], v[136:137]
	s_and_not1_b32 exec_lo, exec_lo, s0
	s_cbranch_execnz .LBB63_582
; %bb.583:
	s_or_b32 exec_lo, exec_lo, s0
.LBB63_584:
	s_delay_alu instid0(SALU_CYCLE_1) | instskip(SKIP_4) | instid1(VALU_DEP_1)
	s_or_b32 exec_lo, exec_lo, s9
	v_mov_b32_e32 v134, 0
	ds_load_b64 v[134:135], v134 offset:40
	s_wait_dscnt 0x0
	v_pk_mul_f32 v[136:137], v[132:133], v[134:135] op_sel:[1,1] op_sel_hi:[0,1]
	v_pk_fma_f32 v[138:139], v[132:133], v[134:135], v[136:137] op_sel_hi:[1,0,1]
	v_pk_fma_f32 v[132:133], v[132:133], v[134:135], v[136:137] neg_lo:[0,0,1] neg_hi:[0,0,1]
	s_delay_alu instid0(VALU_DEP_2)
	v_mov_b32_e32 v133, v139
	scratch_store_b64 off, v[132:133], off offset:40
.LBB63_585:
	s_wait_xcnt 0x0
	s_or_b32 exec_lo, exec_lo, s8
	scratch_load_b64 v[132:133], off, off offset:32
	v_cmp_lt_u32_e64 s0, 4, v0
	s_wait_loadcnt 0x0
	ds_store_b64 v1, v[132:133]
	s_wait_storecnt_dscnt 0x0
	s_barrier_signal -1
	s_barrier_wait -1
	s_wait_xcnt 0x0
	s_and_saveexec_b32 s2, s0
	s_cbranch_execz .LBB63_595
; %bb.586:
	s_and_not1_b32 vcc_lo, exec_lo, s3
	s_cbranch_vccnz .LBB63_588
; %bb.587:
	scratch_load_b64 v[132:133], v59, off
	ds_load_b64 v[134:135], v1
	s_wait_loadcnt_dscnt 0x0
	v_pk_mul_f32 v[136:137], v[134:135], v[132:133] op_sel:[1,1] op_sel_hi:[0,1]
	s_delay_alu instid0(VALU_DEP_1) | instskip(SKIP_1) | instid1(VALU_DEP_2)
	v_pk_fma_f32 v[138:139], v[134:135], v[132:133], v[136:137] op_sel_hi:[1,0,1]
	v_pk_fma_f32 v[132:133], v[134:135], v[132:133], v[136:137] neg_lo:[0,0,1] neg_hi:[0,0,1]
	v_mov_b32_e32 v133, v139
	s_cbranch_execz .LBB63_589
	s_branch .LBB63_590
.LBB63_588:
                                        ; implicit-def: $vgpr132_vgpr133
.LBB63_589:
	ds_load_b64 v[132:133], v1
.LBB63_590:
	s_and_saveexec_b32 s8, s1
	s_cbranch_execz .LBB63_594
; %bb.591:
	v_add_nc_u32_e32 v134, -5, v0
	s_mov_b32 s1, 40
	s_movk_i32 s10, 0x228
	s_mov_b32 s9, 0
.LBB63_592:                             ; =>This Inner Loop Header: Depth=1
	scratch_load_b64 v[136:137], off, s1
	v_dual_mov_b32 v135, s10 :: v_dual_add_nc_u32 v134, -1, v134
	s_add_co_i32 s10, s10, 8
	s_wait_xcnt 0x0
	s_add_co_i32 s1, s1, 8
	ds_load_b64 v[138:139], v135
	v_cmp_eq_u32_e32 vcc_lo, 0, v134
	s_or_b32 s9, vcc_lo, s9
	s_wait_loadcnt_dscnt 0x0
	v_pk_mul_f32 v[140:141], v[138:139], v[136:137] op_sel:[1,1] op_sel_hi:[0,1]
	s_delay_alu instid0(VALU_DEP_1) | instskip(SKIP_1) | instid1(VALU_DEP_2)
	v_pk_fma_f32 v[142:143], v[138:139], v[136:137], v[140:141] op_sel_hi:[1,0,1]
	v_pk_fma_f32 v[136:137], v[138:139], v[136:137], v[140:141] neg_lo:[0,0,1] neg_hi:[0,0,1]
	v_mov_b32_e32 v137, v143
	s_delay_alu instid0(VALU_DEP_1)
	v_pk_add_f32 v[132:133], v[132:133], v[136:137]
	s_and_not1_b32 exec_lo, exec_lo, s9
	s_cbranch_execnz .LBB63_592
; %bb.593:
	s_or_b32 exec_lo, exec_lo, s9
.LBB63_594:
	s_delay_alu instid0(SALU_CYCLE_1) | instskip(SKIP_4) | instid1(VALU_DEP_1)
	s_or_b32 exec_lo, exec_lo, s8
	v_mov_b32_e32 v134, 0
	ds_load_b64 v[134:135], v134 offset:32
	s_wait_dscnt 0x0
	v_pk_mul_f32 v[136:137], v[132:133], v[134:135] op_sel:[1,1] op_sel_hi:[0,1]
	v_pk_fma_f32 v[138:139], v[132:133], v[134:135], v[136:137] op_sel_hi:[1,0,1]
	v_pk_fma_f32 v[132:133], v[132:133], v[134:135], v[136:137] neg_lo:[0,0,1] neg_hi:[0,0,1]
	s_delay_alu instid0(VALU_DEP_2)
	v_mov_b32_e32 v133, v139
	scratch_store_b64 off, v[132:133], off offset:32
.LBB63_595:
	s_wait_xcnt 0x0
	s_or_b32 exec_lo, exec_lo, s2
	scratch_load_b64 v[132:133], off, off offset:24
	v_cmp_lt_u32_e64 s2, 3, v0
	s_wait_loadcnt 0x0
	ds_store_b64 v1, v[132:133]
	s_wait_storecnt_dscnt 0x0
	s_barrier_signal -1
	s_barrier_wait -1
	s_wait_xcnt 0x0
	s_and_saveexec_b32 s1, s2
	s_cbranch_execz .LBB63_605
; %bb.596:
	s_and_not1_b32 vcc_lo, exec_lo, s3
	s_cbranch_vccnz .LBB63_598
; %bb.597:
	scratch_load_b64 v[132:133], v59, off
	ds_load_b64 v[134:135], v1
	s_wait_loadcnt_dscnt 0x0
	v_pk_mul_f32 v[136:137], v[134:135], v[132:133] op_sel:[1,1] op_sel_hi:[0,1]
	s_delay_alu instid0(VALU_DEP_1) | instskip(SKIP_1) | instid1(VALU_DEP_2)
	v_pk_fma_f32 v[138:139], v[134:135], v[132:133], v[136:137] op_sel_hi:[1,0,1]
	v_pk_fma_f32 v[132:133], v[134:135], v[132:133], v[136:137] neg_lo:[0,0,1] neg_hi:[0,0,1]
	v_mov_b32_e32 v133, v139
	s_cbranch_execz .LBB63_599
	s_branch .LBB63_600
.LBB63_598:
                                        ; implicit-def: $vgpr132_vgpr133
.LBB63_599:
	ds_load_b64 v[132:133], v1
.LBB63_600:
	s_and_saveexec_b32 s8, s0
	s_cbranch_execz .LBB63_604
; %bb.601:
	v_add_nc_u32_e32 v134, -4, v0
	s_movk_i32 s9, 0x220
	s_mov_b32 s0, 0
.LBB63_602:                             ; =>This Inner Loop Header: Depth=1
	scratch_load_b64 v[136:137], off, s5
	v_dual_mov_b32 v135, s9 :: v_dual_add_nc_u32 v134, -1, v134
	s_add_co_i32 s9, s9, 8
	s_wait_xcnt 0x0
	s_add_co_i32 s5, s5, 8
	ds_load_b64 v[138:139], v135
	v_cmp_eq_u32_e32 vcc_lo, 0, v134
	s_or_b32 s0, vcc_lo, s0
	s_wait_loadcnt_dscnt 0x0
	v_pk_mul_f32 v[140:141], v[138:139], v[136:137] op_sel:[1,1] op_sel_hi:[0,1]
	s_delay_alu instid0(VALU_DEP_1) | instskip(SKIP_1) | instid1(VALU_DEP_2)
	v_pk_fma_f32 v[142:143], v[138:139], v[136:137], v[140:141] op_sel_hi:[1,0,1]
	v_pk_fma_f32 v[136:137], v[138:139], v[136:137], v[140:141] neg_lo:[0,0,1] neg_hi:[0,0,1]
	v_mov_b32_e32 v137, v143
	s_delay_alu instid0(VALU_DEP_1)
	v_pk_add_f32 v[132:133], v[132:133], v[136:137]
	s_and_not1_b32 exec_lo, exec_lo, s0
	s_cbranch_execnz .LBB63_602
; %bb.603:
	s_or_b32 exec_lo, exec_lo, s0
.LBB63_604:
	s_delay_alu instid0(SALU_CYCLE_1) | instskip(SKIP_4) | instid1(VALU_DEP_1)
	s_or_b32 exec_lo, exec_lo, s8
	v_mov_b32_e32 v134, 0
	ds_load_b64 v[134:135], v134 offset:24
	s_wait_dscnt 0x0
	v_pk_mul_f32 v[136:137], v[132:133], v[134:135] op_sel:[1,1] op_sel_hi:[0,1]
	v_pk_fma_f32 v[138:139], v[132:133], v[134:135], v[136:137] op_sel_hi:[1,0,1]
	v_pk_fma_f32 v[132:133], v[132:133], v[134:135], v[136:137] neg_lo:[0,0,1] neg_hi:[0,0,1]
	s_delay_alu instid0(VALU_DEP_2)
	v_mov_b32_e32 v133, v139
	scratch_store_b64 off, v[132:133], off offset:24
.LBB63_605:
	s_wait_xcnt 0x0
	s_or_b32 exec_lo, exec_lo, s1
	scratch_load_b64 v[132:133], off, off offset:16
	v_cmp_lt_u32_e64 s1, 2, v0
	s_wait_loadcnt 0x0
	ds_store_b64 v1, v[132:133]
	s_wait_storecnt_dscnt 0x0
	s_barrier_signal -1
	s_barrier_wait -1
	s_wait_xcnt 0x0
	s_and_saveexec_b32 s0, s1
	s_cbranch_execz .LBB63_615
; %bb.606:
	s_and_not1_b32 vcc_lo, exec_lo, s3
	s_cbranch_vccnz .LBB63_608
; %bb.607:
	scratch_load_b64 v[132:133], v59, off
	ds_load_b64 v[134:135], v1
	s_wait_loadcnt_dscnt 0x0
	v_pk_mul_f32 v[136:137], v[134:135], v[132:133] op_sel:[1,1] op_sel_hi:[0,1]
	s_delay_alu instid0(VALU_DEP_1) | instskip(SKIP_1) | instid1(VALU_DEP_2)
	v_pk_fma_f32 v[138:139], v[134:135], v[132:133], v[136:137] op_sel_hi:[1,0,1]
	v_pk_fma_f32 v[132:133], v[134:135], v[132:133], v[136:137] neg_lo:[0,0,1] neg_hi:[0,0,1]
	v_mov_b32_e32 v133, v139
	s_cbranch_execz .LBB63_609
	s_branch .LBB63_610
.LBB63_608:
                                        ; implicit-def: $vgpr132_vgpr133
.LBB63_609:
	ds_load_b64 v[132:133], v1
.LBB63_610:
	s_and_saveexec_b32 s5, s2
	s_cbranch_execz .LBB63_614
; %bb.611:
	v_add_nc_u32_e32 v134, -3, v0
	s_mov_b32 s2, 24
	s_movk_i32 s9, 0x218
	s_mov_b32 s8, 0
.LBB63_612:                             ; =>This Inner Loop Header: Depth=1
	scratch_load_b64 v[136:137], off, s2
	v_dual_mov_b32 v135, s9 :: v_dual_add_nc_u32 v134, -1, v134
	s_add_co_i32 s9, s9, 8
	s_wait_xcnt 0x0
	s_add_co_i32 s2, s2, 8
	ds_load_b64 v[138:139], v135
	v_cmp_eq_u32_e32 vcc_lo, 0, v134
	s_or_b32 s8, vcc_lo, s8
	s_wait_loadcnt_dscnt 0x0
	v_pk_mul_f32 v[140:141], v[138:139], v[136:137] op_sel:[1,1] op_sel_hi:[0,1]
	s_delay_alu instid0(VALU_DEP_1) | instskip(SKIP_1) | instid1(VALU_DEP_2)
	v_pk_fma_f32 v[142:143], v[138:139], v[136:137], v[140:141] op_sel_hi:[1,0,1]
	v_pk_fma_f32 v[136:137], v[138:139], v[136:137], v[140:141] neg_lo:[0,0,1] neg_hi:[0,0,1]
	v_mov_b32_e32 v137, v143
	s_delay_alu instid0(VALU_DEP_1)
	v_pk_add_f32 v[132:133], v[132:133], v[136:137]
	s_and_not1_b32 exec_lo, exec_lo, s8
	s_cbranch_execnz .LBB63_612
; %bb.613:
	s_or_b32 exec_lo, exec_lo, s8
.LBB63_614:
	s_delay_alu instid0(SALU_CYCLE_1) | instskip(SKIP_4) | instid1(VALU_DEP_1)
	s_or_b32 exec_lo, exec_lo, s5
	v_mov_b32_e32 v134, 0
	ds_load_b64 v[134:135], v134 offset:16
	s_wait_dscnt 0x0
	v_pk_mul_f32 v[136:137], v[132:133], v[134:135] op_sel:[1,1] op_sel_hi:[0,1]
	v_pk_fma_f32 v[138:139], v[132:133], v[134:135], v[136:137] op_sel_hi:[1,0,1]
	v_pk_fma_f32 v[132:133], v[132:133], v[134:135], v[136:137] neg_lo:[0,0,1] neg_hi:[0,0,1]
	s_delay_alu instid0(VALU_DEP_2)
	v_mov_b32_e32 v133, v139
	scratch_store_b64 off, v[132:133], off offset:16
.LBB63_615:
	s_wait_xcnt 0x0
	s_or_b32 exec_lo, exec_lo, s0
	scratch_load_b64 v[132:133], off, off offset:8
	v_cmp_lt_u32_e64 s0, 1, v0
	s_wait_loadcnt 0x0
	ds_store_b64 v1, v[132:133]
	s_wait_storecnt_dscnt 0x0
	s_barrier_signal -1
	s_barrier_wait -1
	s_wait_xcnt 0x0
	s_and_saveexec_b32 s2, s0
	s_cbranch_execz .LBB63_625
; %bb.616:
	s_and_not1_b32 vcc_lo, exec_lo, s3
	s_cbranch_vccnz .LBB63_618
; %bb.617:
	scratch_load_b64 v[132:133], v59, off
	ds_load_b64 v[134:135], v1
	s_wait_loadcnt_dscnt 0x0
	v_pk_mul_f32 v[136:137], v[134:135], v[132:133] op_sel:[1,1] op_sel_hi:[0,1]
	s_delay_alu instid0(VALU_DEP_1) | instskip(SKIP_1) | instid1(VALU_DEP_2)
	v_pk_fma_f32 v[138:139], v[134:135], v[132:133], v[136:137] op_sel_hi:[1,0,1]
	v_pk_fma_f32 v[132:133], v[134:135], v[132:133], v[136:137] neg_lo:[0,0,1] neg_hi:[0,0,1]
	v_mov_b32_e32 v133, v139
	s_cbranch_execz .LBB63_619
	s_branch .LBB63_620
.LBB63_618:
                                        ; implicit-def: $vgpr132_vgpr133
.LBB63_619:
	ds_load_b64 v[132:133], v1
.LBB63_620:
	s_and_saveexec_b32 s5, s1
	s_cbranch_execz .LBB63_624
; %bb.621:
	v_add_nc_u32_e32 v134, -2, v0
	s_movk_i32 s8, 0x210
	s_mov_b32 s1, 0
.LBB63_622:                             ; =>This Inner Loop Header: Depth=1
	scratch_load_b64 v[136:137], off, s4
	v_dual_mov_b32 v135, s8 :: v_dual_add_nc_u32 v134, -1, v134
	s_add_co_i32 s8, s8, 8
	s_wait_xcnt 0x0
	s_add_co_i32 s4, s4, 8
	ds_load_b64 v[138:139], v135
	v_cmp_eq_u32_e32 vcc_lo, 0, v134
	s_or_b32 s1, vcc_lo, s1
	s_wait_loadcnt_dscnt 0x0
	v_pk_mul_f32 v[140:141], v[138:139], v[136:137] op_sel:[1,1] op_sel_hi:[0,1]
	s_delay_alu instid0(VALU_DEP_1) | instskip(SKIP_1) | instid1(VALU_DEP_2)
	v_pk_fma_f32 v[142:143], v[138:139], v[136:137], v[140:141] op_sel_hi:[1,0,1]
	v_pk_fma_f32 v[136:137], v[138:139], v[136:137], v[140:141] neg_lo:[0,0,1] neg_hi:[0,0,1]
	v_mov_b32_e32 v137, v143
	s_delay_alu instid0(VALU_DEP_1)
	v_pk_add_f32 v[132:133], v[132:133], v[136:137]
	s_and_not1_b32 exec_lo, exec_lo, s1
	s_cbranch_execnz .LBB63_622
; %bb.623:
	s_or_b32 exec_lo, exec_lo, s1
.LBB63_624:
	s_delay_alu instid0(SALU_CYCLE_1) | instskip(SKIP_4) | instid1(VALU_DEP_1)
	s_or_b32 exec_lo, exec_lo, s5
	v_mov_b32_e32 v134, 0
	ds_load_b64 v[134:135], v134 offset:8
	s_wait_dscnt 0x0
	v_pk_mul_f32 v[136:137], v[132:133], v[134:135] op_sel:[1,1] op_sel_hi:[0,1]
	v_pk_fma_f32 v[138:139], v[132:133], v[134:135], v[136:137] op_sel_hi:[1,0,1]
	v_pk_fma_f32 v[132:133], v[132:133], v[134:135], v[136:137] neg_lo:[0,0,1] neg_hi:[0,0,1]
	s_delay_alu instid0(VALU_DEP_2)
	v_mov_b32_e32 v133, v139
	scratch_store_b64 off, v[132:133], off offset:8
.LBB63_625:
	s_wait_xcnt 0x0
	s_or_b32 exec_lo, exec_lo, s2
	scratch_load_b64 v[132:133], off, off
	s_mov_b32 s2, 0
	s_mov_b32 s1, 0
	s_mov_b32 s5, exec_lo
                                        ; implicit-def: $vgpr180
                                        ; implicit-def: $sgpr4
	s_wait_loadcnt 0x0
	ds_store_b64 v1, v[132:133]
	s_wait_storecnt_dscnt 0x0
	s_barrier_signal -1
	s_barrier_wait -1
	s_wait_xcnt 0x0
	v_cmpx_ne_u32_e32 0, v0
	s_cbranch_execz .LBB63_635
; %bb.626:
	s_and_not1_b32 vcc_lo, exec_lo, s3
	s_cbranch_vccnz .LBB63_628
; %bb.627:
	scratch_load_b64 v[134:135], v59, off
	ds_load_b64 v[136:137], v1
	s_wait_loadcnt_dscnt 0x0
	v_dual_mul_f32 v132, v137, v135 :: v_dual_mul_f32 v133, v136, v135
	s_delay_alu instid0(VALU_DEP_1)
	v_dual_fma_f32 v132, v136, v134, -v132 :: v_dual_fmac_f32 v133, v137, v134
	s_and_not1_b32 vcc_lo, exec_lo, s1
	s_cbranch_vccz .LBB63_629
	s_branch .LBB63_630
.LBB63_628:
                                        ; implicit-def: $vgpr132
.LBB63_629:
	ds_load_b64 v[132:133], v1
.LBB63_630:
	s_and_saveexec_b32 s1, s0
	s_cbranch_execz .LBB63_634
; %bb.631:
	v_add_nc_u32_e32 v134, -1, v0
	s_or_b32 s0, 0, 8
	s_movk_i32 s8, 0x208
	s_mov_b32 s4, 0
.LBB63_632:                             ; =>This Inner Loop Header: Depth=1
	scratch_load_b64 v[136:137], off, s0
	v_mov_b32_e32 v135, s8
	s_add_co_i32 s8, s8, 8
	s_wait_xcnt 0x0
	s_add_co_i32 s0, s0, 8
	v_add_nc_u32_e32 v134, -1, v134
	ds_load_b64 v[138:139], v135
	v_cmp_eq_u32_e32 vcc_lo, 0, v134
	s_or_b32 s4, vcc_lo, s4
	s_wait_loadcnt_dscnt 0x0
	v_dual_mul_f32 v135, v139, v137 :: v_dual_mul_f32 v137, v138, v137
	s_delay_alu instid0(VALU_DEP_1) | instskip(NEXT) | instid1(VALU_DEP_1)
	v_dual_fma_f32 v135, v138, v136, -v135 :: v_dual_fmac_f32 v137, v139, v136
	v_dual_add_f32 v132, v132, v135 :: v_dual_add_f32 v133, v133, v137
	s_and_not1_b32 exec_lo, exec_lo, s4
	s_cbranch_execnz .LBB63_632
; %bb.633:
	s_or_b32 exec_lo, exec_lo, s4
.LBB63_634:
	s_delay_alu instid0(SALU_CYCLE_1)
	s_or_b32 exec_lo, exec_lo, s1
	v_mov_b32_e32 v134, 0
	s_mov_b32 s1, exec_lo
	s_or_b32 s4, 0, 4
	ds_load_b64 v[134:135], v134
	s_wait_dscnt 0x0
	v_dual_mul_f32 v136, v133, v135 :: v_dual_mul_f32 v180, v132, v135
	s_delay_alu instid0(VALU_DEP_1) | instskip(NEXT) | instid1(VALU_DEP_2)
	v_fma_f32 v132, v132, v134, -v136
	v_fmac_f32_e32 v180, v133, v134
	scratch_store_b32 off, v132, off
.LBB63_635:
	s_wait_xcnt 0x0
	s_or_b32 exec_lo, exec_lo, s5
	s_delay_alu instid0(SALU_CYCLE_1)
	s_and_b32 vcc_lo, exec_lo, s2
	s_cbranch_vccz .LBB63_1261
.LBB63_636:
	scratch_load_b64 v[132:133], off, off offset:8
	v_cmp_eq_u32_e64 s0, 0, v0
	s_wait_loadcnt 0x0
	ds_store_b64 v1, v[132:133]
	s_wait_storecnt_dscnt 0x0
	s_barrier_signal -1
	s_barrier_wait -1
	s_wait_xcnt 0x0
	s_and_saveexec_b32 s2, s0
	s_cbranch_execz .LBB63_642
; %bb.637:
	s_and_b32 vcc_lo, exec_lo, s3
	s_cbranch_vccz .LBB63_639
; %bb.638:
	scratch_load_b64 v[132:133], v59, off
	ds_load_b64 v[134:135], v1
	s_wait_loadcnt_dscnt 0x0
	v_pk_mul_f32 v[136:137], v[134:135], v[132:133] op_sel:[1,1] op_sel_hi:[0,1]
	v_pk_mul_f32 v[138:139], v[134:135], v[132:133] op_sel_hi:[1,0]
	s_delay_alu instid0(VALU_DEP_2) | instskip(NEXT) | instid1(VALU_DEP_2)
	v_pk_fma_f32 v[132:133], v[134:135], v[132:133], v[136:137] op_sel_hi:[1,0,1]
	v_sub_f32_e32 v132, v138, v136
	s_cbranch_execz .LBB63_640
	s_branch .LBB63_641
.LBB63_639:
                                        ; implicit-def: $vgpr133
.LBB63_640:
	ds_load_b64 v[132:133], v1
.LBB63_641:
	s_wait_dscnt 0x0
	v_dual_mov_b32 v134, 0 :: v_dual_mov_b32 v136, v133
	v_mov_b32_e32 v137, v132
	ds_load_b64 v[134:135], v134 offset:8
	s_wait_dscnt 0x0
	v_pk_mul_f32 v[136:137], v[136:137], v[134:135] op_sel:[0,1]
	s_delay_alu instid0(VALU_DEP_1) | instskip(SKIP_1) | instid1(VALU_DEP_2)
	v_pk_fma_f32 v[138:139], v[132:133], v[134:135], v[136:137] op_sel_hi:[1,0,1]
	v_pk_fma_f32 v[132:133], v[132:133], v[134:135], v[136:137] neg_lo:[0,0,1] neg_hi:[0,0,1]
	v_mov_b32_e32 v133, v139
	scratch_store_b64 off, v[132:133], off offset:8
.LBB63_642:
	s_wait_xcnt 0x0
	s_or_b32 exec_lo, exec_lo, s2
	scratch_load_b64 v[132:133], off, off offset:16
	v_cndmask_b32_e64 v134, 0, 1, s3
	s_mov_b32 s2, exec_lo
	s_wait_loadcnt 0x0
	ds_store_b64 v1, v[132:133]
	s_wait_storecnt_dscnt 0x0
	s_barrier_signal -1
	s_barrier_wait -1
	s_wait_xcnt 0x0
	v_cmpx_gt_u32_e32 2, v0
	s_cbranch_execz .LBB63_650
; %bb.643:
	s_and_not1_b32 vcc_lo, exec_lo, s3
	s_cbranch_vccnz .LBB63_645
; %bb.644:
	scratch_load_b64 v[132:133], v59, off
	ds_load_b64 v[136:137], v1
	s_wait_loadcnt_dscnt 0x0
	v_pk_mul_f32 v[138:139], v[136:137], v[132:133] op_sel:[1,1] op_sel_hi:[0,1]
	s_delay_alu instid0(VALU_DEP_1) | instskip(SKIP_1) | instid1(VALU_DEP_2)
	v_pk_fma_f32 v[140:141], v[136:137], v[132:133], v[138:139] op_sel_hi:[1,0,1]
	v_pk_fma_f32 v[132:133], v[136:137], v[132:133], v[138:139] neg_lo:[0,0,1] neg_hi:[0,0,1]
	v_mov_b32_e32 v133, v141
	s_cbranch_execz .LBB63_646
	s_branch .LBB63_647
.LBB63_645:
                                        ; implicit-def: $vgpr132_vgpr133
.LBB63_646:
	ds_load_b64 v[132:133], v1
.LBB63_647:
	s_and_saveexec_b32 s3, s0
	s_cbranch_execz .LBB63_649
; %bb.648:
	scratch_load_b64 v[136:137], off, off offset:8
	v_mov_b32_e32 v135, 0
	ds_load_b64 v[138:139], v135 offset:520
	s_wait_loadcnt_dscnt 0x0
	v_pk_mul_f32 v[140:141], v[138:139], v[136:137] op_sel:[1,1] op_sel_hi:[0,1]
	s_delay_alu instid0(VALU_DEP_1) | instskip(SKIP_1) | instid1(VALU_DEP_2)
	v_pk_fma_f32 v[142:143], v[138:139], v[136:137], v[140:141] op_sel_hi:[1,0,1]
	v_pk_fma_f32 v[136:137], v[138:139], v[136:137], v[140:141] neg_lo:[0,0,1] neg_hi:[0,0,1]
	v_mov_b32_e32 v137, v143
	s_delay_alu instid0(VALU_DEP_1)
	v_pk_add_f32 v[132:133], v[132:133], v[136:137]
.LBB63_649:
	s_or_b32 exec_lo, exec_lo, s3
	v_mov_b32_e32 v135, 0
	ds_load_b64 v[136:137], v135 offset:16
	s_wait_dscnt 0x0
	v_pk_mul_f32 v[138:139], v[132:133], v[136:137] op_sel:[1,1] op_sel_hi:[0,1]
	s_delay_alu instid0(VALU_DEP_1) | instskip(SKIP_1) | instid1(VALU_DEP_2)
	v_pk_fma_f32 v[140:141], v[132:133], v[136:137], v[138:139] op_sel_hi:[1,0,1]
	v_pk_fma_f32 v[132:133], v[132:133], v[136:137], v[138:139] neg_lo:[0,0,1] neg_hi:[0,0,1]
	v_mov_b32_e32 v133, v141
	scratch_store_b64 off, v[132:133], off offset:16
.LBB63_650:
	s_wait_xcnt 0x0
	s_or_b32 exec_lo, exec_lo, s2
	scratch_load_b64 v[132:133], off, off offset:24
	s_mov_b32 s2, exec_lo
	s_wait_loadcnt 0x0
	ds_store_b64 v1, v[132:133]
	s_wait_storecnt_dscnt 0x0
	s_barrier_signal -1
	s_barrier_wait -1
	s_wait_xcnt 0x0
	v_cmpx_gt_u32_e32 3, v0
	s_cbranch_execz .LBB63_660
; %bb.651:
	v_cmp_ne_u32_e32 vcc_lo, 1, v134
	s_cbranch_vccnz .LBB63_653
; %bb.652:
	scratch_load_b64 v[132:133], v59, off
	ds_load_b64 v[136:137], v1
	s_wait_loadcnt_dscnt 0x0
	v_pk_mul_f32 v[138:139], v[136:137], v[132:133] op_sel:[1,1] op_sel_hi:[0,1]
	s_delay_alu instid0(VALU_DEP_1) | instskip(SKIP_1) | instid1(VALU_DEP_2)
	v_pk_fma_f32 v[140:141], v[136:137], v[132:133], v[138:139] op_sel_hi:[1,0,1]
	v_pk_fma_f32 v[132:133], v[136:137], v[132:133], v[138:139] neg_lo:[0,0,1] neg_hi:[0,0,1]
	v_mov_b32_e32 v133, v141
	s_cbranch_execz .LBB63_654
	s_branch .LBB63_655
.LBB63_653:
                                        ; implicit-def: $vgpr132_vgpr133
.LBB63_654:
	ds_load_b64 v[132:133], v1
.LBB63_655:
	s_mov_b32 s3, exec_lo
	v_cmpx_ne_u32_e32 2, v0
	s_cbranch_execz .LBB63_659
; %bb.656:
	scratch_load_b64 v[136:137], v59, off offset:8
	ds_load_b64 v[138:139], v1 offset:8
	s_wait_loadcnt_dscnt 0x0
	v_pk_mul_f32 v[140:141], v[138:139], v[136:137] op_sel:[1,1] op_sel_hi:[0,1]
	s_delay_alu instid0(VALU_DEP_1) | instskip(SKIP_1) | instid1(VALU_DEP_2)
	v_pk_fma_f32 v[142:143], v[138:139], v[136:137], v[140:141] op_sel_hi:[1,0,1]
	v_pk_fma_f32 v[136:137], v[138:139], v[136:137], v[140:141] neg_lo:[0,0,1] neg_hi:[0,0,1]
	v_mov_b32_e32 v137, v143
	s_delay_alu instid0(VALU_DEP_1)
	v_pk_add_f32 v[132:133], v[132:133], v[136:137]
	s_and_saveexec_b32 s4, s0
	s_cbranch_execz .LBB63_658
; %bb.657:
	scratch_load_b64 v[136:137], off, off offset:16
	v_mov_b32_e32 v135, 0
	ds_load_b64 v[138:139], v135 offset:528
	s_wait_loadcnt_dscnt 0x0
	v_pk_mul_f32 v[140:141], v[138:139], v[136:137] op_sel:[1,1] op_sel_hi:[0,1]
	s_delay_alu instid0(VALU_DEP_1) | instskip(SKIP_1) | instid1(VALU_DEP_2)
	v_pk_fma_f32 v[142:143], v[138:139], v[136:137], v[140:141] op_sel_hi:[1,0,1]
	v_pk_fma_f32 v[136:137], v[138:139], v[136:137], v[140:141] neg_lo:[0,0,1] neg_hi:[0,0,1]
	v_mov_b32_e32 v137, v143
	s_delay_alu instid0(VALU_DEP_1)
	v_pk_add_f32 v[132:133], v[132:133], v[136:137]
.LBB63_658:
	s_or_b32 exec_lo, exec_lo, s4
.LBB63_659:
	s_delay_alu instid0(SALU_CYCLE_1) | instskip(SKIP_4) | instid1(VALU_DEP_1)
	s_or_b32 exec_lo, exec_lo, s3
	v_mov_b32_e32 v135, 0
	ds_load_b64 v[136:137], v135 offset:24
	s_wait_dscnt 0x0
	v_pk_mul_f32 v[138:139], v[132:133], v[136:137] op_sel:[1,1] op_sel_hi:[0,1]
	v_pk_fma_f32 v[140:141], v[132:133], v[136:137], v[138:139] op_sel_hi:[1,0,1]
	v_pk_fma_f32 v[132:133], v[132:133], v[136:137], v[138:139] neg_lo:[0,0,1] neg_hi:[0,0,1]
	s_delay_alu instid0(VALU_DEP_2)
	v_mov_b32_e32 v133, v141
	scratch_store_b64 off, v[132:133], off offset:24
.LBB63_660:
	s_wait_xcnt 0x0
	s_or_b32 exec_lo, exec_lo, s2
	scratch_load_b64 v[132:133], off, off offset:32
	s_mov_b32 s0, exec_lo
	s_wait_loadcnt 0x0
	ds_store_b64 v1, v[132:133]
	s_wait_storecnt_dscnt 0x0
	s_barrier_signal -1
	s_barrier_wait -1
	s_wait_xcnt 0x0
	v_cmpx_gt_u32_e32 4, v0
	s_cbranch_execz .LBB63_670
; %bb.661:
	v_cmp_ne_u32_e32 vcc_lo, 1, v134
	s_cbranch_vccnz .LBB63_663
; %bb.662:
	scratch_load_b64 v[132:133], v59, off
	ds_load_b64 v[136:137], v1
	s_wait_loadcnt_dscnt 0x0
	v_pk_mul_f32 v[138:139], v[136:137], v[132:133] op_sel:[1,1] op_sel_hi:[0,1]
	s_delay_alu instid0(VALU_DEP_1) | instskip(SKIP_1) | instid1(VALU_DEP_2)
	v_pk_fma_f32 v[140:141], v[136:137], v[132:133], v[138:139] op_sel_hi:[1,0,1]
	v_pk_fma_f32 v[132:133], v[136:137], v[132:133], v[138:139] neg_lo:[0,0,1] neg_hi:[0,0,1]
	v_mov_b32_e32 v133, v141
	s_cbranch_execz .LBB63_664
	s_branch .LBB63_665
.LBB63_663:
                                        ; implicit-def: $vgpr132_vgpr133
.LBB63_664:
	ds_load_b64 v[132:133], v1
.LBB63_665:
	s_mov_b32 s2, exec_lo
	v_cmpx_ne_u32_e32 3, v0
	s_cbranch_execz .LBB63_669
; %bb.666:
	v_add_nc_u32_e32 v135, 0x208, v58
	v_add3_u32 v136, 0, v58, 8
	v_mov_b32_e32 v137, v0
	s_mov_b32 s3, 0
.LBB63_667:                             ; =>This Inner Loop Header: Depth=1
	scratch_load_b64 v[138:139], v136, off
	ds_load_b64 v[140:141], v135
	s_wait_xcnt 0x0
	v_dual_add_nc_u32 v135, 8, v135 :: v_dual_add_nc_u32 v136, 8, v136
	s_wait_loadcnt_dscnt 0x0
	v_pk_mul_f32 v[142:143], v[140:141], v[138:139] op_sel:[1,1] op_sel_hi:[0,1]
	s_delay_alu instid0(VALU_DEP_1) | instskip(SKIP_2) | instid1(VALU_DEP_3)
	v_pk_fma_f32 v[144:145], v[140:141], v[138:139], v[142:143] op_sel_hi:[1,0,1]
	v_add_nc_u32_e32 v137, 1, v137
	v_pk_fma_f32 v[138:139], v[140:141], v[138:139], v[142:143] neg_lo:[0,0,1] neg_hi:[0,0,1]
	v_mov_b32_e32 v139, v145
	s_delay_alu instid0(VALU_DEP_3) | instskip(NEXT) | instid1(VALU_DEP_2)
	v_cmp_lt_u32_e32 vcc_lo, 2, v137
	v_pk_add_f32 v[132:133], v[132:133], v[138:139]
	s_or_b32 s3, vcc_lo, s3
	s_delay_alu instid0(SALU_CYCLE_1)
	s_and_not1_b32 exec_lo, exec_lo, s3
	s_cbranch_execnz .LBB63_667
; %bb.668:
	s_or_b32 exec_lo, exec_lo, s3
.LBB63_669:
	s_delay_alu instid0(SALU_CYCLE_1) | instskip(SKIP_4) | instid1(VALU_DEP_1)
	s_or_b32 exec_lo, exec_lo, s2
	v_mov_b32_e32 v135, 0
	ds_load_b64 v[136:137], v135 offset:32
	s_wait_dscnt 0x0
	v_pk_mul_f32 v[138:139], v[132:133], v[136:137] op_sel:[1,1] op_sel_hi:[0,1]
	v_pk_fma_f32 v[140:141], v[132:133], v[136:137], v[138:139] op_sel_hi:[1,0,1]
	v_pk_fma_f32 v[132:133], v[132:133], v[136:137], v[138:139] neg_lo:[0,0,1] neg_hi:[0,0,1]
	s_delay_alu instid0(VALU_DEP_2)
	v_mov_b32_e32 v133, v141
	scratch_store_b64 off, v[132:133], off offset:32
.LBB63_670:
	s_wait_xcnt 0x0
	s_or_b32 exec_lo, exec_lo, s0
	scratch_load_b64 v[132:133], off, off offset:40
	s_mov_b32 s0, exec_lo
	s_wait_loadcnt 0x0
	ds_store_b64 v1, v[132:133]
	s_wait_storecnt_dscnt 0x0
	s_barrier_signal -1
	s_barrier_wait -1
	s_wait_xcnt 0x0
	v_cmpx_gt_u32_e32 5, v0
	s_cbranch_execz .LBB63_680
; %bb.671:
	v_cmp_ne_u32_e32 vcc_lo, 1, v134
	s_cbranch_vccnz .LBB63_673
; %bb.672:
	scratch_load_b64 v[132:133], v59, off
	ds_load_b64 v[136:137], v1
	s_wait_loadcnt_dscnt 0x0
	v_pk_mul_f32 v[138:139], v[136:137], v[132:133] op_sel:[1,1] op_sel_hi:[0,1]
	s_delay_alu instid0(VALU_DEP_1) | instskip(SKIP_1) | instid1(VALU_DEP_2)
	v_pk_fma_f32 v[140:141], v[136:137], v[132:133], v[138:139] op_sel_hi:[1,0,1]
	v_pk_fma_f32 v[132:133], v[136:137], v[132:133], v[138:139] neg_lo:[0,0,1] neg_hi:[0,0,1]
	v_mov_b32_e32 v133, v141
	s_cbranch_execz .LBB63_674
	s_branch .LBB63_675
.LBB63_673:
                                        ; implicit-def: $vgpr132_vgpr133
.LBB63_674:
	ds_load_b64 v[132:133], v1
.LBB63_675:
	s_mov_b32 s2, exec_lo
	v_cmpx_ne_u32_e32 4, v0
	s_cbranch_execz .LBB63_679
; %bb.676:
	v_add_nc_u32_e32 v135, 0x208, v58
	v_add3_u32 v136, 0, v58, 8
	v_mov_b32_e32 v137, v0
	s_mov_b32 s3, 0
.LBB63_677:                             ; =>This Inner Loop Header: Depth=1
	scratch_load_b64 v[138:139], v136, off
	ds_load_b64 v[140:141], v135
	s_wait_xcnt 0x0
	v_dual_add_nc_u32 v135, 8, v135 :: v_dual_add_nc_u32 v136, 8, v136
	s_wait_loadcnt_dscnt 0x0
	v_pk_mul_f32 v[142:143], v[140:141], v[138:139] op_sel:[1,1] op_sel_hi:[0,1]
	s_delay_alu instid0(VALU_DEP_1) | instskip(SKIP_2) | instid1(VALU_DEP_3)
	v_pk_fma_f32 v[144:145], v[140:141], v[138:139], v[142:143] op_sel_hi:[1,0,1]
	v_add_nc_u32_e32 v137, 1, v137
	v_pk_fma_f32 v[138:139], v[140:141], v[138:139], v[142:143] neg_lo:[0,0,1] neg_hi:[0,0,1]
	v_mov_b32_e32 v139, v145
	s_delay_alu instid0(VALU_DEP_3) | instskip(NEXT) | instid1(VALU_DEP_2)
	v_cmp_lt_u32_e32 vcc_lo, 3, v137
	v_pk_add_f32 v[132:133], v[132:133], v[138:139]
	s_or_b32 s3, vcc_lo, s3
	s_delay_alu instid0(SALU_CYCLE_1)
	s_and_not1_b32 exec_lo, exec_lo, s3
	s_cbranch_execnz .LBB63_677
; %bb.678:
	s_or_b32 exec_lo, exec_lo, s3
.LBB63_679:
	s_delay_alu instid0(SALU_CYCLE_1) | instskip(SKIP_4) | instid1(VALU_DEP_1)
	s_or_b32 exec_lo, exec_lo, s2
	v_mov_b32_e32 v135, 0
	ds_load_b64 v[136:137], v135 offset:40
	s_wait_dscnt 0x0
	v_pk_mul_f32 v[138:139], v[132:133], v[136:137] op_sel:[1,1] op_sel_hi:[0,1]
	v_pk_fma_f32 v[140:141], v[132:133], v[136:137], v[138:139] op_sel_hi:[1,0,1]
	v_pk_fma_f32 v[132:133], v[132:133], v[136:137], v[138:139] neg_lo:[0,0,1] neg_hi:[0,0,1]
	s_delay_alu instid0(VALU_DEP_2)
	v_mov_b32_e32 v133, v141
	scratch_store_b64 off, v[132:133], off offset:40
.LBB63_680:
	s_wait_xcnt 0x0
	s_or_b32 exec_lo, exec_lo, s0
	scratch_load_b64 v[132:133], off, off offset:48
	s_mov_b32 s0, exec_lo
	s_wait_loadcnt 0x0
	ds_store_b64 v1, v[132:133]
	s_wait_storecnt_dscnt 0x0
	s_barrier_signal -1
	s_barrier_wait -1
	s_wait_xcnt 0x0
	v_cmpx_gt_u32_e32 6, v0
	s_cbranch_execz .LBB63_690
; %bb.681:
	v_cmp_ne_u32_e32 vcc_lo, 1, v134
	s_cbranch_vccnz .LBB63_683
; %bb.682:
	scratch_load_b64 v[132:133], v59, off
	ds_load_b64 v[136:137], v1
	s_wait_loadcnt_dscnt 0x0
	v_pk_mul_f32 v[138:139], v[136:137], v[132:133] op_sel:[1,1] op_sel_hi:[0,1]
	s_delay_alu instid0(VALU_DEP_1) | instskip(SKIP_1) | instid1(VALU_DEP_2)
	v_pk_fma_f32 v[140:141], v[136:137], v[132:133], v[138:139] op_sel_hi:[1,0,1]
	v_pk_fma_f32 v[132:133], v[136:137], v[132:133], v[138:139] neg_lo:[0,0,1] neg_hi:[0,0,1]
	v_mov_b32_e32 v133, v141
	s_cbranch_execz .LBB63_684
	s_branch .LBB63_685
.LBB63_683:
                                        ; implicit-def: $vgpr132_vgpr133
.LBB63_684:
	ds_load_b64 v[132:133], v1
.LBB63_685:
	s_mov_b32 s2, exec_lo
	v_cmpx_ne_u32_e32 5, v0
	s_cbranch_execz .LBB63_689
; %bb.686:
	v_add_nc_u32_e32 v135, 0x208, v58
	v_add3_u32 v136, 0, v58, 8
	v_mov_b32_e32 v137, v0
	s_mov_b32 s3, 0
.LBB63_687:                             ; =>This Inner Loop Header: Depth=1
	scratch_load_b64 v[138:139], v136, off
	ds_load_b64 v[140:141], v135
	s_wait_xcnt 0x0
	v_dual_add_nc_u32 v135, 8, v135 :: v_dual_add_nc_u32 v136, 8, v136
	s_wait_loadcnt_dscnt 0x0
	v_pk_mul_f32 v[142:143], v[140:141], v[138:139] op_sel:[1,1] op_sel_hi:[0,1]
	s_delay_alu instid0(VALU_DEP_1) | instskip(SKIP_2) | instid1(VALU_DEP_3)
	v_pk_fma_f32 v[144:145], v[140:141], v[138:139], v[142:143] op_sel_hi:[1,0,1]
	v_add_nc_u32_e32 v137, 1, v137
	v_pk_fma_f32 v[138:139], v[140:141], v[138:139], v[142:143] neg_lo:[0,0,1] neg_hi:[0,0,1]
	v_mov_b32_e32 v139, v145
	s_delay_alu instid0(VALU_DEP_3) | instskip(NEXT) | instid1(VALU_DEP_2)
	v_cmp_lt_u32_e32 vcc_lo, 4, v137
	v_pk_add_f32 v[132:133], v[132:133], v[138:139]
	s_or_b32 s3, vcc_lo, s3
	s_delay_alu instid0(SALU_CYCLE_1)
	s_and_not1_b32 exec_lo, exec_lo, s3
	s_cbranch_execnz .LBB63_687
; %bb.688:
	s_or_b32 exec_lo, exec_lo, s3
.LBB63_689:
	s_delay_alu instid0(SALU_CYCLE_1) | instskip(SKIP_4) | instid1(VALU_DEP_1)
	s_or_b32 exec_lo, exec_lo, s2
	v_mov_b32_e32 v135, 0
	ds_load_b64 v[136:137], v135 offset:48
	s_wait_dscnt 0x0
	v_pk_mul_f32 v[138:139], v[132:133], v[136:137] op_sel:[1,1] op_sel_hi:[0,1]
	v_pk_fma_f32 v[140:141], v[132:133], v[136:137], v[138:139] op_sel_hi:[1,0,1]
	v_pk_fma_f32 v[132:133], v[132:133], v[136:137], v[138:139] neg_lo:[0,0,1] neg_hi:[0,0,1]
	s_delay_alu instid0(VALU_DEP_2)
	v_mov_b32_e32 v133, v141
	scratch_store_b64 off, v[132:133], off offset:48
.LBB63_690:
	s_wait_xcnt 0x0
	s_or_b32 exec_lo, exec_lo, s0
	scratch_load_b64 v[132:133], off, off offset:56
	s_mov_b32 s0, exec_lo
	s_wait_loadcnt 0x0
	ds_store_b64 v1, v[132:133]
	s_wait_storecnt_dscnt 0x0
	s_barrier_signal -1
	s_barrier_wait -1
	s_wait_xcnt 0x0
	v_cmpx_gt_u32_e32 7, v0
	s_cbranch_execz .LBB63_700
; %bb.691:
	v_cmp_ne_u32_e32 vcc_lo, 1, v134
	s_cbranch_vccnz .LBB63_693
; %bb.692:
	scratch_load_b64 v[132:133], v59, off
	ds_load_b64 v[136:137], v1
	s_wait_loadcnt_dscnt 0x0
	v_pk_mul_f32 v[138:139], v[136:137], v[132:133] op_sel:[1,1] op_sel_hi:[0,1]
	s_delay_alu instid0(VALU_DEP_1) | instskip(SKIP_1) | instid1(VALU_DEP_2)
	v_pk_fma_f32 v[140:141], v[136:137], v[132:133], v[138:139] op_sel_hi:[1,0,1]
	v_pk_fma_f32 v[132:133], v[136:137], v[132:133], v[138:139] neg_lo:[0,0,1] neg_hi:[0,0,1]
	v_mov_b32_e32 v133, v141
	s_cbranch_execz .LBB63_694
	s_branch .LBB63_695
.LBB63_693:
                                        ; implicit-def: $vgpr132_vgpr133
.LBB63_694:
	ds_load_b64 v[132:133], v1
.LBB63_695:
	s_mov_b32 s2, exec_lo
	v_cmpx_ne_u32_e32 6, v0
	s_cbranch_execz .LBB63_699
; %bb.696:
	v_add_nc_u32_e32 v135, 0x208, v58
	v_add3_u32 v136, 0, v58, 8
	v_mov_b32_e32 v137, v0
	s_mov_b32 s3, 0
.LBB63_697:                             ; =>This Inner Loop Header: Depth=1
	scratch_load_b64 v[138:139], v136, off
	ds_load_b64 v[140:141], v135
	s_wait_xcnt 0x0
	v_dual_add_nc_u32 v135, 8, v135 :: v_dual_add_nc_u32 v136, 8, v136
	s_wait_loadcnt_dscnt 0x0
	v_pk_mul_f32 v[142:143], v[140:141], v[138:139] op_sel:[1,1] op_sel_hi:[0,1]
	s_delay_alu instid0(VALU_DEP_1) | instskip(SKIP_2) | instid1(VALU_DEP_3)
	v_pk_fma_f32 v[144:145], v[140:141], v[138:139], v[142:143] op_sel_hi:[1,0,1]
	v_add_nc_u32_e32 v137, 1, v137
	v_pk_fma_f32 v[138:139], v[140:141], v[138:139], v[142:143] neg_lo:[0,0,1] neg_hi:[0,0,1]
	v_mov_b32_e32 v139, v145
	s_delay_alu instid0(VALU_DEP_3) | instskip(NEXT) | instid1(VALU_DEP_2)
	v_cmp_lt_u32_e32 vcc_lo, 5, v137
	v_pk_add_f32 v[132:133], v[132:133], v[138:139]
	s_or_b32 s3, vcc_lo, s3
	s_delay_alu instid0(SALU_CYCLE_1)
	s_and_not1_b32 exec_lo, exec_lo, s3
	s_cbranch_execnz .LBB63_697
; %bb.698:
	s_or_b32 exec_lo, exec_lo, s3
.LBB63_699:
	s_delay_alu instid0(SALU_CYCLE_1) | instskip(SKIP_4) | instid1(VALU_DEP_1)
	s_or_b32 exec_lo, exec_lo, s2
	v_mov_b32_e32 v135, 0
	ds_load_b64 v[136:137], v135 offset:56
	s_wait_dscnt 0x0
	v_pk_mul_f32 v[138:139], v[132:133], v[136:137] op_sel:[1,1] op_sel_hi:[0,1]
	v_pk_fma_f32 v[140:141], v[132:133], v[136:137], v[138:139] op_sel_hi:[1,0,1]
	v_pk_fma_f32 v[132:133], v[132:133], v[136:137], v[138:139] neg_lo:[0,0,1] neg_hi:[0,0,1]
	s_delay_alu instid0(VALU_DEP_2)
	v_mov_b32_e32 v133, v141
	scratch_store_b64 off, v[132:133], off offset:56
.LBB63_700:
	s_wait_xcnt 0x0
	s_or_b32 exec_lo, exec_lo, s0
	scratch_load_b64 v[132:133], off, off offset:64
	s_mov_b32 s0, exec_lo
	s_wait_loadcnt 0x0
	ds_store_b64 v1, v[132:133]
	s_wait_storecnt_dscnt 0x0
	s_barrier_signal -1
	s_barrier_wait -1
	s_wait_xcnt 0x0
	v_cmpx_gt_u32_e32 8, v0
	s_cbranch_execz .LBB63_710
; %bb.701:
	v_cmp_ne_u32_e32 vcc_lo, 1, v134
	s_cbranch_vccnz .LBB63_703
; %bb.702:
	scratch_load_b64 v[132:133], v59, off
	ds_load_b64 v[136:137], v1
	s_wait_loadcnt_dscnt 0x0
	v_pk_mul_f32 v[138:139], v[136:137], v[132:133] op_sel:[1,1] op_sel_hi:[0,1]
	s_delay_alu instid0(VALU_DEP_1) | instskip(SKIP_1) | instid1(VALU_DEP_2)
	v_pk_fma_f32 v[140:141], v[136:137], v[132:133], v[138:139] op_sel_hi:[1,0,1]
	v_pk_fma_f32 v[132:133], v[136:137], v[132:133], v[138:139] neg_lo:[0,0,1] neg_hi:[0,0,1]
	v_mov_b32_e32 v133, v141
	s_cbranch_execz .LBB63_704
	s_branch .LBB63_705
.LBB63_703:
                                        ; implicit-def: $vgpr132_vgpr133
.LBB63_704:
	ds_load_b64 v[132:133], v1
.LBB63_705:
	s_mov_b32 s2, exec_lo
	v_cmpx_ne_u32_e32 7, v0
	s_cbranch_execz .LBB63_709
; %bb.706:
	v_add_nc_u32_e32 v135, 0x208, v58
	v_add3_u32 v136, 0, v58, 8
	v_mov_b32_e32 v137, v0
	s_mov_b32 s3, 0
.LBB63_707:                             ; =>This Inner Loop Header: Depth=1
	scratch_load_b64 v[138:139], v136, off
	ds_load_b64 v[140:141], v135
	s_wait_xcnt 0x0
	v_dual_add_nc_u32 v135, 8, v135 :: v_dual_add_nc_u32 v136, 8, v136
	s_wait_loadcnt_dscnt 0x0
	v_pk_mul_f32 v[142:143], v[140:141], v[138:139] op_sel:[1,1] op_sel_hi:[0,1]
	s_delay_alu instid0(VALU_DEP_1) | instskip(SKIP_2) | instid1(VALU_DEP_3)
	v_pk_fma_f32 v[144:145], v[140:141], v[138:139], v[142:143] op_sel_hi:[1,0,1]
	v_add_nc_u32_e32 v137, 1, v137
	v_pk_fma_f32 v[138:139], v[140:141], v[138:139], v[142:143] neg_lo:[0,0,1] neg_hi:[0,0,1]
	v_mov_b32_e32 v139, v145
	s_delay_alu instid0(VALU_DEP_3) | instskip(NEXT) | instid1(VALU_DEP_2)
	v_cmp_lt_u32_e32 vcc_lo, 6, v137
	v_pk_add_f32 v[132:133], v[132:133], v[138:139]
	s_or_b32 s3, vcc_lo, s3
	s_delay_alu instid0(SALU_CYCLE_1)
	s_and_not1_b32 exec_lo, exec_lo, s3
	s_cbranch_execnz .LBB63_707
; %bb.708:
	s_or_b32 exec_lo, exec_lo, s3
.LBB63_709:
	s_delay_alu instid0(SALU_CYCLE_1) | instskip(SKIP_4) | instid1(VALU_DEP_1)
	s_or_b32 exec_lo, exec_lo, s2
	v_mov_b32_e32 v135, 0
	ds_load_b64 v[136:137], v135 offset:64
	s_wait_dscnt 0x0
	v_pk_mul_f32 v[138:139], v[132:133], v[136:137] op_sel:[1,1] op_sel_hi:[0,1]
	v_pk_fma_f32 v[140:141], v[132:133], v[136:137], v[138:139] op_sel_hi:[1,0,1]
	v_pk_fma_f32 v[132:133], v[132:133], v[136:137], v[138:139] neg_lo:[0,0,1] neg_hi:[0,0,1]
	s_delay_alu instid0(VALU_DEP_2)
	v_mov_b32_e32 v133, v141
	scratch_store_b64 off, v[132:133], off offset:64
.LBB63_710:
	s_wait_xcnt 0x0
	s_or_b32 exec_lo, exec_lo, s0
	scratch_load_b64 v[132:133], off, off offset:72
	s_mov_b32 s0, exec_lo
	s_wait_loadcnt 0x0
	ds_store_b64 v1, v[132:133]
	s_wait_storecnt_dscnt 0x0
	s_barrier_signal -1
	s_barrier_wait -1
	s_wait_xcnt 0x0
	v_cmpx_gt_u32_e32 9, v0
	s_cbranch_execz .LBB63_720
; %bb.711:
	v_cmp_ne_u32_e32 vcc_lo, 1, v134
	s_cbranch_vccnz .LBB63_713
; %bb.712:
	scratch_load_b64 v[132:133], v59, off
	ds_load_b64 v[136:137], v1
	s_wait_loadcnt_dscnt 0x0
	v_pk_mul_f32 v[138:139], v[136:137], v[132:133] op_sel:[1,1] op_sel_hi:[0,1]
	s_delay_alu instid0(VALU_DEP_1) | instskip(SKIP_1) | instid1(VALU_DEP_2)
	v_pk_fma_f32 v[140:141], v[136:137], v[132:133], v[138:139] op_sel_hi:[1,0,1]
	v_pk_fma_f32 v[132:133], v[136:137], v[132:133], v[138:139] neg_lo:[0,0,1] neg_hi:[0,0,1]
	v_mov_b32_e32 v133, v141
	s_cbranch_execz .LBB63_714
	s_branch .LBB63_715
.LBB63_713:
                                        ; implicit-def: $vgpr132_vgpr133
.LBB63_714:
	ds_load_b64 v[132:133], v1
.LBB63_715:
	s_mov_b32 s2, exec_lo
	v_cmpx_ne_u32_e32 8, v0
	s_cbranch_execz .LBB63_719
; %bb.716:
	v_add_nc_u32_e32 v135, 0x208, v58
	v_add3_u32 v136, 0, v58, 8
	v_mov_b32_e32 v137, v0
	s_mov_b32 s3, 0
.LBB63_717:                             ; =>This Inner Loop Header: Depth=1
	scratch_load_b64 v[138:139], v136, off
	ds_load_b64 v[140:141], v135
	s_wait_xcnt 0x0
	v_dual_add_nc_u32 v135, 8, v135 :: v_dual_add_nc_u32 v136, 8, v136
	s_wait_loadcnt_dscnt 0x0
	v_pk_mul_f32 v[142:143], v[140:141], v[138:139] op_sel:[1,1] op_sel_hi:[0,1]
	s_delay_alu instid0(VALU_DEP_1) | instskip(SKIP_2) | instid1(VALU_DEP_3)
	v_pk_fma_f32 v[144:145], v[140:141], v[138:139], v[142:143] op_sel_hi:[1,0,1]
	v_add_nc_u32_e32 v137, 1, v137
	v_pk_fma_f32 v[138:139], v[140:141], v[138:139], v[142:143] neg_lo:[0,0,1] neg_hi:[0,0,1]
	v_mov_b32_e32 v139, v145
	s_delay_alu instid0(VALU_DEP_3) | instskip(NEXT) | instid1(VALU_DEP_2)
	v_cmp_lt_u32_e32 vcc_lo, 7, v137
	v_pk_add_f32 v[132:133], v[132:133], v[138:139]
	s_or_b32 s3, vcc_lo, s3
	s_delay_alu instid0(SALU_CYCLE_1)
	s_and_not1_b32 exec_lo, exec_lo, s3
	s_cbranch_execnz .LBB63_717
; %bb.718:
	s_or_b32 exec_lo, exec_lo, s3
.LBB63_719:
	s_delay_alu instid0(SALU_CYCLE_1) | instskip(SKIP_4) | instid1(VALU_DEP_1)
	s_or_b32 exec_lo, exec_lo, s2
	v_mov_b32_e32 v135, 0
	ds_load_b64 v[136:137], v135 offset:72
	s_wait_dscnt 0x0
	v_pk_mul_f32 v[138:139], v[132:133], v[136:137] op_sel:[1,1] op_sel_hi:[0,1]
	v_pk_fma_f32 v[140:141], v[132:133], v[136:137], v[138:139] op_sel_hi:[1,0,1]
	v_pk_fma_f32 v[132:133], v[132:133], v[136:137], v[138:139] neg_lo:[0,0,1] neg_hi:[0,0,1]
	s_delay_alu instid0(VALU_DEP_2)
	v_mov_b32_e32 v133, v141
	scratch_store_b64 off, v[132:133], off offset:72
.LBB63_720:
	s_wait_xcnt 0x0
	s_or_b32 exec_lo, exec_lo, s0
	scratch_load_b64 v[132:133], off, off offset:80
	s_mov_b32 s0, exec_lo
	s_wait_loadcnt 0x0
	ds_store_b64 v1, v[132:133]
	s_wait_storecnt_dscnt 0x0
	s_barrier_signal -1
	s_barrier_wait -1
	s_wait_xcnt 0x0
	v_cmpx_gt_u32_e32 10, v0
	s_cbranch_execz .LBB63_730
; %bb.721:
	v_cmp_ne_u32_e32 vcc_lo, 1, v134
	s_cbranch_vccnz .LBB63_723
; %bb.722:
	scratch_load_b64 v[132:133], v59, off
	ds_load_b64 v[136:137], v1
	s_wait_loadcnt_dscnt 0x0
	v_pk_mul_f32 v[138:139], v[136:137], v[132:133] op_sel:[1,1] op_sel_hi:[0,1]
	s_delay_alu instid0(VALU_DEP_1) | instskip(SKIP_1) | instid1(VALU_DEP_2)
	v_pk_fma_f32 v[140:141], v[136:137], v[132:133], v[138:139] op_sel_hi:[1,0,1]
	v_pk_fma_f32 v[132:133], v[136:137], v[132:133], v[138:139] neg_lo:[0,0,1] neg_hi:[0,0,1]
	v_mov_b32_e32 v133, v141
	s_cbranch_execz .LBB63_724
	s_branch .LBB63_725
.LBB63_723:
                                        ; implicit-def: $vgpr132_vgpr133
.LBB63_724:
	ds_load_b64 v[132:133], v1
.LBB63_725:
	s_mov_b32 s2, exec_lo
	v_cmpx_ne_u32_e32 9, v0
	s_cbranch_execz .LBB63_729
; %bb.726:
	v_add_nc_u32_e32 v135, 0x208, v58
	v_add3_u32 v136, 0, v58, 8
	v_mov_b32_e32 v137, v0
	s_mov_b32 s3, 0
.LBB63_727:                             ; =>This Inner Loop Header: Depth=1
	scratch_load_b64 v[138:139], v136, off
	ds_load_b64 v[140:141], v135
	s_wait_xcnt 0x0
	v_dual_add_nc_u32 v135, 8, v135 :: v_dual_add_nc_u32 v136, 8, v136
	s_wait_loadcnt_dscnt 0x0
	v_pk_mul_f32 v[142:143], v[140:141], v[138:139] op_sel:[1,1] op_sel_hi:[0,1]
	s_delay_alu instid0(VALU_DEP_1) | instskip(SKIP_2) | instid1(VALU_DEP_3)
	v_pk_fma_f32 v[144:145], v[140:141], v[138:139], v[142:143] op_sel_hi:[1,0,1]
	v_add_nc_u32_e32 v137, 1, v137
	v_pk_fma_f32 v[138:139], v[140:141], v[138:139], v[142:143] neg_lo:[0,0,1] neg_hi:[0,0,1]
	v_mov_b32_e32 v139, v145
	s_delay_alu instid0(VALU_DEP_3) | instskip(NEXT) | instid1(VALU_DEP_2)
	v_cmp_lt_u32_e32 vcc_lo, 8, v137
	v_pk_add_f32 v[132:133], v[132:133], v[138:139]
	s_or_b32 s3, vcc_lo, s3
	s_delay_alu instid0(SALU_CYCLE_1)
	s_and_not1_b32 exec_lo, exec_lo, s3
	s_cbranch_execnz .LBB63_727
; %bb.728:
	s_or_b32 exec_lo, exec_lo, s3
.LBB63_729:
	s_delay_alu instid0(SALU_CYCLE_1) | instskip(SKIP_4) | instid1(VALU_DEP_1)
	s_or_b32 exec_lo, exec_lo, s2
	v_mov_b32_e32 v135, 0
	ds_load_b64 v[136:137], v135 offset:80
	s_wait_dscnt 0x0
	v_pk_mul_f32 v[138:139], v[132:133], v[136:137] op_sel:[1,1] op_sel_hi:[0,1]
	v_pk_fma_f32 v[140:141], v[132:133], v[136:137], v[138:139] op_sel_hi:[1,0,1]
	v_pk_fma_f32 v[132:133], v[132:133], v[136:137], v[138:139] neg_lo:[0,0,1] neg_hi:[0,0,1]
	s_delay_alu instid0(VALU_DEP_2)
	v_mov_b32_e32 v133, v141
	scratch_store_b64 off, v[132:133], off offset:80
.LBB63_730:
	s_wait_xcnt 0x0
	s_or_b32 exec_lo, exec_lo, s0
	scratch_load_b64 v[132:133], off, off offset:88
	s_mov_b32 s0, exec_lo
	s_wait_loadcnt 0x0
	ds_store_b64 v1, v[132:133]
	s_wait_storecnt_dscnt 0x0
	s_barrier_signal -1
	s_barrier_wait -1
	s_wait_xcnt 0x0
	v_cmpx_gt_u32_e32 11, v0
	s_cbranch_execz .LBB63_740
; %bb.731:
	v_cmp_ne_u32_e32 vcc_lo, 1, v134
	s_cbranch_vccnz .LBB63_733
; %bb.732:
	scratch_load_b64 v[132:133], v59, off
	ds_load_b64 v[136:137], v1
	s_wait_loadcnt_dscnt 0x0
	v_pk_mul_f32 v[138:139], v[136:137], v[132:133] op_sel:[1,1] op_sel_hi:[0,1]
	s_delay_alu instid0(VALU_DEP_1) | instskip(SKIP_1) | instid1(VALU_DEP_2)
	v_pk_fma_f32 v[140:141], v[136:137], v[132:133], v[138:139] op_sel_hi:[1,0,1]
	v_pk_fma_f32 v[132:133], v[136:137], v[132:133], v[138:139] neg_lo:[0,0,1] neg_hi:[0,0,1]
	v_mov_b32_e32 v133, v141
	s_cbranch_execz .LBB63_734
	s_branch .LBB63_735
.LBB63_733:
                                        ; implicit-def: $vgpr132_vgpr133
.LBB63_734:
	ds_load_b64 v[132:133], v1
.LBB63_735:
	s_mov_b32 s2, exec_lo
	v_cmpx_ne_u32_e32 10, v0
	s_cbranch_execz .LBB63_739
; %bb.736:
	v_add_nc_u32_e32 v135, 0x208, v58
	v_add3_u32 v136, 0, v58, 8
	v_mov_b32_e32 v137, v0
	s_mov_b32 s3, 0
.LBB63_737:                             ; =>This Inner Loop Header: Depth=1
	scratch_load_b64 v[138:139], v136, off
	ds_load_b64 v[140:141], v135
	s_wait_xcnt 0x0
	v_dual_add_nc_u32 v135, 8, v135 :: v_dual_add_nc_u32 v136, 8, v136
	s_wait_loadcnt_dscnt 0x0
	v_pk_mul_f32 v[142:143], v[140:141], v[138:139] op_sel:[1,1] op_sel_hi:[0,1]
	s_delay_alu instid0(VALU_DEP_1) | instskip(SKIP_2) | instid1(VALU_DEP_3)
	v_pk_fma_f32 v[144:145], v[140:141], v[138:139], v[142:143] op_sel_hi:[1,0,1]
	v_add_nc_u32_e32 v137, 1, v137
	v_pk_fma_f32 v[138:139], v[140:141], v[138:139], v[142:143] neg_lo:[0,0,1] neg_hi:[0,0,1]
	v_mov_b32_e32 v139, v145
	s_delay_alu instid0(VALU_DEP_3) | instskip(NEXT) | instid1(VALU_DEP_2)
	v_cmp_lt_u32_e32 vcc_lo, 9, v137
	v_pk_add_f32 v[132:133], v[132:133], v[138:139]
	s_or_b32 s3, vcc_lo, s3
	s_delay_alu instid0(SALU_CYCLE_1)
	s_and_not1_b32 exec_lo, exec_lo, s3
	s_cbranch_execnz .LBB63_737
; %bb.738:
	s_or_b32 exec_lo, exec_lo, s3
.LBB63_739:
	s_delay_alu instid0(SALU_CYCLE_1) | instskip(SKIP_4) | instid1(VALU_DEP_1)
	s_or_b32 exec_lo, exec_lo, s2
	v_mov_b32_e32 v135, 0
	ds_load_b64 v[136:137], v135 offset:88
	s_wait_dscnt 0x0
	v_pk_mul_f32 v[138:139], v[132:133], v[136:137] op_sel:[1,1] op_sel_hi:[0,1]
	v_pk_fma_f32 v[140:141], v[132:133], v[136:137], v[138:139] op_sel_hi:[1,0,1]
	v_pk_fma_f32 v[132:133], v[132:133], v[136:137], v[138:139] neg_lo:[0,0,1] neg_hi:[0,0,1]
	s_delay_alu instid0(VALU_DEP_2)
	v_mov_b32_e32 v133, v141
	scratch_store_b64 off, v[132:133], off offset:88
.LBB63_740:
	s_wait_xcnt 0x0
	s_or_b32 exec_lo, exec_lo, s0
	scratch_load_b64 v[132:133], off, off offset:96
	s_mov_b32 s0, exec_lo
	s_wait_loadcnt 0x0
	ds_store_b64 v1, v[132:133]
	s_wait_storecnt_dscnt 0x0
	s_barrier_signal -1
	s_barrier_wait -1
	s_wait_xcnt 0x0
	v_cmpx_gt_u32_e32 12, v0
	s_cbranch_execz .LBB63_750
; %bb.741:
	v_cmp_ne_u32_e32 vcc_lo, 1, v134
	s_cbranch_vccnz .LBB63_743
; %bb.742:
	scratch_load_b64 v[132:133], v59, off
	ds_load_b64 v[136:137], v1
	s_wait_loadcnt_dscnt 0x0
	v_pk_mul_f32 v[138:139], v[136:137], v[132:133] op_sel:[1,1] op_sel_hi:[0,1]
	s_delay_alu instid0(VALU_DEP_1) | instskip(SKIP_1) | instid1(VALU_DEP_2)
	v_pk_fma_f32 v[140:141], v[136:137], v[132:133], v[138:139] op_sel_hi:[1,0,1]
	v_pk_fma_f32 v[132:133], v[136:137], v[132:133], v[138:139] neg_lo:[0,0,1] neg_hi:[0,0,1]
	v_mov_b32_e32 v133, v141
	s_cbranch_execz .LBB63_744
	s_branch .LBB63_745
.LBB63_743:
                                        ; implicit-def: $vgpr132_vgpr133
.LBB63_744:
	ds_load_b64 v[132:133], v1
.LBB63_745:
	s_mov_b32 s2, exec_lo
	v_cmpx_ne_u32_e32 11, v0
	s_cbranch_execz .LBB63_749
; %bb.746:
	v_add_nc_u32_e32 v135, 0x208, v58
	v_add3_u32 v136, 0, v58, 8
	v_mov_b32_e32 v137, v0
	s_mov_b32 s3, 0
.LBB63_747:                             ; =>This Inner Loop Header: Depth=1
	scratch_load_b64 v[138:139], v136, off
	ds_load_b64 v[140:141], v135
	s_wait_xcnt 0x0
	v_dual_add_nc_u32 v135, 8, v135 :: v_dual_add_nc_u32 v136, 8, v136
	s_wait_loadcnt_dscnt 0x0
	v_pk_mul_f32 v[142:143], v[140:141], v[138:139] op_sel:[1,1] op_sel_hi:[0,1]
	s_delay_alu instid0(VALU_DEP_1) | instskip(SKIP_2) | instid1(VALU_DEP_3)
	v_pk_fma_f32 v[144:145], v[140:141], v[138:139], v[142:143] op_sel_hi:[1,0,1]
	v_add_nc_u32_e32 v137, 1, v137
	v_pk_fma_f32 v[138:139], v[140:141], v[138:139], v[142:143] neg_lo:[0,0,1] neg_hi:[0,0,1]
	v_mov_b32_e32 v139, v145
	s_delay_alu instid0(VALU_DEP_3) | instskip(NEXT) | instid1(VALU_DEP_2)
	v_cmp_lt_u32_e32 vcc_lo, 10, v137
	v_pk_add_f32 v[132:133], v[132:133], v[138:139]
	s_or_b32 s3, vcc_lo, s3
	s_delay_alu instid0(SALU_CYCLE_1)
	s_and_not1_b32 exec_lo, exec_lo, s3
	s_cbranch_execnz .LBB63_747
; %bb.748:
	s_or_b32 exec_lo, exec_lo, s3
.LBB63_749:
	s_delay_alu instid0(SALU_CYCLE_1) | instskip(SKIP_4) | instid1(VALU_DEP_1)
	s_or_b32 exec_lo, exec_lo, s2
	v_mov_b32_e32 v135, 0
	ds_load_b64 v[136:137], v135 offset:96
	s_wait_dscnt 0x0
	v_pk_mul_f32 v[138:139], v[132:133], v[136:137] op_sel:[1,1] op_sel_hi:[0,1]
	v_pk_fma_f32 v[140:141], v[132:133], v[136:137], v[138:139] op_sel_hi:[1,0,1]
	v_pk_fma_f32 v[132:133], v[132:133], v[136:137], v[138:139] neg_lo:[0,0,1] neg_hi:[0,0,1]
	s_delay_alu instid0(VALU_DEP_2)
	v_mov_b32_e32 v133, v141
	scratch_store_b64 off, v[132:133], off offset:96
.LBB63_750:
	s_wait_xcnt 0x0
	s_or_b32 exec_lo, exec_lo, s0
	scratch_load_b64 v[132:133], off, off offset:104
	s_mov_b32 s0, exec_lo
	s_wait_loadcnt 0x0
	ds_store_b64 v1, v[132:133]
	s_wait_storecnt_dscnt 0x0
	s_barrier_signal -1
	s_barrier_wait -1
	s_wait_xcnt 0x0
	v_cmpx_gt_u32_e32 13, v0
	s_cbranch_execz .LBB63_760
; %bb.751:
	v_cmp_ne_u32_e32 vcc_lo, 1, v134
	s_cbranch_vccnz .LBB63_753
; %bb.752:
	scratch_load_b64 v[132:133], v59, off
	ds_load_b64 v[136:137], v1
	s_wait_loadcnt_dscnt 0x0
	v_pk_mul_f32 v[138:139], v[136:137], v[132:133] op_sel:[1,1] op_sel_hi:[0,1]
	s_delay_alu instid0(VALU_DEP_1) | instskip(SKIP_1) | instid1(VALU_DEP_2)
	v_pk_fma_f32 v[140:141], v[136:137], v[132:133], v[138:139] op_sel_hi:[1,0,1]
	v_pk_fma_f32 v[132:133], v[136:137], v[132:133], v[138:139] neg_lo:[0,0,1] neg_hi:[0,0,1]
	v_mov_b32_e32 v133, v141
	s_cbranch_execz .LBB63_754
	s_branch .LBB63_755
.LBB63_753:
                                        ; implicit-def: $vgpr132_vgpr133
.LBB63_754:
	ds_load_b64 v[132:133], v1
.LBB63_755:
	s_mov_b32 s2, exec_lo
	v_cmpx_ne_u32_e32 12, v0
	s_cbranch_execz .LBB63_759
; %bb.756:
	v_add_nc_u32_e32 v135, 0x208, v58
	v_add3_u32 v136, 0, v58, 8
	v_mov_b32_e32 v137, v0
	s_mov_b32 s3, 0
.LBB63_757:                             ; =>This Inner Loop Header: Depth=1
	scratch_load_b64 v[138:139], v136, off
	ds_load_b64 v[140:141], v135
	s_wait_xcnt 0x0
	v_dual_add_nc_u32 v135, 8, v135 :: v_dual_add_nc_u32 v136, 8, v136
	s_wait_loadcnt_dscnt 0x0
	v_pk_mul_f32 v[142:143], v[140:141], v[138:139] op_sel:[1,1] op_sel_hi:[0,1]
	s_delay_alu instid0(VALU_DEP_1) | instskip(SKIP_2) | instid1(VALU_DEP_3)
	v_pk_fma_f32 v[144:145], v[140:141], v[138:139], v[142:143] op_sel_hi:[1,0,1]
	v_add_nc_u32_e32 v137, 1, v137
	v_pk_fma_f32 v[138:139], v[140:141], v[138:139], v[142:143] neg_lo:[0,0,1] neg_hi:[0,0,1]
	v_mov_b32_e32 v139, v145
	s_delay_alu instid0(VALU_DEP_3) | instskip(NEXT) | instid1(VALU_DEP_2)
	v_cmp_lt_u32_e32 vcc_lo, 11, v137
	v_pk_add_f32 v[132:133], v[132:133], v[138:139]
	s_or_b32 s3, vcc_lo, s3
	s_delay_alu instid0(SALU_CYCLE_1)
	s_and_not1_b32 exec_lo, exec_lo, s3
	s_cbranch_execnz .LBB63_757
; %bb.758:
	s_or_b32 exec_lo, exec_lo, s3
.LBB63_759:
	s_delay_alu instid0(SALU_CYCLE_1) | instskip(SKIP_4) | instid1(VALU_DEP_1)
	s_or_b32 exec_lo, exec_lo, s2
	v_mov_b32_e32 v135, 0
	ds_load_b64 v[136:137], v135 offset:104
	s_wait_dscnt 0x0
	v_pk_mul_f32 v[138:139], v[132:133], v[136:137] op_sel:[1,1] op_sel_hi:[0,1]
	v_pk_fma_f32 v[140:141], v[132:133], v[136:137], v[138:139] op_sel_hi:[1,0,1]
	v_pk_fma_f32 v[132:133], v[132:133], v[136:137], v[138:139] neg_lo:[0,0,1] neg_hi:[0,0,1]
	s_delay_alu instid0(VALU_DEP_2)
	v_mov_b32_e32 v133, v141
	scratch_store_b64 off, v[132:133], off offset:104
.LBB63_760:
	s_wait_xcnt 0x0
	s_or_b32 exec_lo, exec_lo, s0
	scratch_load_b64 v[132:133], off, off offset:112
	s_mov_b32 s0, exec_lo
	s_wait_loadcnt 0x0
	ds_store_b64 v1, v[132:133]
	s_wait_storecnt_dscnt 0x0
	s_barrier_signal -1
	s_barrier_wait -1
	s_wait_xcnt 0x0
	v_cmpx_gt_u32_e32 14, v0
	s_cbranch_execz .LBB63_770
; %bb.761:
	v_cmp_ne_u32_e32 vcc_lo, 1, v134
	s_cbranch_vccnz .LBB63_763
; %bb.762:
	scratch_load_b64 v[132:133], v59, off
	ds_load_b64 v[136:137], v1
	s_wait_loadcnt_dscnt 0x0
	v_pk_mul_f32 v[138:139], v[136:137], v[132:133] op_sel:[1,1] op_sel_hi:[0,1]
	s_delay_alu instid0(VALU_DEP_1) | instskip(SKIP_1) | instid1(VALU_DEP_2)
	v_pk_fma_f32 v[140:141], v[136:137], v[132:133], v[138:139] op_sel_hi:[1,0,1]
	v_pk_fma_f32 v[132:133], v[136:137], v[132:133], v[138:139] neg_lo:[0,0,1] neg_hi:[0,0,1]
	v_mov_b32_e32 v133, v141
	s_cbranch_execz .LBB63_764
	s_branch .LBB63_765
.LBB63_763:
                                        ; implicit-def: $vgpr132_vgpr133
.LBB63_764:
	ds_load_b64 v[132:133], v1
.LBB63_765:
	s_mov_b32 s2, exec_lo
	v_cmpx_ne_u32_e32 13, v0
	s_cbranch_execz .LBB63_769
; %bb.766:
	v_add_nc_u32_e32 v135, 0x208, v58
	v_add3_u32 v136, 0, v58, 8
	v_mov_b32_e32 v137, v0
	s_mov_b32 s3, 0
.LBB63_767:                             ; =>This Inner Loop Header: Depth=1
	scratch_load_b64 v[138:139], v136, off
	ds_load_b64 v[140:141], v135
	s_wait_xcnt 0x0
	v_dual_add_nc_u32 v135, 8, v135 :: v_dual_add_nc_u32 v136, 8, v136
	s_wait_loadcnt_dscnt 0x0
	v_pk_mul_f32 v[142:143], v[140:141], v[138:139] op_sel:[1,1] op_sel_hi:[0,1]
	s_delay_alu instid0(VALU_DEP_1) | instskip(SKIP_2) | instid1(VALU_DEP_3)
	v_pk_fma_f32 v[144:145], v[140:141], v[138:139], v[142:143] op_sel_hi:[1,0,1]
	v_add_nc_u32_e32 v137, 1, v137
	v_pk_fma_f32 v[138:139], v[140:141], v[138:139], v[142:143] neg_lo:[0,0,1] neg_hi:[0,0,1]
	v_mov_b32_e32 v139, v145
	s_delay_alu instid0(VALU_DEP_3) | instskip(NEXT) | instid1(VALU_DEP_2)
	v_cmp_lt_u32_e32 vcc_lo, 12, v137
	v_pk_add_f32 v[132:133], v[132:133], v[138:139]
	s_or_b32 s3, vcc_lo, s3
	s_delay_alu instid0(SALU_CYCLE_1)
	s_and_not1_b32 exec_lo, exec_lo, s3
	s_cbranch_execnz .LBB63_767
; %bb.768:
	s_or_b32 exec_lo, exec_lo, s3
.LBB63_769:
	s_delay_alu instid0(SALU_CYCLE_1) | instskip(SKIP_4) | instid1(VALU_DEP_1)
	s_or_b32 exec_lo, exec_lo, s2
	v_mov_b32_e32 v135, 0
	ds_load_b64 v[136:137], v135 offset:112
	s_wait_dscnt 0x0
	v_pk_mul_f32 v[138:139], v[132:133], v[136:137] op_sel:[1,1] op_sel_hi:[0,1]
	v_pk_fma_f32 v[140:141], v[132:133], v[136:137], v[138:139] op_sel_hi:[1,0,1]
	v_pk_fma_f32 v[132:133], v[132:133], v[136:137], v[138:139] neg_lo:[0,0,1] neg_hi:[0,0,1]
	s_delay_alu instid0(VALU_DEP_2)
	v_mov_b32_e32 v133, v141
	scratch_store_b64 off, v[132:133], off offset:112
.LBB63_770:
	s_wait_xcnt 0x0
	s_or_b32 exec_lo, exec_lo, s0
	scratch_load_b64 v[132:133], off, off offset:120
	s_mov_b32 s0, exec_lo
	s_wait_loadcnt 0x0
	ds_store_b64 v1, v[132:133]
	s_wait_storecnt_dscnt 0x0
	s_barrier_signal -1
	s_barrier_wait -1
	s_wait_xcnt 0x0
	v_cmpx_gt_u32_e32 15, v0
	s_cbranch_execz .LBB63_780
; %bb.771:
	v_cmp_ne_u32_e32 vcc_lo, 1, v134
	s_cbranch_vccnz .LBB63_773
; %bb.772:
	scratch_load_b64 v[132:133], v59, off
	ds_load_b64 v[136:137], v1
	s_wait_loadcnt_dscnt 0x0
	v_pk_mul_f32 v[138:139], v[136:137], v[132:133] op_sel:[1,1] op_sel_hi:[0,1]
	s_delay_alu instid0(VALU_DEP_1) | instskip(SKIP_1) | instid1(VALU_DEP_2)
	v_pk_fma_f32 v[140:141], v[136:137], v[132:133], v[138:139] op_sel_hi:[1,0,1]
	v_pk_fma_f32 v[132:133], v[136:137], v[132:133], v[138:139] neg_lo:[0,0,1] neg_hi:[0,0,1]
	v_mov_b32_e32 v133, v141
	s_cbranch_execz .LBB63_774
	s_branch .LBB63_775
.LBB63_773:
                                        ; implicit-def: $vgpr132_vgpr133
.LBB63_774:
	ds_load_b64 v[132:133], v1
.LBB63_775:
	s_mov_b32 s2, exec_lo
	v_cmpx_ne_u32_e32 14, v0
	s_cbranch_execz .LBB63_779
; %bb.776:
	v_add_nc_u32_e32 v135, 0x208, v58
	v_add3_u32 v136, 0, v58, 8
	v_mov_b32_e32 v137, v0
	s_mov_b32 s3, 0
.LBB63_777:                             ; =>This Inner Loop Header: Depth=1
	scratch_load_b64 v[138:139], v136, off
	ds_load_b64 v[140:141], v135
	s_wait_xcnt 0x0
	v_dual_add_nc_u32 v135, 8, v135 :: v_dual_add_nc_u32 v136, 8, v136
	s_wait_loadcnt_dscnt 0x0
	v_pk_mul_f32 v[142:143], v[140:141], v[138:139] op_sel:[1,1] op_sel_hi:[0,1]
	s_delay_alu instid0(VALU_DEP_1) | instskip(SKIP_2) | instid1(VALU_DEP_3)
	v_pk_fma_f32 v[144:145], v[140:141], v[138:139], v[142:143] op_sel_hi:[1,0,1]
	v_add_nc_u32_e32 v137, 1, v137
	v_pk_fma_f32 v[138:139], v[140:141], v[138:139], v[142:143] neg_lo:[0,0,1] neg_hi:[0,0,1]
	v_mov_b32_e32 v139, v145
	s_delay_alu instid0(VALU_DEP_3) | instskip(NEXT) | instid1(VALU_DEP_2)
	v_cmp_lt_u32_e32 vcc_lo, 13, v137
	v_pk_add_f32 v[132:133], v[132:133], v[138:139]
	s_or_b32 s3, vcc_lo, s3
	s_delay_alu instid0(SALU_CYCLE_1)
	s_and_not1_b32 exec_lo, exec_lo, s3
	s_cbranch_execnz .LBB63_777
; %bb.778:
	s_or_b32 exec_lo, exec_lo, s3
.LBB63_779:
	s_delay_alu instid0(SALU_CYCLE_1) | instskip(SKIP_4) | instid1(VALU_DEP_1)
	s_or_b32 exec_lo, exec_lo, s2
	v_mov_b32_e32 v135, 0
	ds_load_b64 v[136:137], v135 offset:120
	s_wait_dscnt 0x0
	v_pk_mul_f32 v[138:139], v[132:133], v[136:137] op_sel:[1,1] op_sel_hi:[0,1]
	v_pk_fma_f32 v[140:141], v[132:133], v[136:137], v[138:139] op_sel_hi:[1,0,1]
	v_pk_fma_f32 v[132:133], v[132:133], v[136:137], v[138:139] neg_lo:[0,0,1] neg_hi:[0,0,1]
	s_delay_alu instid0(VALU_DEP_2)
	v_mov_b32_e32 v133, v141
	scratch_store_b64 off, v[132:133], off offset:120
.LBB63_780:
	s_wait_xcnt 0x0
	s_or_b32 exec_lo, exec_lo, s0
	scratch_load_b64 v[132:133], off, off offset:128
	s_mov_b32 s0, exec_lo
	s_wait_loadcnt 0x0
	ds_store_b64 v1, v[132:133]
	s_wait_storecnt_dscnt 0x0
	s_barrier_signal -1
	s_barrier_wait -1
	s_wait_xcnt 0x0
	v_cmpx_gt_u32_e32 16, v0
	s_cbranch_execz .LBB63_790
; %bb.781:
	v_cmp_ne_u32_e32 vcc_lo, 1, v134
	s_cbranch_vccnz .LBB63_783
; %bb.782:
	scratch_load_b64 v[132:133], v59, off
	ds_load_b64 v[136:137], v1
	s_wait_loadcnt_dscnt 0x0
	v_pk_mul_f32 v[138:139], v[136:137], v[132:133] op_sel:[1,1] op_sel_hi:[0,1]
	s_delay_alu instid0(VALU_DEP_1) | instskip(SKIP_1) | instid1(VALU_DEP_2)
	v_pk_fma_f32 v[140:141], v[136:137], v[132:133], v[138:139] op_sel_hi:[1,0,1]
	v_pk_fma_f32 v[132:133], v[136:137], v[132:133], v[138:139] neg_lo:[0,0,1] neg_hi:[0,0,1]
	v_mov_b32_e32 v133, v141
	s_cbranch_execz .LBB63_784
	s_branch .LBB63_785
.LBB63_783:
                                        ; implicit-def: $vgpr132_vgpr133
.LBB63_784:
	ds_load_b64 v[132:133], v1
.LBB63_785:
	s_mov_b32 s2, exec_lo
	v_cmpx_ne_u32_e32 15, v0
	s_cbranch_execz .LBB63_789
; %bb.786:
	v_add_nc_u32_e32 v135, 0x208, v58
	v_add3_u32 v136, 0, v58, 8
	v_mov_b32_e32 v137, v0
	s_mov_b32 s3, 0
.LBB63_787:                             ; =>This Inner Loop Header: Depth=1
	scratch_load_b64 v[138:139], v136, off
	ds_load_b64 v[140:141], v135
	s_wait_xcnt 0x0
	v_dual_add_nc_u32 v135, 8, v135 :: v_dual_add_nc_u32 v136, 8, v136
	s_wait_loadcnt_dscnt 0x0
	v_pk_mul_f32 v[142:143], v[140:141], v[138:139] op_sel:[1,1] op_sel_hi:[0,1]
	s_delay_alu instid0(VALU_DEP_1) | instskip(SKIP_2) | instid1(VALU_DEP_3)
	v_pk_fma_f32 v[144:145], v[140:141], v[138:139], v[142:143] op_sel_hi:[1,0,1]
	v_add_nc_u32_e32 v137, 1, v137
	v_pk_fma_f32 v[138:139], v[140:141], v[138:139], v[142:143] neg_lo:[0,0,1] neg_hi:[0,0,1]
	v_mov_b32_e32 v139, v145
	s_delay_alu instid0(VALU_DEP_3) | instskip(NEXT) | instid1(VALU_DEP_2)
	v_cmp_lt_u32_e32 vcc_lo, 14, v137
	v_pk_add_f32 v[132:133], v[132:133], v[138:139]
	s_or_b32 s3, vcc_lo, s3
	s_delay_alu instid0(SALU_CYCLE_1)
	s_and_not1_b32 exec_lo, exec_lo, s3
	s_cbranch_execnz .LBB63_787
; %bb.788:
	s_or_b32 exec_lo, exec_lo, s3
.LBB63_789:
	s_delay_alu instid0(SALU_CYCLE_1) | instskip(SKIP_4) | instid1(VALU_DEP_1)
	s_or_b32 exec_lo, exec_lo, s2
	v_mov_b32_e32 v135, 0
	ds_load_b64 v[136:137], v135 offset:128
	s_wait_dscnt 0x0
	v_pk_mul_f32 v[138:139], v[132:133], v[136:137] op_sel:[1,1] op_sel_hi:[0,1]
	v_pk_fma_f32 v[140:141], v[132:133], v[136:137], v[138:139] op_sel_hi:[1,0,1]
	v_pk_fma_f32 v[132:133], v[132:133], v[136:137], v[138:139] neg_lo:[0,0,1] neg_hi:[0,0,1]
	s_delay_alu instid0(VALU_DEP_2)
	v_mov_b32_e32 v133, v141
	scratch_store_b64 off, v[132:133], off offset:128
.LBB63_790:
	s_wait_xcnt 0x0
	s_or_b32 exec_lo, exec_lo, s0
	scratch_load_b64 v[132:133], off, off offset:136
	s_mov_b32 s0, exec_lo
	s_wait_loadcnt 0x0
	ds_store_b64 v1, v[132:133]
	s_wait_storecnt_dscnt 0x0
	s_barrier_signal -1
	s_barrier_wait -1
	s_wait_xcnt 0x0
	v_cmpx_gt_u32_e32 17, v0
	s_cbranch_execz .LBB63_800
; %bb.791:
	v_cmp_ne_u32_e32 vcc_lo, 1, v134
	s_cbranch_vccnz .LBB63_793
; %bb.792:
	scratch_load_b64 v[132:133], v59, off
	ds_load_b64 v[136:137], v1
	s_wait_loadcnt_dscnt 0x0
	v_pk_mul_f32 v[138:139], v[136:137], v[132:133] op_sel:[1,1] op_sel_hi:[0,1]
	s_delay_alu instid0(VALU_DEP_1) | instskip(SKIP_1) | instid1(VALU_DEP_2)
	v_pk_fma_f32 v[140:141], v[136:137], v[132:133], v[138:139] op_sel_hi:[1,0,1]
	v_pk_fma_f32 v[132:133], v[136:137], v[132:133], v[138:139] neg_lo:[0,0,1] neg_hi:[0,0,1]
	v_mov_b32_e32 v133, v141
	s_cbranch_execz .LBB63_794
	s_branch .LBB63_795
.LBB63_793:
                                        ; implicit-def: $vgpr132_vgpr133
.LBB63_794:
	ds_load_b64 v[132:133], v1
.LBB63_795:
	s_mov_b32 s2, exec_lo
	v_cmpx_ne_u32_e32 16, v0
	s_cbranch_execz .LBB63_799
; %bb.796:
	v_add_nc_u32_e32 v135, 0x208, v58
	v_add3_u32 v136, 0, v58, 8
	v_mov_b32_e32 v137, v0
	s_mov_b32 s3, 0
.LBB63_797:                             ; =>This Inner Loop Header: Depth=1
	scratch_load_b64 v[138:139], v136, off
	ds_load_b64 v[140:141], v135
	s_wait_xcnt 0x0
	v_dual_add_nc_u32 v135, 8, v135 :: v_dual_add_nc_u32 v136, 8, v136
	s_wait_loadcnt_dscnt 0x0
	v_pk_mul_f32 v[142:143], v[140:141], v[138:139] op_sel:[1,1] op_sel_hi:[0,1]
	s_delay_alu instid0(VALU_DEP_1) | instskip(SKIP_2) | instid1(VALU_DEP_3)
	v_pk_fma_f32 v[144:145], v[140:141], v[138:139], v[142:143] op_sel_hi:[1,0,1]
	v_add_nc_u32_e32 v137, 1, v137
	v_pk_fma_f32 v[138:139], v[140:141], v[138:139], v[142:143] neg_lo:[0,0,1] neg_hi:[0,0,1]
	v_mov_b32_e32 v139, v145
	s_delay_alu instid0(VALU_DEP_3) | instskip(NEXT) | instid1(VALU_DEP_2)
	v_cmp_lt_u32_e32 vcc_lo, 15, v137
	v_pk_add_f32 v[132:133], v[132:133], v[138:139]
	s_or_b32 s3, vcc_lo, s3
	s_delay_alu instid0(SALU_CYCLE_1)
	s_and_not1_b32 exec_lo, exec_lo, s3
	s_cbranch_execnz .LBB63_797
; %bb.798:
	s_or_b32 exec_lo, exec_lo, s3
.LBB63_799:
	s_delay_alu instid0(SALU_CYCLE_1) | instskip(SKIP_4) | instid1(VALU_DEP_1)
	s_or_b32 exec_lo, exec_lo, s2
	v_mov_b32_e32 v135, 0
	ds_load_b64 v[136:137], v135 offset:136
	s_wait_dscnt 0x0
	v_pk_mul_f32 v[138:139], v[132:133], v[136:137] op_sel:[1,1] op_sel_hi:[0,1]
	v_pk_fma_f32 v[140:141], v[132:133], v[136:137], v[138:139] op_sel_hi:[1,0,1]
	v_pk_fma_f32 v[132:133], v[132:133], v[136:137], v[138:139] neg_lo:[0,0,1] neg_hi:[0,0,1]
	s_delay_alu instid0(VALU_DEP_2)
	v_mov_b32_e32 v133, v141
	scratch_store_b64 off, v[132:133], off offset:136
.LBB63_800:
	s_wait_xcnt 0x0
	s_or_b32 exec_lo, exec_lo, s0
	scratch_load_b64 v[132:133], off, off offset:144
	s_mov_b32 s0, exec_lo
	s_wait_loadcnt 0x0
	ds_store_b64 v1, v[132:133]
	s_wait_storecnt_dscnt 0x0
	s_barrier_signal -1
	s_barrier_wait -1
	s_wait_xcnt 0x0
	v_cmpx_gt_u32_e32 18, v0
	s_cbranch_execz .LBB63_810
; %bb.801:
	v_cmp_ne_u32_e32 vcc_lo, 1, v134
	s_cbranch_vccnz .LBB63_803
; %bb.802:
	scratch_load_b64 v[132:133], v59, off
	ds_load_b64 v[136:137], v1
	s_wait_loadcnt_dscnt 0x0
	v_pk_mul_f32 v[138:139], v[136:137], v[132:133] op_sel:[1,1] op_sel_hi:[0,1]
	s_delay_alu instid0(VALU_DEP_1) | instskip(SKIP_1) | instid1(VALU_DEP_2)
	v_pk_fma_f32 v[140:141], v[136:137], v[132:133], v[138:139] op_sel_hi:[1,0,1]
	v_pk_fma_f32 v[132:133], v[136:137], v[132:133], v[138:139] neg_lo:[0,0,1] neg_hi:[0,0,1]
	v_mov_b32_e32 v133, v141
	s_cbranch_execz .LBB63_804
	s_branch .LBB63_805
.LBB63_803:
                                        ; implicit-def: $vgpr132_vgpr133
.LBB63_804:
	ds_load_b64 v[132:133], v1
.LBB63_805:
	s_mov_b32 s2, exec_lo
	v_cmpx_ne_u32_e32 17, v0
	s_cbranch_execz .LBB63_809
; %bb.806:
	v_add_nc_u32_e32 v135, 0x208, v58
	v_add3_u32 v136, 0, v58, 8
	v_mov_b32_e32 v137, v0
	s_mov_b32 s3, 0
.LBB63_807:                             ; =>This Inner Loop Header: Depth=1
	scratch_load_b64 v[138:139], v136, off
	ds_load_b64 v[140:141], v135
	s_wait_xcnt 0x0
	v_dual_add_nc_u32 v135, 8, v135 :: v_dual_add_nc_u32 v136, 8, v136
	s_wait_loadcnt_dscnt 0x0
	v_pk_mul_f32 v[142:143], v[140:141], v[138:139] op_sel:[1,1] op_sel_hi:[0,1]
	s_delay_alu instid0(VALU_DEP_1) | instskip(SKIP_2) | instid1(VALU_DEP_3)
	v_pk_fma_f32 v[144:145], v[140:141], v[138:139], v[142:143] op_sel_hi:[1,0,1]
	v_add_nc_u32_e32 v137, 1, v137
	v_pk_fma_f32 v[138:139], v[140:141], v[138:139], v[142:143] neg_lo:[0,0,1] neg_hi:[0,0,1]
	v_mov_b32_e32 v139, v145
	s_delay_alu instid0(VALU_DEP_3) | instskip(NEXT) | instid1(VALU_DEP_2)
	v_cmp_lt_u32_e32 vcc_lo, 16, v137
	v_pk_add_f32 v[132:133], v[132:133], v[138:139]
	s_or_b32 s3, vcc_lo, s3
	s_delay_alu instid0(SALU_CYCLE_1)
	s_and_not1_b32 exec_lo, exec_lo, s3
	s_cbranch_execnz .LBB63_807
; %bb.808:
	s_or_b32 exec_lo, exec_lo, s3
.LBB63_809:
	s_delay_alu instid0(SALU_CYCLE_1) | instskip(SKIP_4) | instid1(VALU_DEP_1)
	s_or_b32 exec_lo, exec_lo, s2
	v_mov_b32_e32 v135, 0
	ds_load_b64 v[136:137], v135 offset:144
	s_wait_dscnt 0x0
	v_pk_mul_f32 v[138:139], v[132:133], v[136:137] op_sel:[1,1] op_sel_hi:[0,1]
	v_pk_fma_f32 v[140:141], v[132:133], v[136:137], v[138:139] op_sel_hi:[1,0,1]
	v_pk_fma_f32 v[132:133], v[132:133], v[136:137], v[138:139] neg_lo:[0,0,1] neg_hi:[0,0,1]
	s_delay_alu instid0(VALU_DEP_2)
	v_mov_b32_e32 v133, v141
	scratch_store_b64 off, v[132:133], off offset:144
.LBB63_810:
	s_wait_xcnt 0x0
	s_or_b32 exec_lo, exec_lo, s0
	scratch_load_b64 v[132:133], off, off offset:152
	s_mov_b32 s0, exec_lo
	s_wait_loadcnt 0x0
	ds_store_b64 v1, v[132:133]
	s_wait_storecnt_dscnt 0x0
	s_barrier_signal -1
	s_barrier_wait -1
	s_wait_xcnt 0x0
	v_cmpx_gt_u32_e32 19, v0
	s_cbranch_execz .LBB63_820
; %bb.811:
	v_cmp_ne_u32_e32 vcc_lo, 1, v134
	s_cbranch_vccnz .LBB63_813
; %bb.812:
	scratch_load_b64 v[132:133], v59, off
	ds_load_b64 v[136:137], v1
	s_wait_loadcnt_dscnt 0x0
	v_pk_mul_f32 v[138:139], v[136:137], v[132:133] op_sel:[1,1] op_sel_hi:[0,1]
	s_delay_alu instid0(VALU_DEP_1) | instskip(SKIP_1) | instid1(VALU_DEP_2)
	v_pk_fma_f32 v[140:141], v[136:137], v[132:133], v[138:139] op_sel_hi:[1,0,1]
	v_pk_fma_f32 v[132:133], v[136:137], v[132:133], v[138:139] neg_lo:[0,0,1] neg_hi:[0,0,1]
	v_mov_b32_e32 v133, v141
	s_cbranch_execz .LBB63_814
	s_branch .LBB63_815
.LBB63_813:
                                        ; implicit-def: $vgpr132_vgpr133
.LBB63_814:
	ds_load_b64 v[132:133], v1
.LBB63_815:
	s_mov_b32 s2, exec_lo
	v_cmpx_ne_u32_e32 18, v0
	s_cbranch_execz .LBB63_819
; %bb.816:
	v_add_nc_u32_e32 v135, 0x208, v58
	v_add3_u32 v136, 0, v58, 8
	v_mov_b32_e32 v137, v0
	s_mov_b32 s3, 0
.LBB63_817:                             ; =>This Inner Loop Header: Depth=1
	scratch_load_b64 v[138:139], v136, off
	ds_load_b64 v[140:141], v135
	s_wait_xcnt 0x0
	v_dual_add_nc_u32 v135, 8, v135 :: v_dual_add_nc_u32 v136, 8, v136
	s_wait_loadcnt_dscnt 0x0
	v_pk_mul_f32 v[142:143], v[140:141], v[138:139] op_sel:[1,1] op_sel_hi:[0,1]
	s_delay_alu instid0(VALU_DEP_1) | instskip(SKIP_2) | instid1(VALU_DEP_3)
	v_pk_fma_f32 v[144:145], v[140:141], v[138:139], v[142:143] op_sel_hi:[1,0,1]
	v_add_nc_u32_e32 v137, 1, v137
	v_pk_fma_f32 v[138:139], v[140:141], v[138:139], v[142:143] neg_lo:[0,0,1] neg_hi:[0,0,1]
	v_mov_b32_e32 v139, v145
	s_delay_alu instid0(VALU_DEP_3) | instskip(NEXT) | instid1(VALU_DEP_2)
	v_cmp_lt_u32_e32 vcc_lo, 17, v137
	v_pk_add_f32 v[132:133], v[132:133], v[138:139]
	s_or_b32 s3, vcc_lo, s3
	s_delay_alu instid0(SALU_CYCLE_1)
	s_and_not1_b32 exec_lo, exec_lo, s3
	s_cbranch_execnz .LBB63_817
; %bb.818:
	s_or_b32 exec_lo, exec_lo, s3
.LBB63_819:
	s_delay_alu instid0(SALU_CYCLE_1) | instskip(SKIP_4) | instid1(VALU_DEP_1)
	s_or_b32 exec_lo, exec_lo, s2
	v_mov_b32_e32 v135, 0
	ds_load_b64 v[136:137], v135 offset:152
	s_wait_dscnt 0x0
	v_pk_mul_f32 v[138:139], v[132:133], v[136:137] op_sel:[1,1] op_sel_hi:[0,1]
	v_pk_fma_f32 v[140:141], v[132:133], v[136:137], v[138:139] op_sel_hi:[1,0,1]
	v_pk_fma_f32 v[132:133], v[132:133], v[136:137], v[138:139] neg_lo:[0,0,1] neg_hi:[0,0,1]
	s_delay_alu instid0(VALU_DEP_2)
	v_mov_b32_e32 v133, v141
	scratch_store_b64 off, v[132:133], off offset:152
.LBB63_820:
	s_wait_xcnt 0x0
	s_or_b32 exec_lo, exec_lo, s0
	scratch_load_b64 v[132:133], off, off offset:160
	s_mov_b32 s0, exec_lo
	s_wait_loadcnt 0x0
	ds_store_b64 v1, v[132:133]
	s_wait_storecnt_dscnt 0x0
	s_barrier_signal -1
	s_barrier_wait -1
	s_wait_xcnt 0x0
	v_cmpx_gt_u32_e32 20, v0
	s_cbranch_execz .LBB63_830
; %bb.821:
	v_cmp_ne_u32_e32 vcc_lo, 1, v134
	s_cbranch_vccnz .LBB63_823
; %bb.822:
	scratch_load_b64 v[132:133], v59, off
	ds_load_b64 v[136:137], v1
	s_wait_loadcnt_dscnt 0x0
	v_pk_mul_f32 v[138:139], v[136:137], v[132:133] op_sel:[1,1] op_sel_hi:[0,1]
	s_delay_alu instid0(VALU_DEP_1) | instskip(SKIP_1) | instid1(VALU_DEP_2)
	v_pk_fma_f32 v[140:141], v[136:137], v[132:133], v[138:139] op_sel_hi:[1,0,1]
	v_pk_fma_f32 v[132:133], v[136:137], v[132:133], v[138:139] neg_lo:[0,0,1] neg_hi:[0,0,1]
	v_mov_b32_e32 v133, v141
	s_cbranch_execz .LBB63_824
	s_branch .LBB63_825
.LBB63_823:
                                        ; implicit-def: $vgpr132_vgpr133
.LBB63_824:
	ds_load_b64 v[132:133], v1
.LBB63_825:
	s_mov_b32 s2, exec_lo
	v_cmpx_ne_u32_e32 19, v0
	s_cbranch_execz .LBB63_829
; %bb.826:
	v_add_nc_u32_e32 v135, 0x208, v58
	v_add3_u32 v136, 0, v58, 8
	v_mov_b32_e32 v137, v0
	s_mov_b32 s3, 0
.LBB63_827:                             ; =>This Inner Loop Header: Depth=1
	scratch_load_b64 v[138:139], v136, off
	ds_load_b64 v[140:141], v135
	s_wait_xcnt 0x0
	v_dual_add_nc_u32 v135, 8, v135 :: v_dual_add_nc_u32 v136, 8, v136
	s_wait_loadcnt_dscnt 0x0
	v_pk_mul_f32 v[142:143], v[140:141], v[138:139] op_sel:[1,1] op_sel_hi:[0,1]
	s_delay_alu instid0(VALU_DEP_1) | instskip(SKIP_2) | instid1(VALU_DEP_3)
	v_pk_fma_f32 v[144:145], v[140:141], v[138:139], v[142:143] op_sel_hi:[1,0,1]
	v_add_nc_u32_e32 v137, 1, v137
	v_pk_fma_f32 v[138:139], v[140:141], v[138:139], v[142:143] neg_lo:[0,0,1] neg_hi:[0,0,1]
	v_mov_b32_e32 v139, v145
	s_delay_alu instid0(VALU_DEP_3) | instskip(NEXT) | instid1(VALU_DEP_2)
	v_cmp_lt_u32_e32 vcc_lo, 18, v137
	v_pk_add_f32 v[132:133], v[132:133], v[138:139]
	s_or_b32 s3, vcc_lo, s3
	s_delay_alu instid0(SALU_CYCLE_1)
	s_and_not1_b32 exec_lo, exec_lo, s3
	s_cbranch_execnz .LBB63_827
; %bb.828:
	s_or_b32 exec_lo, exec_lo, s3
.LBB63_829:
	s_delay_alu instid0(SALU_CYCLE_1) | instskip(SKIP_4) | instid1(VALU_DEP_1)
	s_or_b32 exec_lo, exec_lo, s2
	v_mov_b32_e32 v135, 0
	ds_load_b64 v[136:137], v135 offset:160
	s_wait_dscnt 0x0
	v_pk_mul_f32 v[138:139], v[132:133], v[136:137] op_sel:[1,1] op_sel_hi:[0,1]
	v_pk_fma_f32 v[140:141], v[132:133], v[136:137], v[138:139] op_sel_hi:[1,0,1]
	v_pk_fma_f32 v[132:133], v[132:133], v[136:137], v[138:139] neg_lo:[0,0,1] neg_hi:[0,0,1]
	s_delay_alu instid0(VALU_DEP_2)
	v_mov_b32_e32 v133, v141
	scratch_store_b64 off, v[132:133], off offset:160
.LBB63_830:
	s_wait_xcnt 0x0
	s_or_b32 exec_lo, exec_lo, s0
	scratch_load_b64 v[132:133], off, off offset:168
	s_mov_b32 s0, exec_lo
	s_wait_loadcnt 0x0
	ds_store_b64 v1, v[132:133]
	s_wait_storecnt_dscnt 0x0
	s_barrier_signal -1
	s_barrier_wait -1
	s_wait_xcnt 0x0
	v_cmpx_gt_u32_e32 21, v0
	s_cbranch_execz .LBB63_840
; %bb.831:
	v_cmp_ne_u32_e32 vcc_lo, 1, v134
	s_cbranch_vccnz .LBB63_833
; %bb.832:
	scratch_load_b64 v[132:133], v59, off
	ds_load_b64 v[136:137], v1
	s_wait_loadcnt_dscnt 0x0
	v_pk_mul_f32 v[138:139], v[136:137], v[132:133] op_sel:[1,1] op_sel_hi:[0,1]
	s_delay_alu instid0(VALU_DEP_1) | instskip(SKIP_1) | instid1(VALU_DEP_2)
	v_pk_fma_f32 v[140:141], v[136:137], v[132:133], v[138:139] op_sel_hi:[1,0,1]
	v_pk_fma_f32 v[132:133], v[136:137], v[132:133], v[138:139] neg_lo:[0,0,1] neg_hi:[0,0,1]
	v_mov_b32_e32 v133, v141
	s_cbranch_execz .LBB63_834
	s_branch .LBB63_835
.LBB63_833:
                                        ; implicit-def: $vgpr132_vgpr133
.LBB63_834:
	ds_load_b64 v[132:133], v1
.LBB63_835:
	s_mov_b32 s2, exec_lo
	v_cmpx_ne_u32_e32 20, v0
	s_cbranch_execz .LBB63_839
; %bb.836:
	v_add_nc_u32_e32 v135, 0x208, v58
	v_add3_u32 v136, 0, v58, 8
	v_mov_b32_e32 v137, v0
	s_mov_b32 s3, 0
.LBB63_837:                             ; =>This Inner Loop Header: Depth=1
	scratch_load_b64 v[138:139], v136, off
	ds_load_b64 v[140:141], v135
	s_wait_xcnt 0x0
	v_dual_add_nc_u32 v135, 8, v135 :: v_dual_add_nc_u32 v136, 8, v136
	s_wait_loadcnt_dscnt 0x0
	v_pk_mul_f32 v[142:143], v[140:141], v[138:139] op_sel:[1,1] op_sel_hi:[0,1]
	s_delay_alu instid0(VALU_DEP_1) | instskip(SKIP_2) | instid1(VALU_DEP_3)
	v_pk_fma_f32 v[144:145], v[140:141], v[138:139], v[142:143] op_sel_hi:[1,0,1]
	v_add_nc_u32_e32 v137, 1, v137
	v_pk_fma_f32 v[138:139], v[140:141], v[138:139], v[142:143] neg_lo:[0,0,1] neg_hi:[0,0,1]
	v_mov_b32_e32 v139, v145
	s_delay_alu instid0(VALU_DEP_3) | instskip(NEXT) | instid1(VALU_DEP_2)
	v_cmp_lt_u32_e32 vcc_lo, 19, v137
	v_pk_add_f32 v[132:133], v[132:133], v[138:139]
	s_or_b32 s3, vcc_lo, s3
	s_delay_alu instid0(SALU_CYCLE_1)
	s_and_not1_b32 exec_lo, exec_lo, s3
	s_cbranch_execnz .LBB63_837
; %bb.838:
	s_or_b32 exec_lo, exec_lo, s3
.LBB63_839:
	s_delay_alu instid0(SALU_CYCLE_1) | instskip(SKIP_4) | instid1(VALU_DEP_1)
	s_or_b32 exec_lo, exec_lo, s2
	v_mov_b32_e32 v135, 0
	ds_load_b64 v[136:137], v135 offset:168
	s_wait_dscnt 0x0
	v_pk_mul_f32 v[138:139], v[132:133], v[136:137] op_sel:[1,1] op_sel_hi:[0,1]
	v_pk_fma_f32 v[140:141], v[132:133], v[136:137], v[138:139] op_sel_hi:[1,0,1]
	v_pk_fma_f32 v[132:133], v[132:133], v[136:137], v[138:139] neg_lo:[0,0,1] neg_hi:[0,0,1]
	s_delay_alu instid0(VALU_DEP_2)
	v_mov_b32_e32 v133, v141
	scratch_store_b64 off, v[132:133], off offset:168
.LBB63_840:
	s_wait_xcnt 0x0
	s_or_b32 exec_lo, exec_lo, s0
	scratch_load_b64 v[132:133], off, off offset:176
	s_mov_b32 s0, exec_lo
	s_wait_loadcnt 0x0
	ds_store_b64 v1, v[132:133]
	s_wait_storecnt_dscnt 0x0
	s_barrier_signal -1
	s_barrier_wait -1
	s_wait_xcnt 0x0
	v_cmpx_gt_u32_e32 22, v0
	s_cbranch_execz .LBB63_850
; %bb.841:
	v_cmp_ne_u32_e32 vcc_lo, 1, v134
	s_cbranch_vccnz .LBB63_843
; %bb.842:
	scratch_load_b64 v[132:133], v59, off
	ds_load_b64 v[136:137], v1
	s_wait_loadcnt_dscnt 0x0
	v_pk_mul_f32 v[138:139], v[136:137], v[132:133] op_sel:[1,1] op_sel_hi:[0,1]
	s_delay_alu instid0(VALU_DEP_1) | instskip(SKIP_1) | instid1(VALU_DEP_2)
	v_pk_fma_f32 v[140:141], v[136:137], v[132:133], v[138:139] op_sel_hi:[1,0,1]
	v_pk_fma_f32 v[132:133], v[136:137], v[132:133], v[138:139] neg_lo:[0,0,1] neg_hi:[0,0,1]
	v_mov_b32_e32 v133, v141
	s_cbranch_execz .LBB63_844
	s_branch .LBB63_845
.LBB63_843:
                                        ; implicit-def: $vgpr132_vgpr133
.LBB63_844:
	ds_load_b64 v[132:133], v1
.LBB63_845:
	s_mov_b32 s2, exec_lo
	v_cmpx_ne_u32_e32 21, v0
	s_cbranch_execz .LBB63_849
; %bb.846:
	v_add_nc_u32_e32 v135, 0x208, v58
	v_add3_u32 v136, 0, v58, 8
	v_mov_b32_e32 v137, v0
	s_mov_b32 s3, 0
.LBB63_847:                             ; =>This Inner Loop Header: Depth=1
	scratch_load_b64 v[138:139], v136, off
	ds_load_b64 v[140:141], v135
	s_wait_xcnt 0x0
	v_dual_add_nc_u32 v135, 8, v135 :: v_dual_add_nc_u32 v136, 8, v136
	s_wait_loadcnt_dscnt 0x0
	v_pk_mul_f32 v[142:143], v[140:141], v[138:139] op_sel:[1,1] op_sel_hi:[0,1]
	s_delay_alu instid0(VALU_DEP_1) | instskip(SKIP_2) | instid1(VALU_DEP_3)
	v_pk_fma_f32 v[144:145], v[140:141], v[138:139], v[142:143] op_sel_hi:[1,0,1]
	v_add_nc_u32_e32 v137, 1, v137
	v_pk_fma_f32 v[138:139], v[140:141], v[138:139], v[142:143] neg_lo:[0,0,1] neg_hi:[0,0,1]
	v_mov_b32_e32 v139, v145
	s_delay_alu instid0(VALU_DEP_3) | instskip(NEXT) | instid1(VALU_DEP_2)
	v_cmp_lt_u32_e32 vcc_lo, 20, v137
	v_pk_add_f32 v[132:133], v[132:133], v[138:139]
	s_or_b32 s3, vcc_lo, s3
	s_delay_alu instid0(SALU_CYCLE_1)
	s_and_not1_b32 exec_lo, exec_lo, s3
	s_cbranch_execnz .LBB63_847
; %bb.848:
	s_or_b32 exec_lo, exec_lo, s3
.LBB63_849:
	s_delay_alu instid0(SALU_CYCLE_1) | instskip(SKIP_4) | instid1(VALU_DEP_1)
	s_or_b32 exec_lo, exec_lo, s2
	v_mov_b32_e32 v135, 0
	ds_load_b64 v[136:137], v135 offset:176
	s_wait_dscnt 0x0
	v_pk_mul_f32 v[138:139], v[132:133], v[136:137] op_sel:[1,1] op_sel_hi:[0,1]
	v_pk_fma_f32 v[140:141], v[132:133], v[136:137], v[138:139] op_sel_hi:[1,0,1]
	v_pk_fma_f32 v[132:133], v[132:133], v[136:137], v[138:139] neg_lo:[0,0,1] neg_hi:[0,0,1]
	s_delay_alu instid0(VALU_DEP_2)
	v_mov_b32_e32 v133, v141
	scratch_store_b64 off, v[132:133], off offset:176
.LBB63_850:
	s_wait_xcnt 0x0
	s_or_b32 exec_lo, exec_lo, s0
	scratch_load_b64 v[132:133], off, off offset:184
	s_mov_b32 s0, exec_lo
	s_wait_loadcnt 0x0
	ds_store_b64 v1, v[132:133]
	s_wait_storecnt_dscnt 0x0
	s_barrier_signal -1
	s_barrier_wait -1
	s_wait_xcnt 0x0
	v_cmpx_gt_u32_e32 23, v0
	s_cbranch_execz .LBB63_860
; %bb.851:
	v_cmp_ne_u32_e32 vcc_lo, 1, v134
	s_cbranch_vccnz .LBB63_853
; %bb.852:
	scratch_load_b64 v[132:133], v59, off
	ds_load_b64 v[136:137], v1
	s_wait_loadcnt_dscnt 0x0
	v_pk_mul_f32 v[138:139], v[136:137], v[132:133] op_sel:[1,1] op_sel_hi:[0,1]
	s_delay_alu instid0(VALU_DEP_1) | instskip(SKIP_1) | instid1(VALU_DEP_2)
	v_pk_fma_f32 v[140:141], v[136:137], v[132:133], v[138:139] op_sel_hi:[1,0,1]
	v_pk_fma_f32 v[132:133], v[136:137], v[132:133], v[138:139] neg_lo:[0,0,1] neg_hi:[0,0,1]
	v_mov_b32_e32 v133, v141
	s_cbranch_execz .LBB63_854
	s_branch .LBB63_855
.LBB63_853:
                                        ; implicit-def: $vgpr132_vgpr133
.LBB63_854:
	ds_load_b64 v[132:133], v1
.LBB63_855:
	s_mov_b32 s2, exec_lo
	v_cmpx_ne_u32_e32 22, v0
	s_cbranch_execz .LBB63_859
; %bb.856:
	v_add_nc_u32_e32 v135, 0x208, v58
	v_add3_u32 v136, 0, v58, 8
	v_mov_b32_e32 v137, v0
	s_mov_b32 s3, 0
.LBB63_857:                             ; =>This Inner Loop Header: Depth=1
	scratch_load_b64 v[138:139], v136, off
	ds_load_b64 v[140:141], v135
	s_wait_xcnt 0x0
	v_dual_add_nc_u32 v135, 8, v135 :: v_dual_add_nc_u32 v136, 8, v136
	s_wait_loadcnt_dscnt 0x0
	v_pk_mul_f32 v[142:143], v[140:141], v[138:139] op_sel:[1,1] op_sel_hi:[0,1]
	s_delay_alu instid0(VALU_DEP_1) | instskip(SKIP_2) | instid1(VALU_DEP_3)
	v_pk_fma_f32 v[144:145], v[140:141], v[138:139], v[142:143] op_sel_hi:[1,0,1]
	v_add_nc_u32_e32 v137, 1, v137
	v_pk_fma_f32 v[138:139], v[140:141], v[138:139], v[142:143] neg_lo:[0,0,1] neg_hi:[0,0,1]
	v_mov_b32_e32 v139, v145
	s_delay_alu instid0(VALU_DEP_3) | instskip(NEXT) | instid1(VALU_DEP_2)
	v_cmp_lt_u32_e32 vcc_lo, 21, v137
	v_pk_add_f32 v[132:133], v[132:133], v[138:139]
	s_or_b32 s3, vcc_lo, s3
	s_delay_alu instid0(SALU_CYCLE_1)
	s_and_not1_b32 exec_lo, exec_lo, s3
	s_cbranch_execnz .LBB63_857
; %bb.858:
	s_or_b32 exec_lo, exec_lo, s3
.LBB63_859:
	s_delay_alu instid0(SALU_CYCLE_1) | instskip(SKIP_4) | instid1(VALU_DEP_1)
	s_or_b32 exec_lo, exec_lo, s2
	v_mov_b32_e32 v135, 0
	ds_load_b64 v[136:137], v135 offset:184
	s_wait_dscnt 0x0
	v_pk_mul_f32 v[138:139], v[132:133], v[136:137] op_sel:[1,1] op_sel_hi:[0,1]
	v_pk_fma_f32 v[140:141], v[132:133], v[136:137], v[138:139] op_sel_hi:[1,0,1]
	v_pk_fma_f32 v[132:133], v[132:133], v[136:137], v[138:139] neg_lo:[0,0,1] neg_hi:[0,0,1]
	s_delay_alu instid0(VALU_DEP_2)
	v_mov_b32_e32 v133, v141
	scratch_store_b64 off, v[132:133], off offset:184
.LBB63_860:
	s_wait_xcnt 0x0
	s_or_b32 exec_lo, exec_lo, s0
	scratch_load_b64 v[132:133], off, off offset:192
	s_mov_b32 s0, exec_lo
	s_wait_loadcnt 0x0
	ds_store_b64 v1, v[132:133]
	s_wait_storecnt_dscnt 0x0
	s_barrier_signal -1
	s_barrier_wait -1
	s_wait_xcnt 0x0
	v_cmpx_gt_u32_e32 24, v0
	s_cbranch_execz .LBB63_870
; %bb.861:
	v_cmp_ne_u32_e32 vcc_lo, 1, v134
	s_cbranch_vccnz .LBB63_863
; %bb.862:
	scratch_load_b64 v[132:133], v59, off
	ds_load_b64 v[136:137], v1
	s_wait_loadcnt_dscnt 0x0
	v_pk_mul_f32 v[138:139], v[136:137], v[132:133] op_sel:[1,1] op_sel_hi:[0,1]
	s_delay_alu instid0(VALU_DEP_1) | instskip(SKIP_1) | instid1(VALU_DEP_2)
	v_pk_fma_f32 v[140:141], v[136:137], v[132:133], v[138:139] op_sel_hi:[1,0,1]
	v_pk_fma_f32 v[132:133], v[136:137], v[132:133], v[138:139] neg_lo:[0,0,1] neg_hi:[0,0,1]
	v_mov_b32_e32 v133, v141
	s_cbranch_execz .LBB63_864
	s_branch .LBB63_865
.LBB63_863:
                                        ; implicit-def: $vgpr132_vgpr133
.LBB63_864:
	ds_load_b64 v[132:133], v1
.LBB63_865:
	s_mov_b32 s2, exec_lo
	v_cmpx_ne_u32_e32 23, v0
	s_cbranch_execz .LBB63_869
; %bb.866:
	v_add_nc_u32_e32 v135, 0x208, v58
	v_add3_u32 v136, 0, v58, 8
	v_mov_b32_e32 v137, v0
	s_mov_b32 s3, 0
.LBB63_867:                             ; =>This Inner Loop Header: Depth=1
	scratch_load_b64 v[138:139], v136, off
	ds_load_b64 v[140:141], v135
	s_wait_xcnt 0x0
	v_dual_add_nc_u32 v135, 8, v135 :: v_dual_add_nc_u32 v136, 8, v136
	s_wait_loadcnt_dscnt 0x0
	v_pk_mul_f32 v[142:143], v[140:141], v[138:139] op_sel:[1,1] op_sel_hi:[0,1]
	s_delay_alu instid0(VALU_DEP_1) | instskip(SKIP_2) | instid1(VALU_DEP_3)
	v_pk_fma_f32 v[144:145], v[140:141], v[138:139], v[142:143] op_sel_hi:[1,0,1]
	v_add_nc_u32_e32 v137, 1, v137
	v_pk_fma_f32 v[138:139], v[140:141], v[138:139], v[142:143] neg_lo:[0,0,1] neg_hi:[0,0,1]
	v_mov_b32_e32 v139, v145
	s_delay_alu instid0(VALU_DEP_3) | instskip(NEXT) | instid1(VALU_DEP_2)
	v_cmp_lt_u32_e32 vcc_lo, 22, v137
	v_pk_add_f32 v[132:133], v[132:133], v[138:139]
	s_or_b32 s3, vcc_lo, s3
	s_delay_alu instid0(SALU_CYCLE_1)
	s_and_not1_b32 exec_lo, exec_lo, s3
	s_cbranch_execnz .LBB63_867
; %bb.868:
	s_or_b32 exec_lo, exec_lo, s3
.LBB63_869:
	s_delay_alu instid0(SALU_CYCLE_1) | instskip(SKIP_4) | instid1(VALU_DEP_1)
	s_or_b32 exec_lo, exec_lo, s2
	v_mov_b32_e32 v135, 0
	ds_load_b64 v[136:137], v135 offset:192
	s_wait_dscnt 0x0
	v_pk_mul_f32 v[138:139], v[132:133], v[136:137] op_sel:[1,1] op_sel_hi:[0,1]
	v_pk_fma_f32 v[140:141], v[132:133], v[136:137], v[138:139] op_sel_hi:[1,0,1]
	v_pk_fma_f32 v[132:133], v[132:133], v[136:137], v[138:139] neg_lo:[0,0,1] neg_hi:[0,0,1]
	s_delay_alu instid0(VALU_DEP_2)
	v_mov_b32_e32 v133, v141
	scratch_store_b64 off, v[132:133], off offset:192
.LBB63_870:
	s_wait_xcnt 0x0
	s_or_b32 exec_lo, exec_lo, s0
	scratch_load_b64 v[132:133], off, off offset:200
	s_mov_b32 s0, exec_lo
	s_wait_loadcnt 0x0
	ds_store_b64 v1, v[132:133]
	s_wait_storecnt_dscnt 0x0
	s_barrier_signal -1
	s_barrier_wait -1
	s_wait_xcnt 0x0
	v_cmpx_gt_u32_e32 25, v0
	s_cbranch_execz .LBB63_880
; %bb.871:
	v_cmp_ne_u32_e32 vcc_lo, 1, v134
	s_cbranch_vccnz .LBB63_873
; %bb.872:
	scratch_load_b64 v[132:133], v59, off
	ds_load_b64 v[136:137], v1
	s_wait_loadcnt_dscnt 0x0
	v_pk_mul_f32 v[138:139], v[136:137], v[132:133] op_sel:[1,1] op_sel_hi:[0,1]
	s_delay_alu instid0(VALU_DEP_1) | instskip(SKIP_1) | instid1(VALU_DEP_2)
	v_pk_fma_f32 v[140:141], v[136:137], v[132:133], v[138:139] op_sel_hi:[1,0,1]
	v_pk_fma_f32 v[132:133], v[136:137], v[132:133], v[138:139] neg_lo:[0,0,1] neg_hi:[0,0,1]
	v_mov_b32_e32 v133, v141
	s_cbranch_execz .LBB63_874
	s_branch .LBB63_875
.LBB63_873:
                                        ; implicit-def: $vgpr132_vgpr133
.LBB63_874:
	ds_load_b64 v[132:133], v1
.LBB63_875:
	s_mov_b32 s2, exec_lo
	v_cmpx_ne_u32_e32 24, v0
	s_cbranch_execz .LBB63_879
; %bb.876:
	v_add_nc_u32_e32 v135, 0x208, v58
	v_add3_u32 v136, 0, v58, 8
	v_mov_b32_e32 v137, v0
	s_mov_b32 s3, 0
.LBB63_877:                             ; =>This Inner Loop Header: Depth=1
	scratch_load_b64 v[138:139], v136, off
	ds_load_b64 v[140:141], v135
	s_wait_xcnt 0x0
	v_dual_add_nc_u32 v135, 8, v135 :: v_dual_add_nc_u32 v136, 8, v136
	s_wait_loadcnt_dscnt 0x0
	v_pk_mul_f32 v[142:143], v[140:141], v[138:139] op_sel:[1,1] op_sel_hi:[0,1]
	s_delay_alu instid0(VALU_DEP_1) | instskip(SKIP_2) | instid1(VALU_DEP_3)
	v_pk_fma_f32 v[144:145], v[140:141], v[138:139], v[142:143] op_sel_hi:[1,0,1]
	v_add_nc_u32_e32 v137, 1, v137
	v_pk_fma_f32 v[138:139], v[140:141], v[138:139], v[142:143] neg_lo:[0,0,1] neg_hi:[0,0,1]
	v_mov_b32_e32 v139, v145
	s_delay_alu instid0(VALU_DEP_3) | instskip(NEXT) | instid1(VALU_DEP_2)
	v_cmp_lt_u32_e32 vcc_lo, 23, v137
	v_pk_add_f32 v[132:133], v[132:133], v[138:139]
	s_or_b32 s3, vcc_lo, s3
	s_delay_alu instid0(SALU_CYCLE_1)
	s_and_not1_b32 exec_lo, exec_lo, s3
	s_cbranch_execnz .LBB63_877
; %bb.878:
	s_or_b32 exec_lo, exec_lo, s3
.LBB63_879:
	s_delay_alu instid0(SALU_CYCLE_1) | instskip(SKIP_4) | instid1(VALU_DEP_1)
	s_or_b32 exec_lo, exec_lo, s2
	v_mov_b32_e32 v135, 0
	ds_load_b64 v[136:137], v135 offset:200
	s_wait_dscnt 0x0
	v_pk_mul_f32 v[138:139], v[132:133], v[136:137] op_sel:[1,1] op_sel_hi:[0,1]
	v_pk_fma_f32 v[140:141], v[132:133], v[136:137], v[138:139] op_sel_hi:[1,0,1]
	v_pk_fma_f32 v[132:133], v[132:133], v[136:137], v[138:139] neg_lo:[0,0,1] neg_hi:[0,0,1]
	s_delay_alu instid0(VALU_DEP_2)
	v_mov_b32_e32 v133, v141
	scratch_store_b64 off, v[132:133], off offset:200
.LBB63_880:
	s_wait_xcnt 0x0
	s_or_b32 exec_lo, exec_lo, s0
	scratch_load_b64 v[132:133], off, off offset:208
	s_mov_b32 s0, exec_lo
	s_wait_loadcnt 0x0
	ds_store_b64 v1, v[132:133]
	s_wait_storecnt_dscnt 0x0
	s_barrier_signal -1
	s_barrier_wait -1
	s_wait_xcnt 0x0
	v_cmpx_gt_u32_e32 26, v0
	s_cbranch_execz .LBB63_890
; %bb.881:
	v_cmp_ne_u32_e32 vcc_lo, 1, v134
	s_cbranch_vccnz .LBB63_883
; %bb.882:
	scratch_load_b64 v[132:133], v59, off
	ds_load_b64 v[136:137], v1
	s_wait_loadcnt_dscnt 0x0
	v_pk_mul_f32 v[138:139], v[136:137], v[132:133] op_sel:[1,1] op_sel_hi:[0,1]
	s_delay_alu instid0(VALU_DEP_1) | instskip(SKIP_1) | instid1(VALU_DEP_2)
	v_pk_fma_f32 v[140:141], v[136:137], v[132:133], v[138:139] op_sel_hi:[1,0,1]
	v_pk_fma_f32 v[132:133], v[136:137], v[132:133], v[138:139] neg_lo:[0,0,1] neg_hi:[0,0,1]
	v_mov_b32_e32 v133, v141
	s_cbranch_execz .LBB63_884
	s_branch .LBB63_885
.LBB63_883:
                                        ; implicit-def: $vgpr132_vgpr133
.LBB63_884:
	ds_load_b64 v[132:133], v1
.LBB63_885:
	s_mov_b32 s2, exec_lo
	v_cmpx_ne_u32_e32 25, v0
	s_cbranch_execz .LBB63_889
; %bb.886:
	v_add_nc_u32_e32 v135, 0x208, v58
	v_add3_u32 v136, 0, v58, 8
	v_mov_b32_e32 v137, v0
	s_mov_b32 s3, 0
.LBB63_887:                             ; =>This Inner Loop Header: Depth=1
	scratch_load_b64 v[138:139], v136, off
	ds_load_b64 v[140:141], v135
	s_wait_xcnt 0x0
	v_dual_add_nc_u32 v135, 8, v135 :: v_dual_add_nc_u32 v136, 8, v136
	s_wait_loadcnt_dscnt 0x0
	v_pk_mul_f32 v[142:143], v[140:141], v[138:139] op_sel:[1,1] op_sel_hi:[0,1]
	s_delay_alu instid0(VALU_DEP_1) | instskip(SKIP_2) | instid1(VALU_DEP_3)
	v_pk_fma_f32 v[144:145], v[140:141], v[138:139], v[142:143] op_sel_hi:[1,0,1]
	v_add_nc_u32_e32 v137, 1, v137
	v_pk_fma_f32 v[138:139], v[140:141], v[138:139], v[142:143] neg_lo:[0,0,1] neg_hi:[0,0,1]
	v_mov_b32_e32 v139, v145
	s_delay_alu instid0(VALU_DEP_3) | instskip(NEXT) | instid1(VALU_DEP_2)
	v_cmp_lt_u32_e32 vcc_lo, 24, v137
	v_pk_add_f32 v[132:133], v[132:133], v[138:139]
	s_or_b32 s3, vcc_lo, s3
	s_delay_alu instid0(SALU_CYCLE_1)
	s_and_not1_b32 exec_lo, exec_lo, s3
	s_cbranch_execnz .LBB63_887
; %bb.888:
	s_or_b32 exec_lo, exec_lo, s3
.LBB63_889:
	s_delay_alu instid0(SALU_CYCLE_1) | instskip(SKIP_4) | instid1(VALU_DEP_1)
	s_or_b32 exec_lo, exec_lo, s2
	v_mov_b32_e32 v135, 0
	ds_load_b64 v[136:137], v135 offset:208
	s_wait_dscnt 0x0
	v_pk_mul_f32 v[138:139], v[132:133], v[136:137] op_sel:[1,1] op_sel_hi:[0,1]
	v_pk_fma_f32 v[140:141], v[132:133], v[136:137], v[138:139] op_sel_hi:[1,0,1]
	v_pk_fma_f32 v[132:133], v[132:133], v[136:137], v[138:139] neg_lo:[0,0,1] neg_hi:[0,0,1]
	s_delay_alu instid0(VALU_DEP_2)
	v_mov_b32_e32 v133, v141
	scratch_store_b64 off, v[132:133], off offset:208
.LBB63_890:
	s_wait_xcnt 0x0
	s_or_b32 exec_lo, exec_lo, s0
	scratch_load_b64 v[132:133], off, off offset:216
	s_mov_b32 s0, exec_lo
	s_wait_loadcnt 0x0
	ds_store_b64 v1, v[132:133]
	s_wait_storecnt_dscnt 0x0
	s_barrier_signal -1
	s_barrier_wait -1
	s_wait_xcnt 0x0
	v_cmpx_gt_u32_e32 27, v0
	s_cbranch_execz .LBB63_900
; %bb.891:
	v_cmp_ne_u32_e32 vcc_lo, 1, v134
	s_cbranch_vccnz .LBB63_893
; %bb.892:
	scratch_load_b64 v[132:133], v59, off
	ds_load_b64 v[136:137], v1
	s_wait_loadcnt_dscnt 0x0
	v_pk_mul_f32 v[138:139], v[136:137], v[132:133] op_sel:[1,1] op_sel_hi:[0,1]
	s_delay_alu instid0(VALU_DEP_1) | instskip(SKIP_1) | instid1(VALU_DEP_2)
	v_pk_fma_f32 v[140:141], v[136:137], v[132:133], v[138:139] op_sel_hi:[1,0,1]
	v_pk_fma_f32 v[132:133], v[136:137], v[132:133], v[138:139] neg_lo:[0,0,1] neg_hi:[0,0,1]
	v_mov_b32_e32 v133, v141
	s_cbranch_execz .LBB63_894
	s_branch .LBB63_895
.LBB63_893:
                                        ; implicit-def: $vgpr132_vgpr133
.LBB63_894:
	ds_load_b64 v[132:133], v1
.LBB63_895:
	s_mov_b32 s2, exec_lo
	v_cmpx_ne_u32_e32 26, v0
	s_cbranch_execz .LBB63_899
; %bb.896:
	v_add_nc_u32_e32 v135, 0x208, v58
	v_add3_u32 v136, 0, v58, 8
	v_mov_b32_e32 v137, v0
	s_mov_b32 s3, 0
.LBB63_897:                             ; =>This Inner Loop Header: Depth=1
	scratch_load_b64 v[138:139], v136, off
	ds_load_b64 v[140:141], v135
	s_wait_xcnt 0x0
	v_dual_add_nc_u32 v135, 8, v135 :: v_dual_add_nc_u32 v136, 8, v136
	s_wait_loadcnt_dscnt 0x0
	v_pk_mul_f32 v[142:143], v[140:141], v[138:139] op_sel:[1,1] op_sel_hi:[0,1]
	s_delay_alu instid0(VALU_DEP_1) | instskip(SKIP_2) | instid1(VALU_DEP_3)
	v_pk_fma_f32 v[144:145], v[140:141], v[138:139], v[142:143] op_sel_hi:[1,0,1]
	v_add_nc_u32_e32 v137, 1, v137
	v_pk_fma_f32 v[138:139], v[140:141], v[138:139], v[142:143] neg_lo:[0,0,1] neg_hi:[0,0,1]
	v_mov_b32_e32 v139, v145
	s_delay_alu instid0(VALU_DEP_3) | instskip(NEXT) | instid1(VALU_DEP_2)
	v_cmp_lt_u32_e32 vcc_lo, 25, v137
	v_pk_add_f32 v[132:133], v[132:133], v[138:139]
	s_or_b32 s3, vcc_lo, s3
	s_delay_alu instid0(SALU_CYCLE_1)
	s_and_not1_b32 exec_lo, exec_lo, s3
	s_cbranch_execnz .LBB63_897
; %bb.898:
	s_or_b32 exec_lo, exec_lo, s3
.LBB63_899:
	s_delay_alu instid0(SALU_CYCLE_1) | instskip(SKIP_4) | instid1(VALU_DEP_1)
	s_or_b32 exec_lo, exec_lo, s2
	v_mov_b32_e32 v135, 0
	ds_load_b64 v[136:137], v135 offset:216
	s_wait_dscnt 0x0
	v_pk_mul_f32 v[138:139], v[132:133], v[136:137] op_sel:[1,1] op_sel_hi:[0,1]
	v_pk_fma_f32 v[140:141], v[132:133], v[136:137], v[138:139] op_sel_hi:[1,0,1]
	v_pk_fma_f32 v[132:133], v[132:133], v[136:137], v[138:139] neg_lo:[0,0,1] neg_hi:[0,0,1]
	s_delay_alu instid0(VALU_DEP_2)
	v_mov_b32_e32 v133, v141
	scratch_store_b64 off, v[132:133], off offset:216
.LBB63_900:
	s_wait_xcnt 0x0
	s_or_b32 exec_lo, exec_lo, s0
	scratch_load_b64 v[132:133], off, off offset:224
	s_mov_b32 s0, exec_lo
	s_wait_loadcnt 0x0
	ds_store_b64 v1, v[132:133]
	s_wait_storecnt_dscnt 0x0
	s_barrier_signal -1
	s_barrier_wait -1
	s_wait_xcnt 0x0
	v_cmpx_gt_u32_e32 28, v0
	s_cbranch_execz .LBB63_910
; %bb.901:
	v_cmp_ne_u32_e32 vcc_lo, 1, v134
	s_cbranch_vccnz .LBB63_903
; %bb.902:
	scratch_load_b64 v[132:133], v59, off
	ds_load_b64 v[136:137], v1
	s_wait_loadcnt_dscnt 0x0
	v_pk_mul_f32 v[138:139], v[136:137], v[132:133] op_sel:[1,1] op_sel_hi:[0,1]
	s_delay_alu instid0(VALU_DEP_1) | instskip(SKIP_1) | instid1(VALU_DEP_2)
	v_pk_fma_f32 v[140:141], v[136:137], v[132:133], v[138:139] op_sel_hi:[1,0,1]
	v_pk_fma_f32 v[132:133], v[136:137], v[132:133], v[138:139] neg_lo:[0,0,1] neg_hi:[0,0,1]
	v_mov_b32_e32 v133, v141
	s_cbranch_execz .LBB63_904
	s_branch .LBB63_905
.LBB63_903:
                                        ; implicit-def: $vgpr132_vgpr133
.LBB63_904:
	ds_load_b64 v[132:133], v1
.LBB63_905:
	s_mov_b32 s2, exec_lo
	v_cmpx_ne_u32_e32 27, v0
	s_cbranch_execz .LBB63_909
; %bb.906:
	v_add_nc_u32_e32 v135, 0x208, v58
	v_add3_u32 v136, 0, v58, 8
	v_mov_b32_e32 v137, v0
	s_mov_b32 s3, 0
.LBB63_907:                             ; =>This Inner Loop Header: Depth=1
	scratch_load_b64 v[138:139], v136, off
	ds_load_b64 v[140:141], v135
	s_wait_xcnt 0x0
	v_dual_add_nc_u32 v135, 8, v135 :: v_dual_add_nc_u32 v136, 8, v136
	s_wait_loadcnt_dscnt 0x0
	v_pk_mul_f32 v[142:143], v[140:141], v[138:139] op_sel:[1,1] op_sel_hi:[0,1]
	s_delay_alu instid0(VALU_DEP_1) | instskip(SKIP_2) | instid1(VALU_DEP_3)
	v_pk_fma_f32 v[144:145], v[140:141], v[138:139], v[142:143] op_sel_hi:[1,0,1]
	v_add_nc_u32_e32 v137, 1, v137
	v_pk_fma_f32 v[138:139], v[140:141], v[138:139], v[142:143] neg_lo:[0,0,1] neg_hi:[0,0,1]
	v_mov_b32_e32 v139, v145
	s_delay_alu instid0(VALU_DEP_3) | instskip(NEXT) | instid1(VALU_DEP_2)
	v_cmp_lt_u32_e32 vcc_lo, 26, v137
	v_pk_add_f32 v[132:133], v[132:133], v[138:139]
	s_or_b32 s3, vcc_lo, s3
	s_delay_alu instid0(SALU_CYCLE_1)
	s_and_not1_b32 exec_lo, exec_lo, s3
	s_cbranch_execnz .LBB63_907
; %bb.908:
	s_or_b32 exec_lo, exec_lo, s3
.LBB63_909:
	s_delay_alu instid0(SALU_CYCLE_1) | instskip(SKIP_4) | instid1(VALU_DEP_1)
	s_or_b32 exec_lo, exec_lo, s2
	v_mov_b32_e32 v135, 0
	ds_load_b64 v[136:137], v135 offset:224
	s_wait_dscnt 0x0
	v_pk_mul_f32 v[138:139], v[132:133], v[136:137] op_sel:[1,1] op_sel_hi:[0,1]
	v_pk_fma_f32 v[140:141], v[132:133], v[136:137], v[138:139] op_sel_hi:[1,0,1]
	v_pk_fma_f32 v[132:133], v[132:133], v[136:137], v[138:139] neg_lo:[0,0,1] neg_hi:[0,0,1]
	s_delay_alu instid0(VALU_DEP_2)
	v_mov_b32_e32 v133, v141
	scratch_store_b64 off, v[132:133], off offset:224
.LBB63_910:
	s_wait_xcnt 0x0
	s_or_b32 exec_lo, exec_lo, s0
	scratch_load_b64 v[132:133], off, off offset:232
	s_mov_b32 s0, exec_lo
	s_wait_loadcnt 0x0
	ds_store_b64 v1, v[132:133]
	s_wait_storecnt_dscnt 0x0
	s_barrier_signal -1
	s_barrier_wait -1
	s_wait_xcnt 0x0
	v_cmpx_gt_u32_e32 29, v0
	s_cbranch_execz .LBB63_920
; %bb.911:
	v_cmp_ne_u32_e32 vcc_lo, 1, v134
	s_cbranch_vccnz .LBB63_913
; %bb.912:
	scratch_load_b64 v[132:133], v59, off
	ds_load_b64 v[136:137], v1
	s_wait_loadcnt_dscnt 0x0
	v_pk_mul_f32 v[138:139], v[136:137], v[132:133] op_sel:[1,1] op_sel_hi:[0,1]
	s_delay_alu instid0(VALU_DEP_1) | instskip(SKIP_1) | instid1(VALU_DEP_2)
	v_pk_fma_f32 v[140:141], v[136:137], v[132:133], v[138:139] op_sel_hi:[1,0,1]
	v_pk_fma_f32 v[132:133], v[136:137], v[132:133], v[138:139] neg_lo:[0,0,1] neg_hi:[0,0,1]
	v_mov_b32_e32 v133, v141
	s_cbranch_execz .LBB63_914
	s_branch .LBB63_915
.LBB63_913:
                                        ; implicit-def: $vgpr132_vgpr133
.LBB63_914:
	ds_load_b64 v[132:133], v1
.LBB63_915:
	s_mov_b32 s2, exec_lo
	v_cmpx_ne_u32_e32 28, v0
	s_cbranch_execz .LBB63_919
; %bb.916:
	v_add_nc_u32_e32 v135, 0x208, v58
	v_add3_u32 v136, 0, v58, 8
	v_mov_b32_e32 v137, v0
	s_mov_b32 s3, 0
.LBB63_917:                             ; =>This Inner Loop Header: Depth=1
	scratch_load_b64 v[138:139], v136, off
	ds_load_b64 v[140:141], v135
	s_wait_xcnt 0x0
	v_dual_add_nc_u32 v135, 8, v135 :: v_dual_add_nc_u32 v136, 8, v136
	s_wait_loadcnt_dscnt 0x0
	v_pk_mul_f32 v[142:143], v[140:141], v[138:139] op_sel:[1,1] op_sel_hi:[0,1]
	s_delay_alu instid0(VALU_DEP_1) | instskip(SKIP_2) | instid1(VALU_DEP_3)
	v_pk_fma_f32 v[144:145], v[140:141], v[138:139], v[142:143] op_sel_hi:[1,0,1]
	v_add_nc_u32_e32 v137, 1, v137
	v_pk_fma_f32 v[138:139], v[140:141], v[138:139], v[142:143] neg_lo:[0,0,1] neg_hi:[0,0,1]
	v_mov_b32_e32 v139, v145
	s_delay_alu instid0(VALU_DEP_3) | instskip(NEXT) | instid1(VALU_DEP_2)
	v_cmp_lt_u32_e32 vcc_lo, 27, v137
	v_pk_add_f32 v[132:133], v[132:133], v[138:139]
	s_or_b32 s3, vcc_lo, s3
	s_delay_alu instid0(SALU_CYCLE_1)
	s_and_not1_b32 exec_lo, exec_lo, s3
	s_cbranch_execnz .LBB63_917
; %bb.918:
	s_or_b32 exec_lo, exec_lo, s3
.LBB63_919:
	s_delay_alu instid0(SALU_CYCLE_1) | instskip(SKIP_4) | instid1(VALU_DEP_1)
	s_or_b32 exec_lo, exec_lo, s2
	v_mov_b32_e32 v135, 0
	ds_load_b64 v[136:137], v135 offset:232
	s_wait_dscnt 0x0
	v_pk_mul_f32 v[138:139], v[132:133], v[136:137] op_sel:[1,1] op_sel_hi:[0,1]
	v_pk_fma_f32 v[140:141], v[132:133], v[136:137], v[138:139] op_sel_hi:[1,0,1]
	v_pk_fma_f32 v[132:133], v[132:133], v[136:137], v[138:139] neg_lo:[0,0,1] neg_hi:[0,0,1]
	s_delay_alu instid0(VALU_DEP_2)
	v_mov_b32_e32 v133, v141
	scratch_store_b64 off, v[132:133], off offset:232
.LBB63_920:
	s_wait_xcnt 0x0
	s_or_b32 exec_lo, exec_lo, s0
	scratch_load_b64 v[132:133], off, off offset:240
	s_mov_b32 s0, exec_lo
	s_wait_loadcnt 0x0
	ds_store_b64 v1, v[132:133]
	s_wait_storecnt_dscnt 0x0
	s_barrier_signal -1
	s_barrier_wait -1
	s_wait_xcnt 0x0
	v_cmpx_gt_u32_e32 30, v0
	s_cbranch_execz .LBB63_930
; %bb.921:
	v_cmp_ne_u32_e32 vcc_lo, 1, v134
	s_cbranch_vccnz .LBB63_923
; %bb.922:
	scratch_load_b64 v[132:133], v59, off
	ds_load_b64 v[136:137], v1
	s_wait_loadcnt_dscnt 0x0
	v_pk_mul_f32 v[138:139], v[136:137], v[132:133] op_sel:[1,1] op_sel_hi:[0,1]
	s_delay_alu instid0(VALU_DEP_1) | instskip(SKIP_1) | instid1(VALU_DEP_2)
	v_pk_fma_f32 v[140:141], v[136:137], v[132:133], v[138:139] op_sel_hi:[1,0,1]
	v_pk_fma_f32 v[132:133], v[136:137], v[132:133], v[138:139] neg_lo:[0,0,1] neg_hi:[0,0,1]
	v_mov_b32_e32 v133, v141
	s_cbranch_execz .LBB63_924
	s_branch .LBB63_925
.LBB63_923:
                                        ; implicit-def: $vgpr132_vgpr133
.LBB63_924:
	ds_load_b64 v[132:133], v1
.LBB63_925:
	s_mov_b32 s2, exec_lo
	v_cmpx_ne_u32_e32 29, v0
	s_cbranch_execz .LBB63_929
; %bb.926:
	v_add_nc_u32_e32 v135, 0x208, v58
	v_add3_u32 v136, 0, v58, 8
	v_mov_b32_e32 v137, v0
	s_mov_b32 s3, 0
.LBB63_927:                             ; =>This Inner Loop Header: Depth=1
	scratch_load_b64 v[138:139], v136, off
	ds_load_b64 v[140:141], v135
	s_wait_xcnt 0x0
	v_dual_add_nc_u32 v135, 8, v135 :: v_dual_add_nc_u32 v136, 8, v136
	s_wait_loadcnt_dscnt 0x0
	v_pk_mul_f32 v[142:143], v[140:141], v[138:139] op_sel:[1,1] op_sel_hi:[0,1]
	s_delay_alu instid0(VALU_DEP_1) | instskip(SKIP_2) | instid1(VALU_DEP_3)
	v_pk_fma_f32 v[144:145], v[140:141], v[138:139], v[142:143] op_sel_hi:[1,0,1]
	v_add_nc_u32_e32 v137, 1, v137
	v_pk_fma_f32 v[138:139], v[140:141], v[138:139], v[142:143] neg_lo:[0,0,1] neg_hi:[0,0,1]
	v_mov_b32_e32 v139, v145
	s_delay_alu instid0(VALU_DEP_3) | instskip(NEXT) | instid1(VALU_DEP_2)
	v_cmp_lt_u32_e32 vcc_lo, 28, v137
	v_pk_add_f32 v[132:133], v[132:133], v[138:139]
	s_or_b32 s3, vcc_lo, s3
	s_delay_alu instid0(SALU_CYCLE_1)
	s_and_not1_b32 exec_lo, exec_lo, s3
	s_cbranch_execnz .LBB63_927
; %bb.928:
	s_or_b32 exec_lo, exec_lo, s3
.LBB63_929:
	s_delay_alu instid0(SALU_CYCLE_1) | instskip(SKIP_4) | instid1(VALU_DEP_1)
	s_or_b32 exec_lo, exec_lo, s2
	v_mov_b32_e32 v135, 0
	ds_load_b64 v[136:137], v135 offset:240
	s_wait_dscnt 0x0
	v_pk_mul_f32 v[138:139], v[132:133], v[136:137] op_sel:[1,1] op_sel_hi:[0,1]
	v_pk_fma_f32 v[140:141], v[132:133], v[136:137], v[138:139] op_sel_hi:[1,0,1]
	v_pk_fma_f32 v[132:133], v[132:133], v[136:137], v[138:139] neg_lo:[0,0,1] neg_hi:[0,0,1]
	s_delay_alu instid0(VALU_DEP_2)
	v_mov_b32_e32 v133, v141
	scratch_store_b64 off, v[132:133], off offset:240
.LBB63_930:
	s_wait_xcnt 0x0
	s_or_b32 exec_lo, exec_lo, s0
	scratch_load_b64 v[132:133], off, off offset:248
	s_mov_b32 s0, exec_lo
	s_wait_loadcnt 0x0
	ds_store_b64 v1, v[132:133]
	s_wait_storecnt_dscnt 0x0
	s_barrier_signal -1
	s_barrier_wait -1
	s_wait_xcnt 0x0
	v_cmpx_gt_u32_e32 31, v0
	s_cbranch_execz .LBB63_940
; %bb.931:
	v_cmp_ne_u32_e32 vcc_lo, 1, v134
	s_cbranch_vccnz .LBB63_933
; %bb.932:
	scratch_load_b64 v[132:133], v59, off
	ds_load_b64 v[136:137], v1
	s_wait_loadcnt_dscnt 0x0
	v_pk_mul_f32 v[138:139], v[136:137], v[132:133] op_sel:[1,1] op_sel_hi:[0,1]
	s_delay_alu instid0(VALU_DEP_1) | instskip(SKIP_1) | instid1(VALU_DEP_2)
	v_pk_fma_f32 v[140:141], v[136:137], v[132:133], v[138:139] op_sel_hi:[1,0,1]
	v_pk_fma_f32 v[132:133], v[136:137], v[132:133], v[138:139] neg_lo:[0,0,1] neg_hi:[0,0,1]
	v_mov_b32_e32 v133, v141
	s_cbranch_execz .LBB63_934
	s_branch .LBB63_935
.LBB63_933:
                                        ; implicit-def: $vgpr132_vgpr133
.LBB63_934:
	ds_load_b64 v[132:133], v1
.LBB63_935:
	s_mov_b32 s2, exec_lo
	v_cmpx_ne_u32_e32 30, v0
	s_cbranch_execz .LBB63_939
; %bb.936:
	v_add_nc_u32_e32 v135, 0x208, v58
	v_add3_u32 v136, 0, v58, 8
	v_mov_b32_e32 v137, v0
	s_mov_b32 s3, 0
.LBB63_937:                             ; =>This Inner Loop Header: Depth=1
	scratch_load_b64 v[138:139], v136, off
	ds_load_b64 v[140:141], v135
	s_wait_xcnt 0x0
	v_dual_add_nc_u32 v135, 8, v135 :: v_dual_add_nc_u32 v136, 8, v136
	s_wait_loadcnt_dscnt 0x0
	v_pk_mul_f32 v[142:143], v[140:141], v[138:139] op_sel:[1,1] op_sel_hi:[0,1]
	s_delay_alu instid0(VALU_DEP_1) | instskip(SKIP_2) | instid1(VALU_DEP_3)
	v_pk_fma_f32 v[144:145], v[140:141], v[138:139], v[142:143] op_sel_hi:[1,0,1]
	v_add_nc_u32_e32 v137, 1, v137
	v_pk_fma_f32 v[138:139], v[140:141], v[138:139], v[142:143] neg_lo:[0,0,1] neg_hi:[0,0,1]
	v_mov_b32_e32 v139, v145
	s_delay_alu instid0(VALU_DEP_3) | instskip(NEXT) | instid1(VALU_DEP_2)
	v_cmp_lt_u32_e32 vcc_lo, 29, v137
	v_pk_add_f32 v[132:133], v[132:133], v[138:139]
	s_or_b32 s3, vcc_lo, s3
	s_delay_alu instid0(SALU_CYCLE_1)
	s_and_not1_b32 exec_lo, exec_lo, s3
	s_cbranch_execnz .LBB63_937
; %bb.938:
	s_or_b32 exec_lo, exec_lo, s3
.LBB63_939:
	s_delay_alu instid0(SALU_CYCLE_1) | instskip(SKIP_4) | instid1(VALU_DEP_1)
	s_or_b32 exec_lo, exec_lo, s2
	v_mov_b32_e32 v135, 0
	ds_load_b64 v[136:137], v135 offset:248
	s_wait_dscnt 0x0
	v_pk_mul_f32 v[138:139], v[132:133], v[136:137] op_sel:[1,1] op_sel_hi:[0,1]
	v_pk_fma_f32 v[140:141], v[132:133], v[136:137], v[138:139] op_sel_hi:[1,0,1]
	v_pk_fma_f32 v[132:133], v[132:133], v[136:137], v[138:139] neg_lo:[0,0,1] neg_hi:[0,0,1]
	s_delay_alu instid0(VALU_DEP_2)
	v_mov_b32_e32 v133, v141
	scratch_store_b64 off, v[132:133], off offset:248
.LBB63_940:
	s_wait_xcnt 0x0
	s_or_b32 exec_lo, exec_lo, s0
	scratch_load_b64 v[132:133], off, off offset:256
	s_mov_b32 s0, exec_lo
	s_wait_loadcnt 0x0
	ds_store_b64 v1, v[132:133]
	s_wait_storecnt_dscnt 0x0
	s_barrier_signal -1
	s_barrier_wait -1
	s_wait_xcnt 0x0
	v_cmpx_gt_u32_e32 32, v0
	s_cbranch_execz .LBB63_950
; %bb.941:
	v_cmp_ne_u32_e32 vcc_lo, 1, v134
	s_cbranch_vccnz .LBB63_943
; %bb.942:
	scratch_load_b64 v[132:133], v59, off
	ds_load_b64 v[136:137], v1
	s_wait_loadcnt_dscnt 0x0
	v_pk_mul_f32 v[138:139], v[136:137], v[132:133] op_sel:[1,1] op_sel_hi:[0,1]
	s_delay_alu instid0(VALU_DEP_1) | instskip(SKIP_1) | instid1(VALU_DEP_2)
	v_pk_fma_f32 v[140:141], v[136:137], v[132:133], v[138:139] op_sel_hi:[1,0,1]
	v_pk_fma_f32 v[132:133], v[136:137], v[132:133], v[138:139] neg_lo:[0,0,1] neg_hi:[0,0,1]
	v_mov_b32_e32 v133, v141
	s_cbranch_execz .LBB63_944
	s_branch .LBB63_945
.LBB63_943:
                                        ; implicit-def: $vgpr132_vgpr133
.LBB63_944:
	ds_load_b64 v[132:133], v1
.LBB63_945:
	s_mov_b32 s2, exec_lo
	v_cmpx_ne_u32_e32 31, v0
	s_cbranch_execz .LBB63_949
; %bb.946:
	v_add_nc_u32_e32 v135, 0x208, v58
	v_add3_u32 v136, 0, v58, 8
	v_mov_b32_e32 v137, v0
	s_mov_b32 s3, 0
.LBB63_947:                             ; =>This Inner Loop Header: Depth=1
	scratch_load_b64 v[138:139], v136, off
	ds_load_b64 v[140:141], v135
	s_wait_xcnt 0x0
	v_dual_add_nc_u32 v135, 8, v135 :: v_dual_add_nc_u32 v136, 8, v136
	s_wait_loadcnt_dscnt 0x0
	v_pk_mul_f32 v[142:143], v[140:141], v[138:139] op_sel:[1,1] op_sel_hi:[0,1]
	s_delay_alu instid0(VALU_DEP_1) | instskip(SKIP_2) | instid1(VALU_DEP_3)
	v_pk_fma_f32 v[144:145], v[140:141], v[138:139], v[142:143] op_sel_hi:[1,0,1]
	v_add_nc_u32_e32 v137, 1, v137
	v_pk_fma_f32 v[138:139], v[140:141], v[138:139], v[142:143] neg_lo:[0,0,1] neg_hi:[0,0,1]
	v_mov_b32_e32 v139, v145
	s_delay_alu instid0(VALU_DEP_3) | instskip(NEXT) | instid1(VALU_DEP_2)
	v_cmp_lt_u32_e32 vcc_lo, 30, v137
	v_pk_add_f32 v[132:133], v[132:133], v[138:139]
	s_or_b32 s3, vcc_lo, s3
	s_delay_alu instid0(SALU_CYCLE_1)
	s_and_not1_b32 exec_lo, exec_lo, s3
	s_cbranch_execnz .LBB63_947
; %bb.948:
	s_or_b32 exec_lo, exec_lo, s3
.LBB63_949:
	s_delay_alu instid0(SALU_CYCLE_1) | instskip(SKIP_4) | instid1(VALU_DEP_1)
	s_or_b32 exec_lo, exec_lo, s2
	v_mov_b32_e32 v135, 0
	ds_load_b64 v[136:137], v135 offset:256
	s_wait_dscnt 0x0
	v_pk_mul_f32 v[138:139], v[132:133], v[136:137] op_sel:[1,1] op_sel_hi:[0,1]
	v_pk_fma_f32 v[140:141], v[132:133], v[136:137], v[138:139] op_sel_hi:[1,0,1]
	v_pk_fma_f32 v[132:133], v[132:133], v[136:137], v[138:139] neg_lo:[0,0,1] neg_hi:[0,0,1]
	s_delay_alu instid0(VALU_DEP_2)
	v_mov_b32_e32 v133, v141
	scratch_store_b64 off, v[132:133], off offset:256
.LBB63_950:
	s_wait_xcnt 0x0
	s_or_b32 exec_lo, exec_lo, s0
	scratch_load_b64 v[132:133], off, off offset:264
	s_mov_b32 s0, exec_lo
	s_wait_loadcnt 0x0
	ds_store_b64 v1, v[132:133]
	s_wait_storecnt_dscnt 0x0
	s_barrier_signal -1
	s_barrier_wait -1
	s_wait_xcnt 0x0
	v_cmpx_gt_u32_e32 33, v0
	s_cbranch_execz .LBB63_960
; %bb.951:
	v_cmp_ne_u32_e32 vcc_lo, 1, v134
	s_cbranch_vccnz .LBB63_953
; %bb.952:
	scratch_load_b64 v[132:133], v59, off
	ds_load_b64 v[136:137], v1
	s_wait_loadcnt_dscnt 0x0
	v_pk_mul_f32 v[138:139], v[136:137], v[132:133] op_sel:[1,1] op_sel_hi:[0,1]
	s_delay_alu instid0(VALU_DEP_1) | instskip(SKIP_1) | instid1(VALU_DEP_2)
	v_pk_fma_f32 v[140:141], v[136:137], v[132:133], v[138:139] op_sel_hi:[1,0,1]
	v_pk_fma_f32 v[132:133], v[136:137], v[132:133], v[138:139] neg_lo:[0,0,1] neg_hi:[0,0,1]
	v_mov_b32_e32 v133, v141
	s_cbranch_execz .LBB63_954
	s_branch .LBB63_955
.LBB63_953:
                                        ; implicit-def: $vgpr132_vgpr133
.LBB63_954:
	ds_load_b64 v[132:133], v1
.LBB63_955:
	s_mov_b32 s2, exec_lo
	v_cmpx_ne_u32_e32 32, v0
	s_cbranch_execz .LBB63_959
; %bb.956:
	v_add_nc_u32_e32 v135, 0x208, v58
	v_add3_u32 v136, 0, v58, 8
	v_mov_b32_e32 v137, v0
	s_mov_b32 s3, 0
.LBB63_957:                             ; =>This Inner Loop Header: Depth=1
	scratch_load_b64 v[138:139], v136, off
	ds_load_b64 v[140:141], v135
	s_wait_xcnt 0x0
	v_dual_add_nc_u32 v135, 8, v135 :: v_dual_add_nc_u32 v136, 8, v136
	s_wait_loadcnt_dscnt 0x0
	v_pk_mul_f32 v[142:143], v[140:141], v[138:139] op_sel:[1,1] op_sel_hi:[0,1]
	s_delay_alu instid0(VALU_DEP_1) | instskip(SKIP_2) | instid1(VALU_DEP_3)
	v_pk_fma_f32 v[144:145], v[140:141], v[138:139], v[142:143] op_sel_hi:[1,0,1]
	v_add_nc_u32_e32 v137, 1, v137
	v_pk_fma_f32 v[138:139], v[140:141], v[138:139], v[142:143] neg_lo:[0,0,1] neg_hi:[0,0,1]
	v_mov_b32_e32 v139, v145
	s_delay_alu instid0(VALU_DEP_3) | instskip(NEXT) | instid1(VALU_DEP_2)
	v_cmp_lt_u32_e32 vcc_lo, 31, v137
	v_pk_add_f32 v[132:133], v[132:133], v[138:139]
	s_or_b32 s3, vcc_lo, s3
	s_delay_alu instid0(SALU_CYCLE_1)
	s_and_not1_b32 exec_lo, exec_lo, s3
	s_cbranch_execnz .LBB63_957
; %bb.958:
	s_or_b32 exec_lo, exec_lo, s3
.LBB63_959:
	s_delay_alu instid0(SALU_CYCLE_1) | instskip(SKIP_4) | instid1(VALU_DEP_1)
	s_or_b32 exec_lo, exec_lo, s2
	v_mov_b32_e32 v135, 0
	ds_load_b64 v[136:137], v135 offset:264
	s_wait_dscnt 0x0
	v_pk_mul_f32 v[138:139], v[132:133], v[136:137] op_sel:[1,1] op_sel_hi:[0,1]
	v_pk_fma_f32 v[140:141], v[132:133], v[136:137], v[138:139] op_sel_hi:[1,0,1]
	v_pk_fma_f32 v[132:133], v[132:133], v[136:137], v[138:139] neg_lo:[0,0,1] neg_hi:[0,0,1]
	s_delay_alu instid0(VALU_DEP_2)
	v_mov_b32_e32 v133, v141
	scratch_store_b64 off, v[132:133], off offset:264
.LBB63_960:
	s_wait_xcnt 0x0
	s_or_b32 exec_lo, exec_lo, s0
	scratch_load_b64 v[132:133], off, off offset:272
	s_mov_b32 s0, exec_lo
	s_wait_loadcnt 0x0
	ds_store_b64 v1, v[132:133]
	s_wait_storecnt_dscnt 0x0
	s_barrier_signal -1
	s_barrier_wait -1
	s_wait_xcnt 0x0
	v_cmpx_gt_u32_e32 34, v0
	s_cbranch_execz .LBB63_970
; %bb.961:
	v_cmp_ne_u32_e32 vcc_lo, 1, v134
	s_cbranch_vccnz .LBB63_963
; %bb.962:
	scratch_load_b64 v[132:133], v59, off
	ds_load_b64 v[136:137], v1
	s_wait_loadcnt_dscnt 0x0
	v_pk_mul_f32 v[138:139], v[136:137], v[132:133] op_sel:[1,1] op_sel_hi:[0,1]
	s_delay_alu instid0(VALU_DEP_1) | instskip(SKIP_1) | instid1(VALU_DEP_2)
	v_pk_fma_f32 v[140:141], v[136:137], v[132:133], v[138:139] op_sel_hi:[1,0,1]
	v_pk_fma_f32 v[132:133], v[136:137], v[132:133], v[138:139] neg_lo:[0,0,1] neg_hi:[0,0,1]
	v_mov_b32_e32 v133, v141
	s_cbranch_execz .LBB63_964
	s_branch .LBB63_965
.LBB63_963:
                                        ; implicit-def: $vgpr132_vgpr133
.LBB63_964:
	ds_load_b64 v[132:133], v1
.LBB63_965:
	s_mov_b32 s2, exec_lo
	v_cmpx_ne_u32_e32 33, v0
	s_cbranch_execz .LBB63_969
; %bb.966:
	v_add_nc_u32_e32 v135, 0x208, v58
	v_add3_u32 v136, 0, v58, 8
	v_mov_b32_e32 v137, v0
	s_mov_b32 s3, 0
.LBB63_967:                             ; =>This Inner Loop Header: Depth=1
	scratch_load_b64 v[138:139], v136, off
	ds_load_b64 v[140:141], v135
	s_wait_xcnt 0x0
	v_dual_add_nc_u32 v135, 8, v135 :: v_dual_add_nc_u32 v136, 8, v136
	s_wait_loadcnt_dscnt 0x0
	v_pk_mul_f32 v[142:143], v[140:141], v[138:139] op_sel:[1,1] op_sel_hi:[0,1]
	s_delay_alu instid0(VALU_DEP_1) | instskip(SKIP_2) | instid1(VALU_DEP_3)
	v_pk_fma_f32 v[144:145], v[140:141], v[138:139], v[142:143] op_sel_hi:[1,0,1]
	v_add_nc_u32_e32 v137, 1, v137
	v_pk_fma_f32 v[138:139], v[140:141], v[138:139], v[142:143] neg_lo:[0,0,1] neg_hi:[0,0,1]
	v_mov_b32_e32 v139, v145
	s_delay_alu instid0(VALU_DEP_3) | instskip(NEXT) | instid1(VALU_DEP_2)
	v_cmp_lt_u32_e32 vcc_lo, 32, v137
	v_pk_add_f32 v[132:133], v[132:133], v[138:139]
	s_or_b32 s3, vcc_lo, s3
	s_delay_alu instid0(SALU_CYCLE_1)
	s_and_not1_b32 exec_lo, exec_lo, s3
	s_cbranch_execnz .LBB63_967
; %bb.968:
	s_or_b32 exec_lo, exec_lo, s3
.LBB63_969:
	s_delay_alu instid0(SALU_CYCLE_1) | instskip(SKIP_4) | instid1(VALU_DEP_1)
	s_or_b32 exec_lo, exec_lo, s2
	v_mov_b32_e32 v135, 0
	ds_load_b64 v[136:137], v135 offset:272
	s_wait_dscnt 0x0
	v_pk_mul_f32 v[138:139], v[132:133], v[136:137] op_sel:[1,1] op_sel_hi:[0,1]
	v_pk_fma_f32 v[140:141], v[132:133], v[136:137], v[138:139] op_sel_hi:[1,0,1]
	v_pk_fma_f32 v[132:133], v[132:133], v[136:137], v[138:139] neg_lo:[0,0,1] neg_hi:[0,0,1]
	s_delay_alu instid0(VALU_DEP_2)
	v_mov_b32_e32 v133, v141
	scratch_store_b64 off, v[132:133], off offset:272
.LBB63_970:
	s_wait_xcnt 0x0
	s_or_b32 exec_lo, exec_lo, s0
	scratch_load_b64 v[132:133], off, off offset:280
	s_mov_b32 s0, exec_lo
	s_wait_loadcnt 0x0
	ds_store_b64 v1, v[132:133]
	s_wait_storecnt_dscnt 0x0
	s_barrier_signal -1
	s_barrier_wait -1
	s_wait_xcnt 0x0
	v_cmpx_gt_u32_e32 35, v0
	s_cbranch_execz .LBB63_980
; %bb.971:
	v_cmp_ne_u32_e32 vcc_lo, 1, v134
	s_cbranch_vccnz .LBB63_973
; %bb.972:
	scratch_load_b64 v[132:133], v59, off
	ds_load_b64 v[136:137], v1
	s_wait_loadcnt_dscnt 0x0
	v_pk_mul_f32 v[138:139], v[136:137], v[132:133] op_sel:[1,1] op_sel_hi:[0,1]
	s_delay_alu instid0(VALU_DEP_1) | instskip(SKIP_1) | instid1(VALU_DEP_2)
	v_pk_fma_f32 v[140:141], v[136:137], v[132:133], v[138:139] op_sel_hi:[1,0,1]
	v_pk_fma_f32 v[132:133], v[136:137], v[132:133], v[138:139] neg_lo:[0,0,1] neg_hi:[0,0,1]
	v_mov_b32_e32 v133, v141
	s_cbranch_execz .LBB63_974
	s_branch .LBB63_975
.LBB63_973:
                                        ; implicit-def: $vgpr132_vgpr133
.LBB63_974:
	ds_load_b64 v[132:133], v1
.LBB63_975:
	s_mov_b32 s2, exec_lo
	v_cmpx_ne_u32_e32 34, v0
	s_cbranch_execz .LBB63_979
; %bb.976:
	v_add_nc_u32_e32 v135, 0x208, v58
	v_add3_u32 v136, 0, v58, 8
	v_mov_b32_e32 v137, v0
	s_mov_b32 s3, 0
.LBB63_977:                             ; =>This Inner Loop Header: Depth=1
	scratch_load_b64 v[138:139], v136, off
	ds_load_b64 v[140:141], v135
	s_wait_xcnt 0x0
	v_dual_add_nc_u32 v135, 8, v135 :: v_dual_add_nc_u32 v136, 8, v136
	s_wait_loadcnt_dscnt 0x0
	v_pk_mul_f32 v[142:143], v[140:141], v[138:139] op_sel:[1,1] op_sel_hi:[0,1]
	s_delay_alu instid0(VALU_DEP_1) | instskip(SKIP_2) | instid1(VALU_DEP_3)
	v_pk_fma_f32 v[144:145], v[140:141], v[138:139], v[142:143] op_sel_hi:[1,0,1]
	v_add_nc_u32_e32 v137, 1, v137
	v_pk_fma_f32 v[138:139], v[140:141], v[138:139], v[142:143] neg_lo:[0,0,1] neg_hi:[0,0,1]
	v_mov_b32_e32 v139, v145
	s_delay_alu instid0(VALU_DEP_3) | instskip(NEXT) | instid1(VALU_DEP_2)
	v_cmp_lt_u32_e32 vcc_lo, 33, v137
	v_pk_add_f32 v[132:133], v[132:133], v[138:139]
	s_or_b32 s3, vcc_lo, s3
	s_delay_alu instid0(SALU_CYCLE_1)
	s_and_not1_b32 exec_lo, exec_lo, s3
	s_cbranch_execnz .LBB63_977
; %bb.978:
	s_or_b32 exec_lo, exec_lo, s3
.LBB63_979:
	s_delay_alu instid0(SALU_CYCLE_1) | instskip(SKIP_4) | instid1(VALU_DEP_1)
	s_or_b32 exec_lo, exec_lo, s2
	v_mov_b32_e32 v135, 0
	ds_load_b64 v[136:137], v135 offset:280
	s_wait_dscnt 0x0
	v_pk_mul_f32 v[138:139], v[132:133], v[136:137] op_sel:[1,1] op_sel_hi:[0,1]
	v_pk_fma_f32 v[140:141], v[132:133], v[136:137], v[138:139] op_sel_hi:[1,0,1]
	v_pk_fma_f32 v[132:133], v[132:133], v[136:137], v[138:139] neg_lo:[0,0,1] neg_hi:[0,0,1]
	s_delay_alu instid0(VALU_DEP_2)
	v_mov_b32_e32 v133, v141
	scratch_store_b64 off, v[132:133], off offset:280
.LBB63_980:
	s_wait_xcnt 0x0
	s_or_b32 exec_lo, exec_lo, s0
	scratch_load_b64 v[132:133], off, off offset:288
	s_mov_b32 s0, exec_lo
	s_wait_loadcnt 0x0
	ds_store_b64 v1, v[132:133]
	s_wait_storecnt_dscnt 0x0
	s_barrier_signal -1
	s_barrier_wait -1
	s_wait_xcnt 0x0
	v_cmpx_gt_u32_e32 36, v0
	s_cbranch_execz .LBB63_990
; %bb.981:
	v_cmp_ne_u32_e32 vcc_lo, 1, v134
	s_cbranch_vccnz .LBB63_983
; %bb.982:
	scratch_load_b64 v[132:133], v59, off
	ds_load_b64 v[136:137], v1
	s_wait_loadcnt_dscnt 0x0
	v_pk_mul_f32 v[138:139], v[136:137], v[132:133] op_sel:[1,1] op_sel_hi:[0,1]
	s_delay_alu instid0(VALU_DEP_1) | instskip(SKIP_1) | instid1(VALU_DEP_2)
	v_pk_fma_f32 v[140:141], v[136:137], v[132:133], v[138:139] op_sel_hi:[1,0,1]
	v_pk_fma_f32 v[132:133], v[136:137], v[132:133], v[138:139] neg_lo:[0,0,1] neg_hi:[0,0,1]
	v_mov_b32_e32 v133, v141
	s_cbranch_execz .LBB63_984
	s_branch .LBB63_985
.LBB63_983:
                                        ; implicit-def: $vgpr132_vgpr133
.LBB63_984:
	ds_load_b64 v[132:133], v1
.LBB63_985:
	s_mov_b32 s2, exec_lo
	v_cmpx_ne_u32_e32 35, v0
	s_cbranch_execz .LBB63_989
; %bb.986:
	v_add_nc_u32_e32 v135, 0x208, v58
	v_add3_u32 v136, 0, v58, 8
	v_mov_b32_e32 v137, v0
	s_mov_b32 s3, 0
.LBB63_987:                             ; =>This Inner Loop Header: Depth=1
	scratch_load_b64 v[138:139], v136, off
	ds_load_b64 v[140:141], v135
	s_wait_xcnt 0x0
	v_dual_add_nc_u32 v135, 8, v135 :: v_dual_add_nc_u32 v136, 8, v136
	s_wait_loadcnt_dscnt 0x0
	v_pk_mul_f32 v[142:143], v[140:141], v[138:139] op_sel:[1,1] op_sel_hi:[0,1]
	s_delay_alu instid0(VALU_DEP_1) | instskip(SKIP_2) | instid1(VALU_DEP_3)
	v_pk_fma_f32 v[144:145], v[140:141], v[138:139], v[142:143] op_sel_hi:[1,0,1]
	v_add_nc_u32_e32 v137, 1, v137
	v_pk_fma_f32 v[138:139], v[140:141], v[138:139], v[142:143] neg_lo:[0,0,1] neg_hi:[0,0,1]
	v_mov_b32_e32 v139, v145
	s_delay_alu instid0(VALU_DEP_3) | instskip(NEXT) | instid1(VALU_DEP_2)
	v_cmp_lt_u32_e32 vcc_lo, 34, v137
	v_pk_add_f32 v[132:133], v[132:133], v[138:139]
	s_or_b32 s3, vcc_lo, s3
	s_delay_alu instid0(SALU_CYCLE_1)
	s_and_not1_b32 exec_lo, exec_lo, s3
	s_cbranch_execnz .LBB63_987
; %bb.988:
	s_or_b32 exec_lo, exec_lo, s3
.LBB63_989:
	s_delay_alu instid0(SALU_CYCLE_1) | instskip(SKIP_4) | instid1(VALU_DEP_1)
	s_or_b32 exec_lo, exec_lo, s2
	v_mov_b32_e32 v135, 0
	ds_load_b64 v[136:137], v135 offset:288
	s_wait_dscnt 0x0
	v_pk_mul_f32 v[138:139], v[132:133], v[136:137] op_sel:[1,1] op_sel_hi:[0,1]
	v_pk_fma_f32 v[140:141], v[132:133], v[136:137], v[138:139] op_sel_hi:[1,0,1]
	v_pk_fma_f32 v[132:133], v[132:133], v[136:137], v[138:139] neg_lo:[0,0,1] neg_hi:[0,0,1]
	s_delay_alu instid0(VALU_DEP_2)
	v_mov_b32_e32 v133, v141
	scratch_store_b64 off, v[132:133], off offset:288
.LBB63_990:
	s_wait_xcnt 0x0
	s_or_b32 exec_lo, exec_lo, s0
	scratch_load_b64 v[132:133], off, off offset:296
	s_mov_b32 s0, exec_lo
	s_wait_loadcnt 0x0
	ds_store_b64 v1, v[132:133]
	s_wait_storecnt_dscnt 0x0
	s_barrier_signal -1
	s_barrier_wait -1
	s_wait_xcnt 0x0
	v_cmpx_gt_u32_e32 37, v0
	s_cbranch_execz .LBB63_1000
; %bb.991:
	v_cmp_ne_u32_e32 vcc_lo, 1, v134
	s_cbranch_vccnz .LBB63_993
; %bb.992:
	scratch_load_b64 v[132:133], v59, off
	ds_load_b64 v[136:137], v1
	s_wait_loadcnt_dscnt 0x0
	v_pk_mul_f32 v[138:139], v[136:137], v[132:133] op_sel:[1,1] op_sel_hi:[0,1]
	s_delay_alu instid0(VALU_DEP_1) | instskip(SKIP_1) | instid1(VALU_DEP_2)
	v_pk_fma_f32 v[140:141], v[136:137], v[132:133], v[138:139] op_sel_hi:[1,0,1]
	v_pk_fma_f32 v[132:133], v[136:137], v[132:133], v[138:139] neg_lo:[0,0,1] neg_hi:[0,0,1]
	v_mov_b32_e32 v133, v141
	s_cbranch_execz .LBB63_994
	s_branch .LBB63_995
.LBB63_993:
                                        ; implicit-def: $vgpr132_vgpr133
.LBB63_994:
	ds_load_b64 v[132:133], v1
.LBB63_995:
	s_mov_b32 s2, exec_lo
	v_cmpx_ne_u32_e32 36, v0
	s_cbranch_execz .LBB63_999
; %bb.996:
	v_add_nc_u32_e32 v135, 0x208, v58
	v_add3_u32 v136, 0, v58, 8
	v_mov_b32_e32 v137, v0
	s_mov_b32 s3, 0
.LBB63_997:                             ; =>This Inner Loop Header: Depth=1
	scratch_load_b64 v[138:139], v136, off
	ds_load_b64 v[140:141], v135
	s_wait_xcnt 0x0
	v_dual_add_nc_u32 v135, 8, v135 :: v_dual_add_nc_u32 v136, 8, v136
	s_wait_loadcnt_dscnt 0x0
	v_pk_mul_f32 v[142:143], v[140:141], v[138:139] op_sel:[1,1] op_sel_hi:[0,1]
	s_delay_alu instid0(VALU_DEP_1) | instskip(SKIP_2) | instid1(VALU_DEP_3)
	v_pk_fma_f32 v[144:145], v[140:141], v[138:139], v[142:143] op_sel_hi:[1,0,1]
	v_add_nc_u32_e32 v137, 1, v137
	v_pk_fma_f32 v[138:139], v[140:141], v[138:139], v[142:143] neg_lo:[0,0,1] neg_hi:[0,0,1]
	v_mov_b32_e32 v139, v145
	s_delay_alu instid0(VALU_DEP_3) | instskip(NEXT) | instid1(VALU_DEP_2)
	v_cmp_lt_u32_e32 vcc_lo, 35, v137
	v_pk_add_f32 v[132:133], v[132:133], v[138:139]
	s_or_b32 s3, vcc_lo, s3
	s_delay_alu instid0(SALU_CYCLE_1)
	s_and_not1_b32 exec_lo, exec_lo, s3
	s_cbranch_execnz .LBB63_997
; %bb.998:
	s_or_b32 exec_lo, exec_lo, s3
.LBB63_999:
	s_delay_alu instid0(SALU_CYCLE_1) | instskip(SKIP_4) | instid1(VALU_DEP_1)
	s_or_b32 exec_lo, exec_lo, s2
	v_mov_b32_e32 v135, 0
	ds_load_b64 v[136:137], v135 offset:296
	s_wait_dscnt 0x0
	v_pk_mul_f32 v[138:139], v[132:133], v[136:137] op_sel:[1,1] op_sel_hi:[0,1]
	v_pk_fma_f32 v[140:141], v[132:133], v[136:137], v[138:139] op_sel_hi:[1,0,1]
	v_pk_fma_f32 v[132:133], v[132:133], v[136:137], v[138:139] neg_lo:[0,0,1] neg_hi:[0,0,1]
	s_delay_alu instid0(VALU_DEP_2)
	v_mov_b32_e32 v133, v141
	scratch_store_b64 off, v[132:133], off offset:296
.LBB63_1000:
	s_wait_xcnt 0x0
	s_or_b32 exec_lo, exec_lo, s0
	scratch_load_b64 v[132:133], off, off offset:304
	s_mov_b32 s0, exec_lo
	s_wait_loadcnt 0x0
	ds_store_b64 v1, v[132:133]
	s_wait_storecnt_dscnt 0x0
	s_barrier_signal -1
	s_barrier_wait -1
	s_wait_xcnt 0x0
	v_cmpx_gt_u32_e32 38, v0
	s_cbranch_execz .LBB63_1010
; %bb.1001:
	v_cmp_ne_u32_e32 vcc_lo, 1, v134
	s_cbranch_vccnz .LBB63_1003
; %bb.1002:
	scratch_load_b64 v[132:133], v59, off
	ds_load_b64 v[136:137], v1
	s_wait_loadcnt_dscnt 0x0
	v_pk_mul_f32 v[138:139], v[136:137], v[132:133] op_sel:[1,1] op_sel_hi:[0,1]
	s_delay_alu instid0(VALU_DEP_1) | instskip(SKIP_1) | instid1(VALU_DEP_2)
	v_pk_fma_f32 v[140:141], v[136:137], v[132:133], v[138:139] op_sel_hi:[1,0,1]
	v_pk_fma_f32 v[132:133], v[136:137], v[132:133], v[138:139] neg_lo:[0,0,1] neg_hi:[0,0,1]
	v_mov_b32_e32 v133, v141
	s_cbranch_execz .LBB63_1004
	s_branch .LBB63_1005
.LBB63_1003:
                                        ; implicit-def: $vgpr132_vgpr133
.LBB63_1004:
	ds_load_b64 v[132:133], v1
.LBB63_1005:
	s_mov_b32 s2, exec_lo
	v_cmpx_ne_u32_e32 37, v0
	s_cbranch_execz .LBB63_1009
; %bb.1006:
	v_add_nc_u32_e32 v135, 0x208, v58
	v_add3_u32 v136, 0, v58, 8
	v_mov_b32_e32 v137, v0
	s_mov_b32 s3, 0
.LBB63_1007:                            ; =>This Inner Loop Header: Depth=1
	scratch_load_b64 v[138:139], v136, off
	ds_load_b64 v[140:141], v135
	s_wait_xcnt 0x0
	v_dual_add_nc_u32 v135, 8, v135 :: v_dual_add_nc_u32 v136, 8, v136
	s_wait_loadcnt_dscnt 0x0
	v_pk_mul_f32 v[142:143], v[140:141], v[138:139] op_sel:[1,1] op_sel_hi:[0,1]
	s_delay_alu instid0(VALU_DEP_1) | instskip(SKIP_2) | instid1(VALU_DEP_3)
	v_pk_fma_f32 v[144:145], v[140:141], v[138:139], v[142:143] op_sel_hi:[1,0,1]
	v_add_nc_u32_e32 v137, 1, v137
	v_pk_fma_f32 v[138:139], v[140:141], v[138:139], v[142:143] neg_lo:[0,0,1] neg_hi:[0,0,1]
	v_mov_b32_e32 v139, v145
	s_delay_alu instid0(VALU_DEP_3) | instskip(NEXT) | instid1(VALU_DEP_2)
	v_cmp_lt_u32_e32 vcc_lo, 36, v137
	v_pk_add_f32 v[132:133], v[132:133], v[138:139]
	s_or_b32 s3, vcc_lo, s3
	s_delay_alu instid0(SALU_CYCLE_1)
	s_and_not1_b32 exec_lo, exec_lo, s3
	s_cbranch_execnz .LBB63_1007
; %bb.1008:
	s_or_b32 exec_lo, exec_lo, s3
.LBB63_1009:
	s_delay_alu instid0(SALU_CYCLE_1) | instskip(SKIP_4) | instid1(VALU_DEP_1)
	s_or_b32 exec_lo, exec_lo, s2
	v_mov_b32_e32 v135, 0
	ds_load_b64 v[136:137], v135 offset:304
	s_wait_dscnt 0x0
	v_pk_mul_f32 v[138:139], v[132:133], v[136:137] op_sel:[1,1] op_sel_hi:[0,1]
	v_pk_fma_f32 v[140:141], v[132:133], v[136:137], v[138:139] op_sel_hi:[1,0,1]
	v_pk_fma_f32 v[132:133], v[132:133], v[136:137], v[138:139] neg_lo:[0,0,1] neg_hi:[0,0,1]
	s_delay_alu instid0(VALU_DEP_2)
	v_mov_b32_e32 v133, v141
	scratch_store_b64 off, v[132:133], off offset:304
.LBB63_1010:
	s_wait_xcnt 0x0
	s_or_b32 exec_lo, exec_lo, s0
	scratch_load_b64 v[132:133], off, off offset:312
	s_mov_b32 s0, exec_lo
	s_wait_loadcnt 0x0
	ds_store_b64 v1, v[132:133]
	s_wait_storecnt_dscnt 0x0
	s_barrier_signal -1
	s_barrier_wait -1
	s_wait_xcnt 0x0
	v_cmpx_gt_u32_e32 39, v0
	s_cbranch_execz .LBB63_1020
; %bb.1011:
	v_cmp_ne_u32_e32 vcc_lo, 1, v134
	s_cbranch_vccnz .LBB63_1013
; %bb.1012:
	scratch_load_b64 v[132:133], v59, off
	ds_load_b64 v[136:137], v1
	s_wait_loadcnt_dscnt 0x0
	v_pk_mul_f32 v[138:139], v[136:137], v[132:133] op_sel:[1,1] op_sel_hi:[0,1]
	s_delay_alu instid0(VALU_DEP_1) | instskip(SKIP_1) | instid1(VALU_DEP_2)
	v_pk_fma_f32 v[140:141], v[136:137], v[132:133], v[138:139] op_sel_hi:[1,0,1]
	v_pk_fma_f32 v[132:133], v[136:137], v[132:133], v[138:139] neg_lo:[0,0,1] neg_hi:[0,0,1]
	v_mov_b32_e32 v133, v141
	s_cbranch_execz .LBB63_1014
	s_branch .LBB63_1015
.LBB63_1013:
                                        ; implicit-def: $vgpr132_vgpr133
.LBB63_1014:
	ds_load_b64 v[132:133], v1
.LBB63_1015:
	s_mov_b32 s2, exec_lo
	v_cmpx_ne_u32_e32 38, v0
	s_cbranch_execz .LBB63_1019
; %bb.1016:
	v_add_nc_u32_e32 v135, 0x208, v58
	v_add3_u32 v136, 0, v58, 8
	v_mov_b32_e32 v137, v0
	s_mov_b32 s3, 0
.LBB63_1017:                            ; =>This Inner Loop Header: Depth=1
	scratch_load_b64 v[138:139], v136, off
	ds_load_b64 v[140:141], v135
	s_wait_xcnt 0x0
	v_dual_add_nc_u32 v135, 8, v135 :: v_dual_add_nc_u32 v136, 8, v136
	s_wait_loadcnt_dscnt 0x0
	v_pk_mul_f32 v[142:143], v[140:141], v[138:139] op_sel:[1,1] op_sel_hi:[0,1]
	s_delay_alu instid0(VALU_DEP_1) | instskip(SKIP_2) | instid1(VALU_DEP_3)
	v_pk_fma_f32 v[144:145], v[140:141], v[138:139], v[142:143] op_sel_hi:[1,0,1]
	v_add_nc_u32_e32 v137, 1, v137
	v_pk_fma_f32 v[138:139], v[140:141], v[138:139], v[142:143] neg_lo:[0,0,1] neg_hi:[0,0,1]
	v_mov_b32_e32 v139, v145
	s_delay_alu instid0(VALU_DEP_3) | instskip(NEXT) | instid1(VALU_DEP_2)
	v_cmp_lt_u32_e32 vcc_lo, 37, v137
	v_pk_add_f32 v[132:133], v[132:133], v[138:139]
	s_or_b32 s3, vcc_lo, s3
	s_delay_alu instid0(SALU_CYCLE_1)
	s_and_not1_b32 exec_lo, exec_lo, s3
	s_cbranch_execnz .LBB63_1017
; %bb.1018:
	s_or_b32 exec_lo, exec_lo, s3
.LBB63_1019:
	s_delay_alu instid0(SALU_CYCLE_1) | instskip(SKIP_4) | instid1(VALU_DEP_1)
	s_or_b32 exec_lo, exec_lo, s2
	v_mov_b32_e32 v135, 0
	ds_load_b64 v[136:137], v135 offset:312
	s_wait_dscnt 0x0
	v_pk_mul_f32 v[138:139], v[132:133], v[136:137] op_sel:[1,1] op_sel_hi:[0,1]
	v_pk_fma_f32 v[140:141], v[132:133], v[136:137], v[138:139] op_sel_hi:[1,0,1]
	v_pk_fma_f32 v[132:133], v[132:133], v[136:137], v[138:139] neg_lo:[0,0,1] neg_hi:[0,0,1]
	s_delay_alu instid0(VALU_DEP_2)
	v_mov_b32_e32 v133, v141
	scratch_store_b64 off, v[132:133], off offset:312
.LBB63_1020:
	s_wait_xcnt 0x0
	s_or_b32 exec_lo, exec_lo, s0
	scratch_load_b64 v[132:133], off, off offset:320
	s_mov_b32 s0, exec_lo
	s_wait_loadcnt 0x0
	ds_store_b64 v1, v[132:133]
	s_wait_storecnt_dscnt 0x0
	s_barrier_signal -1
	s_barrier_wait -1
	s_wait_xcnt 0x0
	v_cmpx_gt_u32_e32 40, v0
	s_cbranch_execz .LBB63_1030
; %bb.1021:
	v_cmp_ne_u32_e32 vcc_lo, 1, v134
	s_cbranch_vccnz .LBB63_1023
; %bb.1022:
	scratch_load_b64 v[132:133], v59, off
	ds_load_b64 v[136:137], v1
	s_wait_loadcnt_dscnt 0x0
	v_pk_mul_f32 v[138:139], v[136:137], v[132:133] op_sel:[1,1] op_sel_hi:[0,1]
	s_delay_alu instid0(VALU_DEP_1) | instskip(SKIP_1) | instid1(VALU_DEP_2)
	v_pk_fma_f32 v[140:141], v[136:137], v[132:133], v[138:139] op_sel_hi:[1,0,1]
	v_pk_fma_f32 v[132:133], v[136:137], v[132:133], v[138:139] neg_lo:[0,0,1] neg_hi:[0,0,1]
	v_mov_b32_e32 v133, v141
	s_cbranch_execz .LBB63_1024
	s_branch .LBB63_1025
.LBB63_1023:
                                        ; implicit-def: $vgpr132_vgpr133
.LBB63_1024:
	ds_load_b64 v[132:133], v1
.LBB63_1025:
	s_mov_b32 s2, exec_lo
	v_cmpx_ne_u32_e32 39, v0
	s_cbranch_execz .LBB63_1029
; %bb.1026:
	v_add_nc_u32_e32 v135, 0x208, v58
	v_add3_u32 v136, 0, v58, 8
	v_mov_b32_e32 v137, v0
	s_mov_b32 s3, 0
.LBB63_1027:                            ; =>This Inner Loop Header: Depth=1
	scratch_load_b64 v[138:139], v136, off
	ds_load_b64 v[140:141], v135
	s_wait_xcnt 0x0
	v_dual_add_nc_u32 v135, 8, v135 :: v_dual_add_nc_u32 v136, 8, v136
	s_wait_loadcnt_dscnt 0x0
	v_pk_mul_f32 v[142:143], v[140:141], v[138:139] op_sel:[1,1] op_sel_hi:[0,1]
	s_delay_alu instid0(VALU_DEP_1) | instskip(SKIP_2) | instid1(VALU_DEP_3)
	v_pk_fma_f32 v[144:145], v[140:141], v[138:139], v[142:143] op_sel_hi:[1,0,1]
	v_add_nc_u32_e32 v137, 1, v137
	v_pk_fma_f32 v[138:139], v[140:141], v[138:139], v[142:143] neg_lo:[0,0,1] neg_hi:[0,0,1]
	v_mov_b32_e32 v139, v145
	s_delay_alu instid0(VALU_DEP_3) | instskip(NEXT) | instid1(VALU_DEP_2)
	v_cmp_lt_u32_e32 vcc_lo, 38, v137
	v_pk_add_f32 v[132:133], v[132:133], v[138:139]
	s_or_b32 s3, vcc_lo, s3
	s_delay_alu instid0(SALU_CYCLE_1)
	s_and_not1_b32 exec_lo, exec_lo, s3
	s_cbranch_execnz .LBB63_1027
; %bb.1028:
	s_or_b32 exec_lo, exec_lo, s3
.LBB63_1029:
	s_delay_alu instid0(SALU_CYCLE_1) | instskip(SKIP_4) | instid1(VALU_DEP_1)
	s_or_b32 exec_lo, exec_lo, s2
	v_mov_b32_e32 v135, 0
	ds_load_b64 v[136:137], v135 offset:320
	s_wait_dscnt 0x0
	v_pk_mul_f32 v[138:139], v[132:133], v[136:137] op_sel:[1,1] op_sel_hi:[0,1]
	v_pk_fma_f32 v[140:141], v[132:133], v[136:137], v[138:139] op_sel_hi:[1,0,1]
	v_pk_fma_f32 v[132:133], v[132:133], v[136:137], v[138:139] neg_lo:[0,0,1] neg_hi:[0,0,1]
	s_delay_alu instid0(VALU_DEP_2)
	v_mov_b32_e32 v133, v141
	scratch_store_b64 off, v[132:133], off offset:320
.LBB63_1030:
	s_wait_xcnt 0x0
	s_or_b32 exec_lo, exec_lo, s0
	scratch_load_b64 v[132:133], off, off offset:328
	s_mov_b32 s0, exec_lo
	s_wait_loadcnt 0x0
	ds_store_b64 v1, v[132:133]
	s_wait_storecnt_dscnt 0x0
	s_barrier_signal -1
	s_barrier_wait -1
	s_wait_xcnt 0x0
	v_cmpx_gt_u32_e32 41, v0
	s_cbranch_execz .LBB63_1040
; %bb.1031:
	v_cmp_ne_u32_e32 vcc_lo, 1, v134
	s_cbranch_vccnz .LBB63_1033
; %bb.1032:
	scratch_load_b64 v[132:133], v59, off
	ds_load_b64 v[136:137], v1
	s_wait_loadcnt_dscnt 0x0
	v_pk_mul_f32 v[138:139], v[136:137], v[132:133] op_sel:[1,1] op_sel_hi:[0,1]
	s_delay_alu instid0(VALU_DEP_1) | instskip(SKIP_1) | instid1(VALU_DEP_2)
	v_pk_fma_f32 v[140:141], v[136:137], v[132:133], v[138:139] op_sel_hi:[1,0,1]
	v_pk_fma_f32 v[132:133], v[136:137], v[132:133], v[138:139] neg_lo:[0,0,1] neg_hi:[0,0,1]
	v_mov_b32_e32 v133, v141
	s_cbranch_execz .LBB63_1034
	s_branch .LBB63_1035
.LBB63_1033:
                                        ; implicit-def: $vgpr132_vgpr133
.LBB63_1034:
	ds_load_b64 v[132:133], v1
.LBB63_1035:
	s_mov_b32 s2, exec_lo
	v_cmpx_ne_u32_e32 40, v0
	s_cbranch_execz .LBB63_1039
; %bb.1036:
	v_add_nc_u32_e32 v135, 0x208, v58
	v_add3_u32 v136, 0, v58, 8
	v_mov_b32_e32 v137, v0
	s_mov_b32 s3, 0
.LBB63_1037:                            ; =>This Inner Loop Header: Depth=1
	scratch_load_b64 v[138:139], v136, off
	ds_load_b64 v[140:141], v135
	s_wait_xcnt 0x0
	v_dual_add_nc_u32 v135, 8, v135 :: v_dual_add_nc_u32 v136, 8, v136
	s_wait_loadcnt_dscnt 0x0
	v_pk_mul_f32 v[142:143], v[140:141], v[138:139] op_sel:[1,1] op_sel_hi:[0,1]
	s_delay_alu instid0(VALU_DEP_1) | instskip(SKIP_2) | instid1(VALU_DEP_3)
	v_pk_fma_f32 v[144:145], v[140:141], v[138:139], v[142:143] op_sel_hi:[1,0,1]
	v_add_nc_u32_e32 v137, 1, v137
	v_pk_fma_f32 v[138:139], v[140:141], v[138:139], v[142:143] neg_lo:[0,0,1] neg_hi:[0,0,1]
	v_mov_b32_e32 v139, v145
	s_delay_alu instid0(VALU_DEP_3) | instskip(NEXT) | instid1(VALU_DEP_2)
	v_cmp_lt_u32_e32 vcc_lo, 39, v137
	v_pk_add_f32 v[132:133], v[132:133], v[138:139]
	s_or_b32 s3, vcc_lo, s3
	s_delay_alu instid0(SALU_CYCLE_1)
	s_and_not1_b32 exec_lo, exec_lo, s3
	s_cbranch_execnz .LBB63_1037
; %bb.1038:
	s_or_b32 exec_lo, exec_lo, s3
.LBB63_1039:
	s_delay_alu instid0(SALU_CYCLE_1) | instskip(SKIP_4) | instid1(VALU_DEP_1)
	s_or_b32 exec_lo, exec_lo, s2
	v_mov_b32_e32 v135, 0
	ds_load_b64 v[136:137], v135 offset:328
	s_wait_dscnt 0x0
	v_pk_mul_f32 v[138:139], v[132:133], v[136:137] op_sel:[1,1] op_sel_hi:[0,1]
	v_pk_fma_f32 v[140:141], v[132:133], v[136:137], v[138:139] op_sel_hi:[1,0,1]
	v_pk_fma_f32 v[132:133], v[132:133], v[136:137], v[138:139] neg_lo:[0,0,1] neg_hi:[0,0,1]
	s_delay_alu instid0(VALU_DEP_2)
	v_mov_b32_e32 v133, v141
	scratch_store_b64 off, v[132:133], off offset:328
.LBB63_1040:
	s_wait_xcnt 0x0
	s_or_b32 exec_lo, exec_lo, s0
	scratch_load_b64 v[132:133], off, off offset:336
	s_mov_b32 s0, exec_lo
	s_wait_loadcnt 0x0
	ds_store_b64 v1, v[132:133]
	s_wait_storecnt_dscnt 0x0
	s_barrier_signal -1
	s_barrier_wait -1
	s_wait_xcnt 0x0
	v_cmpx_gt_u32_e32 42, v0
	s_cbranch_execz .LBB63_1050
; %bb.1041:
	v_cmp_ne_u32_e32 vcc_lo, 1, v134
	s_cbranch_vccnz .LBB63_1043
; %bb.1042:
	scratch_load_b64 v[132:133], v59, off
	ds_load_b64 v[136:137], v1
	s_wait_loadcnt_dscnt 0x0
	v_pk_mul_f32 v[138:139], v[136:137], v[132:133] op_sel:[1,1] op_sel_hi:[0,1]
	s_delay_alu instid0(VALU_DEP_1) | instskip(SKIP_1) | instid1(VALU_DEP_2)
	v_pk_fma_f32 v[140:141], v[136:137], v[132:133], v[138:139] op_sel_hi:[1,0,1]
	v_pk_fma_f32 v[132:133], v[136:137], v[132:133], v[138:139] neg_lo:[0,0,1] neg_hi:[0,0,1]
	v_mov_b32_e32 v133, v141
	s_cbranch_execz .LBB63_1044
	s_branch .LBB63_1045
.LBB63_1043:
                                        ; implicit-def: $vgpr132_vgpr133
.LBB63_1044:
	ds_load_b64 v[132:133], v1
.LBB63_1045:
	s_mov_b32 s2, exec_lo
	v_cmpx_ne_u32_e32 41, v0
	s_cbranch_execz .LBB63_1049
; %bb.1046:
	v_add_nc_u32_e32 v135, 0x208, v58
	v_add3_u32 v136, 0, v58, 8
	v_mov_b32_e32 v137, v0
	s_mov_b32 s3, 0
.LBB63_1047:                            ; =>This Inner Loop Header: Depth=1
	scratch_load_b64 v[138:139], v136, off
	ds_load_b64 v[140:141], v135
	s_wait_xcnt 0x0
	v_dual_add_nc_u32 v135, 8, v135 :: v_dual_add_nc_u32 v136, 8, v136
	s_wait_loadcnt_dscnt 0x0
	v_pk_mul_f32 v[142:143], v[140:141], v[138:139] op_sel:[1,1] op_sel_hi:[0,1]
	s_delay_alu instid0(VALU_DEP_1) | instskip(SKIP_2) | instid1(VALU_DEP_3)
	v_pk_fma_f32 v[144:145], v[140:141], v[138:139], v[142:143] op_sel_hi:[1,0,1]
	v_add_nc_u32_e32 v137, 1, v137
	v_pk_fma_f32 v[138:139], v[140:141], v[138:139], v[142:143] neg_lo:[0,0,1] neg_hi:[0,0,1]
	v_mov_b32_e32 v139, v145
	s_delay_alu instid0(VALU_DEP_3) | instskip(NEXT) | instid1(VALU_DEP_2)
	v_cmp_lt_u32_e32 vcc_lo, 40, v137
	v_pk_add_f32 v[132:133], v[132:133], v[138:139]
	s_or_b32 s3, vcc_lo, s3
	s_delay_alu instid0(SALU_CYCLE_1)
	s_and_not1_b32 exec_lo, exec_lo, s3
	s_cbranch_execnz .LBB63_1047
; %bb.1048:
	s_or_b32 exec_lo, exec_lo, s3
.LBB63_1049:
	s_delay_alu instid0(SALU_CYCLE_1) | instskip(SKIP_4) | instid1(VALU_DEP_1)
	s_or_b32 exec_lo, exec_lo, s2
	v_mov_b32_e32 v135, 0
	ds_load_b64 v[136:137], v135 offset:336
	s_wait_dscnt 0x0
	v_pk_mul_f32 v[138:139], v[132:133], v[136:137] op_sel:[1,1] op_sel_hi:[0,1]
	v_pk_fma_f32 v[140:141], v[132:133], v[136:137], v[138:139] op_sel_hi:[1,0,1]
	v_pk_fma_f32 v[132:133], v[132:133], v[136:137], v[138:139] neg_lo:[0,0,1] neg_hi:[0,0,1]
	s_delay_alu instid0(VALU_DEP_2)
	v_mov_b32_e32 v133, v141
	scratch_store_b64 off, v[132:133], off offset:336
.LBB63_1050:
	s_wait_xcnt 0x0
	s_or_b32 exec_lo, exec_lo, s0
	scratch_load_b64 v[132:133], off, off offset:344
	s_mov_b32 s0, exec_lo
	s_wait_loadcnt 0x0
	ds_store_b64 v1, v[132:133]
	s_wait_storecnt_dscnt 0x0
	s_barrier_signal -1
	s_barrier_wait -1
	s_wait_xcnt 0x0
	v_cmpx_gt_u32_e32 43, v0
	s_cbranch_execz .LBB63_1060
; %bb.1051:
	v_cmp_ne_u32_e32 vcc_lo, 1, v134
	s_cbranch_vccnz .LBB63_1053
; %bb.1052:
	scratch_load_b64 v[132:133], v59, off
	ds_load_b64 v[136:137], v1
	s_wait_loadcnt_dscnt 0x0
	v_pk_mul_f32 v[138:139], v[136:137], v[132:133] op_sel:[1,1] op_sel_hi:[0,1]
	s_delay_alu instid0(VALU_DEP_1) | instskip(SKIP_1) | instid1(VALU_DEP_2)
	v_pk_fma_f32 v[140:141], v[136:137], v[132:133], v[138:139] op_sel_hi:[1,0,1]
	v_pk_fma_f32 v[132:133], v[136:137], v[132:133], v[138:139] neg_lo:[0,0,1] neg_hi:[0,0,1]
	v_mov_b32_e32 v133, v141
	s_cbranch_execz .LBB63_1054
	s_branch .LBB63_1055
.LBB63_1053:
                                        ; implicit-def: $vgpr132_vgpr133
.LBB63_1054:
	ds_load_b64 v[132:133], v1
.LBB63_1055:
	s_mov_b32 s2, exec_lo
	v_cmpx_ne_u32_e32 42, v0
	s_cbranch_execz .LBB63_1059
; %bb.1056:
	v_add_nc_u32_e32 v135, 0x208, v58
	v_add3_u32 v136, 0, v58, 8
	v_mov_b32_e32 v137, v0
	s_mov_b32 s3, 0
.LBB63_1057:                            ; =>This Inner Loop Header: Depth=1
	scratch_load_b64 v[138:139], v136, off
	ds_load_b64 v[140:141], v135
	s_wait_xcnt 0x0
	v_dual_add_nc_u32 v135, 8, v135 :: v_dual_add_nc_u32 v136, 8, v136
	s_wait_loadcnt_dscnt 0x0
	v_pk_mul_f32 v[142:143], v[140:141], v[138:139] op_sel:[1,1] op_sel_hi:[0,1]
	s_delay_alu instid0(VALU_DEP_1) | instskip(SKIP_2) | instid1(VALU_DEP_3)
	v_pk_fma_f32 v[144:145], v[140:141], v[138:139], v[142:143] op_sel_hi:[1,0,1]
	v_add_nc_u32_e32 v137, 1, v137
	v_pk_fma_f32 v[138:139], v[140:141], v[138:139], v[142:143] neg_lo:[0,0,1] neg_hi:[0,0,1]
	v_mov_b32_e32 v139, v145
	s_delay_alu instid0(VALU_DEP_3) | instskip(NEXT) | instid1(VALU_DEP_2)
	v_cmp_lt_u32_e32 vcc_lo, 41, v137
	v_pk_add_f32 v[132:133], v[132:133], v[138:139]
	s_or_b32 s3, vcc_lo, s3
	s_delay_alu instid0(SALU_CYCLE_1)
	s_and_not1_b32 exec_lo, exec_lo, s3
	s_cbranch_execnz .LBB63_1057
; %bb.1058:
	s_or_b32 exec_lo, exec_lo, s3
.LBB63_1059:
	s_delay_alu instid0(SALU_CYCLE_1) | instskip(SKIP_4) | instid1(VALU_DEP_1)
	s_or_b32 exec_lo, exec_lo, s2
	v_mov_b32_e32 v135, 0
	ds_load_b64 v[136:137], v135 offset:344
	s_wait_dscnt 0x0
	v_pk_mul_f32 v[138:139], v[132:133], v[136:137] op_sel:[1,1] op_sel_hi:[0,1]
	v_pk_fma_f32 v[140:141], v[132:133], v[136:137], v[138:139] op_sel_hi:[1,0,1]
	v_pk_fma_f32 v[132:133], v[132:133], v[136:137], v[138:139] neg_lo:[0,0,1] neg_hi:[0,0,1]
	s_delay_alu instid0(VALU_DEP_2)
	v_mov_b32_e32 v133, v141
	scratch_store_b64 off, v[132:133], off offset:344
.LBB63_1060:
	s_wait_xcnt 0x0
	s_or_b32 exec_lo, exec_lo, s0
	scratch_load_b64 v[132:133], off, off offset:352
	s_mov_b32 s0, exec_lo
	s_wait_loadcnt 0x0
	ds_store_b64 v1, v[132:133]
	s_wait_storecnt_dscnt 0x0
	s_barrier_signal -1
	s_barrier_wait -1
	s_wait_xcnt 0x0
	v_cmpx_gt_u32_e32 44, v0
	s_cbranch_execz .LBB63_1070
; %bb.1061:
	v_cmp_ne_u32_e32 vcc_lo, 1, v134
	s_cbranch_vccnz .LBB63_1063
; %bb.1062:
	scratch_load_b64 v[132:133], v59, off
	ds_load_b64 v[136:137], v1
	s_wait_loadcnt_dscnt 0x0
	v_pk_mul_f32 v[138:139], v[136:137], v[132:133] op_sel:[1,1] op_sel_hi:[0,1]
	s_delay_alu instid0(VALU_DEP_1) | instskip(SKIP_1) | instid1(VALU_DEP_2)
	v_pk_fma_f32 v[140:141], v[136:137], v[132:133], v[138:139] op_sel_hi:[1,0,1]
	v_pk_fma_f32 v[132:133], v[136:137], v[132:133], v[138:139] neg_lo:[0,0,1] neg_hi:[0,0,1]
	v_mov_b32_e32 v133, v141
	s_cbranch_execz .LBB63_1064
	s_branch .LBB63_1065
.LBB63_1063:
                                        ; implicit-def: $vgpr132_vgpr133
.LBB63_1064:
	ds_load_b64 v[132:133], v1
.LBB63_1065:
	s_mov_b32 s2, exec_lo
	v_cmpx_ne_u32_e32 43, v0
	s_cbranch_execz .LBB63_1069
; %bb.1066:
	v_add_nc_u32_e32 v135, 0x208, v58
	v_add3_u32 v136, 0, v58, 8
	v_mov_b32_e32 v137, v0
	s_mov_b32 s3, 0
.LBB63_1067:                            ; =>This Inner Loop Header: Depth=1
	scratch_load_b64 v[138:139], v136, off
	ds_load_b64 v[140:141], v135
	s_wait_xcnt 0x0
	v_dual_add_nc_u32 v135, 8, v135 :: v_dual_add_nc_u32 v136, 8, v136
	s_wait_loadcnt_dscnt 0x0
	v_pk_mul_f32 v[142:143], v[140:141], v[138:139] op_sel:[1,1] op_sel_hi:[0,1]
	s_delay_alu instid0(VALU_DEP_1) | instskip(SKIP_2) | instid1(VALU_DEP_3)
	v_pk_fma_f32 v[144:145], v[140:141], v[138:139], v[142:143] op_sel_hi:[1,0,1]
	v_add_nc_u32_e32 v137, 1, v137
	v_pk_fma_f32 v[138:139], v[140:141], v[138:139], v[142:143] neg_lo:[0,0,1] neg_hi:[0,0,1]
	v_mov_b32_e32 v139, v145
	s_delay_alu instid0(VALU_DEP_3) | instskip(NEXT) | instid1(VALU_DEP_2)
	v_cmp_lt_u32_e32 vcc_lo, 42, v137
	v_pk_add_f32 v[132:133], v[132:133], v[138:139]
	s_or_b32 s3, vcc_lo, s3
	s_delay_alu instid0(SALU_CYCLE_1)
	s_and_not1_b32 exec_lo, exec_lo, s3
	s_cbranch_execnz .LBB63_1067
; %bb.1068:
	s_or_b32 exec_lo, exec_lo, s3
.LBB63_1069:
	s_delay_alu instid0(SALU_CYCLE_1) | instskip(SKIP_4) | instid1(VALU_DEP_1)
	s_or_b32 exec_lo, exec_lo, s2
	v_mov_b32_e32 v135, 0
	ds_load_b64 v[136:137], v135 offset:352
	s_wait_dscnt 0x0
	v_pk_mul_f32 v[138:139], v[132:133], v[136:137] op_sel:[1,1] op_sel_hi:[0,1]
	v_pk_fma_f32 v[140:141], v[132:133], v[136:137], v[138:139] op_sel_hi:[1,0,1]
	v_pk_fma_f32 v[132:133], v[132:133], v[136:137], v[138:139] neg_lo:[0,0,1] neg_hi:[0,0,1]
	s_delay_alu instid0(VALU_DEP_2)
	v_mov_b32_e32 v133, v141
	scratch_store_b64 off, v[132:133], off offset:352
.LBB63_1070:
	s_wait_xcnt 0x0
	s_or_b32 exec_lo, exec_lo, s0
	scratch_load_b64 v[132:133], off, off offset:360
	s_mov_b32 s0, exec_lo
	s_wait_loadcnt 0x0
	ds_store_b64 v1, v[132:133]
	s_wait_storecnt_dscnt 0x0
	s_barrier_signal -1
	s_barrier_wait -1
	s_wait_xcnt 0x0
	v_cmpx_gt_u32_e32 45, v0
	s_cbranch_execz .LBB63_1080
; %bb.1071:
	v_cmp_ne_u32_e32 vcc_lo, 1, v134
	s_cbranch_vccnz .LBB63_1073
; %bb.1072:
	scratch_load_b64 v[132:133], v59, off
	ds_load_b64 v[136:137], v1
	s_wait_loadcnt_dscnt 0x0
	v_pk_mul_f32 v[138:139], v[136:137], v[132:133] op_sel:[1,1] op_sel_hi:[0,1]
	s_delay_alu instid0(VALU_DEP_1) | instskip(SKIP_1) | instid1(VALU_DEP_2)
	v_pk_fma_f32 v[140:141], v[136:137], v[132:133], v[138:139] op_sel_hi:[1,0,1]
	v_pk_fma_f32 v[132:133], v[136:137], v[132:133], v[138:139] neg_lo:[0,0,1] neg_hi:[0,0,1]
	v_mov_b32_e32 v133, v141
	s_cbranch_execz .LBB63_1074
	s_branch .LBB63_1075
.LBB63_1073:
                                        ; implicit-def: $vgpr132_vgpr133
.LBB63_1074:
	ds_load_b64 v[132:133], v1
.LBB63_1075:
	s_mov_b32 s2, exec_lo
	v_cmpx_ne_u32_e32 44, v0
	s_cbranch_execz .LBB63_1079
; %bb.1076:
	v_add_nc_u32_e32 v135, 0x208, v58
	v_add3_u32 v136, 0, v58, 8
	v_mov_b32_e32 v137, v0
	s_mov_b32 s3, 0
.LBB63_1077:                            ; =>This Inner Loop Header: Depth=1
	scratch_load_b64 v[138:139], v136, off
	ds_load_b64 v[140:141], v135
	s_wait_xcnt 0x0
	v_dual_add_nc_u32 v135, 8, v135 :: v_dual_add_nc_u32 v136, 8, v136
	s_wait_loadcnt_dscnt 0x0
	v_pk_mul_f32 v[142:143], v[140:141], v[138:139] op_sel:[1,1] op_sel_hi:[0,1]
	s_delay_alu instid0(VALU_DEP_1) | instskip(SKIP_2) | instid1(VALU_DEP_3)
	v_pk_fma_f32 v[144:145], v[140:141], v[138:139], v[142:143] op_sel_hi:[1,0,1]
	v_add_nc_u32_e32 v137, 1, v137
	v_pk_fma_f32 v[138:139], v[140:141], v[138:139], v[142:143] neg_lo:[0,0,1] neg_hi:[0,0,1]
	v_mov_b32_e32 v139, v145
	s_delay_alu instid0(VALU_DEP_3) | instskip(NEXT) | instid1(VALU_DEP_2)
	v_cmp_lt_u32_e32 vcc_lo, 43, v137
	v_pk_add_f32 v[132:133], v[132:133], v[138:139]
	s_or_b32 s3, vcc_lo, s3
	s_delay_alu instid0(SALU_CYCLE_1)
	s_and_not1_b32 exec_lo, exec_lo, s3
	s_cbranch_execnz .LBB63_1077
; %bb.1078:
	s_or_b32 exec_lo, exec_lo, s3
.LBB63_1079:
	s_delay_alu instid0(SALU_CYCLE_1) | instskip(SKIP_4) | instid1(VALU_DEP_1)
	s_or_b32 exec_lo, exec_lo, s2
	v_mov_b32_e32 v135, 0
	ds_load_b64 v[136:137], v135 offset:360
	s_wait_dscnt 0x0
	v_pk_mul_f32 v[138:139], v[132:133], v[136:137] op_sel:[1,1] op_sel_hi:[0,1]
	v_pk_fma_f32 v[140:141], v[132:133], v[136:137], v[138:139] op_sel_hi:[1,0,1]
	v_pk_fma_f32 v[132:133], v[132:133], v[136:137], v[138:139] neg_lo:[0,0,1] neg_hi:[0,0,1]
	s_delay_alu instid0(VALU_DEP_2)
	v_mov_b32_e32 v133, v141
	scratch_store_b64 off, v[132:133], off offset:360
.LBB63_1080:
	s_wait_xcnt 0x0
	s_or_b32 exec_lo, exec_lo, s0
	scratch_load_b64 v[132:133], off, off offset:368
	s_mov_b32 s0, exec_lo
	s_wait_loadcnt 0x0
	ds_store_b64 v1, v[132:133]
	s_wait_storecnt_dscnt 0x0
	s_barrier_signal -1
	s_barrier_wait -1
	s_wait_xcnt 0x0
	v_cmpx_gt_u32_e32 46, v0
	s_cbranch_execz .LBB63_1090
; %bb.1081:
	v_cmp_ne_u32_e32 vcc_lo, 1, v134
	s_cbranch_vccnz .LBB63_1083
; %bb.1082:
	scratch_load_b64 v[132:133], v59, off
	ds_load_b64 v[136:137], v1
	s_wait_loadcnt_dscnt 0x0
	v_pk_mul_f32 v[138:139], v[136:137], v[132:133] op_sel:[1,1] op_sel_hi:[0,1]
	s_delay_alu instid0(VALU_DEP_1) | instskip(SKIP_1) | instid1(VALU_DEP_2)
	v_pk_fma_f32 v[140:141], v[136:137], v[132:133], v[138:139] op_sel_hi:[1,0,1]
	v_pk_fma_f32 v[132:133], v[136:137], v[132:133], v[138:139] neg_lo:[0,0,1] neg_hi:[0,0,1]
	v_mov_b32_e32 v133, v141
	s_cbranch_execz .LBB63_1084
	s_branch .LBB63_1085
.LBB63_1083:
                                        ; implicit-def: $vgpr132_vgpr133
.LBB63_1084:
	ds_load_b64 v[132:133], v1
.LBB63_1085:
	s_mov_b32 s2, exec_lo
	v_cmpx_ne_u32_e32 45, v0
	s_cbranch_execz .LBB63_1089
; %bb.1086:
	v_add_nc_u32_e32 v135, 0x208, v58
	v_add3_u32 v136, 0, v58, 8
	v_mov_b32_e32 v137, v0
	s_mov_b32 s3, 0
.LBB63_1087:                            ; =>This Inner Loop Header: Depth=1
	scratch_load_b64 v[138:139], v136, off
	ds_load_b64 v[140:141], v135
	s_wait_xcnt 0x0
	v_dual_add_nc_u32 v135, 8, v135 :: v_dual_add_nc_u32 v136, 8, v136
	s_wait_loadcnt_dscnt 0x0
	v_pk_mul_f32 v[142:143], v[140:141], v[138:139] op_sel:[1,1] op_sel_hi:[0,1]
	s_delay_alu instid0(VALU_DEP_1) | instskip(SKIP_2) | instid1(VALU_DEP_3)
	v_pk_fma_f32 v[144:145], v[140:141], v[138:139], v[142:143] op_sel_hi:[1,0,1]
	v_add_nc_u32_e32 v137, 1, v137
	v_pk_fma_f32 v[138:139], v[140:141], v[138:139], v[142:143] neg_lo:[0,0,1] neg_hi:[0,0,1]
	v_mov_b32_e32 v139, v145
	s_delay_alu instid0(VALU_DEP_3) | instskip(NEXT) | instid1(VALU_DEP_2)
	v_cmp_lt_u32_e32 vcc_lo, 44, v137
	v_pk_add_f32 v[132:133], v[132:133], v[138:139]
	s_or_b32 s3, vcc_lo, s3
	s_delay_alu instid0(SALU_CYCLE_1)
	s_and_not1_b32 exec_lo, exec_lo, s3
	s_cbranch_execnz .LBB63_1087
; %bb.1088:
	s_or_b32 exec_lo, exec_lo, s3
.LBB63_1089:
	s_delay_alu instid0(SALU_CYCLE_1) | instskip(SKIP_4) | instid1(VALU_DEP_1)
	s_or_b32 exec_lo, exec_lo, s2
	v_mov_b32_e32 v135, 0
	ds_load_b64 v[136:137], v135 offset:368
	s_wait_dscnt 0x0
	v_pk_mul_f32 v[138:139], v[132:133], v[136:137] op_sel:[1,1] op_sel_hi:[0,1]
	v_pk_fma_f32 v[140:141], v[132:133], v[136:137], v[138:139] op_sel_hi:[1,0,1]
	v_pk_fma_f32 v[132:133], v[132:133], v[136:137], v[138:139] neg_lo:[0,0,1] neg_hi:[0,0,1]
	s_delay_alu instid0(VALU_DEP_2)
	v_mov_b32_e32 v133, v141
	scratch_store_b64 off, v[132:133], off offset:368
.LBB63_1090:
	s_wait_xcnt 0x0
	s_or_b32 exec_lo, exec_lo, s0
	scratch_load_b64 v[132:133], off, off offset:376
	s_mov_b32 s0, exec_lo
	s_wait_loadcnt 0x0
	ds_store_b64 v1, v[132:133]
	s_wait_storecnt_dscnt 0x0
	s_barrier_signal -1
	s_barrier_wait -1
	s_wait_xcnt 0x0
	v_cmpx_gt_u32_e32 47, v0
	s_cbranch_execz .LBB63_1100
; %bb.1091:
	v_cmp_ne_u32_e32 vcc_lo, 1, v134
	s_cbranch_vccnz .LBB63_1093
; %bb.1092:
	scratch_load_b64 v[132:133], v59, off
	ds_load_b64 v[136:137], v1
	s_wait_loadcnt_dscnt 0x0
	v_pk_mul_f32 v[138:139], v[136:137], v[132:133] op_sel:[1,1] op_sel_hi:[0,1]
	s_delay_alu instid0(VALU_DEP_1) | instskip(SKIP_1) | instid1(VALU_DEP_2)
	v_pk_fma_f32 v[140:141], v[136:137], v[132:133], v[138:139] op_sel_hi:[1,0,1]
	v_pk_fma_f32 v[132:133], v[136:137], v[132:133], v[138:139] neg_lo:[0,0,1] neg_hi:[0,0,1]
	v_mov_b32_e32 v133, v141
	s_cbranch_execz .LBB63_1094
	s_branch .LBB63_1095
.LBB63_1093:
                                        ; implicit-def: $vgpr132_vgpr133
.LBB63_1094:
	ds_load_b64 v[132:133], v1
.LBB63_1095:
	s_mov_b32 s2, exec_lo
	v_cmpx_ne_u32_e32 46, v0
	s_cbranch_execz .LBB63_1099
; %bb.1096:
	v_add_nc_u32_e32 v135, 0x208, v58
	v_add3_u32 v136, 0, v58, 8
	v_mov_b32_e32 v137, v0
	s_mov_b32 s3, 0
.LBB63_1097:                            ; =>This Inner Loop Header: Depth=1
	scratch_load_b64 v[138:139], v136, off
	ds_load_b64 v[140:141], v135
	s_wait_xcnt 0x0
	v_dual_add_nc_u32 v135, 8, v135 :: v_dual_add_nc_u32 v136, 8, v136
	s_wait_loadcnt_dscnt 0x0
	v_pk_mul_f32 v[142:143], v[140:141], v[138:139] op_sel:[1,1] op_sel_hi:[0,1]
	s_delay_alu instid0(VALU_DEP_1) | instskip(SKIP_2) | instid1(VALU_DEP_3)
	v_pk_fma_f32 v[144:145], v[140:141], v[138:139], v[142:143] op_sel_hi:[1,0,1]
	v_add_nc_u32_e32 v137, 1, v137
	v_pk_fma_f32 v[138:139], v[140:141], v[138:139], v[142:143] neg_lo:[0,0,1] neg_hi:[0,0,1]
	v_mov_b32_e32 v139, v145
	s_delay_alu instid0(VALU_DEP_3) | instskip(NEXT) | instid1(VALU_DEP_2)
	v_cmp_lt_u32_e32 vcc_lo, 45, v137
	v_pk_add_f32 v[132:133], v[132:133], v[138:139]
	s_or_b32 s3, vcc_lo, s3
	s_delay_alu instid0(SALU_CYCLE_1)
	s_and_not1_b32 exec_lo, exec_lo, s3
	s_cbranch_execnz .LBB63_1097
; %bb.1098:
	s_or_b32 exec_lo, exec_lo, s3
.LBB63_1099:
	s_delay_alu instid0(SALU_CYCLE_1) | instskip(SKIP_4) | instid1(VALU_DEP_1)
	s_or_b32 exec_lo, exec_lo, s2
	v_mov_b32_e32 v135, 0
	ds_load_b64 v[136:137], v135 offset:376
	s_wait_dscnt 0x0
	v_pk_mul_f32 v[138:139], v[132:133], v[136:137] op_sel:[1,1] op_sel_hi:[0,1]
	v_pk_fma_f32 v[140:141], v[132:133], v[136:137], v[138:139] op_sel_hi:[1,0,1]
	v_pk_fma_f32 v[132:133], v[132:133], v[136:137], v[138:139] neg_lo:[0,0,1] neg_hi:[0,0,1]
	s_delay_alu instid0(VALU_DEP_2)
	v_mov_b32_e32 v133, v141
	scratch_store_b64 off, v[132:133], off offset:376
.LBB63_1100:
	s_wait_xcnt 0x0
	s_or_b32 exec_lo, exec_lo, s0
	scratch_load_b64 v[132:133], off, off offset:384
	s_mov_b32 s0, exec_lo
	s_wait_loadcnt 0x0
	ds_store_b64 v1, v[132:133]
	s_wait_storecnt_dscnt 0x0
	s_barrier_signal -1
	s_barrier_wait -1
	s_wait_xcnt 0x0
	v_cmpx_gt_u32_e32 48, v0
	s_cbranch_execz .LBB63_1110
; %bb.1101:
	v_cmp_ne_u32_e32 vcc_lo, 1, v134
	s_cbranch_vccnz .LBB63_1103
; %bb.1102:
	scratch_load_b64 v[132:133], v59, off
	ds_load_b64 v[136:137], v1
	s_wait_loadcnt_dscnt 0x0
	v_pk_mul_f32 v[138:139], v[136:137], v[132:133] op_sel:[1,1] op_sel_hi:[0,1]
	s_delay_alu instid0(VALU_DEP_1) | instskip(SKIP_1) | instid1(VALU_DEP_2)
	v_pk_fma_f32 v[140:141], v[136:137], v[132:133], v[138:139] op_sel_hi:[1,0,1]
	v_pk_fma_f32 v[132:133], v[136:137], v[132:133], v[138:139] neg_lo:[0,0,1] neg_hi:[0,0,1]
	v_mov_b32_e32 v133, v141
	s_cbranch_execz .LBB63_1104
	s_branch .LBB63_1105
.LBB63_1103:
                                        ; implicit-def: $vgpr132_vgpr133
.LBB63_1104:
	ds_load_b64 v[132:133], v1
.LBB63_1105:
	s_mov_b32 s2, exec_lo
	v_cmpx_ne_u32_e32 47, v0
	s_cbranch_execz .LBB63_1109
; %bb.1106:
	v_add_nc_u32_e32 v135, 0x208, v58
	v_add3_u32 v136, 0, v58, 8
	v_mov_b32_e32 v137, v0
	s_mov_b32 s3, 0
.LBB63_1107:                            ; =>This Inner Loop Header: Depth=1
	scratch_load_b64 v[138:139], v136, off
	ds_load_b64 v[140:141], v135
	s_wait_xcnt 0x0
	v_dual_add_nc_u32 v135, 8, v135 :: v_dual_add_nc_u32 v136, 8, v136
	s_wait_loadcnt_dscnt 0x0
	v_pk_mul_f32 v[142:143], v[140:141], v[138:139] op_sel:[1,1] op_sel_hi:[0,1]
	s_delay_alu instid0(VALU_DEP_1) | instskip(SKIP_2) | instid1(VALU_DEP_3)
	v_pk_fma_f32 v[144:145], v[140:141], v[138:139], v[142:143] op_sel_hi:[1,0,1]
	v_add_nc_u32_e32 v137, 1, v137
	v_pk_fma_f32 v[138:139], v[140:141], v[138:139], v[142:143] neg_lo:[0,0,1] neg_hi:[0,0,1]
	v_mov_b32_e32 v139, v145
	s_delay_alu instid0(VALU_DEP_3) | instskip(NEXT) | instid1(VALU_DEP_2)
	v_cmp_lt_u32_e32 vcc_lo, 46, v137
	v_pk_add_f32 v[132:133], v[132:133], v[138:139]
	s_or_b32 s3, vcc_lo, s3
	s_delay_alu instid0(SALU_CYCLE_1)
	s_and_not1_b32 exec_lo, exec_lo, s3
	s_cbranch_execnz .LBB63_1107
; %bb.1108:
	s_or_b32 exec_lo, exec_lo, s3
.LBB63_1109:
	s_delay_alu instid0(SALU_CYCLE_1) | instskip(SKIP_4) | instid1(VALU_DEP_1)
	s_or_b32 exec_lo, exec_lo, s2
	v_mov_b32_e32 v135, 0
	ds_load_b64 v[136:137], v135 offset:384
	s_wait_dscnt 0x0
	v_pk_mul_f32 v[138:139], v[132:133], v[136:137] op_sel:[1,1] op_sel_hi:[0,1]
	v_pk_fma_f32 v[140:141], v[132:133], v[136:137], v[138:139] op_sel_hi:[1,0,1]
	v_pk_fma_f32 v[132:133], v[132:133], v[136:137], v[138:139] neg_lo:[0,0,1] neg_hi:[0,0,1]
	s_delay_alu instid0(VALU_DEP_2)
	v_mov_b32_e32 v133, v141
	scratch_store_b64 off, v[132:133], off offset:384
.LBB63_1110:
	s_wait_xcnt 0x0
	s_or_b32 exec_lo, exec_lo, s0
	scratch_load_b64 v[132:133], off, off offset:392
	s_mov_b32 s0, exec_lo
	s_wait_loadcnt 0x0
	ds_store_b64 v1, v[132:133]
	s_wait_storecnt_dscnt 0x0
	s_barrier_signal -1
	s_barrier_wait -1
	s_wait_xcnt 0x0
	v_cmpx_gt_u32_e32 49, v0
	s_cbranch_execz .LBB63_1120
; %bb.1111:
	v_cmp_ne_u32_e32 vcc_lo, 1, v134
	s_cbranch_vccnz .LBB63_1113
; %bb.1112:
	scratch_load_b64 v[132:133], v59, off
	ds_load_b64 v[136:137], v1
	s_wait_loadcnt_dscnt 0x0
	v_pk_mul_f32 v[138:139], v[136:137], v[132:133] op_sel:[1,1] op_sel_hi:[0,1]
	s_delay_alu instid0(VALU_DEP_1) | instskip(SKIP_1) | instid1(VALU_DEP_2)
	v_pk_fma_f32 v[140:141], v[136:137], v[132:133], v[138:139] op_sel_hi:[1,0,1]
	v_pk_fma_f32 v[132:133], v[136:137], v[132:133], v[138:139] neg_lo:[0,0,1] neg_hi:[0,0,1]
	v_mov_b32_e32 v133, v141
	s_cbranch_execz .LBB63_1114
	s_branch .LBB63_1115
.LBB63_1113:
                                        ; implicit-def: $vgpr132_vgpr133
.LBB63_1114:
	ds_load_b64 v[132:133], v1
.LBB63_1115:
	s_mov_b32 s2, exec_lo
	v_cmpx_ne_u32_e32 48, v0
	s_cbranch_execz .LBB63_1119
; %bb.1116:
	v_add_nc_u32_e32 v135, 0x208, v58
	v_add3_u32 v136, 0, v58, 8
	v_mov_b32_e32 v137, v0
	s_mov_b32 s3, 0
.LBB63_1117:                            ; =>This Inner Loop Header: Depth=1
	scratch_load_b64 v[138:139], v136, off
	ds_load_b64 v[140:141], v135
	s_wait_xcnt 0x0
	v_dual_add_nc_u32 v135, 8, v135 :: v_dual_add_nc_u32 v136, 8, v136
	s_wait_loadcnt_dscnt 0x0
	v_pk_mul_f32 v[142:143], v[140:141], v[138:139] op_sel:[1,1] op_sel_hi:[0,1]
	s_delay_alu instid0(VALU_DEP_1) | instskip(SKIP_2) | instid1(VALU_DEP_3)
	v_pk_fma_f32 v[144:145], v[140:141], v[138:139], v[142:143] op_sel_hi:[1,0,1]
	v_add_nc_u32_e32 v137, 1, v137
	v_pk_fma_f32 v[138:139], v[140:141], v[138:139], v[142:143] neg_lo:[0,0,1] neg_hi:[0,0,1]
	v_mov_b32_e32 v139, v145
	s_delay_alu instid0(VALU_DEP_3) | instskip(NEXT) | instid1(VALU_DEP_2)
	v_cmp_lt_u32_e32 vcc_lo, 47, v137
	v_pk_add_f32 v[132:133], v[132:133], v[138:139]
	s_or_b32 s3, vcc_lo, s3
	s_delay_alu instid0(SALU_CYCLE_1)
	s_and_not1_b32 exec_lo, exec_lo, s3
	s_cbranch_execnz .LBB63_1117
; %bb.1118:
	s_or_b32 exec_lo, exec_lo, s3
.LBB63_1119:
	s_delay_alu instid0(SALU_CYCLE_1) | instskip(SKIP_4) | instid1(VALU_DEP_1)
	s_or_b32 exec_lo, exec_lo, s2
	v_mov_b32_e32 v135, 0
	ds_load_b64 v[136:137], v135 offset:392
	s_wait_dscnt 0x0
	v_pk_mul_f32 v[138:139], v[132:133], v[136:137] op_sel:[1,1] op_sel_hi:[0,1]
	v_pk_fma_f32 v[140:141], v[132:133], v[136:137], v[138:139] op_sel_hi:[1,0,1]
	v_pk_fma_f32 v[132:133], v[132:133], v[136:137], v[138:139] neg_lo:[0,0,1] neg_hi:[0,0,1]
	s_delay_alu instid0(VALU_DEP_2)
	v_mov_b32_e32 v133, v141
	scratch_store_b64 off, v[132:133], off offset:392
.LBB63_1120:
	s_wait_xcnt 0x0
	s_or_b32 exec_lo, exec_lo, s0
	scratch_load_b64 v[132:133], off, off offset:400
	s_mov_b32 s0, exec_lo
	s_wait_loadcnt 0x0
	ds_store_b64 v1, v[132:133]
	s_wait_storecnt_dscnt 0x0
	s_barrier_signal -1
	s_barrier_wait -1
	s_wait_xcnt 0x0
	v_cmpx_gt_u32_e32 50, v0
	s_cbranch_execz .LBB63_1130
; %bb.1121:
	v_cmp_ne_u32_e32 vcc_lo, 1, v134
	s_cbranch_vccnz .LBB63_1123
; %bb.1122:
	scratch_load_b64 v[132:133], v59, off
	ds_load_b64 v[136:137], v1
	s_wait_loadcnt_dscnt 0x0
	v_pk_mul_f32 v[138:139], v[136:137], v[132:133] op_sel:[1,1] op_sel_hi:[0,1]
	s_delay_alu instid0(VALU_DEP_1) | instskip(SKIP_1) | instid1(VALU_DEP_2)
	v_pk_fma_f32 v[140:141], v[136:137], v[132:133], v[138:139] op_sel_hi:[1,0,1]
	v_pk_fma_f32 v[132:133], v[136:137], v[132:133], v[138:139] neg_lo:[0,0,1] neg_hi:[0,0,1]
	v_mov_b32_e32 v133, v141
	s_cbranch_execz .LBB63_1124
	s_branch .LBB63_1125
.LBB63_1123:
                                        ; implicit-def: $vgpr132_vgpr133
.LBB63_1124:
	ds_load_b64 v[132:133], v1
.LBB63_1125:
	s_mov_b32 s2, exec_lo
	v_cmpx_ne_u32_e32 49, v0
	s_cbranch_execz .LBB63_1129
; %bb.1126:
	v_add_nc_u32_e32 v135, 0x208, v58
	v_add3_u32 v136, 0, v58, 8
	v_mov_b32_e32 v137, v0
	s_mov_b32 s3, 0
.LBB63_1127:                            ; =>This Inner Loop Header: Depth=1
	scratch_load_b64 v[138:139], v136, off
	ds_load_b64 v[140:141], v135
	s_wait_xcnt 0x0
	v_dual_add_nc_u32 v135, 8, v135 :: v_dual_add_nc_u32 v136, 8, v136
	s_wait_loadcnt_dscnt 0x0
	v_pk_mul_f32 v[142:143], v[140:141], v[138:139] op_sel:[1,1] op_sel_hi:[0,1]
	s_delay_alu instid0(VALU_DEP_1) | instskip(SKIP_2) | instid1(VALU_DEP_3)
	v_pk_fma_f32 v[144:145], v[140:141], v[138:139], v[142:143] op_sel_hi:[1,0,1]
	v_add_nc_u32_e32 v137, 1, v137
	v_pk_fma_f32 v[138:139], v[140:141], v[138:139], v[142:143] neg_lo:[0,0,1] neg_hi:[0,0,1]
	v_mov_b32_e32 v139, v145
	s_delay_alu instid0(VALU_DEP_3) | instskip(NEXT) | instid1(VALU_DEP_2)
	v_cmp_lt_u32_e32 vcc_lo, 48, v137
	v_pk_add_f32 v[132:133], v[132:133], v[138:139]
	s_or_b32 s3, vcc_lo, s3
	s_delay_alu instid0(SALU_CYCLE_1)
	s_and_not1_b32 exec_lo, exec_lo, s3
	s_cbranch_execnz .LBB63_1127
; %bb.1128:
	s_or_b32 exec_lo, exec_lo, s3
.LBB63_1129:
	s_delay_alu instid0(SALU_CYCLE_1) | instskip(SKIP_4) | instid1(VALU_DEP_1)
	s_or_b32 exec_lo, exec_lo, s2
	v_mov_b32_e32 v135, 0
	ds_load_b64 v[136:137], v135 offset:400
	s_wait_dscnt 0x0
	v_pk_mul_f32 v[138:139], v[132:133], v[136:137] op_sel:[1,1] op_sel_hi:[0,1]
	v_pk_fma_f32 v[140:141], v[132:133], v[136:137], v[138:139] op_sel_hi:[1,0,1]
	v_pk_fma_f32 v[132:133], v[132:133], v[136:137], v[138:139] neg_lo:[0,0,1] neg_hi:[0,0,1]
	s_delay_alu instid0(VALU_DEP_2)
	v_mov_b32_e32 v133, v141
	scratch_store_b64 off, v[132:133], off offset:400
.LBB63_1130:
	s_wait_xcnt 0x0
	s_or_b32 exec_lo, exec_lo, s0
	scratch_load_b64 v[132:133], off, off offset:408
	s_mov_b32 s0, exec_lo
	s_wait_loadcnt 0x0
	ds_store_b64 v1, v[132:133]
	s_wait_storecnt_dscnt 0x0
	s_barrier_signal -1
	s_barrier_wait -1
	s_wait_xcnt 0x0
	v_cmpx_gt_u32_e32 51, v0
	s_cbranch_execz .LBB63_1140
; %bb.1131:
	v_cmp_ne_u32_e32 vcc_lo, 1, v134
	s_cbranch_vccnz .LBB63_1133
; %bb.1132:
	scratch_load_b64 v[132:133], v59, off
	ds_load_b64 v[136:137], v1
	s_wait_loadcnt_dscnt 0x0
	v_pk_mul_f32 v[138:139], v[136:137], v[132:133] op_sel:[1,1] op_sel_hi:[0,1]
	s_delay_alu instid0(VALU_DEP_1) | instskip(SKIP_1) | instid1(VALU_DEP_2)
	v_pk_fma_f32 v[140:141], v[136:137], v[132:133], v[138:139] op_sel_hi:[1,0,1]
	v_pk_fma_f32 v[132:133], v[136:137], v[132:133], v[138:139] neg_lo:[0,0,1] neg_hi:[0,0,1]
	v_mov_b32_e32 v133, v141
	s_cbranch_execz .LBB63_1134
	s_branch .LBB63_1135
.LBB63_1133:
                                        ; implicit-def: $vgpr132_vgpr133
.LBB63_1134:
	ds_load_b64 v[132:133], v1
.LBB63_1135:
	s_mov_b32 s2, exec_lo
	v_cmpx_ne_u32_e32 50, v0
	s_cbranch_execz .LBB63_1139
; %bb.1136:
	v_add_nc_u32_e32 v135, 0x208, v58
	v_add3_u32 v136, 0, v58, 8
	v_mov_b32_e32 v137, v0
	s_mov_b32 s3, 0
.LBB63_1137:                            ; =>This Inner Loop Header: Depth=1
	scratch_load_b64 v[138:139], v136, off
	ds_load_b64 v[140:141], v135
	s_wait_xcnt 0x0
	v_dual_add_nc_u32 v135, 8, v135 :: v_dual_add_nc_u32 v136, 8, v136
	s_wait_loadcnt_dscnt 0x0
	v_pk_mul_f32 v[142:143], v[140:141], v[138:139] op_sel:[1,1] op_sel_hi:[0,1]
	s_delay_alu instid0(VALU_DEP_1) | instskip(SKIP_2) | instid1(VALU_DEP_3)
	v_pk_fma_f32 v[144:145], v[140:141], v[138:139], v[142:143] op_sel_hi:[1,0,1]
	v_add_nc_u32_e32 v137, 1, v137
	v_pk_fma_f32 v[138:139], v[140:141], v[138:139], v[142:143] neg_lo:[0,0,1] neg_hi:[0,0,1]
	v_mov_b32_e32 v139, v145
	s_delay_alu instid0(VALU_DEP_3) | instskip(NEXT) | instid1(VALU_DEP_2)
	v_cmp_lt_u32_e32 vcc_lo, 49, v137
	v_pk_add_f32 v[132:133], v[132:133], v[138:139]
	s_or_b32 s3, vcc_lo, s3
	s_delay_alu instid0(SALU_CYCLE_1)
	s_and_not1_b32 exec_lo, exec_lo, s3
	s_cbranch_execnz .LBB63_1137
; %bb.1138:
	s_or_b32 exec_lo, exec_lo, s3
.LBB63_1139:
	s_delay_alu instid0(SALU_CYCLE_1) | instskip(SKIP_4) | instid1(VALU_DEP_1)
	s_or_b32 exec_lo, exec_lo, s2
	v_mov_b32_e32 v135, 0
	ds_load_b64 v[136:137], v135 offset:408
	s_wait_dscnt 0x0
	v_pk_mul_f32 v[138:139], v[132:133], v[136:137] op_sel:[1,1] op_sel_hi:[0,1]
	v_pk_fma_f32 v[140:141], v[132:133], v[136:137], v[138:139] op_sel_hi:[1,0,1]
	v_pk_fma_f32 v[132:133], v[132:133], v[136:137], v[138:139] neg_lo:[0,0,1] neg_hi:[0,0,1]
	s_delay_alu instid0(VALU_DEP_2)
	v_mov_b32_e32 v133, v141
	scratch_store_b64 off, v[132:133], off offset:408
.LBB63_1140:
	s_wait_xcnt 0x0
	s_or_b32 exec_lo, exec_lo, s0
	scratch_load_b64 v[132:133], off, off offset:416
	s_mov_b32 s0, exec_lo
	s_wait_loadcnt 0x0
	ds_store_b64 v1, v[132:133]
	s_wait_storecnt_dscnt 0x0
	s_barrier_signal -1
	s_barrier_wait -1
	s_wait_xcnt 0x0
	v_cmpx_gt_u32_e32 52, v0
	s_cbranch_execz .LBB63_1150
; %bb.1141:
	v_cmp_ne_u32_e32 vcc_lo, 1, v134
	s_cbranch_vccnz .LBB63_1143
; %bb.1142:
	scratch_load_b64 v[132:133], v59, off
	ds_load_b64 v[136:137], v1
	s_wait_loadcnt_dscnt 0x0
	v_pk_mul_f32 v[138:139], v[136:137], v[132:133] op_sel:[1,1] op_sel_hi:[0,1]
	s_delay_alu instid0(VALU_DEP_1) | instskip(SKIP_1) | instid1(VALU_DEP_2)
	v_pk_fma_f32 v[140:141], v[136:137], v[132:133], v[138:139] op_sel_hi:[1,0,1]
	v_pk_fma_f32 v[132:133], v[136:137], v[132:133], v[138:139] neg_lo:[0,0,1] neg_hi:[0,0,1]
	v_mov_b32_e32 v133, v141
	s_cbranch_execz .LBB63_1144
	s_branch .LBB63_1145
.LBB63_1143:
                                        ; implicit-def: $vgpr132_vgpr133
.LBB63_1144:
	ds_load_b64 v[132:133], v1
.LBB63_1145:
	s_mov_b32 s2, exec_lo
	v_cmpx_ne_u32_e32 51, v0
	s_cbranch_execz .LBB63_1149
; %bb.1146:
	v_add_nc_u32_e32 v135, 0x208, v58
	v_add3_u32 v136, 0, v58, 8
	v_mov_b32_e32 v137, v0
	s_mov_b32 s3, 0
.LBB63_1147:                            ; =>This Inner Loop Header: Depth=1
	scratch_load_b64 v[138:139], v136, off
	ds_load_b64 v[140:141], v135
	s_wait_xcnt 0x0
	v_dual_add_nc_u32 v135, 8, v135 :: v_dual_add_nc_u32 v136, 8, v136
	s_wait_loadcnt_dscnt 0x0
	v_pk_mul_f32 v[142:143], v[140:141], v[138:139] op_sel:[1,1] op_sel_hi:[0,1]
	s_delay_alu instid0(VALU_DEP_1) | instskip(SKIP_2) | instid1(VALU_DEP_3)
	v_pk_fma_f32 v[144:145], v[140:141], v[138:139], v[142:143] op_sel_hi:[1,0,1]
	v_add_nc_u32_e32 v137, 1, v137
	v_pk_fma_f32 v[138:139], v[140:141], v[138:139], v[142:143] neg_lo:[0,0,1] neg_hi:[0,0,1]
	v_mov_b32_e32 v139, v145
	s_delay_alu instid0(VALU_DEP_3) | instskip(NEXT) | instid1(VALU_DEP_2)
	v_cmp_lt_u32_e32 vcc_lo, 50, v137
	v_pk_add_f32 v[132:133], v[132:133], v[138:139]
	s_or_b32 s3, vcc_lo, s3
	s_delay_alu instid0(SALU_CYCLE_1)
	s_and_not1_b32 exec_lo, exec_lo, s3
	s_cbranch_execnz .LBB63_1147
; %bb.1148:
	s_or_b32 exec_lo, exec_lo, s3
.LBB63_1149:
	s_delay_alu instid0(SALU_CYCLE_1) | instskip(SKIP_4) | instid1(VALU_DEP_1)
	s_or_b32 exec_lo, exec_lo, s2
	v_mov_b32_e32 v135, 0
	ds_load_b64 v[136:137], v135 offset:416
	s_wait_dscnt 0x0
	v_pk_mul_f32 v[138:139], v[132:133], v[136:137] op_sel:[1,1] op_sel_hi:[0,1]
	v_pk_fma_f32 v[140:141], v[132:133], v[136:137], v[138:139] op_sel_hi:[1,0,1]
	v_pk_fma_f32 v[132:133], v[132:133], v[136:137], v[138:139] neg_lo:[0,0,1] neg_hi:[0,0,1]
	s_delay_alu instid0(VALU_DEP_2)
	v_mov_b32_e32 v133, v141
	scratch_store_b64 off, v[132:133], off offset:416
.LBB63_1150:
	s_wait_xcnt 0x0
	s_or_b32 exec_lo, exec_lo, s0
	scratch_load_b64 v[132:133], off, off offset:424
	s_mov_b32 s0, exec_lo
	s_wait_loadcnt 0x0
	ds_store_b64 v1, v[132:133]
	s_wait_storecnt_dscnt 0x0
	s_barrier_signal -1
	s_barrier_wait -1
	s_wait_xcnt 0x0
	v_cmpx_gt_u32_e32 53, v0
	s_cbranch_execz .LBB63_1160
; %bb.1151:
	v_cmp_ne_u32_e32 vcc_lo, 1, v134
	s_cbranch_vccnz .LBB63_1153
; %bb.1152:
	scratch_load_b64 v[132:133], v59, off
	ds_load_b64 v[136:137], v1
	s_wait_loadcnt_dscnt 0x0
	v_pk_mul_f32 v[138:139], v[136:137], v[132:133] op_sel:[1,1] op_sel_hi:[0,1]
	s_delay_alu instid0(VALU_DEP_1) | instskip(SKIP_1) | instid1(VALU_DEP_2)
	v_pk_fma_f32 v[140:141], v[136:137], v[132:133], v[138:139] op_sel_hi:[1,0,1]
	v_pk_fma_f32 v[132:133], v[136:137], v[132:133], v[138:139] neg_lo:[0,0,1] neg_hi:[0,0,1]
	v_mov_b32_e32 v133, v141
	s_cbranch_execz .LBB63_1154
	s_branch .LBB63_1155
.LBB63_1153:
                                        ; implicit-def: $vgpr132_vgpr133
.LBB63_1154:
	ds_load_b64 v[132:133], v1
.LBB63_1155:
	s_mov_b32 s2, exec_lo
	v_cmpx_ne_u32_e32 52, v0
	s_cbranch_execz .LBB63_1159
; %bb.1156:
	v_add_nc_u32_e32 v135, 0x208, v58
	v_add3_u32 v136, 0, v58, 8
	v_mov_b32_e32 v137, v0
	s_mov_b32 s3, 0
.LBB63_1157:                            ; =>This Inner Loop Header: Depth=1
	scratch_load_b64 v[138:139], v136, off
	ds_load_b64 v[140:141], v135
	s_wait_xcnt 0x0
	v_dual_add_nc_u32 v135, 8, v135 :: v_dual_add_nc_u32 v136, 8, v136
	s_wait_loadcnt_dscnt 0x0
	v_pk_mul_f32 v[142:143], v[140:141], v[138:139] op_sel:[1,1] op_sel_hi:[0,1]
	s_delay_alu instid0(VALU_DEP_1) | instskip(SKIP_2) | instid1(VALU_DEP_3)
	v_pk_fma_f32 v[144:145], v[140:141], v[138:139], v[142:143] op_sel_hi:[1,0,1]
	v_add_nc_u32_e32 v137, 1, v137
	v_pk_fma_f32 v[138:139], v[140:141], v[138:139], v[142:143] neg_lo:[0,0,1] neg_hi:[0,0,1]
	v_mov_b32_e32 v139, v145
	s_delay_alu instid0(VALU_DEP_3) | instskip(NEXT) | instid1(VALU_DEP_2)
	v_cmp_lt_u32_e32 vcc_lo, 51, v137
	v_pk_add_f32 v[132:133], v[132:133], v[138:139]
	s_or_b32 s3, vcc_lo, s3
	s_delay_alu instid0(SALU_CYCLE_1)
	s_and_not1_b32 exec_lo, exec_lo, s3
	s_cbranch_execnz .LBB63_1157
; %bb.1158:
	s_or_b32 exec_lo, exec_lo, s3
.LBB63_1159:
	s_delay_alu instid0(SALU_CYCLE_1) | instskip(SKIP_4) | instid1(VALU_DEP_1)
	s_or_b32 exec_lo, exec_lo, s2
	v_mov_b32_e32 v135, 0
	ds_load_b64 v[136:137], v135 offset:424
	s_wait_dscnt 0x0
	v_pk_mul_f32 v[138:139], v[132:133], v[136:137] op_sel:[1,1] op_sel_hi:[0,1]
	v_pk_fma_f32 v[140:141], v[132:133], v[136:137], v[138:139] op_sel_hi:[1,0,1]
	v_pk_fma_f32 v[132:133], v[132:133], v[136:137], v[138:139] neg_lo:[0,0,1] neg_hi:[0,0,1]
	s_delay_alu instid0(VALU_DEP_2)
	v_mov_b32_e32 v133, v141
	scratch_store_b64 off, v[132:133], off offset:424
.LBB63_1160:
	s_wait_xcnt 0x0
	s_or_b32 exec_lo, exec_lo, s0
	scratch_load_b64 v[132:133], off, off offset:432
	s_mov_b32 s0, exec_lo
	s_wait_loadcnt 0x0
	ds_store_b64 v1, v[132:133]
	s_wait_storecnt_dscnt 0x0
	s_barrier_signal -1
	s_barrier_wait -1
	s_wait_xcnt 0x0
	v_cmpx_gt_u32_e32 54, v0
	s_cbranch_execz .LBB63_1170
; %bb.1161:
	v_cmp_ne_u32_e32 vcc_lo, 1, v134
	s_cbranch_vccnz .LBB63_1163
; %bb.1162:
	scratch_load_b64 v[132:133], v59, off
	ds_load_b64 v[136:137], v1
	s_wait_loadcnt_dscnt 0x0
	v_pk_mul_f32 v[138:139], v[136:137], v[132:133] op_sel:[1,1] op_sel_hi:[0,1]
	s_delay_alu instid0(VALU_DEP_1) | instskip(SKIP_1) | instid1(VALU_DEP_2)
	v_pk_fma_f32 v[140:141], v[136:137], v[132:133], v[138:139] op_sel_hi:[1,0,1]
	v_pk_fma_f32 v[132:133], v[136:137], v[132:133], v[138:139] neg_lo:[0,0,1] neg_hi:[0,0,1]
	v_mov_b32_e32 v133, v141
	s_cbranch_execz .LBB63_1164
	s_branch .LBB63_1165
.LBB63_1163:
                                        ; implicit-def: $vgpr132_vgpr133
.LBB63_1164:
	ds_load_b64 v[132:133], v1
.LBB63_1165:
	s_mov_b32 s2, exec_lo
	v_cmpx_ne_u32_e32 53, v0
	s_cbranch_execz .LBB63_1169
; %bb.1166:
	v_add_nc_u32_e32 v135, 0x208, v58
	v_add3_u32 v136, 0, v58, 8
	v_mov_b32_e32 v137, v0
	s_mov_b32 s3, 0
.LBB63_1167:                            ; =>This Inner Loop Header: Depth=1
	scratch_load_b64 v[138:139], v136, off
	ds_load_b64 v[140:141], v135
	s_wait_xcnt 0x0
	v_dual_add_nc_u32 v135, 8, v135 :: v_dual_add_nc_u32 v136, 8, v136
	s_wait_loadcnt_dscnt 0x0
	v_pk_mul_f32 v[142:143], v[140:141], v[138:139] op_sel:[1,1] op_sel_hi:[0,1]
	s_delay_alu instid0(VALU_DEP_1) | instskip(SKIP_2) | instid1(VALU_DEP_3)
	v_pk_fma_f32 v[144:145], v[140:141], v[138:139], v[142:143] op_sel_hi:[1,0,1]
	v_add_nc_u32_e32 v137, 1, v137
	v_pk_fma_f32 v[138:139], v[140:141], v[138:139], v[142:143] neg_lo:[0,0,1] neg_hi:[0,0,1]
	v_mov_b32_e32 v139, v145
	s_delay_alu instid0(VALU_DEP_3) | instskip(NEXT) | instid1(VALU_DEP_2)
	v_cmp_lt_u32_e32 vcc_lo, 52, v137
	v_pk_add_f32 v[132:133], v[132:133], v[138:139]
	s_or_b32 s3, vcc_lo, s3
	s_delay_alu instid0(SALU_CYCLE_1)
	s_and_not1_b32 exec_lo, exec_lo, s3
	s_cbranch_execnz .LBB63_1167
; %bb.1168:
	s_or_b32 exec_lo, exec_lo, s3
.LBB63_1169:
	s_delay_alu instid0(SALU_CYCLE_1) | instskip(SKIP_4) | instid1(VALU_DEP_1)
	s_or_b32 exec_lo, exec_lo, s2
	v_mov_b32_e32 v135, 0
	ds_load_b64 v[136:137], v135 offset:432
	s_wait_dscnt 0x0
	v_pk_mul_f32 v[138:139], v[132:133], v[136:137] op_sel:[1,1] op_sel_hi:[0,1]
	v_pk_fma_f32 v[140:141], v[132:133], v[136:137], v[138:139] op_sel_hi:[1,0,1]
	v_pk_fma_f32 v[132:133], v[132:133], v[136:137], v[138:139] neg_lo:[0,0,1] neg_hi:[0,0,1]
	s_delay_alu instid0(VALU_DEP_2)
	v_mov_b32_e32 v133, v141
	scratch_store_b64 off, v[132:133], off offset:432
.LBB63_1170:
	s_wait_xcnt 0x0
	s_or_b32 exec_lo, exec_lo, s0
	scratch_load_b64 v[132:133], off, off offset:440
	s_mov_b32 s0, exec_lo
	s_wait_loadcnt 0x0
	ds_store_b64 v1, v[132:133]
	s_wait_storecnt_dscnt 0x0
	s_barrier_signal -1
	s_barrier_wait -1
	s_wait_xcnt 0x0
	v_cmpx_gt_u32_e32 55, v0
	s_cbranch_execz .LBB63_1180
; %bb.1171:
	v_cmp_ne_u32_e32 vcc_lo, 1, v134
	s_cbranch_vccnz .LBB63_1173
; %bb.1172:
	scratch_load_b64 v[132:133], v59, off
	ds_load_b64 v[136:137], v1
	s_wait_loadcnt_dscnt 0x0
	v_pk_mul_f32 v[138:139], v[136:137], v[132:133] op_sel:[1,1] op_sel_hi:[0,1]
	s_delay_alu instid0(VALU_DEP_1) | instskip(SKIP_1) | instid1(VALU_DEP_2)
	v_pk_fma_f32 v[140:141], v[136:137], v[132:133], v[138:139] op_sel_hi:[1,0,1]
	v_pk_fma_f32 v[132:133], v[136:137], v[132:133], v[138:139] neg_lo:[0,0,1] neg_hi:[0,0,1]
	v_mov_b32_e32 v133, v141
	s_cbranch_execz .LBB63_1174
	s_branch .LBB63_1175
.LBB63_1173:
                                        ; implicit-def: $vgpr132_vgpr133
.LBB63_1174:
	ds_load_b64 v[132:133], v1
.LBB63_1175:
	s_mov_b32 s2, exec_lo
	v_cmpx_ne_u32_e32 54, v0
	s_cbranch_execz .LBB63_1179
; %bb.1176:
	v_add_nc_u32_e32 v135, 0x208, v58
	v_add3_u32 v136, 0, v58, 8
	v_mov_b32_e32 v137, v0
	s_mov_b32 s3, 0
.LBB63_1177:                            ; =>This Inner Loop Header: Depth=1
	scratch_load_b64 v[138:139], v136, off
	ds_load_b64 v[140:141], v135
	s_wait_xcnt 0x0
	v_dual_add_nc_u32 v135, 8, v135 :: v_dual_add_nc_u32 v136, 8, v136
	s_wait_loadcnt_dscnt 0x0
	v_pk_mul_f32 v[142:143], v[140:141], v[138:139] op_sel:[1,1] op_sel_hi:[0,1]
	s_delay_alu instid0(VALU_DEP_1) | instskip(SKIP_2) | instid1(VALU_DEP_3)
	v_pk_fma_f32 v[144:145], v[140:141], v[138:139], v[142:143] op_sel_hi:[1,0,1]
	v_add_nc_u32_e32 v137, 1, v137
	v_pk_fma_f32 v[138:139], v[140:141], v[138:139], v[142:143] neg_lo:[0,0,1] neg_hi:[0,0,1]
	v_mov_b32_e32 v139, v145
	s_delay_alu instid0(VALU_DEP_3) | instskip(NEXT) | instid1(VALU_DEP_2)
	v_cmp_lt_u32_e32 vcc_lo, 53, v137
	v_pk_add_f32 v[132:133], v[132:133], v[138:139]
	s_or_b32 s3, vcc_lo, s3
	s_delay_alu instid0(SALU_CYCLE_1)
	s_and_not1_b32 exec_lo, exec_lo, s3
	s_cbranch_execnz .LBB63_1177
; %bb.1178:
	s_or_b32 exec_lo, exec_lo, s3
.LBB63_1179:
	s_delay_alu instid0(SALU_CYCLE_1) | instskip(SKIP_4) | instid1(VALU_DEP_1)
	s_or_b32 exec_lo, exec_lo, s2
	v_mov_b32_e32 v135, 0
	ds_load_b64 v[136:137], v135 offset:440
	s_wait_dscnt 0x0
	v_pk_mul_f32 v[138:139], v[132:133], v[136:137] op_sel:[1,1] op_sel_hi:[0,1]
	v_pk_fma_f32 v[140:141], v[132:133], v[136:137], v[138:139] op_sel_hi:[1,0,1]
	v_pk_fma_f32 v[132:133], v[132:133], v[136:137], v[138:139] neg_lo:[0,0,1] neg_hi:[0,0,1]
	s_delay_alu instid0(VALU_DEP_2)
	v_mov_b32_e32 v133, v141
	scratch_store_b64 off, v[132:133], off offset:440
.LBB63_1180:
	s_wait_xcnt 0x0
	s_or_b32 exec_lo, exec_lo, s0
	scratch_load_b64 v[132:133], off, off offset:448
	s_mov_b32 s0, exec_lo
	s_wait_loadcnt 0x0
	ds_store_b64 v1, v[132:133]
	s_wait_storecnt_dscnt 0x0
	s_barrier_signal -1
	s_barrier_wait -1
	s_wait_xcnt 0x0
	v_cmpx_gt_u32_e32 56, v0
	s_cbranch_execz .LBB63_1190
; %bb.1181:
	v_cmp_ne_u32_e32 vcc_lo, 1, v134
	s_cbranch_vccnz .LBB63_1183
; %bb.1182:
	scratch_load_b64 v[132:133], v59, off
	ds_load_b64 v[136:137], v1
	s_wait_loadcnt_dscnt 0x0
	v_pk_mul_f32 v[138:139], v[136:137], v[132:133] op_sel:[1,1] op_sel_hi:[0,1]
	s_delay_alu instid0(VALU_DEP_1) | instskip(SKIP_1) | instid1(VALU_DEP_2)
	v_pk_fma_f32 v[140:141], v[136:137], v[132:133], v[138:139] op_sel_hi:[1,0,1]
	v_pk_fma_f32 v[132:133], v[136:137], v[132:133], v[138:139] neg_lo:[0,0,1] neg_hi:[0,0,1]
	v_mov_b32_e32 v133, v141
	s_cbranch_execz .LBB63_1184
	s_branch .LBB63_1185
.LBB63_1183:
                                        ; implicit-def: $vgpr132_vgpr133
.LBB63_1184:
	ds_load_b64 v[132:133], v1
.LBB63_1185:
	s_mov_b32 s2, exec_lo
	v_cmpx_ne_u32_e32 55, v0
	s_cbranch_execz .LBB63_1189
; %bb.1186:
	v_add_nc_u32_e32 v135, 0x208, v58
	v_add3_u32 v136, 0, v58, 8
	v_mov_b32_e32 v137, v0
	s_mov_b32 s3, 0
.LBB63_1187:                            ; =>This Inner Loop Header: Depth=1
	scratch_load_b64 v[138:139], v136, off
	ds_load_b64 v[140:141], v135
	s_wait_xcnt 0x0
	v_dual_add_nc_u32 v135, 8, v135 :: v_dual_add_nc_u32 v136, 8, v136
	s_wait_loadcnt_dscnt 0x0
	v_pk_mul_f32 v[142:143], v[140:141], v[138:139] op_sel:[1,1] op_sel_hi:[0,1]
	s_delay_alu instid0(VALU_DEP_1) | instskip(SKIP_2) | instid1(VALU_DEP_3)
	v_pk_fma_f32 v[144:145], v[140:141], v[138:139], v[142:143] op_sel_hi:[1,0,1]
	v_add_nc_u32_e32 v137, 1, v137
	v_pk_fma_f32 v[138:139], v[140:141], v[138:139], v[142:143] neg_lo:[0,0,1] neg_hi:[0,0,1]
	v_mov_b32_e32 v139, v145
	s_delay_alu instid0(VALU_DEP_3) | instskip(NEXT) | instid1(VALU_DEP_2)
	v_cmp_lt_u32_e32 vcc_lo, 54, v137
	v_pk_add_f32 v[132:133], v[132:133], v[138:139]
	s_or_b32 s3, vcc_lo, s3
	s_delay_alu instid0(SALU_CYCLE_1)
	s_and_not1_b32 exec_lo, exec_lo, s3
	s_cbranch_execnz .LBB63_1187
; %bb.1188:
	s_or_b32 exec_lo, exec_lo, s3
.LBB63_1189:
	s_delay_alu instid0(SALU_CYCLE_1) | instskip(SKIP_4) | instid1(VALU_DEP_1)
	s_or_b32 exec_lo, exec_lo, s2
	v_mov_b32_e32 v135, 0
	ds_load_b64 v[136:137], v135 offset:448
	s_wait_dscnt 0x0
	v_pk_mul_f32 v[138:139], v[132:133], v[136:137] op_sel:[1,1] op_sel_hi:[0,1]
	v_pk_fma_f32 v[140:141], v[132:133], v[136:137], v[138:139] op_sel_hi:[1,0,1]
	v_pk_fma_f32 v[132:133], v[132:133], v[136:137], v[138:139] neg_lo:[0,0,1] neg_hi:[0,0,1]
	s_delay_alu instid0(VALU_DEP_2)
	v_mov_b32_e32 v133, v141
	scratch_store_b64 off, v[132:133], off offset:448
.LBB63_1190:
	s_wait_xcnt 0x0
	s_or_b32 exec_lo, exec_lo, s0
	scratch_load_b64 v[132:133], off, off offset:456
	s_mov_b32 s0, exec_lo
	s_wait_loadcnt 0x0
	ds_store_b64 v1, v[132:133]
	s_wait_storecnt_dscnt 0x0
	s_barrier_signal -1
	s_barrier_wait -1
	s_wait_xcnt 0x0
	v_cmpx_gt_u32_e32 57, v0
	s_cbranch_execz .LBB63_1200
; %bb.1191:
	v_cmp_ne_u32_e32 vcc_lo, 1, v134
	s_cbranch_vccnz .LBB63_1193
; %bb.1192:
	scratch_load_b64 v[132:133], v59, off
	ds_load_b64 v[136:137], v1
	s_wait_loadcnt_dscnt 0x0
	v_pk_mul_f32 v[138:139], v[136:137], v[132:133] op_sel:[1,1] op_sel_hi:[0,1]
	s_delay_alu instid0(VALU_DEP_1) | instskip(SKIP_1) | instid1(VALU_DEP_2)
	v_pk_fma_f32 v[140:141], v[136:137], v[132:133], v[138:139] op_sel_hi:[1,0,1]
	v_pk_fma_f32 v[132:133], v[136:137], v[132:133], v[138:139] neg_lo:[0,0,1] neg_hi:[0,0,1]
	v_mov_b32_e32 v133, v141
	s_cbranch_execz .LBB63_1194
	s_branch .LBB63_1195
.LBB63_1193:
                                        ; implicit-def: $vgpr132_vgpr133
.LBB63_1194:
	ds_load_b64 v[132:133], v1
.LBB63_1195:
	s_mov_b32 s2, exec_lo
	v_cmpx_ne_u32_e32 56, v0
	s_cbranch_execz .LBB63_1199
; %bb.1196:
	v_add_nc_u32_e32 v135, 0x208, v58
	v_add3_u32 v136, 0, v58, 8
	v_mov_b32_e32 v137, v0
	s_mov_b32 s3, 0
.LBB63_1197:                            ; =>This Inner Loop Header: Depth=1
	scratch_load_b64 v[138:139], v136, off
	ds_load_b64 v[140:141], v135
	s_wait_xcnt 0x0
	v_dual_add_nc_u32 v135, 8, v135 :: v_dual_add_nc_u32 v136, 8, v136
	s_wait_loadcnt_dscnt 0x0
	v_pk_mul_f32 v[142:143], v[140:141], v[138:139] op_sel:[1,1] op_sel_hi:[0,1]
	s_delay_alu instid0(VALU_DEP_1) | instskip(SKIP_2) | instid1(VALU_DEP_3)
	v_pk_fma_f32 v[144:145], v[140:141], v[138:139], v[142:143] op_sel_hi:[1,0,1]
	v_add_nc_u32_e32 v137, 1, v137
	v_pk_fma_f32 v[138:139], v[140:141], v[138:139], v[142:143] neg_lo:[0,0,1] neg_hi:[0,0,1]
	v_mov_b32_e32 v139, v145
	s_delay_alu instid0(VALU_DEP_3) | instskip(NEXT) | instid1(VALU_DEP_2)
	v_cmp_lt_u32_e32 vcc_lo, 55, v137
	v_pk_add_f32 v[132:133], v[132:133], v[138:139]
	s_or_b32 s3, vcc_lo, s3
	s_delay_alu instid0(SALU_CYCLE_1)
	s_and_not1_b32 exec_lo, exec_lo, s3
	s_cbranch_execnz .LBB63_1197
; %bb.1198:
	s_or_b32 exec_lo, exec_lo, s3
.LBB63_1199:
	s_delay_alu instid0(SALU_CYCLE_1) | instskip(SKIP_4) | instid1(VALU_DEP_1)
	s_or_b32 exec_lo, exec_lo, s2
	v_mov_b32_e32 v135, 0
	ds_load_b64 v[136:137], v135 offset:456
	s_wait_dscnt 0x0
	v_pk_mul_f32 v[138:139], v[132:133], v[136:137] op_sel:[1,1] op_sel_hi:[0,1]
	v_pk_fma_f32 v[140:141], v[132:133], v[136:137], v[138:139] op_sel_hi:[1,0,1]
	v_pk_fma_f32 v[132:133], v[132:133], v[136:137], v[138:139] neg_lo:[0,0,1] neg_hi:[0,0,1]
	s_delay_alu instid0(VALU_DEP_2)
	v_mov_b32_e32 v133, v141
	scratch_store_b64 off, v[132:133], off offset:456
.LBB63_1200:
	s_wait_xcnt 0x0
	s_or_b32 exec_lo, exec_lo, s0
	scratch_load_b64 v[132:133], off, off offset:464
	s_mov_b32 s0, exec_lo
	s_wait_loadcnt 0x0
	ds_store_b64 v1, v[132:133]
	s_wait_storecnt_dscnt 0x0
	s_barrier_signal -1
	s_barrier_wait -1
	s_wait_xcnt 0x0
	v_cmpx_gt_u32_e32 58, v0
	s_cbranch_execz .LBB63_1210
; %bb.1201:
	v_cmp_ne_u32_e32 vcc_lo, 1, v134
	s_cbranch_vccnz .LBB63_1203
; %bb.1202:
	scratch_load_b64 v[132:133], v59, off
	ds_load_b64 v[136:137], v1
	s_wait_loadcnt_dscnt 0x0
	v_pk_mul_f32 v[138:139], v[136:137], v[132:133] op_sel:[1,1] op_sel_hi:[0,1]
	s_delay_alu instid0(VALU_DEP_1) | instskip(SKIP_1) | instid1(VALU_DEP_2)
	v_pk_fma_f32 v[140:141], v[136:137], v[132:133], v[138:139] op_sel_hi:[1,0,1]
	v_pk_fma_f32 v[132:133], v[136:137], v[132:133], v[138:139] neg_lo:[0,0,1] neg_hi:[0,0,1]
	v_mov_b32_e32 v133, v141
	s_cbranch_execz .LBB63_1204
	s_branch .LBB63_1205
.LBB63_1203:
                                        ; implicit-def: $vgpr132_vgpr133
.LBB63_1204:
	ds_load_b64 v[132:133], v1
.LBB63_1205:
	s_mov_b32 s2, exec_lo
	v_cmpx_ne_u32_e32 57, v0
	s_cbranch_execz .LBB63_1209
; %bb.1206:
	v_add_nc_u32_e32 v135, 0x208, v58
	v_add3_u32 v136, 0, v58, 8
	v_mov_b32_e32 v137, v0
	s_mov_b32 s3, 0
.LBB63_1207:                            ; =>This Inner Loop Header: Depth=1
	scratch_load_b64 v[138:139], v136, off
	ds_load_b64 v[140:141], v135
	s_wait_xcnt 0x0
	v_dual_add_nc_u32 v135, 8, v135 :: v_dual_add_nc_u32 v136, 8, v136
	s_wait_loadcnt_dscnt 0x0
	v_pk_mul_f32 v[142:143], v[140:141], v[138:139] op_sel:[1,1] op_sel_hi:[0,1]
	s_delay_alu instid0(VALU_DEP_1) | instskip(SKIP_2) | instid1(VALU_DEP_3)
	v_pk_fma_f32 v[144:145], v[140:141], v[138:139], v[142:143] op_sel_hi:[1,0,1]
	v_add_nc_u32_e32 v137, 1, v137
	v_pk_fma_f32 v[138:139], v[140:141], v[138:139], v[142:143] neg_lo:[0,0,1] neg_hi:[0,0,1]
	v_mov_b32_e32 v139, v145
	s_delay_alu instid0(VALU_DEP_3) | instskip(NEXT) | instid1(VALU_DEP_2)
	v_cmp_lt_u32_e32 vcc_lo, 56, v137
	v_pk_add_f32 v[132:133], v[132:133], v[138:139]
	s_or_b32 s3, vcc_lo, s3
	s_delay_alu instid0(SALU_CYCLE_1)
	s_and_not1_b32 exec_lo, exec_lo, s3
	s_cbranch_execnz .LBB63_1207
; %bb.1208:
	s_or_b32 exec_lo, exec_lo, s3
.LBB63_1209:
	s_delay_alu instid0(SALU_CYCLE_1) | instskip(SKIP_4) | instid1(VALU_DEP_1)
	s_or_b32 exec_lo, exec_lo, s2
	v_mov_b32_e32 v135, 0
	ds_load_b64 v[136:137], v135 offset:464
	s_wait_dscnt 0x0
	v_pk_mul_f32 v[138:139], v[132:133], v[136:137] op_sel:[1,1] op_sel_hi:[0,1]
	v_pk_fma_f32 v[140:141], v[132:133], v[136:137], v[138:139] op_sel_hi:[1,0,1]
	v_pk_fma_f32 v[132:133], v[132:133], v[136:137], v[138:139] neg_lo:[0,0,1] neg_hi:[0,0,1]
	s_delay_alu instid0(VALU_DEP_2)
	v_mov_b32_e32 v133, v141
	scratch_store_b64 off, v[132:133], off offset:464
.LBB63_1210:
	s_wait_xcnt 0x0
	s_or_b32 exec_lo, exec_lo, s0
	scratch_load_b64 v[132:133], off, off offset:472
	s_mov_b32 s0, exec_lo
	s_wait_loadcnt 0x0
	ds_store_b64 v1, v[132:133]
	s_wait_storecnt_dscnt 0x0
	s_barrier_signal -1
	s_barrier_wait -1
	s_wait_xcnt 0x0
	v_cmpx_gt_u32_e32 59, v0
	s_cbranch_execz .LBB63_1220
; %bb.1211:
	v_cmp_ne_u32_e32 vcc_lo, 1, v134
	s_cbranch_vccnz .LBB63_1213
; %bb.1212:
	scratch_load_b64 v[132:133], v59, off
	ds_load_b64 v[136:137], v1
	s_wait_loadcnt_dscnt 0x0
	v_pk_mul_f32 v[138:139], v[136:137], v[132:133] op_sel:[1,1] op_sel_hi:[0,1]
	s_delay_alu instid0(VALU_DEP_1) | instskip(SKIP_1) | instid1(VALU_DEP_2)
	v_pk_fma_f32 v[140:141], v[136:137], v[132:133], v[138:139] op_sel_hi:[1,0,1]
	v_pk_fma_f32 v[132:133], v[136:137], v[132:133], v[138:139] neg_lo:[0,0,1] neg_hi:[0,0,1]
	v_mov_b32_e32 v133, v141
	s_cbranch_execz .LBB63_1214
	s_branch .LBB63_1215
.LBB63_1213:
                                        ; implicit-def: $vgpr132_vgpr133
.LBB63_1214:
	ds_load_b64 v[132:133], v1
.LBB63_1215:
	s_mov_b32 s2, exec_lo
	v_cmpx_ne_u32_e32 58, v0
	s_cbranch_execz .LBB63_1219
; %bb.1216:
	v_add_nc_u32_e32 v135, 0x208, v58
	v_add3_u32 v136, 0, v58, 8
	v_mov_b32_e32 v137, v0
	s_mov_b32 s3, 0
.LBB63_1217:                            ; =>This Inner Loop Header: Depth=1
	scratch_load_b64 v[138:139], v136, off
	ds_load_b64 v[140:141], v135
	s_wait_xcnt 0x0
	v_dual_add_nc_u32 v135, 8, v135 :: v_dual_add_nc_u32 v136, 8, v136
	s_wait_loadcnt_dscnt 0x0
	v_pk_mul_f32 v[142:143], v[140:141], v[138:139] op_sel:[1,1] op_sel_hi:[0,1]
	s_delay_alu instid0(VALU_DEP_1) | instskip(SKIP_2) | instid1(VALU_DEP_3)
	v_pk_fma_f32 v[144:145], v[140:141], v[138:139], v[142:143] op_sel_hi:[1,0,1]
	v_add_nc_u32_e32 v137, 1, v137
	v_pk_fma_f32 v[138:139], v[140:141], v[138:139], v[142:143] neg_lo:[0,0,1] neg_hi:[0,0,1]
	v_mov_b32_e32 v139, v145
	s_delay_alu instid0(VALU_DEP_3) | instskip(NEXT) | instid1(VALU_DEP_2)
	v_cmp_lt_u32_e32 vcc_lo, 57, v137
	v_pk_add_f32 v[132:133], v[132:133], v[138:139]
	s_or_b32 s3, vcc_lo, s3
	s_delay_alu instid0(SALU_CYCLE_1)
	s_and_not1_b32 exec_lo, exec_lo, s3
	s_cbranch_execnz .LBB63_1217
; %bb.1218:
	s_or_b32 exec_lo, exec_lo, s3
.LBB63_1219:
	s_delay_alu instid0(SALU_CYCLE_1) | instskip(SKIP_4) | instid1(VALU_DEP_1)
	s_or_b32 exec_lo, exec_lo, s2
	v_mov_b32_e32 v135, 0
	ds_load_b64 v[136:137], v135 offset:472
	s_wait_dscnt 0x0
	v_pk_mul_f32 v[138:139], v[132:133], v[136:137] op_sel:[1,1] op_sel_hi:[0,1]
	v_pk_fma_f32 v[140:141], v[132:133], v[136:137], v[138:139] op_sel_hi:[1,0,1]
	v_pk_fma_f32 v[132:133], v[132:133], v[136:137], v[138:139] neg_lo:[0,0,1] neg_hi:[0,0,1]
	s_delay_alu instid0(VALU_DEP_2)
	v_mov_b32_e32 v133, v141
	scratch_store_b64 off, v[132:133], off offset:472
.LBB63_1220:
	s_wait_xcnt 0x0
	s_or_b32 exec_lo, exec_lo, s0
	scratch_load_b64 v[132:133], off, off offset:480
	s_mov_b32 s0, exec_lo
	s_wait_loadcnt 0x0
	ds_store_b64 v1, v[132:133]
	s_wait_storecnt_dscnt 0x0
	s_barrier_signal -1
	s_barrier_wait -1
	s_wait_xcnt 0x0
	v_cmpx_gt_u32_e32 60, v0
	s_cbranch_execz .LBB63_1230
; %bb.1221:
	v_cmp_ne_u32_e32 vcc_lo, 1, v134
	s_cbranch_vccnz .LBB63_1223
; %bb.1222:
	scratch_load_b64 v[132:133], v59, off
	ds_load_b64 v[136:137], v1
	s_wait_loadcnt_dscnt 0x0
	v_pk_mul_f32 v[138:139], v[136:137], v[132:133] op_sel:[1,1] op_sel_hi:[0,1]
	s_delay_alu instid0(VALU_DEP_1) | instskip(SKIP_1) | instid1(VALU_DEP_2)
	v_pk_fma_f32 v[140:141], v[136:137], v[132:133], v[138:139] op_sel_hi:[1,0,1]
	v_pk_fma_f32 v[132:133], v[136:137], v[132:133], v[138:139] neg_lo:[0,0,1] neg_hi:[0,0,1]
	v_mov_b32_e32 v133, v141
	s_cbranch_execz .LBB63_1224
	s_branch .LBB63_1225
.LBB63_1223:
                                        ; implicit-def: $vgpr132_vgpr133
.LBB63_1224:
	ds_load_b64 v[132:133], v1
.LBB63_1225:
	s_mov_b32 s2, exec_lo
	v_cmpx_ne_u32_e32 59, v0
	s_cbranch_execz .LBB63_1229
; %bb.1226:
	v_add_nc_u32_e32 v135, 0x208, v58
	v_add3_u32 v136, 0, v58, 8
	v_mov_b32_e32 v137, v0
	s_mov_b32 s3, 0
.LBB63_1227:                            ; =>This Inner Loop Header: Depth=1
	scratch_load_b64 v[138:139], v136, off
	ds_load_b64 v[140:141], v135
	s_wait_xcnt 0x0
	v_dual_add_nc_u32 v135, 8, v135 :: v_dual_add_nc_u32 v136, 8, v136
	s_wait_loadcnt_dscnt 0x0
	v_pk_mul_f32 v[142:143], v[140:141], v[138:139] op_sel:[1,1] op_sel_hi:[0,1]
	s_delay_alu instid0(VALU_DEP_1) | instskip(SKIP_2) | instid1(VALU_DEP_3)
	v_pk_fma_f32 v[144:145], v[140:141], v[138:139], v[142:143] op_sel_hi:[1,0,1]
	v_add_nc_u32_e32 v137, 1, v137
	v_pk_fma_f32 v[138:139], v[140:141], v[138:139], v[142:143] neg_lo:[0,0,1] neg_hi:[0,0,1]
	v_mov_b32_e32 v139, v145
	s_delay_alu instid0(VALU_DEP_3) | instskip(NEXT) | instid1(VALU_DEP_2)
	v_cmp_lt_u32_e32 vcc_lo, 58, v137
	v_pk_add_f32 v[132:133], v[132:133], v[138:139]
	s_or_b32 s3, vcc_lo, s3
	s_delay_alu instid0(SALU_CYCLE_1)
	s_and_not1_b32 exec_lo, exec_lo, s3
	s_cbranch_execnz .LBB63_1227
; %bb.1228:
	s_or_b32 exec_lo, exec_lo, s3
.LBB63_1229:
	s_delay_alu instid0(SALU_CYCLE_1) | instskip(SKIP_4) | instid1(VALU_DEP_1)
	s_or_b32 exec_lo, exec_lo, s2
	v_mov_b32_e32 v135, 0
	ds_load_b64 v[136:137], v135 offset:480
	s_wait_dscnt 0x0
	v_pk_mul_f32 v[138:139], v[132:133], v[136:137] op_sel:[1,1] op_sel_hi:[0,1]
	v_pk_fma_f32 v[140:141], v[132:133], v[136:137], v[138:139] op_sel_hi:[1,0,1]
	v_pk_fma_f32 v[132:133], v[132:133], v[136:137], v[138:139] neg_lo:[0,0,1] neg_hi:[0,0,1]
	s_delay_alu instid0(VALU_DEP_2)
	v_mov_b32_e32 v133, v141
	scratch_store_b64 off, v[132:133], off offset:480
.LBB63_1230:
	s_wait_xcnt 0x0
	s_or_b32 exec_lo, exec_lo, s0
	scratch_load_b64 v[132:133], off, off offset:488
	s_mov_b32 s0, exec_lo
	s_wait_loadcnt 0x0
	ds_store_b64 v1, v[132:133]
	s_wait_storecnt_dscnt 0x0
	s_barrier_signal -1
	s_barrier_wait -1
	s_wait_xcnt 0x0
	v_cmpx_gt_u32_e32 61, v0
	s_cbranch_execz .LBB63_1240
; %bb.1231:
	v_cmp_ne_u32_e32 vcc_lo, 1, v134
	s_cbranch_vccnz .LBB63_1233
; %bb.1232:
	scratch_load_b64 v[132:133], v59, off
	ds_load_b64 v[136:137], v1
	s_wait_loadcnt_dscnt 0x0
	v_pk_mul_f32 v[138:139], v[136:137], v[132:133] op_sel:[1,1] op_sel_hi:[0,1]
	s_delay_alu instid0(VALU_DEP_1) | instskip(SKIP_1) | instid1(VALU_DEP_2)
	v_pk_fma_f32 v[140:141], v[136:137], v[132:133], v[138:139] op_sel_hi:[1,0,1]
	v_pk_fma_f32 v[132:133], v[136:137], v[132:133], v[138:139] neg_lo:[0,0,1] neg_hi:[0,0,1]
	v_mov_b32_e32 v133, v141
	s_cbranch_execz .LBB63_1234
	s_branch .LBB63_1235
.LBB63_1233:
                                        ; implicit-def: $vgpr132_vgpr133
.LBB63_1234:
	ds_load_b64 v[132:133], v1
.LBB63_1235:
	s_mov_b32 s2, exec_lo
	v_cmpx_ne_u32_e32 60, v0
	s_cbranch_execz .LBB63_1239
; %bb.1236:
	v_add_nc_u32_e32 v135, 0x208, v58
	v_add3_u32 v136, 0, v58, 8
	v_mov_b32_e32 v137, v0
	s_mov_b32 s3, 0
.LBB63_1237:                            ; =>This Inner Loop Header: Depth=1
	scratch_load_b64 v[138:139], v136, off
	ds_load_b64 v[140:141], v135
	s_wait_xcnt 0x0
	v_dual_add_nc_u32 v135, 8, v135 :: v_dual_add_nc_u32 v136, 8, v136
	s_wait_loadcnt_dscnt 0x0
	v_pk_mul_f32 v[142:143], v[140:141], v[138:139] op_sel:[1,1] op_sel_hi:[0,1]
	s_delay_alu instid0(VALU_DEP_1) | instskip(SKIP_2) | instid1(VALU_DEP_3)
	v_pk_fma_f32 v[144:145], v[140:141], v[138:139], v[142:143] op_sel_hi:[1,0,1]
	v_add_nc_u32_e32 v137, 1, v137
	v_pk_fma_f32 v[138:139], v[140:141], v[138:139], v[142:143] neg_lo:[0,0,1] neg_hi:[0,0,1]
	v_mov_b32_e32 v139, v145
	s_delay_alu instid0(VALU_DEP_3) | instskip(NEXT) | instid1(VALU_DEP_2)
	v_cmp_lt_u32_e32 vcc_lo, 59, v137
	v_pk_add_f32 v[132:133], v[132:133], v[138:139]
	s_or_b32 s3, vcc_lo, s3
	s_delay_alu instid0(SALU_CYCLE_1)
	s_and_not1_b32 exec_lo, exec_lo, s3
	s_cbranch_execnz .LBB63_1237
; %bb.1238:
	s_or_b32 exec_lo, exec_lo, s3
.LBB63_1239:
	s_delay_alu instid0(SALU_CYCLE_1) | instskip(SKIP_4) | instid1(VALU_DEP_1)
	s_or_b32 exec_lo, exec_lo, s2
	v_mov_b32_e32 v135, 0
	ds_load_b64 v[136:137], v135 offset:488
	s_wait_dscnt 0x0
	v_pk_mul_f32 v[138:139], v[132:133], v[136:137] op_sel:[1,1] op_sel_hi:[0,1]
	v_pk_fma_f32 v[140:141], v[132:133], v[136:137], v[138:139] op_sel_hi:[1,0,1]
	v_pk_fma_f32 v[132:133], v[132:133], v[136:137], v[138:139] neg_lo:[0,0,1] neg_hi:[0,0,1]
	s_delay_alu instid0(VALU_DEP_2)
	v_mov_b32_e32 v133, v141
	scratch_store_b64 off, v[132:133], off offset:488
.LBB63_1240:
	s_wait_xcnt 0x0
	s_or_b32 exec_lo, exec_lo, s0
	scratch_load_b64 v[132:133], off, off offset:496
	v_cmp_gt_u32_e64 s0, 62, v0
	s_wait_loadcnt 0x0
	ds_store_b64 v1, v[132:133]
	s_wait_storecnt_dscnt 0x0
	s_barrier_signal -1
	s_barrier_wait -1
	s_wait_xcnt 0x0
	s_and_saveexec_b32 s2, s0
	s_cbranch_execz .LBB63_1250
; %bb.1241:
	v_cmp_ne_u32_e32 vcc_lo, 1, v134
	s_cbranch_vccnz .LBB63_1243
; %bb.1242:
	scratch_load_b64 v[132:133], v59, off
	ds_load_b64 v[136:137], v1
	s_wait_loadcnt_dscnt 0x0
	v_pk_mul_f32 v[138:139], v[136:137], v[132:133] op_sel:[1,1] op_sel_hi:[0,1]
	s_delay_alu instid0(VALU_DEP_1) | instskip(SKIP_1) | instid1(VALU_DEP_2)
	v_pk_fma_f32 v[140:141], v[136:137], v[132:133], v[138:139] op_sel_hi:[1,0,1]
	v_pk_fma_f32 v[132:133], v[136:137], v[132:133], v[138:139] neg_lo:[0,0,1] neg_hi:[0,0,1]
	v_mov_b32_e32 v133, v141
	s_cbranch_execz .LBB63_1244
	s_branch .LBB63_1245
.LBB63_1243:
                                        ; implicit-def: $vgpr132_vgpr133
.LBB63_1244:
	ds_load_b64 v[132:133], v1
.LBB63_1245:
	s_mov_b32 s3, exec_lo
	v_cmpx_ne_u32_e32 61, v0
	s_cbranch_execz .LBB63_1249
; %bb.1246:
	v_add_nc_u32_e32 v135, 0x208, v58
	v_add3_u32 v136, 0, v58, 8
	v_mov_b32_e32 v137, v0
	s_mov_b32 s4, 0
.LBB63_1247:                            ; =>This Inner Loop Header: Depth=1
	scratch_load_b64 v[138:139], v136, off
	ds_load_b64 v[140:141], v135
	s_wait_xcnt 0x0
	v_dual_add_nc_u32 v135, 8, v135 :: v_dual_add_nc_u32 v136, 8, v136
	s_wait_loadcnt_dscnt 0x0
	v_pk_mul_f32 v[142:143], v[140:141], v[138:139] op_sel:[1,1] op_sel_hi:[0,1]
	s_delay_alu instid0(VALU_DEP_1) | instskip(SKIP_2) | instid1(VALU_DEP_3)
	v_pk_fma_f32 v[144:145], v[140:141], v[138:139], v[142:143] op_sel_hi:[1,0,1]
	v_add_nc_u32_e32 v137, 1, v137
	v_pk_fma_f32 v[138:139], v[140:141], v[138:139], v[142:143] neg_lo:[0,0,1] neg_hi:[0,0,1]
	v_mov_b32_e32 v139, v145
	s_delay_alu instid0(VALU_DEP_3) | instskip(NEXT) | instid1(VALU_DEP_2)
	v_cmp_lt_u32_e32 vcc_lo, 60, v137
	v_pk_add_f32 v[132:133], v[132:133], v[138:139]
	s_or_b32 s4, vcc_lo, s4
	s_delay_alu instid0(SALU_CYCLE_1)
	s_and_not1_b32 exec_lo, exec_lo, s4
	s_cbranch_execnz .LBB63_1247
; %bb.1248:
	s_or_b32 exec_lo, exec_lo, s4
.LBB63_1249:
	s_delay_alu instid0(SALU_CYCLE_1) | instskip(SKIP_4) | instid1(VALU_DEP_1)
	s_or_b32 exec_lo, exec_lo, s3
	v_mov_b32_e32 v135, 0
	ds_load_b64 v[136:137], v135 offset:496
	s_wait_dscnt 0x0
	v_pk_mul_f32 v[138:139], v[132:133], v[136:137] op_sel:[1,1] op_sel_hi:[0,1]
	v_pk_fma_f32 v[140:141], v[132:133], v[136:137], v[138:139] op_sel_hi:[1,0,1]
	v_pk_fma_f32 v[132:133], v[132:133], v[136:137], v[138:139] neg_lo:[0,0,1] neg_hi:[0,0,1]
	s_delay_alu instid0(VALU_DEP_2)
	v_mov_b32_e32 v133, v141
	scratch_store_b64 off, v[132:133], off offset:496
.LBB63_1250:
	s_wait_xcnt 0x0
	s_or_b32 exec_lo, exec_lo, s2
	scratch_load_b64 v[132:133], off, off offset:504
	s_mov_b32 s2, exec_lo
                                        ; implicit-def: $vgpr180
                                        ; implicit-def: $sgpr4
	s_wait_loadcnt 0x0
	ds_store_b64 v1, v[132:133]
	s_wait_storecnt_dscnt 0x0
	s_barrier_signal -1
	s_barrier_wait -1
	s_wait_xcnt 0x0
	v_cmpx_ne_u32_e32 63, v0
	s_cbranch_execz .LBB63_1260
; %bb.1251:
	v_cmp_ne_u32_e32 vcc_lo, 1, v134
	s_cbranch_vccnz .LBB63_1253
; %bb.1252:
	scratch_load_b64 v[134:135], v59, off
	ds_load_b64 v[136:137], v1
	s_wait_loadcnt_dscnt 0x0
	v_dual_mul_f32 v59, v137, v135 :: v_dual_mul_f32 v133, v136, v135
	s_delay_alu instid0(VALU_DEP_1)
	v_dual_fma_f32 v132, v136, v134, -v59 :: v_dual_fmac_f32 v133, v137, v134
	s_cbranch_execz .LBB63_1254
	s_branch .LBB63_1255
.LBB63_1253:
                                        ; implicit-def: $vgpr133
.LBB63_1254:
	ds_load_b64 v[132:133], v1
.LBB63_1255:
	s_and_saveexec_b32 s3, s0
	s_cbranch_execz .LBB63_1259
; %bb.1256:
	v_add_nc_u32_e32 v1, 0x208, v58
	v_add3_u32 v58, 0, v58, 8
	s_mov_b32 s0, 0
.LBB63_1257:                            ; =>This Inner Loop Header: Depth=1
	scratch_load_b64 v[134:135], v58, off
	ds_load_b64 v[136:137], v1
	s_wait_loadcnt_dscnt 0x0
	v_dual_add_nc_u32 v1, 8, v1 :: v_dual_mul_f32 v59, v137, v135
	v_dual_mul_f32 v135, v136, v135 :: v_dual_add_nc_u32 v0, 1, v0
	s_delay_alu instid0(VALU_DEP_2) | instskip(NEXT) | instid1(VALU_DEP_2)
	v_fma_f32 v59, v136, v134, -v59
	v_fmac_f32_e32 v135, v137, v134
	s_delay_alu instid0(VALU_DEP_3) | instskip(NEXT) | instid1(VALU_DEP_3)
	v_cmp_lt_u32_e32 vcc_lo, 61, v0
	v_dual_add_nc_u32 v58, 8, v58 :: v_dual_add_f32 v132, v132, v59
	s_delay_alu instid0(VALU_DEP_3) | instskip(SKIP_1) | instid1(SALU_CYCLE_1)
	v_add_f32_e32 v133, v133, v135
	s_or_b32 s0, vcc_lo, s0
	s_and_not1_b32 exec_lo, exec_lo, s0
	s_cbranch_execnz .LBB63_1257
; %bb.1258:
	s_or_b32 exec_lo, exec_lo, s0
.LBB63_1259:
	s_delay_alu instid0(SALU_CYCLE_1)
	s_or_b32 exec_lo, exec_lo, s3
	v_mov_b32_e32 v0, 0
	s_movk_i32 s4, 0x1fc
	s_or_b32 s1, s1, exec_lo
	ds_load_b64 v[0:1], v0 offset:504
	s_wait_dscnt 0x0
	v_dual_mul_f32 v58, v133, v1 :: v_dual_mul_f32 v180, v132, v1
	s_delay_alu instid0(VALU_DEP_1)
	v_dual_fma_f32 v1, v132, v0, -v58 :: v_dual_fmac_f32 v180, v133, v0
	scratch_store_b32 off, v1, off offset:504
.LBB63_1260:
	s_wait_xcnt 0x0
	s_or_b32 exec_lo, exec_lo, s2
.LBB63_1261:
	v_lshl_add_u64 v[176:177], v[4:5], 3, s[6:7]
	v_lshl_add_u64 v[178:179], v[6:7], 3, s[6:7]
	;; [unrolled: 1-line block ×62, first 2 shown]
	s_and_saveexec_b32 s0, s1
	s_cbranch_execz .LBB63_1263
; %bb.1262:
	scratch_store_b32 off, v180, s4
.LBB63_1263:
	s_wait_xcnt 0x0
	s_or_b32 exec_lo, exec_lo, s0
	s_clause 0x6
	scratch_load_b128 v[80:83], off, off
	scratch_load_b128 v[84:87], off, off offset:16
	scratch_load_b128 v[88:91], off, off offset:32
	;; [unrolled: 1-line block ×6, first 2 shown]
	s_wait_loadcnt 0x6
	s_clause 0x1
	global_store_b64 v[2:3], v[80:81], off
	global_store_b64 v[10:11], v[82:83], off
	s_clause 0x1
	scratch_load_b128 v[80:83], off, off offset:112
	scratch_load_b128 v[108:111], off, off offset:128
	s_wait_loadcnt 0x7
	s_clause 0x1
	global_store_b64 v[176:177], v[84:85], off
	global_store_b64 v[178:179], v[86:87], off
	s_clause 0x1
	scratch_load_b128 v[84:87], off, off offset:144
	scratch_load_b128 v[112:115], off, off offset:160
	;; [unrolled: 7-line block ×12, first 2 shown]
	s_wait_loadcnt 0x12
	s_clause 0x1
	global_store_b64 v[132:133], v[116:117], off
	global_store_b64 v[134:135], v[118:119], off
	scratch_load_b128 v[116:119], off, off offset:496
	s_wait_loadcnt 0x12
	s_clause 0x1
	global_store_b64 v[6:7], v[92:93], off
	global_store_b64 v[8:9], v[94:95], off
	s_wait_loadcnt 0x11
	s_clause 0x1
	global_store_b64 v[12:13], v[120:121], off
	global_store_b64 v[14:15], v[122:123], off
	;; [unrolled: 4-line block ×19, first 2 shown]
.LBB63_1264:
	s_sendmsg sendmsg(MSG_DEALLOC_VGPRS)
	s_endpgm
	.section	.rodata,"a",@progbits
	.p2align	6, 0x0
	.amdhsa_kernel _ZN9rocsolver6v33100L18trti2_kernel_smallILi64E19rocblas_complex_numIfEPS3_EEv13rocblas_fill_17rocblas_diagonal_T1_iil
		.amdhsa_group_segment_fixed_size 1024
		.amdhsa_private_segment_fixed_size 528
		.amdhsa_kernarg_size 32
		.amdhsa_user_sgpr_count 2
		.amdhsa_user_sgpr_dispatch_ptr 0
		.amdhsa_user_sgpr_queue_ptr 0
		.amdhsa_user_sgpr_kernarg_segment_ptr 1
		.amdhsa_user_sgpr_dispatch_id 0
		.amdhsa_user_sgpr_kernarg_preload_length 0
		.amdhsa_user_sgpr_kernarg_preload_offset 0
		.amdhsa_user_sgpr_private_segment_size 0
		.amdhsa_wavefront_size32 1
		.amdhsa_uses_dynamic_stack 0
		.amdhsa_enable_private_segment 1
		.amdhsa_system_sgpr_workgroup_id_x 1
		.amdhsa_system_sgpr_workgroup_id_y 0
		.amdhsa_system_sgpr_workgroup_id_z 0
		.amdhsa_system_sgpr_workgroup_info 0
		.amdhsa_system_vgpr_workitem_id 0
		.amdhsa_next_free_vgpr 181
		.amdhsa_next_free_sgpr 40
		.amdhsa_named_barrier_count 0
		.amdhsa_reserve_vcc 1
		.amdhsa_float_round_mode_32 0
		.amdhsa_float_round_mode_16_64 0
		.amdhsa_float_denorm_mode_32 3
		.amdhsa_float_denorm_mode_16_64 3
		.amdhsa_fp16_overflow 0
		.amdhsa_memory_ordered 1
		.amdhsa_forward_progress 1
		.amdhsa_inst_pref_size 255
		.amdhsa_round_robin_scheduling 0
		.amdhsa_exception_fp_ieee_invalid_op 0
		.amdhsa_exception_fp_denorm_src 0
		.amdhsa_exception_fp_ieee_div_zero 0
		.amdhsa_exception_fp_ieee_overflow 0
		.amdhsa_exception_fp_ieee_underflow 0
		.amdhsa_exception_fp_ieee_inexact 0
		.amdhsa_exception_int_div_zero 0
	.end_amdhsa_kernel
	.section	.text._ZN9rocsolver6v33100L18trti2_kernel_smallILi64E19rocblas_complex_numIfEPS3_EEv13rocblas_fill_17rocblas_diagonal_T1_iil,"axG",@progbits,_ZN9rocsolver6v33100L18trti2_kernel_smallILi64E19rocblas_complex_numIfEPS3_EEv13rocblas_fill_17rocblas_diagonal_T1_iil,comdat
.Lfunc_end63:
	.size	_ZN9rocsolver6v33100L18trti2_kernel_smallILi64E19rocblas_complex_numIfEPS3_EEv13rocblas_fill_17rocblas_diagonal_T1_iil, .Lfunc_end63-_ZN9rocsolver6v33100L18trti2_kernel_smallILi64E19rocblas_complex_numIfEPS3_EEv13rocblas_fill_17rocblas_diagonal_T1_iil
                                        ; -- End function
	.set _ZN9rocsolver6v33100L18trti2_kernel_smallILi64E19rocblas_complex_numIfEPS3_EEv13rocblas_fill_17rocblas_diagonal_T1_iil.num_vgpr, 181
	.set _ZN9rocsolver6v33100L18trti2_kernel_smallILi64E19rocblas_complex_numIfEPS3_EEv13rocblas_fill_17rocblas_diagonal_T1_iil.num_agpr, 0
	.set _ZN9rocsolver6v33100L18trti2_kernel_smallILi64E19rocblas_complex_numIfEPS3_EEv13rocblas_fill_17rocblas_diagonal_T1_iil.numbered_sgpr, 40
	.set _ZN9rocsolver6v33100L18trti2_kernel_smallILi64E19rocblas_complex_numIfEPS3_EEv13rocblas_fill_17rocblas_diagonal_T1_iil.num_named_barrier, 0
	.set _ZN9rocsolver6v33100L18trti2_kernel_smallILi64E19rocblas_complex_numIfEPS3_EEv13rocblas_fill_17rocblas_diagonal_T1_iil.private_seg_size, 528
	.set _ZN9rocsolver6v33100L18trti2_kernel_smallILi64E19rocblas_complex_numIfEPS3_EEv13rocblas_fill_17rocblas_diagonal_T1_iil.uses_vcc, 1
	.set _ZN9rocsolver6v33100L18trti2_kernel_smallILi64E19rocblas_complex_numIfEPS3_EEv13rocblas_fill_17rocblas_diagonal_T1_iil.uses_flat_scratch, 1
	.set _ZN9rocsolver6v33100L18trti2_kernel_smallILi64E19rocblas_complex_numIfEPS3_EEv13rocblas_fill_17rocblas_diagonal_T1_iil.has_dyn_sized_stack, 0
	.set _ZN9rocsolver6v33100L18trti2_kernel_smallILi64E19rocblas_complex_numIfEPS3_EEv13rocblas_fill_17rocblas_diagonal_T1_iil.has_recursion, 0
	.set _ZN9rocsolver6v33100L18trti2_kernel_smallILi64E19rocblas_complex_numIfEPS3_EEv13rocblas_fill_17rocblas_diagonal_T1_iil.has_indirect_call, 0
	.section	.AMDGPU.csdata,"",@progbits
; Kernel info:
; codeLenInByte = 48584
; TotalNumSgprs: 42
; NumVgprs: 181
; ScratchSize: 528
; MemoryBound: 0
; FloatMode: 240
; IeeeMode: 1
; LDSByteSize: 1024 bytes/workgroup (compile time only)
; SGPRBlocks: 0
; VGPRBlocks: 11
; NumSGPRsForWavesPerEU: 42
; NumVGPRsForWavesPerEU: 181
; NamedBarCnt: 0
; Occupancy: 5
; WaveLimiterHint : 0
; COMPUTE_PGM_RSRC2:SCRATCH_EN: 1
; COMPUTE_PGM_RSRC2:USER_SGPR: 2
; COMPUTE_PGM_RSRC2:TRAP_HANDLER: 0
; COMPUTE_PGM_RSRC2:TGID_X_EN: 1
; COMPUTE_PGM_RSRC2:TGID_Y_EN: 0
; COMPUTE_PGM_RSRC2:TGID_Z_EN: 0
; COMPUTE_PGM_RSRC2:TIDIG_COMP_CNT: 0
	.section	.text._ZN9rocsolver6v33100L18trti2_kernel_smallILi1E19rocblas_complex_numIfEPKPS3_EEv13rocblas_fill_17rocblas_diagonal_T1_iil,"axG",@progbits,_ZN9rocsolver6v33100L18trti2_kernel_smallILi1E19rocblas_complex_numIfEPKPS3_EEv13rocblas_fill_17rocblas_diagonal_T1_iil,comdat
	.globl	_ZN9rocsolver6v33100L18trti2_kernel_smallILi1E19rocblas_complex_numIfEPKPS3_EEv13rocblas_fill_17rocblas_diagonal_T1_iil ; -- Begin function _ZN9rocsolver6v33100L18trti2_kernel_smallILi1E19rocblas_complex_numIfEPKPS3_EEv13rocblas_fill_17rocblas_diagonal_T1_iil
	.p2align	8
	.type	_ZN9rocsolver6v33100L18trti2_kernel_smallILi1E19rocblas_complex_numIfEPKPS3_EEv13rocblas_fill_17rocblas_diagonal_T1_iil,@function
_ZN9rocsolver6v33100L18trti2_kernel_smallILi1E19rocblas_complex_numIfEPKPS3_EEv13rocblas_fill_17rocblas_diagonal_T1_iil: ; @_ZN9rocsolver6v33100L18trti2_kernel_smallILi1E19rocblas_complex_numIfEPKPS3_EEv13rocblas_fill_17rocblas_diagonal_T1_iil
; %bb.0:
	s_mov_b32 s2, exec_lo
	v_cmpx_eq_u32_e32 0, v0
	s_cbranch_execz .LBB64_8
; %bb.1:
	s_load_b96 s[4:6], s[0:1], 0x8
	s_bfe_u32 s2, ttmp6, 0x4000c
	s_and_b32 s3, ttmp6, 15
	s_add_co_i32 s2, s2, 1
	s_getreg_b32 s8, hwreg(HW_REG_IB_STS2, 6, 4)
	s_mul_i32 s2, ttmp9, s2
	s_delay_alu instid0(SALU_CYCLE_1)
	s_add_co_i32 s3, s3, s2
	s_wait_kmcnt 0x0
	s_ashr_i32 s7, s6, 31
	s_cmp_eq_u32 s8, 0
	v_mov_b32_e32 v0, s6
	s_cselect_b32 s2, ttmp9, s3
	s_delay_alu instid0(SALU_CYCLE_1) | instskip(NEXT) | instid1(SALU_CYCLE_1)
	s_ashr_i32 s3, s2, 31
	s_lshl_b64 s[2:3], s[2:3], 3
	s_delay_alu instid0(SALU_CYCLE_1)
	s_add_nc_u64 s[2:3], s[4:5], s[2:3]
	s_load_b32 s4, s[0:1], 0x4
	s_wait_xcnt 0x0
	s_lshl_b64 s[0:1], s[6:7], 3
	s_load_b64 s[2:3], s[2:3], 0x0
	s_wait_kmcnt 0x0
	s_cmp_eq_u32 s4, 0x84
	flat_load_b64 v[0:1], v0, s[2:3] scale_offset
	s_cbranch_scc1 .LBB64_7
; %bb.2:
	s_wait_loadcnt_dscnt 0x0
	v_cmp_ngt_f32_e64 s4, |v0|, |v1|
	s_and_saveexec_b32 s5, s4
	s_delay_alu instid0(SALU_CYCLE_1)
	s_xor_b32 s4, exec_lo, s5
	s_cbranch_execz .LBB64_4
; %bb.3:
	v_div_scale_f32 v2, null, v1, v1, v0
	v_div_scale_f32 v5, vcc_lo, v0, v1, v0
	s_delay_alu instid0(VALU_DEP_2) | instskip(SKIP_1) | instid1(TRANS32_DEP_1)
	v_rcp_f32_e32 v3, v2
	v_nop
	v_fma_f32 v4, -v2, v3, 1.0
	s_delay_alu instid0(VALU_DEP_1) | instskip(NEXT) | instid1(VALU_DEP_1)
	v_fmac_f32_e32 v3, v4, v3
	v_mul_f32_e32 v4, v5, v3
	s_delay_alu instid0(VALU_DEP_1) | instskip(NEXT) | instid1(VALU_DEP_1)
	v_fma_f32 v6, -v2, v4, v5
	v_fmac_f32_e32 v4, v6, v3
	s_delay_alu instid0(VALU_DEP_1) | instskip(NEXT) | instid1(VALU_DEP_1)
	v_fma_f32 v2, -v2, v4, v5
	v_div_fmas_f32 v2, v2, v3, v4
	s_delay_alu instid0(VALU_DEP_1) | instskip(NEXT) | instid1(VALU_DEP_1)
	v_div_fixup_f32 v2, v2, v1, v0
	v_fmac_f32_e32 v1, v2, v0
	s_delay_alu instid0(VALU_DEP_1) | instskip(SKIP_1) | instid1(VALU_DEP_2)
	v_div_scale_f32 v0, null, v1, v1, 1.0
	v_div_scale_f32 v5, vcc_lo, 1.0, v1, 1.0
	v_rcp_f32_e32 v3, v0
	v_nop
	s_delay_alu instid0(TRANS32_DEP_1) | instskip(NEXT) | instid1(VALU_DEP_1)
	v_fma_f32 v4, -v0, v3, 1.0
	v_fmac_f32_e32 v3, v4, v3
	s_delay_alu instid0(VALU_DEP_1) | instskip(NEXT) | instid1(VALU_DEP_1)
	v_mul_f32_e32 v4, v5, v3
	v_fma_f32 v6, -v0, v4, v5
	s_delay_alu instid0(VALU_DEP_1) | instskip(NEXT) | instid1(VALU_DEP_1)
	v_fmac_f32_e32 v4, v6, v3
	v_fma_f32 v0, -v0, v4, v5
	s_delay_alu instid0(VALU_DEP_1) | instskip(NEXT) | instid1(VALU_DEP_1)
	v_div_fmas_f32 v0, v0, v3, v4
	v_div_fixup_f32 v1, v0, v1, 1.0
	s_delay_alu instid0(VALU_DEP_1)
	v_mul_f32_e32 v0, v2, v1
	v_xor_b32_e32 v1, 0x80000000, v1
.LBB64_4:
	s_and_not1_saveexec_b32 s4, s4
	s_cbranch_execz .LBB64_6
; %bb.5:
	s_delay_alu instid0(VALU_DEP_1) | instskip(SKIP_1) | instid1(VALU_DEP_2)
	v_div_scale_f32 v2, null, v0, v0, v1
	v_div_scale_f32 v5, vcc_lo, v1, v0, v1
	v_rcp_f32_e32 v3, v2
	v_nop
	s_delay_alu instid0(TRANS32_DEP_1) | instskip(NEXT) | instid1(VALU_DEP_1)
	v_fma_f32 v4, -v2, v3, 1.0
	v_fmac_f32_e32 v3, v4, v3
	s_delay_alu instid0(VALU_DEP_1) | instskip(NEXT) | instid1(VALU_DEP_1)
	v_mul_f32_e32 v4, v5, v3
	v_fma_f32 v6, -v2, v4, v5
	s_delay_alu instid0(VALU_DEP_1) | instskip(NEXT) | instid1(VALU_DEP_1)
	v_fmac_f32_e32 v4, v6, v3
	v_fma_f32 v2, -v2, v4, v5
	s_delay_alu instid0(VALU_DEP_1) | instskip(NEXT) | instid1(VALU_DEP_1)
	v_div_fmas_f32 v2, v2, v3, v4
	v_div_fixup_f32 v2, v2, v0, v1
	s_delay_alu instid0(VALU_DEP_1) | instskip(NEXT) | instid1(VALU_DEP_1)
	v_fmac_f32_e32 v0, v2, v1
	v_div_scale_f32 v1, null, v0, v0, 1.0
	s_delay_alu instid0(VALU_DEP_1) | instskip(SKIP_1) | instid1(TRANS32_DEP_1)
	v_rcp_f32_e32 v3, v1
	v_nop
	v_fma_f32 v4, -v1, v3, 1.0
	s_delay_alu instid0(VALU_DEP_1) | instskip(SKIP_1) | instid1(VALU_DEP_1)
	v_fmac_f32_e32 v3, v4, v3
	v_div_scale_f32 v4, vcc_lo, 1.0, v0, 1.0
	v_mul_f32_e32 v5, v4, v3
	s_delay_alu instid0(VALU_DEP_1) | instskip(NEXT) | instid1(VALU_DEP_1)
	v_fma_f32 v6, -v1, v5, v4
	v_fmac_f32_e32 v5, v6, v3
	s_delay_alu instid0(VALU_DEP_1) | instskip(NEXT) | instid1(VALU_DEP_1)
	v_fma_f32 v1, -v1, v5, v4
	v_div_fmas_f32 v1, v1, v3, v5
	s_delay_alu instid0(VALU_DEP_1) | instskip(NEXT) | instid1(VALU_DEP_1)
	v_div_fixup_f32 v0, v1, v0, 1.0
	v_mul_f32_e64 v1, v2, -v0
.LBB64_6:
	s_or_b32 exec_lo, exec_lo, s4
.LBB64_7:
	v_mov_b32_e32 v2, 0
	s_add_nc_u64 s[0:1], s[2:3], s[0:1]
	s_wait_loadcnt_dscnt 0x0
	flat_store_b64 v2, v[0:1], s[0:1]
.LBB64_8:
	s_endpgm
	.section	.rodata,"a",@progbits
	.p2align	6, 0x0
	.amdhsa_kernel _ZN9rocsolver6v33100L18trti2_kernel_smallILi1E19rocblas_complex_numIfEPKPS3_EEv13rocblas_fill_17rocblas_diagonal_T1_iil
		.amdhsa_group_segment_fixed_size 0
		.amdhsa_private_segment_fixed_size 0
		.amdhsa_kernarg_size 32
		.amdhsa_user_sgpr_count 2
		.amdhsa_user_sgpr_dispatch_ptr 0
		.amdhsa_user_sgpr_queue_ptr 0
		.amdhsa_user_sgpr_kernarg_segment_ptr 1
		.amdhsa_user_sgpr_dispatch_id 0
		.amdhsa_user_sgpr_kernarg_preload_length 0
		.amdhsa_user_sgpr_kernarg_preload_offset 0
		.amdhsa_user_sgpr_private_segment_size 0
		.amdhsa_wavefront_size32 1
		.amdhsa_uses_dynamic_stack 0
		.amdhsa_enable_private_segment 0
		.amdhsa_system_sgpr_workgroup_id_x 1
		.amdhsa_system_sgpr_workgroup_id_y 0
		.amdhsa_system_sgpr_workgroup_id_z 0
		.amdhsa_system_sgpr_workgroup_info 0
		.amdhsa_system_vgpr_workitem_id 0
		.amdhsa_next_free_vgpr 7
		.amdhsa_next_free_sgpr 9
		.amdhsa_named_barrier_count 0
		.amdhsa_reserve_vcc 1
		.amdhsa_float_round_mode_32 0
		.amdhsa_float_round_mode_16_64 0
		.amdhsa_float_denorm_mode_32 3
		.amdhsa_float_denorm_mode_16_64 3
		.amdhsa_fp16_overflow 0
		.amdhsa_memory_ordered 1
		.amdhsa_forward_progress 1
		.amdhsa_inst_pref_size 5
		.amdhsa_round_robin_scheduling 0
		.amdhsa_exception_fp_ieee_invalid_op 0
		.amdhsa_exception_fp_denorm_src 0
		.amdhsa_exception_fp_ieee_div_zero 0
		.amdhsa_exception_fp_ieee_overflow 0
		.amdhsa_exception_fp_ieee_underflow 0
		.amdhsa_exception_fp_ieee_inexact 0
		.amdhsa_exception_int_div_zero 0
	.end_amdhsa_kernel
	.section	.text._ZN9rocsolver6v33100L18trti2_kernel_smallILi1E19rocblas_complex_numIfEPKPS3_EEv13rocblas_fill_17rocblas_diagonal_T1_iil,"axG",@progbits,_ZN9rocsolver6v33100L18trti2_kernel_smallILi1E19rocblas_complex_numIfEPKPS3_EEv13rocblas_fill_17rocblas_diagonal_T1_iil,comdat
.Lfunc_end64:
	.size	_ZN9rocsolver6v33100L18trti2_kernel_smallILi1E19rocblas_complex_numIfEPKPS3_EEv13rocblas_fill_17rocblas_diagonal_T1_iil, .Lfunc_end64-_ZN9rocsolver6v33100L18trti2_kernel_smallILi1E19rocblas_complex_numIfEPKPS3_EEv13rocblas_fill_17rocblas_diagonal_T1_iil
                                        ; -- End function
	.set _ZN9rocsolver6v33100L18trti2_kernel_smallILi1E19rocblas_complex_numIfEPKPS3_EEv13rocblas_fill_17rocblas_diagonal_T1_iil.num_vgpr, 7
	.set _ZN9rocsolver6v33100L18trti2_kernel_smallILi1E19rocblas_complex_numIfEPKPS3_EEv13rocblas_fill_17rocblas_diagonal_T1_iil.num_agpr, 0
	.set _ZN9rocsolver6v33100L18trti2_kernel_smallILi1E19rocblas_complex_numIfEPKPS3_EEv13rocblas_fill_17rocblas_diagonal_T1_iil.numbered_sgpr, 9
	.set _ZN9rocsolver6v33100L18trti2_kernel_smallILi1E19rocblas_complex_numIfEPKPS3_EEv13rocblas_fill_17rocblas_diagonal_T1_iil.num_named_barrier, 0
	.set _ZN9rocsolver6v33100L18trti2_kernel_smallILi1E19rocblas_complex_numIfEPKPS3_EEv13rocblas_fill_17rocblas_diagonal_T1_iil.private_seg_size, 0
	.set _ZN9rocsolver6v33100L18trti2_kernel_smallILi1E19rocblas_complex_numIfEPKPS3_EEv13rocblas_fill_17rocblas_diagonal_T1_iil.uses_vcc, 1
	.set _ZN9rocsolver6v33100L18trti2_kernel_smallILi1E19rocblas_complex_numIfEPKPS3_EEv13rocblas_fill_17rocblas_diagonal_T1_iil.uses_flat_scratch, 0
	.set _ZN9rocsolver6v33100L18trti2_kernel_smallILi1E19rocblas_complex_numIfEPKPS3_EEv13rocblas_fill_17rocblas_diagonal_T1_iil.has_dyn_sized_stack, 0
	.set _ZN9rocsolver6v33100L18trti2_kernel_smallILi1E19rocblas_complex_numIfEPKPS3_EEv13rocblas_fill_17rocblas_diagonal_T1_iil.has_recursion, 0
	.set _ZN9rocsolver6v33100L18trti2_kernel_smallILi1E19rocblas_complex_numIfEPKPS3_EEv13rocblas_fill_17rocblas_diagonal_T1_iil.has_indirect_call, 0
	.section	.AMDGPU.csdata,"",@progbits
; Kernel info:
; codeLenInByte = 632
; TotalNumSgprs: 11
; NumVgprs: 7
; ScratchSize: 0
; MemoryBound: 0
; FloatMode: 240
; IeeeMode: 1
; LDSByteSize: 0 bytes/workgroup (compile time only)
; SGPRBlocks: 0
; VGPRBlocks: 0
; NumSGPRsForWavesPerEU: 11
; NumVGPRsForWavesPerEU: 7
; NamedBarCnt: 0
; Occupancy: 16
; WaveLimiterHint : 1
; COMPUTE_PGM_RSRC2:SCRATCH_EN: 0
; COMPUTE_PGM_RSRC2:USER_SGPR: 2
; COMPUTE_PGM_RSRC2:TRAP_HANDLER: 0
; COMPUTE_PGM_RSRC2:TGID_X_EN: 1
; COMPUTE_PGM_RSRC2:TGID_Y_EN: 0
; COMPUTE_PGM_RSRC2:TGID_Z_EN: 0
; COMPUTE_PGM_RSRC2:TIDIG_COMP_CNT: 0
	.section	.text._ZN9rocsolver6v33100L18trti2_kernel_smallILi2E19rocblas_complex_numIfEPKPS3_EEv13rocblas_fill_17rocblas_diagonal_T1_iil,"axG",@progbits,_ZN9rocsolver6v33100L18trti2_kernel_smallILi2E19rocblas_complex_numIfEPKPS3_EEv13rocblas_fill_17rocblas_diagonal_T1_iil,comdat
	.globl	_ZN9rocsolver6v33100L18trti2_kernel_smallILi2E19rocblas_complex_numIfEPKPS3_EEv13rocblas_fill_17rocblas_diagonal_T1_iil ; -- Begin function _ZN9rocsolver6v33100L18trti2_kernel_smallILi2E19rocblas_complex_numIfEPKPS3_EEv13rocblas_fill_17rocblas_diagonal_T1_iil
	.p2align	8
	.type	_ZN9rocsolver6v33100L18trti2_kernel_smallILi2E19rocblas_complex_numIfEPKPS3_EEv13rocblas_fill_17rocblas_diagonal_T1_iil,@function
_ZN9rocsolver6v33100L18trti2_kernel_smallILi2E19rocblas_complex_numIfEPKPS3_EEv13rocblas_fill_17rocblas_diagonal_T1_iil: ; @_ZN9rocsolver6v33100L18trti2_kernel_smallILi2E19rocblas_complex_numIfEPKPS3_EEv13rocblas_fill_17rocblas_diagonal_T1_iil
; %bb.0:
	v_and_b32_e32 v12, 0x3ff, v0
	s_mov_b32 s4, exec_lo
	s_delay_alu instid0(VALU_DEP_1)
	v_cmpx_gt_u32_e32 2, v12
	s_cbranch_execz .LBB65_26
; %bb.1:
	s_load_b64 s[8:9], s[0:1], 0x4
	s_clause 0x1
	s_load_b64 s[10:11], s[2:3], 0x10
	s_load_b128 s[4:7], s[2:3], 0x0
	s_wait_xcnt 0x0
	s_bfe_u32 s0, ttmp6, 0x4000c
	s_and_b32 s1, ttmp6, 15
	s_add_co_i32 s0, s0, 1
	s_getreg_b32 s2, hwreg(HW_REG_IB_STS2, 6, 4)
	s_mul_i32 s0, ttmp9, s0
	v_bfe_u32 v1, v0, 10, 10
	s_add_co_i32 s0, s1, s0
	v_dual_mov_b32 v5, 0 :: v_dual_lshlrev_b32 v4, 3, v12
	v_bfe_u32 v3, v0, 20, 10
	s_wait_kmcnt 0x0
	s_lshr_b32 s8, s8, 16
	s_ashr_i32 s1, s10, 31
	s_cmp_eq_u32 s2, 0
	v_mul_u32_u24_e32 v2, s9, v1
	s_cselect_b32 s2, ttmp9, s0
	s_mov_b32 s0, s10
	s_ashr_i32 s3, s2, 31
	s_lshl_b64 s[0:1], s[0:1], 3
	s_lshl_b64 s[2:3], s[2:3], 3
	s_mul_i32 s8, s8, s9
	s_add_nc_u64 s[2:3], s[6:7], s[2:3]
	v_mad_u32_u24 v2, s8, v12, v2
	s_load_b64 s[2:3], s[2:3], 0x0
	s_wait_kmcnt 0x0
	s_add_nc_u64 s[0:1], s[2:3], s[0:1]
	flat_load_b64 v[6:7], v12, s[0:1] scale_offset
	v_add_nc_u64_e32 v[0:1], s[0:1], v[4:5]
	s_wait_xcnt 0x0
	s_mov_b32 s0, s11
	s_ashr_i32 s1, s11, 31
	v_add_lshl_u32 v5, v2, v3, 4
	s_cmp_lg_u32 s5, 0x84
	s_delay_alu instid0(VALU_DEP_2) | instskip(NEXT) | instid1(VALU_DEP_2)
	v_lshl_add_u64 v[2:3], s[0:1], 3, v[0:1]
	v_add_nc_u32_e32 v13, 32, v5
	s_cselect_b32 s0, -1, 0
	s_mov_b32 s1, -1
	s_and_b32 vcc_lo, exec_lo, s0
	s_wait_loadcnt_dscnt 0x0
	ds_store_b64 v5, v[6:7] offset:32
	flat_load_b64 v[6:7], v[2:3]
	s_wait_loadcnt_dscnt 0x0
	ds_store_b64 v5, v[6:7] offset:40
	s_cbranch_vccz .LBB65_7
; %bb.2:
	v_lshl_add_u32 v5, v12, 3, v13
                                        ; implicit-def: $vgpr11
                                        ; implicit-def: $vgpr8
	ds_load_b64 v[6:7], v5
	s_wait_dscnt 0x0
	v_cmp_ngt_f32_e64 s1, |v6|, |v7|
	s_and_saveexec_b32 s2, s1
	s_delay_alu instid0(SALU_CYCLE_1)
	s_xor_b32 s1, exec_lo, s2
	s_cbranch_execz .LBB65_4
; %bb.3:
	v_div_scale_f32 v8, null, v7, v7, v6
	v_div_scale_f32 v11, vcc_lo, v6, v7, v6
	s_delay_alu instid0(VALU_DEP_2) | instskip(SKIP_1) | instid1(TRANS32_DEP_1)
	v_rcp_f32_e32 v9, v8
	v_nop
	v_fma_f32 v10, -v8, v9, 1.0
	s_delay_alu instid0(VALU_DEP_1) | instskip(NEXT) | instid1(VALU_DEP_1)
	v_fmac_f32_e32 v9, v10, v9
	v_mul_f32_e32 v10, v11, v9
	s_delay_alu instid0(VALU_DEP_1) | instskip(NEXT) | instid1(VALU_DEP_1)
	v_fma_f32 v14, -v8, v10, v11
	v_fmac_f32_e32 v10, v14, v9
	s_delay_alu instid0(VALU_DEP_1) | instskip(NEXT) | instid1(VALU_DEP_1)
	v_fma_f32 v8, -v8, v10, v11
	v_div_fmas_f32 v8, v8, v9, v10
	s_delay_alu instid0(VALU_DEP_1) | instskip(NEXT) | instid1(VALU_DEP_1)
	v_div_fixup_f32 v8, v8, v7, v6
	v_fmac_f32_e32 v7, v6, v8
	s_delay_alu instid0(VALU_DEP_1) | instskip(NEXT) | instid1(VALU_DEP_1)
	v_div_scale_f32 v6, null, v7, v7, -1.0
	v_rcp_f32_e32 v9, v6
	v_nop
	s_delay_alu instid0(TRANS32_DEP_1) | instskip(NEXT) | instid1(VALU_DEP_1)
	v_fma_f32 v10, -v6, v9, 1.0
	v_fmac_f32_e32 v9, v10, v9
	v_div_scale_f32 v10, vcc_lo, -1.0, v7, -1.0
	s_delay_alu instid0(VALU_DEP_1) | instskip(NEXT) | instid1(VALU_DEP_1)
	v_mul_f32_e32 v11, v10, v9
	v_fma_f32 v14, -v6, v11, v10
	s_delay_alu instid0(VALU_DEP_1) | instskip(NEXT) | instid1(VALU_DEP_1)
	v_fmac_f32_e32 v11, v14, v9
	v_fma_f32 v6, -v6, v11, v10
	s_delay_alu instid0(VALU_DEP_1) | instskip(NEXT) | instid1(VALU_DEP_1)
	v_div_fmas_f32 v6, v6, v9, v11
	v_div_fixup_f32 v11, v6, v7, -1.0
                                        ; implicit-def: $vgpr6_vgpr7
	s_delay_alu instid0(VALU_DEP_1) | instskip(NEXT) | instid1(VALU_DEP_1)
	v_mul_f32_e32 v8, v8, v11
	v_xor_b32_e32 v10, 0x80000000, v8
.LBB65_4:
	s_and_not1_saveexec_b32 s1, s1
	s_cbranch_execz .LBB65_6
; %bb.5:
	v_div_scale_f32 v8, null, v6, v6, v7
	v_div_scale_f32 v11, vcc_lo, v7, v6, v7
	s_delay_alu instid0(VALU_DEP_2) | instskip(SKIP_1) | instid1(TRANS32_DEP_1)
	v_rcp_f32_e32 v9, v8
	v_nop
	v_fma_f32 v10, -v8, v9, 1.0
	s_delay_alu instid0(VALU_DEP_1) | instskip(NEXT) | instid1(VALU_DEP_1)
	v_fmac_f32_e32 v9, v10, v9
	v_mul_f32_e32 v10, v11, v9
	s_delay_alu instid0(VALU_DEP_1) | instskip(NEXT) | instid1(VALU_DEP_1)
	v_fma_f32 v14, -v8, v10, v11
	v_fmac_f32_e32 v10, v14, v9
	s_delay_alu instid0(VALU_DEP_1) | instskip(NEXT) | instid1(VALU_DEP_1)
	v_fma_f32 v8, -v8, v10, v11
	v_div_fmas_f32 v8, v8, v9, v10
	s_delay_alu instid0(VALU_DEP_1) | instskip(NEXT) | instid1(VALU_DEP_1)
	v_div_fixup_f32 v9, v8, v6, v7
	v_fmac_f32_e32 v6, v7, v9
	s_delay_alu instid0(VALU_DEP_1) | instskip(SKIP_1) | instid1(VALU_DEP_2)
	v_div_scale_f32 v7, null, v6, v6, 1.0
	v_div_scale_f32 v11, vcc_lo, 1.0, v6, 1.0
	v_rcp_f32_e32 v8, v7
	v_nop
	s_delay_alu instid0(TRANS32_DEP_1) | instskip(NEXT) | instid1(VALU_DEP_1)
	v_fma_f32 v10, -v7, v8, 1.0
	v_fmac_f32_e32 v8, v10, v8
	s_delay_alu instid0(VALU_DEP_1) | instskip(NEXT) | instid1(VALU_DEP_1)
	v_mul_f32_e32 v10, v11, v8
	v_fma_f32 v14, -v7, v10, v11
	s_delay_alu instid0(VALU_DEP_1) | instskip(NEXT) | instid1(VALU_DEP_1)
	v_fmac_f32_e32 v10, v14, v8
	v_fma_f32 v7, -v7, v10, v11
	s_delay_alu instid0(VALU_DEP_1) | instskip(NEXT) | instid1(VALU_DEP_1)
	v_div_fmas_f32 v7, v7, v8, v10
	v_div_fixup_f32 v10, v7, v6, 1.0
	s_delay_alu instid0(VALU_DEP_1)
	v_xor_b32_e32 v8, 0x80000000, v10
	v_mul_f32_e64 v11, v9, -v10
.LBB65_6:
	s_or_b32 exec_lo, exec_lo, s1
	s_delay_alu instid0(VALU_DEP_1)
	v_xor_b32_e32 v9, 0x80000000, v11
	s_mov_b32 s1, 0
	ds_store_b64 v5, v[10:11]
	ds_store_b64 v4, v[8:9]
.LBB65_7:
	s_and_b32 vcc_lo, exec_lo, s1
	s_cbranch_vccz .LBB65_9
; %bb.8:
	s_mov_b64 s[2:3], 0xbf800000
	s_delay_alu instid0(SALU_CYCLE_1)
	v_mov_b64_e32 v[6:7], s[2:3]
	ds_store_b64 v4, v[6:7]
.LBB65_9:
	v_dual_add_nc_u32 v6, 16, v4 :: v_dual_add_nc_u32 v7, v13, v4
	s_cmp_eq_u32 s4, 0x79
	s_mov_b32 s1, -1
	s_cbranch_scc1 .LBB65_17
; %bb.10:
	ds_load_b64 v[4:5], v13
	s_mov_b32 s1, exec_lo
	s_wait_dscnt 0x0
	ds_store_b64 v6, v[4:5]
	s_wait_dscnt 0x0
	s_barrier_signal -1
	s_barrier_wait -1
	v_cmpx_eq_u32_e32 1, v12
	s_cbranch_execz .LBB65_16
; %bb.11:
	s_and_b32 vcc_lo, exec_lo, s0
	s_cbranch_vccz .LBB65_13
; %bb.12:
	ds_load_b64 v[4:5], v7
	ds_load_b64 v[8:9], v6
	s_wait_dscnt 0x0
	v_pk_mul_f32 v[10:11], v[8:9], v[4:5] op_sel:[1,1] op_sel_hi:[0,1]
	v_pk_mul_f32 v[14:15], v[8:9], v[4:5] op_sel_hi:[1,0]
	s_delay_alu instid0(VALU_DEP_2) | instskip(NEXT) | instid1(VALU_DEP_2)
	v_pk_fma_f32 v[4:5], v[8:9], v[4:5], v[10:11] op_sel_hi:[1,0,1]
	v_sub_f32_e32 v4, v14, v10
	s_cbranch_execz .LBB65_14
	s_branch .LBB65_15
.LBB65_13:
                                        ; implicit-def: $vgpr5
.LBB65_14:
	ds_load_b64 v[4:5], v6
.LBB65_15:
	s_wait_dscnt 0x0
	v_dual_mov_b32 v8, 0 :: v_dual_mov_b32 v10, v5
	v_mov_b32_e32 v11, v4
	ds_load_b64 v[8:9], v8
	s_wait_dscnt 0x0
	v_pk_mul_f32 v[10:11], v[10:11], v[8:9] op_sel:[0,1]
	s_delay_alu instid0(VALU_DEP_1) | instskip(SKIP_1) | instid1(VALU_DEP_2)
	v_pk_fma_f32 v[14:15], v[4:5], v[8:9], v[10:11] op_sel_hi:[1,0,1]
	v_pk_fma_f32 v[4:5], v[4:5], v[8:9], v[10:11] neg_lo:[0,0,1] neg_hi:[0,0,1]
	v_mov_b32_e32 v5, v15
	ds_store_b64 v13, v[4:5]
.LBB65_16:
	s_or_b32 exec_lo, exec_lo, s1
	s_mov_b32 s1, 0
.LBB65_17:
	s_delay_alu instid0(SALU_CYCLE_1)
	s_and_not1_b32 vcc_lo, exec_lo, s1
	s_cbranch_vccnz .LBB65_25
; %bb.18:
	ds_load_b64 v[4:5], v13 offset:8
	s_mov_b32 s1, exec_lo
	s_wait_dscnt 0x0
	ds_store_b64 v6, v[4:5]
	s_wait_dscnt 0x0
	s_barrier_signal -1
	s_barrier_wait -1
	v_cmpx_eq_u32_e32 0, v12
	s_cbranch_execz .LBB65_24
; %bb.19:
	s_and_b32 vcc_lo, exec_lo, s0
	s_cbranch_vccz .LBB65_21
; %bb.20:
	ds_load_b64 v[4:5], v7
	ds_load_b64 v[8:9], v6
	s_wait_dscnt 0x0
	v_pk_mul_f32 v[10:11], v[8:9], v[4:5] op_sel:[1,1] op_sel_hi:[0,1]
	v_pk_mul_f32 v[14:15], v[8:9], v[4:5] op_sel_hi:[1,0]
	s_delay_alu instid0(VALU_DEP_2) | instskip(NEXT) | instid1(VALU_DEP_2)
	v_pk_fma_f32 v[4:5], v[8:9], v[4:5], v[10:11] op_sel_hi:[1,0,1]
	v_sub_f32_e32 v4, v14, v10
	s_cbranch_execz .LBB65_22
	s_branch .LBB65_23
.LBB65_21:
                                        ; implicit-def: $vgpr5
.LBB65_22:
	ds_load_b64 v[4:5], v6
.LBB65_23:
	s_wait_dscnt 0x0
	v_dual_mov_b32 v6, 0 :: v_dual_mov_b32 v8, v5
	v_mov_b32_e32 v9, v4
	ds_load_b64 v[6:7], v6 offset:8
	s_wait_dscnt 0x0
	v_pk_mul_f32 v[8:9], v[8:9], v[6:7] op_sel:[0,1]
	s_delay_alu instid0(VALU_DEP_1) | instskip(SKIP_1) | instid1(VALU_DEP_2)
	v_pk_fma_f32 v[10:11], v[4:5], v[6:7], v[8:9] op_sel_hi:[1,0,1]
	v_pk_fma_f32 v[4:5], v[4:5], v[6:7], v[8:9] neg_lo:[0,0,1] neg_hi:[0,0,1]
	v_mov_b32_e32 v5, v11
	ds_store_b64 v13, v[4:5] offset:8
.LBB65_24:
	s_or_b32 exec_lo, exec_lo, s1
.LBB65_25:
	ds_load_b64 v[4:5], v13
	s_wait_dscnt 0x0
	flat_store_b64 v[0:1], v[4:5]
	s_wait_xcnt 0x0
	ds_load_b64 v[0:1], v13 offset:8
	s_wait_dscnt 0x0
	flat_store_b64 v[2:3], v[0:1]
.LBB65_26:
	s_endpgm
	.section	.rodata,"a",@progbits
	.p2align	6, 0x0
	.amdhsa_kernel _ZN9rocsolver6v33100L18trti2_kernel_smallILi2E19rocblas_complex_numIfEPKPS3_EEv13rocblas_fill_17rocblas_diagonal_T1_iil
		.amdhsa_group_segment_fixed_size 1056
		.amdhsa_private_segment_fixed_size 0
		.amdhsa_kernarg_size 32
		.amdhsa_user_sgpr_count 4
		.amdhsa_user_sgpr_dispatch_ptr 1
		.amdhsa_user_sgpr_queue_ptr 0
		.amdhsa_user_sgpr_kernarg_segment_ptr 1
		.amdhsa_user_sgpr_dispatch_id 0
		.amdhsa_user_sgpr_kernarg_preload_length 0
		.amdhsa_user_sgpr_kernarg_preload_offset 0
		.amdhsa_user_sgpr_private_segment_size 0
		.amdhsa_wavefront_size32 1
		.amdhsa_uses_dynamic_stack 0
		.amdhsa_enable_private_segment 0
		.amdhsa_system_sgpr_workgroup_id_x 1
		.amdhsa_system_sgpr_workgroup_id_y 0
		.amdhsa_system_sgpr_workgroup_id_z 0
		.amdhsa_system_sgpr_workgroup_info 0
		.amdhsa_system_vgpr_workitem_id 2
		.amdhsa_next_free_vgpr 16
		.amdhsa_next_free_sgpr 12
		.amdhsa_named_barrier_count 0
		.amdhsa_reserve_vcc 1
		.amdhsa_float_round_mode_32 0
		.amdhsa_float_round_mode_16_64 0
		.amdhsa_float_denorm_mode_32 3
		.amdhsa_float_denorm_mode_16_64 3
		.amdhsa_fp16_overflow 0
		.amdhsa_memory_ordered 1
		.amdhsa_forward_progress 1
		.amdhsa_inst_pref_size 11
		.amdhsa_round_robin_scheduling 0
		.amdhsa_exception_fp_ieee_invalid_op 0
		.amdhsa_exception_fp_denorm_src 0
		.amdhsa_exception_fp_ieee_div_zero 0
		.amdhsa_exception_fp_ieee_overflow 0
		.amdhsa_exception_fp_ieee_underflow 0
		.amdhsa_exception_fp_ieee_inexact 0
		.amdhsa_exception_int_div_zero 0
	.end_amdhsa_kernel
	.section	.text._ZN9rocsolver6v33100L18trti2_kernel_smallILi2E19rocblas_complex_numIfEPKPS3_EEv13rocblas_fill_17rocblas_diagonal_T1_iil,"axG",@progbits,_ZN9rocsolver6v33100L18trti2_kernel_smallILi2E19rocblas_complex_numIfEPKPS3_EEv13rocblas_fill_17rocblas_diagonal_T1_iil,comdat
.Lfunc_end65:
	.size	_ZN9rocsolver6v33100L18trti2_kernel_smallILi2E19rocblas_complex_numIfEPKPS3_EEv13rocblas_fill_17rocblas_diagonal_T1_iil, .Lfunc_end65-_ZN9rocsolver6v33100L18trti2_kernel_smallILi2E19rocblas_complex_numIfEPKPS3_EEv13rocblas_fill_17rocblas_diagonal_T1_iil
                                        ; -- End function
	.set _ZN9rocsolver6v33100L18trti2_kernel_smallILi2E19rocblas_complex_numIfEPKPS3_EEv13rocblas_fill_17rocblas_diagonal_T1_iil.num_vgpr, 16
	.set _ZN9rocsolver6v33100L18trti2_kernel_smallILi2E19rocblas_complex_numIfEPKPS3_EEv13rocblas_fill_17rocblas_diagonal_T1_iil.num_agpr, 0
	.set _ZN9rocsolver6v33100L18trti2_kernel_smallILi2E19rocblas_complex_numIfEPKPS3_EEv13rocblas_fill_17rocblas_diagonal_T1_iil.numbered_sgpr, 12
	.set _ZN9rocsolver6v33100L18trti2_kernel_smallILi2E19rocblas_complex_numIfEPKPS3_EEv13rocblas_fill_17rocblas_diagonal_T1_iil.num_named_barrier, 0
	.set _ZN9rocsolver6v33100L18trti2_kernel_smallILi2E19rocblas_complex_numIfEPKPS3_EEv13rocblas_fill_17rocblas_diagonal_T1_iil.private_seg_size, 0
	.set _ZN9rocsolver6v33100L18trti2_kernel_smallILi2E19rocblas_complex_numIfEPKPS3_EEv13rocblas_fill_17rocblas_diagonal_T1_iil.uses_vcc, 1
	.set _ZN9rocsolver6v33100L18trti2_kernel_smallILi2E19rocblas_complex_numIfEPKPS3_EEv13rocblas_fill_17rocblas_diagonal_T1_iil.uses_flat_scratch, 0
	.set _ZN9rocsolver6v33100L18trti2_kernel_smallILi2E19rocblas_complex_numIfEPKPS3_EEv13rocblas_fill_17rocblas_diagonal_T1_iil.has_dyn_sized_stack, 0
	.set _ZN9rocsolver6v33100L18trti2_kernel_smallILi2E19rocblas_complex_numIfEPKPS3_EEv13rocblas_fill_17rocblas_diagonal_T1_iil.has_recursion, 0
	.set _ZN9rocsolver6v33100L18trti2_kernel_smallILi2E19rocblas_complex_numIfEPKPS3_EEv13rocblas_fill_17rocblas_diagonal_T1_iil.has_indirect_call, 0
	.section	.AMDGPU.csdata,"",@progbits
; Kernel info:
; codeLenInByte = 1332
; TotalNumSgprs: 14
; NumVgprs: 16
; ScratchSize: 0
; MemoryBound: 0
; FloatMode: 240
; IeeeMode: 1
; LDSByteSize: 1056 bytes/workgroup (compile time only)
; SGPRBlocks: 0
; VGPRBlocks: 0
; NumSGPRsForWavesPerEU: 14
; NumVGPRsForWavesPerEU: 16
; NamedBarCnt: 0
; Occupancy: 16
; WaveLimiterHint : 1
; COMPUTE_PGM_RSRC2:SCRATCH_EN: 0
; COMPUTE_PGM_RSRC2:USER_SGPR: 4
; COMPUTE_PGM_RSRC2:TRAP_HANDLER: 0
; COMPUTE_PGM_RSRC2:TGID_X_EN: 1
; COMPUTE_PGM_RSRC2:TGID_Y_EN: 0
; COMPUTE_PGM_RSRC2:TGID_Z_EN: 0
; COMPUTE_PGM_RSRC2:TIDIG_COMP_CNT: 2
	.section	.text._ZN9rocsolver6v33100L18trti2_kernel_smallILi3E19rocblas_complex_numIfEPKPS3_EEv13rocblas_fill_17rocblas_diagonal_T1_iil,"axG",@progbits,_ZN9rocsolver6v33100L18trti2_kernel_smallILi3E19rocblas_complex_numIfEPKPS3_EEv13rocblas_fill_17rocblas_diagonal_T1_iil,comdat
	.globl	_ZN9rocsolver6v33100L18trti2_kernel_smallILi3E19rocblas_complex_numIfEPKPS3_EEv13rocblas_fill_17rocblas_diagonal_T1_iil ; -- Begin function _ZN9rocsolver6v33100L18trti2_kernel_smallILi3E19rocblas_complex_numIfEPKPS3_EEv13rocblas_fill_17rocblas_diagonal_T1_iil
	.p2align	8
	.type	_ZN9rocsolver6v33100L18trti2_kernel_smallILi3E19rocblas_complex_numIfEPKPS3_EEv13rocblas_fill_17rocblas_diagonal_T1_iil,@function
_ZN9rocsolver6v33100L18trti2_kernel_smallILi3E19rocblas_complex_numIfEPKPS3_EEv13rocblas_fill_17rocblas_diagonal_T1_iil: ; @_ZN9rocsolver6v33100L18trti2_kernel_smallILi3E19rocblas_complex_numIfEPKPS3_EEv13rocblas_fill_17rocblas_diagonal_T1_iil
; %bb.0:
	v_and_b32_e32 v17, 0x3ff, v0
	s_mov_b32 s4, exec_lo
	s_delay_alu instid0(VALU_DEP_1)
	v_cmpx_gt_u32_e32 3, v17
	s_cbranch_execz .LBB66_44
; %bb.1:
	s_load_b64 s[8:9], s[0:1], 0x4
	s_clause 0x1
	s_load_b64 s[10:11], s[2:3], 0x10
	s_load_b128 s[4:7], s[2:3], 0x0
	s_wait_xcnt 0x0
	s_bfe_u32 s0, ttmp6, 0x4000c
	s_and_b32 s1, ttmp6, 15
	s_add_co_i32 s0, s0, 1
	s_getreg_b32 s2, hwreg(HW_REG_IB_STS2, 6, 4)
	s_mul_i32 s0, ttmp9, s0
	v_bfe_u32 v1, v0, 10, 10
	s_add_co_i32 s0, s1, s0
	v_bfe_u32 v0, v0, 20, 10
	v_dual_mov_b32 v7, 0 :: v_dual_lshlrev_b32 v6, 3, v17
	s_wait_kmcnt 0x0
	s_lshr_b32 s8, s8, 16
	s_ashr_i32 s1, s10, 31
	s_cmp_eq_u32 s2, 0
	s_mul_i32 s8, s8, s9
	s_cselect_b32 s2, ttmp9, s0
	s_mov_b32 s0, s10
	s_ashr_i32 s3, s2, 31
	s_lshl_b64 s[0:1], s[0:1], 3
	s_lshl_b64 s[2:3], s[2:3], 3
	v_mul_u32_u24_e32 v1, s9, v1
	s_add_nc_u64 s[2:3], s[6:7], s[2:3]
	v_mul_u32_u24_e32 v2, s8, v17
	s_load_b64 s[2:3], s[2:3], 0x0
	s_delay_alu instid0(VALU_DEP_1) | instskip(NEXT) | instid1(VALU_DEP_1)
	v_add3_u32 v0, v2, v1, v0
	v_mul_lo_u32 v12, v0, 24
	s_delay_alu instid0(VALU_DEP_1)
	v_add_nc_u32_e32 v16, 64, v12
	s_wait_kmcnt 0x0
	s_add_nc_u64 s[2:3], s[2:3], s[0:1]
	s_mov_b32 s0, s11
	flat_load_b64 v[4:5], v17, s[2:3] scale_offset
	v_add_nc_u64_e32 v[0:1], s[2:3], v[6:7]
	s_ashr_i32 s1, s11, 31
	s_cmp_lg_u32 s5, 0x84
	s_delay_alu instid0(VALU_DEP_1) | instskip(SKIP_1) | instid1(SALU_CYCLE_1)
	v_lshl_add_u64 v[2:3], s[0:1], 3, v[0:1]
	s_cselect_b32 s1, -1, 0
	s_and_b32 vcc_lo, exec_lo, s1
	s_wait_loadcnt_dscnt 0x0
	ds_store_b64 v12, v[4:5] offset:64
	flat_load_b64 v[8:9], v[2:3]
	v_add3_u32 v4, s11, s11, v17
	s_wait_loadcnt_dscnt 0x0
	ds_store_b64 v12, v[8:9] offset:72
	flat_load_b64 v[10:11], v4, s[2:3] scale_offset
	s_wait_loadcnt_dscnt 0x0
	ds_store_b64 v12, v[10:11] offset:80
	s_cbranch_vccz .LBB66_7
; %bb.2:
	v_lshl_add_u32 v5, v17, 3, v16
                                        ; implicit-def: $vgpr13
                                        ; implicit-def: $vgpr14
	ds_load_b64 v[10:11], v5
	s_wait_dscnt 0x0
	v_cmp_ngt_f32_e64 s0, |v10|, |v11|
	s_and_saveexec_b32 s5, s0
	s_delay_alu instid0(SALU_CYCLE_1)
	s_xor_b32 s0, exec_lo, s5
	s_cbranch_execz .LBB66_4
; %bb.3:
	v_div_scale_f32 v7, null, v11, v11, v10
	v_div_scale_f32 v14, vcc_lo, v10, v11, v10
	s_delay_alu instid0(VALU_DEP_2) | instskip(SKIP_1) | instid1(TRANS32_DEP_1)
	v_rcp_f32_e32 v12, v7
	v_nop
	v_fma_f32 v13, -v7, v12, 1.0
	s_delay_alu instid0(VALU_DEP_1) | instskip(NEXT) | instid1(VALU_DEP_1)
	v_fmac_f32_e32 v12, v13, v12
	v_mul_f32_e32 v13, v14, v12
	s_delay_alu instid0(VALU_DEP_1) | instskip(NEXT) | instid1(VALU_DEP_1)
	v_fma_f32 v15, -v7, v13, v14
	v_fmac_f32_e32 v13, v15, v12
	s_delay_alu instid0(VALU_DEP_1) | instskip(NEXT) | instid1(VALU_DEP_1)
	v_fma_f32 v7, -v7, v13, v14
	v_div_fmas_f32 v7, v7, v12, v13
	s_delay_alu instid0(VALU_DEP_1) | instskip(NEXT) | instid1(VALU_DEP_1)
	v_div_fixup_f32 v7, v7, v11, v10
	v_fmac_f32_e32 v11, v10, v7
	s_delay_alu instid0(VALU_DEP_1) | instskip(NEXT) | instid1(VALU_DEP_1)
	v_div_scale_f32 v10, null, v11, v11, -1.0
	v_rcp_f32_e32 v12, v10
	v_nop
	s_delay_alu instid0(TRANS32_DEP_1) | instskip(NEXT) | instid1(VALU_DEP_1)
	v_fma_f32 v13, -v10, v12, 1.0
	v_fmac_f32_e32 v12, v13, v12
	v_div_scale_f32 v13, vcc_lo, -1.0, v11, -1.0
	s_delay_alu instid0(VALU_DEP_1) | instskip(NEXT) | instid1(VALU_DEP_1)
	v_mul_f32_e32 v14, v13, v12
	v_fma_f32 v15, -v10, v14, v13
	s_delay_alu instid0(VALU_DEP_1) | instskip(NEXT) | instid1(VALU_DEP_1)
	v_fmac_f32_e32 v14, v15, v12
	v_fma_f32 v10, -v10, v14, v13
	s_delay_alu instid0(VALU_DEP_1) | instskip(NEXT) | instid1(VALU_DEP_1)
	v_div_fmas_f32 v10, v10, v12, v14
	v_div_fixup_f32 v13, v10, v11, -1.0
                                        ; implicit-def: $vgpr10_vgpr11
	s_delay_alu instid0(VALU_DEP_1) | instskip(NEXT) | instid1(VALU_DEP_1)
	v_mul_f32_e32 v14, v7, v13
	v_xor_b32_e32 v12, 0x80000000, v14
.LBB66_4:
	s_and_not1_saveexec_b32 s0, s0
	s_cbranch_execz .LBB66_6
; %bb.5:
	v_div_scale_f32 v7, null, v10, v10, v11
	v_div_scale_f32 v14, vcc_lo, v11, v10, v11
	s_delay_alu instid0(VALU_DEP_2) | instskip(SKIP_1) | instid1(TRANS32_DEP_1)
	v_rcp_f32_e32 v12, v7
	v_nop
	v_fma_f32 v13, -v7, v12, 1.0
	s_delay_alu instid0(VALU_DEP_1) | instskip(NEXT) | instid1(VALU_DEP_1)
	v_fmac_f32_e32 v12, v13, v12
	v_mul_f32_e32 v13, v14, v12
	s_delay_alu instid0(VALU_DEP_1) | instskip(NEXT) | instid1(VALU_DEP_1)
	v_fma_f32 v15, -v7, v13, v14
	v_fmac_f32_e32 v13, v15, v12
	s_delay_alu instid0(VALU_DEP_1) | instskip(NEXT) | instid1(VALU_DEP_1)
	v_fma_f32 v7, -v7, v13, v14
	v_div_fmas_f32 v7, v7, v12, v13
	s_delay_alu instid0(VALU_DEP_1) | instskip(NEXT) | instid1(VALU_DEP_1)
	v_div_fixup_f32 v7, v7, v10, v11
	v_fmac_f32_e32 v10, v11, v7
	s_delay_alu instid0(VALU_DEP_1) | instskip(SKIP_1) | instid1(VALU_DEP_2)
	v_div_scale_f32 v11, null, v10, v10, 1.0
	v_div_scale_f32 v14, vcc_lo, 1.0, v10, 1.0
	v_rcp_f32_e32 v12, v11
	v_nop
	s_delay_alu instid0(TRANS32_DEP_1) | instskip(NEXT) | instid1(VALU_DEP_1)
	v_fma_f32 v13, -v11, v12, 1.0
	v_fmac_f32_e32 v12, v13, v12
	s_delay_alu instid0(VALU_DEP_1) | instskip(NEXT) | instid1(VALU_DEP_1)
	v_mul_f32_e32 v13, v14, v12
	v_fma_f32 v15, -v11, v13, v14
	s_delay_alu instid0(VALU_DEP_1) | instskip(NEXT) | instid1(VALU_DEP_1)
	v_fmac_f32_e32 v13, v15, v12
	v_fma_f32 v11, -v11, v13, v14
	s_delay_alu instid0(VALU_DEP_1) | instskip(NEXT) | instid1(VALU_DEP_1)
	v_div_fmas_f32 v11, v11, v12, v13
	v_div_fixup_f32 v12, v11, v10, 1.0
	s_delay_alu instid0(VALU_DEP_1)
	v_xor_b32_e32 v14, 0x80000000, v12
	v_mul_f32_e64 v13, v7, -v12
.LBB66_6:
	s_or_b32 exec_lo, exec_lo, s0
	ds_store_b64 v5, v[12:13]
	ds_load_b64 v[10:11], v16 offset:8
	v_xor_b32_e32 v15, 0x80000000, v13
	ds_store_b64 v6, v[14:15]
	s_branch .LBB66_9
.LBB66_7:
                                        ; implicit-def: $vgpr10_vgpr11
	s_cbranch_execz .LBB66_9
; %bb.8:
	s_mov_b64 s[6:7], 0xbf800000
	s_wait_dscnt 0x1
	v_mov_b64_e32 v[10:11], v[8:9]
	v_mov_b64_e32 v[12:13], s[6:7]
	ds_store_b64 v6, v[12:13]
.LBB66_9:
	v_dual_ashrrev_i32 v5, 31, v4 :: v_dual_add_nc_u32 v8, 32, v6
	v_add_nc_u32_e32 v9, v16, v6
	s_cmp_eq_u32 s4, 0x79
	s_wait_dscnt 0x1
	ds_store_b64 v6, v[10:11] offset:32
	s_wait_dscnt 0x0
	s_cbranch_scc1 .LBB66_13
; %bb.10:
	v_cmp_eq_u32_e64 s0, 2, v17
	s_barrier_signal -1
	s_barrier_wait -1
	s_and_saveexec_b32 s4, s0
	s_cbranch_execz .LBB66_17
; %bb.11:
	s_and_b32 vcc_lo, exec_lo, s1
	s_cbranch_vccz .LBB66_14
; %bb.12:
	ds_load_b64 v[6:7], v9
	ds_load_b64 v[10:11], v8
	s_wait_dscnt 0x0
	v_pk_mul_f32 v[12:13], v[10:11], v[6:7] op_sel:[1,1] op_sel_hi:[0,1]
	v_pk_mul_f32 v[14:15], v[10:11], v[6:7] op_sel_hi:[1,0]
	s_delay_alu instid0(VALU_DEP_2) | instskip(NEXT) | instid1(VALU_DEP_2)
	v_pk_fma_f32 v[6:7], v[10:11], v[6:7], v[12:13] op_sel_hi:[1,0,1]
	v_sub_f32_e32 v6, v14, v12
	s_cbranch_execz .LBB66_15
	s_branch .LBB66_16
.LBB66_13:
	s_mov_b32 s4, 0
                                        ; implicit-def: $vgpr10
                                        ; implicit-def: $vgpr11
	s_cbranch_execnz .LBB66_26
	s_branch .LBB66_41
.LBB66_14:
                                        ; implicit-def: $vgpr7
.LBB66_15:
	ds_load_b64 v[6:7], v8
.LBB66_16:
	s_wait_dscnt 0x0
	v_dual_mov_b32 v10, 0 :: v_dual_mov_b32 v12, v7
	v_mov_b32_e32 v13, v6
	ds_load_b64 v[10:11], v10 offset:8
	s_wait_dscnt 0x0
	v_pk_mul_f32 v[12:13], v[12:13], v[10:11] op_sel:[0,1]
	s_delay_alu instid0(VALU_DEP_1) | instskip(SKIP_1) | instid1(VALU_DEP_2)
	v_pk_fma_f32 v[14:15], v[6:7], v[10:11], v[12:13] op_sel_hi:[1,0,1]
	v_pk_fma_f32 v[6:7], v[6:7], v[10:11], v[12:13] neg_lo:[0,0,1] neg_hi:[0,0,1]
	v_mov_b32_e32 v7, v15
	ds_store_b64 v16, v[6:7] offset:8
.LBB66_17:
	s_or_b32 exec_lo, exec_lo, s4
	ds_load_b64 v[6:7], v16
	s_mov_b32 s5, 0
	s_mov_b32 s4, 0
	s_mov_b32 s6, exec_lo
                                        ; implicit-def: $vgpr10
                                        ; implicit-def: $vgpr11
	s_wait_dscnt 0x0
	ds_store_b64 v8, v[6:7]
	s_wait_dscnt 0x0
	s_barrier_signal -1
	s_barrier_wait -1
	v_cmpx_ne_u32_e32 0, v17
	s_cbranch_execz .LBB66_25
; %bb.18:
	s_and_not1_b32 vcc_lo, exec_lo, s1
	s_cbranch_vccnz .LBB66_20
; %bb.19:
	ds_load_b64 v[10:11], v9
	ds_load_b64 v[12:13], v8
	s_wait_dscnt 0x0
	v_dual_mul_f32 v6, v13, v11 :: v_dual_mul_f32 v7, v12, v11
	s_delay_alu instid0(VALU_DEP_1)
	v_dual_fma_f32 v6, v12, v10, -v6 :: v_dual_fmac_f32 v7, v13, v10
	s_and_not1_b32 vcc_lo, exec_lo, s4
	s_cbranch_vccz .LBB66_21
	s_branch .LBB66_22
.LBB66_20:
                                        ; implicit-def: $vgpr6
.LBB66_21:
	ds_load_b64 v[6:7], v8
.LBB66_22:
	s_and_saveexec_b32 s4, s0
	s_cbranch_execz .LBB66_24
; %bb.23:
	v_mov_b32_e32 v12, 0
	ds_load_b64 v[10:11], v16 offset:8
	ds_load_b64 v[12:13], v12 offset:40
	s_wait_dscnt 0x0
	v_dual_mul_f32 v14, v13, v11 :: v_dual_mul_f32 v11, v12, v11
	s_delay_alu instid0(VALU_DEP_1) | instskip(NEXT) | instid1(VALU_DEP_1)
	v_dual_fma_f32 v12, v12, v10, -v14 :: v_dual_fmac_f32 v11, v13, v10
	v_dual_add_f32 v6, v6, v12 :: v_dual_add_f32 v7, v7, v11
.LBB66_24:
	s_or_b32 exec_lo, exec_lo, s4
	v_mov_b32_e32 v10, 0
	s_mov_b32 s4, exec_lo
	v_add_nc_u32_e32 v11, 4, v16
	ds_load_b64 v[12:13], v10
	s_wait_dscnt 0x0
	v_dual_mul_f32 v14, v7, v13 :: v_dual_mul_f32 v10, v6, v13
	s_delay_alu instid0(VALU_DEP_1) | instskip(NEXT) | instid1(VALU_DEP_2)
	v_fma_f32 v6, v6, v12, -v14
	v_fmac_f32_e32 v10, v7, v12
	ds_store_b32 v16, v6
.LBB66_25:
	s_or_b32 exec_lo, exec_lo, s6
	s_delay_alu instid0(SALU_CYCLE_1)
	s_and_b32 vcc_lo, exec_lo, s5
	s_cbranch_vccz .LBB66_41
.LBB66_26:
	v_cmp_eq_u32_e64 s0, 0, v17
	s_barrier_signal -1
	s_barrier_wait -1
	s_wait_dscnt 0x0
	s_and_saveexec_b32 s5, s0
	s_cbranch_execz .LBB66_32
; %bb.27:
	s_and_b32 vcc_lo, exec_lo, s1
	s_cbranch_vccz .LBB66_29
; %bb.28:
	ds_load_b64 v[6:7], v9
	ds_load_b64 v[10:11], v8
	s_wait_dscnt 0x0
	v_pk_mul_f32 v[12:13], v[10:11], v[6:7] op_sel:[1,1] op_sel_hi:[0,1]
	v_pk_mul_f32 v[14:15], v[10:11], v[6:7] op_sel_hi:[1,0]
	s_delay_alu instid0(VALU_DEP_2) | instskip(NEXT) | instid1(VALU_DEP_2)
	v_pk_fma_f32 v[6:7], v[10:11], v[6:7], v[12:13] op_sel_hi:[1,0,1]
	v_sub_f32_e32 v6, v14, v12
	s_cbranch_execz .LBB66_30
	s_branch .LBB66_31
.LBB66_29:
                                        ; implicit-def: $vgpr7
.LBB66_30:
	ds_load_b64 v[6:7], v8
.LBB66_31:
	s_wait_dscnt 0x0
	v_dual_mov_b32 v10, 0 :: v_dual_mov_b32 v12, v7
	v_mov_b32_e32 v13, v6
	ds_load_b64 v[10:11], v10 offset:8
	s_wait_dscnt 0x0
	v_pk_mul_f32 v[12:13], v[12:13], v[10:11] op_sel:[0,1]
	s_delay_alu instid0(VALU_DEP_1) | instskip(SKIP_1) | instid1(VALU_DEP_2)
	v_pk_fma_f32 v[14:15], v[6:7], v[10:11], v[12:13] op_sel_hi:[1,0,1]
	v_pk_fma_f32 v[6:7], v[6:7], v[10:11], v[12:13] neg_lo:[0,0,1] neg_hi:[0,0,1]
	v_mov_b32_e32 v7, v15
	ds_store_b64 v16, v[6:7] offset:8
.LBB66_32:
	s_or_b32 exec_lo, exec_lo, s5
	ds_load_b64 v[6:7], v16 offset:16
	s_mov_b32 s5, exec_lo
                                        ; implicit-def: $vgpr10
                                        ; implicit-def: $vgpr11
	s_wait_dscnt 0x0
	ds_store_b64 v8, v[6:7]
	s_wait_dscnt 0x0
	s_barrier_signal -1
	s_barrier_wait -1
	v_cmpx_ne_u32_e32 2, v17
	s_cbranch_execz .LBB66_40
; %bb.33:
	s_and_not1_b32 vcc_lo, exec_lo, s1
	s_cbranch_vccnz .LBB66_35
; %bb.34:
	ds_load_b64 v[10:11], v9
	ds_load_b64 v[12:13], v8
	s_wait_dscnt 0x0
	v_dual_mul_f32 v6, v13, v11 :: v_dual_mul_f32 v7, v12, v11
	s_delay_alu instid0(VALU_DEP_1)
	v_dual_fma_f32 v6, v12, v10, -v6 :: v_dual_fmac_f32 v7, v13, v10
	s_cbranch_execz .LBB66_36
	s_branch .LBB66_37
.LBB66_35:
                                        ; implicit-def: $vgpr7
.LBB66_36:
	ds_load_b64 v[6:7], v8
.LBB66_37:
	s_and_saveexec_b32 s1, s0
	s_cbranch_execz .LBB66_39
; %bb.38:
	v_mov_b32_e32 v10, 0
	ds_load_b64 v[8:9], v16 offset:8
	ds_load_b64 v[10:11], v10 offset:40
	s_wait_dscnt 0x0
	v_dual_mul_f32 v12, v11, v9 :: v_dual_mul_f32 v9, v10, v9
	s_delay_alu instid0(VALU_DEP_1) | instskip(NEXT) | instid1(VALU_DEP_1)
	v_dual_fma_f32 v10, v10, v8, -v12 :: v_dual_fmac_f32 v9, v11, v8
	v_dual_add_f32 v6, v6, v10 :: v_dual_add_f32 v7, v7, v9
.LBB66_39:
	s_or_b32 exec_lo, exec_lo, s1
	v_mov_b32_e32 v8, 0
	s_or_b32 s4, s4, exec_lo
	v_add_nc_u32_e32 v11, 20, v16
	ds_load_b64 v[8:9], v8 offset:16
	s_wait_dscnt 0x0
	v_dual_mul_f32 v12, v7, v9 :: v_dual_mul_f32 v10, v6, v9
	s_delay_alu instid0(VALU_DEP_1)
	v_dual_fma_f32 v6, v6, v8, -v12 :: v_dual_fmac_f32 v10, v7, v8
	ds_store_b32 v16, v6 offset:16
.LBB66_40:
	s_or_b32 exec_lo, exec_lo, s5
.LBB66_41:
	v_lshl_add_u64 v[4:5], v[4:5], 3, s[2:3]
	s_and_saveexec_b32 s0, s4
; %bb.42:
	ds_store_b32 v11, v10
; %bb.43:
	s_or_b32 exec_lo, exec_lo, s0
	ds_load_b64 v[6:7], v16
	s_wait_dscnt 0x0
	flat_store_b64 v[0:1], v[6:7]
	s_wait_xcnt 0x0
	ds_load_b64 v[0:1], v16 offset:8
	s_wait_dscnt 0x0
	flat_store_b64 v[2:3], v[0:1]
	s_wait_xcnt 0x0
	ds_load_b64 v[0:1], v16 offset:16
	s_wait_dscnt 0x0
	flat_store_b64 v[4:5], v[0:1]
.LBB66_44:
	s_endpgm
	.section	.rodata,"a",@progbits
	.p2align	6, 0x0
	.amdhsa_kernel _ZN9rocsolver6v33100L18trti2_kernel_smallILi3E19rocblas_complex_numIfEPKPS3_EEv13rocblas_fill_17rocblas_diagonal_T1_iil
		.amdhsa_group_segment_fixed_size 1600
		.amdhsa_private_segment_fixed_size 0
		.amdhsa_kernarg_size 32
		.amdhsa_user_sgpr_count 4
		.amdhsa_user_sgpr_dispatch_ptr 1
		.amdhsa_user_sgpr_queue_ptr 0
		.amdhsa_user_sgpr_kernarg_segment_ptr 1
		.amdhsa_user_sgpr_dispatch_id 0
		.amdhsa_user_sgpr_kernarg_preload_length 0
		.amdhsa_user_sgpr_kernarg_preload_offset 0
		.amdhsa_user_sgpr_private_segment_size 0
		.amdhsa_wavefront_size32 1
		.amdhsa_uses_dynamic_stack 0
		.amdhsa_enable_private_segment 0
		.amdhsa_system_sgpr_workgroup_id_x 1
		.amdhsa_system_sgpr_workgroup_id_y 0
		.amdhsa_system_sgpr_workgroup_id_z 0
		.amdhsa_system_sgpr_workgroup_info 0
		.amdhsa_system_vgpr_workitem_id 2
		.amdhsa_next_free_vgpr 18
		.amdhsa_next_free_sgpr 12
		.amdhsa_named_barrier_count 0
		.amdhsa_reserve_vcc 1
		.amdhsa_float_round_mode_32 0
		.amdhsa_float_round_mode_16_64 0
		.amdhsa_float_denorm_mode_32 3
		.amdhsa_float_denorm_mode_16_64 3
		.amdhsa_fp16_overflow 0
		.amdhsa_memory_ordered 1
		.amdhsa_forward_progress 1
		.amdhsa_inst_pref_size 15
		.amdhsa_round_robin_scheduling 0
		.amdhsa_exception_fp_ieee_invalid_op 0
		.amdhsa_exception_fp_denorm_src 0
		.amdhsa_exception_fp_ieee_div_zero 0
		.amdhsa_exception_fp_ieee_overflow 0
		.amdhsa_exception_fp_ieee_underflow 0
		.amdhsa_exception_fp_ieee_inexact 0
		.amdhsa_exception_int_div_zero 0
	.end_amdhsa_kernel
	.section	.text._ZN9rocsolver6v33100L18trti2_kernel_smallILi3E19rocblas_complex_numIfEPKPS3_EEv13rocblas_fill_17rocblas_diagonal_T1_iil,"axG",@progbits,_ZN9rocsolver6v33100L18trti2_kernel_smallILi3E19rocblas_complex_numIfEPKPS3_EEv13rocblas_fill_17rocblas_diagonal_T1_iil,comdat
.Lfunc_end66:
	.size	_ZN9rocsolver6v33100L18trti2_kernel_smallILi3E19rocblas_complex_numIfEPKPS3_EEv13rocblas_fill_17rocblas_diagonal_T1_iil, .Lfunc_end66-_ZN9rocsolver6v33100L18trti2_kernel_smallILi3E19rocblas_complex_numIfEPKPS3_EEv13rocblas_fill_17rocblas_diagonal_T1_iil
                                        ; -- End function
	.set _ZN9rocsolver6v33100L18trti2_kernel_smallILi3E19rocblas_complex_numIfEPKPS3_EEv13rocblas_fill_17rocblas_diagonal_T1_iil.num_vgpr, 18
	.set _ZN9rocsolver6v33100L18trti2_kernel_smallILi3E19rocblas_complex_numIfEPKPS3_EEv13rocblas_fill_17rocblas_diagonal_T1_iil.num_agpr, 0
	.set _ZN9rocsolver6v33100L18trti2_kernel_smallILi3E19rocblas_complex_numIfEPKPS3_EEv13rocblas_fill_17rocblas_diagonal_T1_iil.numbered_sgpr, 12
	.set _ZN9rocsolver6v33100L18trti2_kernel_smallILi3E19rocblas_complex_numIfEPKPS3_EEv13rocblas_fill_17rocblas_diagonal_T1_iil.num_named_barrier, 0
	.set _ZN9rocsolver6v33100L18trti2_kernel_smallILi3E19rocblas_complex_numIfEPKPS3_EEv13rocblas_fill_17rocblas_diagonal_T1_iil.private_seg_size, 0
	.set _ZN9rocsolver6v33100L18trti2_kernel_smallILi3E19rocblas_complex_numIfEPKPS3_EEv13rocblas_fill_17rocblas_diagonal_T1_iil.uses_vcc, 1
	.set _ZN9rocsolver6v33100L18trti2_kernel_smallILi3E19rocblas_complex_numIfEPKPS3_EEv13rocblas_fill_17rocblas_diagonal_T1_iil.uses_flat_scratch, 0
	.set _ZN9rocsolver6v33100L18trti2_kernel_smallILi3E19rocblas_complex_numIfEPKPS3_EEv13rocblas_fill_17rocblas_diagonal_T1_iil.has_dyn_sized_stack, 0
	.set _ZN9rocsolver6v33100L18trti2_kernel_smallILi3E19rocblas_complex_numIfEPKPS3_EEv13rocblas_fill_17rocblas_diagonal_T1_iil.has_recursion, 0
	.set _ZN9rocsolver6v33100L18trti2_kernel_smallILi3E19rocblas_complex_numIfEPKPS3_EEv13rocblas_fill_17rocblas_diagonal_T1_iil.has_indirect_call, 0
	.section	.AMDGPU.csdata,"",@progbits
; Kernel info:
; codeLenInByte = 1912
; TotalNumSgprs: 14
; NumVgprs: 18
; ScratchSize: 0
; MemoryBound: 0
; FloatMode: 240
; IeeeMode: 1
; LDSByteSize: 1600 bytes/workgroup (compile time only)
; SGPRBlocks: 0
; VGPRBlocks: 1
; NumSGPRsForWavesPerEU: 14
; NumVGPRsForWavesPerEU: 18
; NamedBarCnt: 0
; Occupancy: 16
; WaveLimiterHint : 1
; COMPUTE_PGM_RSRC2:SCRATCH_EN: 0
; COMPUTE_PGM_RSRC2:USER_SGPR: 4
; COMPUTE_PGM_RSRC2:TRAP_HANDLER: 0
; COMPUTE_PGM_RSRC2:TGID_X_EN: 1
; COMPUTE_PGM_RSRC2:TGID_Y_EN: 0
; COMPUTE_PGM_RSRC2:TGID_Z_EN: 0
; COMPUTE_PGM_RSRC2:TIDIG_COMP_CNT: 2
	.section	.text._ZN9rocsolver6v33100L18trti2_kernel_smallILi4E19rocblas_complex_numIfEPKPS3_EEv13rocblas_fill_17rocblas_diagonal_T1_iil,"axG",@progbits,_ZN9rocsolver6v33100L18trti2_kernel_smallILi4E19rocblas_complex_numIfEPKPS3_EEv13rocblas_fill_17rocblas_diagonal_T1_iil,comdat
	.globl	_ZN9rocsolver6v33100L18trti2_kernel_smallILi4E19rocblas_complex_numIfEPKPS3_EEv13rocblas_fill_17rocblas_diagonal_T1_iil ; -- Begin function _ZN9rocsolver6v33100L18trti2_kernel_smallILi4E19rocblas_complex_numIfEPKPS3_EEv13rocblas_fill_17rocblas_diagonal_T1_iil
	.p2align	8
	.type	_ZN9rocsolver6v33100L18trti2_kernel_smallILi4E19rocblas_complex_numIfEPKPS3_EEv13rocblas_fill_17rocblas_diagonal_T1_iil,@function
_ZN9rocsolver6v33100L18trti2_kernel_smallILi4E19rocblas_complex_numIfEPKPS3_EEv13rocblas_fill_17rocblas_diagonal_T1_iil: ; @_ZN9rocsolver6v33100L18trti2_kernel_smallILi4E19rocblas_complex_numIfEPKPS3_EEv13rocblas_fill_17rocblas_diagonal_T1_iil
; %bb.0:
	v_and_b32_e32 v17, 0x3ff, v0
	s_mov_b32 s4, exec_lo
	s_delay_alu instid0(VALU_DEP_1)
	v_cmpx_gt_u32_e32 4, v17
	s_cbranch_execz .LBB67_64
; %bb.1:
	s_load_b64 s[8:9], s[0:1], 0x4
	s_clause 0x1
	s_load_b64 s[10:11], s[2:3], 0x10
	s_load_b128 s[4:7], s[2:3], 0x0
	s_wait_xcnt 0x0
	s_bfe_u32 s0, ttmp6, 0x4000c
	s_and_b32 s1, ttmp6, 15
	s_add_co_i32 s0, s0, 1
	s_getreg_b32 s2, hwreg(HW_REG_IB_STS2, 6, 4)
	s_mul_i32 s0, ttmp9, s0
	v_bfe_u32 v1, v0, 10, 10
	s_add_co_i32 s0, s1, s0
	v_dual_mov_b32 v9, 0 :: v_dual_lshlrev_b32 v8, 3, v17
	v_bfe_u32 v2, v0, 20, 10
	s_wait_kmcnt 0x0
	s_lshr_b32 s8, s8, 16
	s_ashr_i32 s1, s10, 31
	s_cmp_eq_u32 s2, 0
	s_mul_i32 s8, s8, s9
	s_cselect_b32 s2, ttmp9, s0
	s_mov_b32 s0, s10
	s_ashr_i32 s3, s2, 31
	s_lshl_b64 s[0:1], s[0:1], 3
	s_lshl_b64 s[2:3], s[2:3], 3
	v_mul_u32_u24_e32 v3, s9, v1
	s_add_nc_u64 s[2:3], s[6:7], s[2:3]
	v_mul_u32_u24_e32 v6, s8, v17
	s_load_b64 s[2:3], s[2:3], 0x0
	s_delay_alu instid0(VALU_DEP_1)
	v_add3_u32 v18, v6, v3, v2
	s_wait_kmcnt 0x0
	s_add_nc_u64 s[2:3], s[2:3], s[0:1]
	s_mov_b32 s0, s11
	flat_load_b64 v[4:5], v17, s[2:3] scale_offset
	v_add_nc_u64_e32 v[0:1], s[2:3], v[8:9]
	s_ashr_i32 s1, s11, 31
	v_lshlrev_b32_e32 v9, 5, v18
	s_cmp_lg_u32 s5, 0x84
	s_cselect_b32 s5, -1, 0
	s_delay_alu instid0(VALU_DEP_2)
	v_lshl_add_u64 v[2:3], s[0:1], 3, v[0:1]
	s_mov_b32 s0, -1
	s_and_b32 vcc_lo, exec_lo, s5
	s_wait_loadcnt_dscnt 0x0
	ds_store_b64 v9, v[4:5] offset:64
	flat_load_b64 v[6:7], v[2:3]
	v_add3_u32 v4, s11, s11, v17
	s_wait_loadcnt_dscnt 0x0
	ds_store_b64 v9, v[6:7] offset:72
	flat_load_b64 v[10:11], v4, s[2:3] scale_offset
	v_dual_add_nc_u32 v6, s11, v4 :: v_dual_add_nc_u32 v16, 64, v9
	s_wait_loadcnt_dscnt 0x0
	ds_store_b64 v9, v[10:11] offset:80
	flat_load_b64 v[10:11], v6, s[2:3] scale_offset
	s_wait_loadcnt_dscnt 0x0
	ds_store_b64 v9, v[10:11] offset:88
	s_cbranch_vccz .LBB67_7
; %bb.2:
	v_lshl_add_u32 v5, v17, 3, v16
                                        ; implicit-def: $vgpr15
                                        ; implicit-def: $vgpr12
	ds_load_b64 v[10:11], v5
	s_wait_dscnt 0x0
	v_cmp_ngt_f32_e64 s0, |v10|, |v11|
	s_and_saveexec_b32 s1, s0
	s_delay_alu instid0(SALU_CYCLE_1)
	s_xor_b32 s0, exec_lo, s1
	s_cbranch_execz .LBB67_4
; %bb.3:
	v_div_scale_f32 v7, null, v11, v11, v10
	v_div_scale_f32 v13, vcc_lo, v10, v11, v10
	s_delay_alu instid0(VALU_DEP_2) | instskip(SKIP_1) | instid1(TRANS32_DEP_1)
	v_rcp_f32_e32 v9, v7
	v_nop
	v_fma_f32 v12, -v7, v9, 1.0
	s_delay_alu instid0(VALU_DEP_1) | instskip(NEXT) | instid1(VALU_DEP_1)
	v_fmac_f32_e32 v9, v12, v9
	v_mul_f32_e32 v12, v13, v9
	s_delay_alu instid0(VALU_DEP_1) | instskip(NEXT) | instid1(VALU_DEP_1)
	v_fma_f32 v14, -v7, v12, v13
	v_fmac_f32_e32 v12, v14, v9
	s_delay_alu instid0(VALU_DEP_1) | instskip(NEXT) | instid1(VALU_DEP_1)
	v_fma_f32 v7, -v7, v12, v13
	v_div_fmas_f32 v7, v7, v9, v12
	s_delay_alu instid0(VALU_DEP_1) | instskip(NEXT) | instid1(VALU_DEP_1)
	v_div_fixup_f32 v7, v7, v11, v10
	v_fmac_f32_e32 v11, v10, v7
	s_delay_alu instid0(VALU_DEP_1) | instskip(NEXT) | instid1(VALU_DEP_1)
	v_div_scale_f32 v9, null, v11, v11, -1.0
	v_rcp_f32_e32 v10, v9
	v_nop
	s_delay_alu instid0(TRANS32_DEP_1) | instskip(NEXT) | instid1(VALU_DEP_1)
	v_fma_f32 v12, -v9, v10, 1.0
	v_fmac_f32_e32 v10, v12, v10
	v_div_scale_f32 v12, vcc_lo, -1.0, v11, -1.0
	s_delay_alu instid0(VALU_DEP_1) | instskip(NEXT) | instid1(VALU_DEP_1)
	v_mul_f32_e32 v13, v12, v10
	v_fma_f32 v14, -v9, v13, v12
	s_delay_alu instid0(VALU_DEP_1) | instskip(NEXT) | instid1(VALU_DEP_1)
	v_fmac_f32_e32 v13, v14, v10
	v_fma_f32 v9, -v9, v13, v12
	s_delay_alu instid0(VALU_DEP_1) | instskip(NEXT) | instid1(VALU_DEP_1)
	v_div_fmas_f32 v9, v9, v10, v13
	v_div_fixup_f32 v15, v9, v11, -1.0
                                        ; implicit-def: $vgpr10_vgpr11
	s_delay_alu instid0(VALU_DEP_1) | instskip(NEXT) | instid1(VALU_DEP_1)
	v_mul_f32_e32 v12, v7, v15
	v_xor_b32_e32 v14, 0x80000000, v12
.LBB67_4:
	s_and_not1_saveexec_b32 s0, s0
	s_cbranch_execz .LBB67_6
; %bb.5:
	v_div_scale_f32 v7, null, v10, v10, v11
	v_div_scale_f32 v13, vcc_lo, v11, v10, v11
	s_delay_alu instid0(VALU_DEP_2) | instskip(SKIP_1) | instid1(TRANS32_DEP_1)
	v_rcp_f32_e32 v9, v7
	v_nop
	v_fma_f32 v12, -v7, v9, 1.0
	s_delay_alu instid0(VALU_DEP_1) | instskip(NEXT) | instid1(VALU_DEP_1)
	v_fmac_f32_e32 v9, v12, v9
	v_mul_f32_e32 v12, v13, v9
	s_delay_alu instid0(VALU_DEP_1) | instskip(NEXT) | instid1(VALU_DEP_1)
	v_fma_f32 v14, -v7, v12, v13
	v_fmac_f32_e32 v12, v14, v9
	s_delay_alu instid0(VALU_DEP_1) | instskip(NEXT) | instid1(VALU_DEP_1)
	v_fma_f32 v7, -v7, v12, v13
	v_div_fmas_f32 v7, v7, v9, v12
	s_delay_alu instid0(VALU_DEP_1) | instskip(NEXT) | instid1(VALU_DEP_1)
	v_div_fixup_f32 v7, v7, v10, v11
	v_fmac_f32_e32 v10, v11, v7
	s_delay_alu instid0(VALU_DEP_1) | instskip(SKIP_1) | instid1(VALU_DEP_2)
	v_div_scale_f32 v9, null, v10, v10, 1.0
	v_div_scale_f32 v13, vcc_lo, 1.0, v10, 1.0
	v_rcp_f32_e32 v11, v9
	v_nop
	s_delay_alu instid0(TRANS32_DEP_1) | instskip(NEXT) | instid1(VALU_DEP_1)
	v_fma_f32 v12, -v9, v11, 1.0
	v_fmac_f32_e32 v11, v12, v11
	s_delay_alu instid0(VALU_DEP_1) | instskip(NEXT) | instid1(VALU_DEP_1)
	v_mul_f32_e32 v12, v13, v11
	v_fma_f32 v14, -v9, v12, v13
	s_delay_alu instid0(VALU_DEP_1) | instskip(NEXT) | instid1(VALU_DEP_1)
	v_fmac_f32_e32 v12, v14, v11
	v_fma_f32 v9, -v9, v12, v13
	s_delay_alu instid0(VALU_DEP_1) | instskip(NEXT) | instid1(VALU_DEP_1)
	v_div_fmas_f32 v9, v9, v11, v12
	v_div_fixup_f32 v14, v9, v10, 1.0
	s_delay_alu instid0(VALU_DEP_1)
	v_xor_b32_e32 v12, 0x80000000, v14
	v_mul_f32_e64 v15, v7, -v14
.LBB67_6:
	s_or_b32 exec_lo, exec_lo, s0
	s_delay_alu instid0(VALU_DEP_1)
	v_xor_b32_e32 v13, 0x80000000, v15
	s_mov_b32 s0, 0
	ds_store_b64 v5, v[14:15]
	ds_store_b64 v8, v[12:13]
.LBB67_7:
	s_and_b32 vcc_lo, exec_lo, s0
	s_cbranch_vccz .LBB67_9
; %bb.8:
	s_mov_b64 s[0:1], 0xbf800000
	s_delay_alu instid0(SALU_CYCLE_1)
	v_mov_b64_e32 v[10:11], s[0:1]
	ds_store_b64 v8, v[10:11]
.LBB67_9:
	v_dual_ashrrev_i32 v5, 31, v4 :: v_dual_ashrrev_i32 v7, 31, v6
	v_dual_add_nc_u32 v10, 32, v8 :: v_dual_add_nc_u32 v11, v16, v8
	s_cmp_eq_u32 s4, 0x79
	s_cbranch_scc1 .LBB67_13
; %bb.10:
	ds_load_b64 v[8:9], v16 offset:16
	v_cmp_eq_u32_e64 s1, 3, v17
	s_wait_dscnt 0x0
	ds_store_b64 v10, v[8:9]
	s_wait_dscnt 0x0
	s_barrier_signal -1
	s_barrier_wait -1
	s_and_saveexec_b32 s0, s1
	s_cbranch_execz .LBB67_17
; %bb.11:
	s_and_b32 vcc_lo, exec_lo, s5
	s_cbranch_vccz .LBB67_14
; %bb.12:
	ds_load_b64 v[8:9], v11
	ds_load_b64 v[12:13], v10
	s_wait_dscnt 0x0
	v_pk_mul_f32 v[14:15], v[12:13], v[8:9] op_sel:[1,1] op_sel_hi:[0,1]
	v_pk_mul_f32 v[20:21], v[12:13], v[8:9] op_sel_hi:[1,0]
	s_delay_alu instid0(VALU_DEP_2) | instskip(NEXT) | instid1(VALU_DEP_2)
	v_pk_fma_f32 v[8:9], v[12:13], v[8:9], v[14:15] op_sel_hi:[1,0,1]
	v_sub_f32_e32 v8, v20, v14
	s_cbranch_execz .LBB67_15
	s_branch .LBB67_16
.LBB67_13:
	s_mov_b32 s4, 0
                                        ; implicit-def: $vgpr13
                                        ; implicit-def: $vgpr14
	s_cbranch_execnz .LBB67_36
	s_branch .LBB67_61
.LBB67_14:
                                        ; implicit-def: $vgpr9
.LBB67_15:
	ds_load_b64 v[8:9], v10
.LBB67_16:
	s_wait_dscnt 0x0
	v_dual_mov_b32 v12, 0 :: v_dual_mov_b32 v14, v9
	v_mov_b32_e32 v15, v8
	ds_load_b64 v[12:13], v12 offset:16
	s_wait_dscnt 0x0
	v_pk_mul_f32 v[14:15], v[14:15], v[12:13] op_sel:[0,1]
	s_delay_alu instid0(VALU_DEP_1) | instskip(SKIP_1) | instid1(VALU_DEP_2)
	v_pk_fma_f32 v[20:21], v[8:9], v[12:13], v[14:15] op_sel_hi:[1,0,1]
	v_pk_fma_f32 v[8:9], v[8:9], v[12:13], v[14:15] neg_lo:[0,0,1] neg_hi:[0,0,1]
	v_mov_b32_e32 v9, v21
	ds_store_b64 v16, v[8:9] offset:16
.LBB67_17:
	s_or_b32 exec_lo, exec_lo, s0
	ds_load_b64 v[8:9], v16 offset:8
	v_cmp_lt_u32_e64 s0, 1, v17
	s_wait_dscnt 0x0
	ds_store_b64 v10, v[8:9]
	s_wait_dscnt 0x0
	s_barrier_signal -1
	s_barrier_wait -1
	s_and_saveexec_b32 s4, s0
	s_cbranch_execz .LBB67_25
; %bb.18:
	s_and_not1_b32 vcc_lo, exec_lo, s5
	s_cbranch_vccnz .LBB67_20
; %bb.19:
	ds_load_b64 v[8:9], v11
	ds_load_b64 v[12:13], v10
	s_wait_dscnt 0x0
	v_pk_mul_f32 v[14:15], v[12:13], v[8:9] op_sel:[1,1] op_sel_hi:[0,1]
	s_delay_alu instid0(VALU_DEP_1) | instskip(SKIP_1) | instid1(VALU_DEP_2)
	v_pk_fma_f32 v[20:21], v[12:13], v[8:9], v[14:15] op_sel_hi:[1,0,1]
	v_pk_fma_f32 v[8:9], v[12:13], v[8:9], v[14:15] neg_lo:[0,0,1] neg_hi:[0,0,1]
	v_mov_b32_e32 v9, v21
	s_cbranch_execz .LBB67_21
	s_branch .LBB67_22
.LBB67_20:
                                        ; implicit-def: $vgpr8_vgpr9
.LBB67_21:
	ds_load_b64 v[8:9], v10
.LBB67_22:
	s_and_saveexec_b32 s6, s1
	s_cbranch_execz .LBB67_24
; %bb.23:
	v_mov_b32_e32 v14, 0
	ds_load_b64 v[12:13], v16 offset:16
	ds_load_b64 v[14:15], v14 offset:48
	s_wait_dscnt 0x0
	v_pk_mul_f32 v[20:21], v[14:15], v[12:13] op_sel:[1,1] op_sel_hi:[0,1]
	s_delay_alu instid0(VALU_DEP_1) | instskip(SKIP_1) | instid1(VALU_DEP_2)
	v_pk_fma_f32 v[22:23], v[14:15], v[12:13], v[20:21] op_sel_hi:[1,0,1]
	v_pk_fma_f32 v[12:13], v[14:15], v[12:13], v[20:21] neg_lo:[0,0,1] neg_hi:[0,0,1]
	v_mov_b32_e32 v13, v23
	s_delay_alu instid0(VALU_DEP_1)
	v_pk_add_f32 v[8:9], v[8:9], v[12:13]
.LBB67_24:
	s_or_b32 exec_lo, exec_lo, s6
	v_mov_b32_e32 v12, 0
	ds_load_b64 v[12:13], v12 offset:8
	s_wait_dscnt 0x0
	v_pk_mul_f32 v[14:15], v[8:9], v[12:13] op_sel:[1,1] op_sel_hi:[0,1]
	s_delay_alu instid0(VALU_DEP_1) | instskip(SKIP_1) | instid1(VALU_DEP_2)
	v_pk_fma_f32 v[20:21], v[8:9], v[12:13], v[14:15] op_sel_hi:[1,0,1]
	v_pk_fma_f32 v[8:9], v[8:9], v[12:13], v[14:15] neg_lo:[0,0,1] neg_hi:[0,0,1]
	v_mov_b32_e32 v9, v21
	ds_store_b64 v16, v[8:9] offset:8
.LBB67_25:
	s_or_b32 exec_lo, exec_lo, s4
	ds_load_b64 v[8:9], v16
	s_mov_b32 s1, 0
	s_mov_b32 s4, 0
	s_mov_b32 s6, exec_lo
                                        ; implicit-def: $vgpr13
                                        ; implicit-def: $vgpr14
	s_wait_dscnt 0x0
	ds_store_b64 v10, v[8:9]
	s_wait_dscnt 0x0
	s_barrier_signal -1
	s_barrier_wait -1
	v_cmpx_ne_u32_e32 0, v17
	s_cbranch_execz .LBB67_35
; %bb.26:
	s_and_not1_b32 vcc_lo, exec_lo, s5
	s_cbranch_vccnz .LBB67_28
; %bb.27:
	ds_load_b64 v[12:13], v11
	ds_load_b64 v[14:15], v10
	s_wait_dscnt 0x0
	v_dual_mul_f32 v8, v15, v13 :: v_dual_mul_f32 v9, v14, v13
	s_delay_alu instid0(VALU_DEP_1)
	v_dual_fma_f32 v8, v14, v12, -v8 :: v_dual_fmac_f32 v9, v15, v12
	s_and_not1_b32 vcc_lo, exec_lo, s4
	s_cbranch_vccz .LBB67_29
	s_branch .LBB67_30
.LBB67_28:
                                        ; implicit-def: $vgpr8
.LBB67_29:
	ds_load_b64 v[8:9], v10
.LBB67_30:
	s_and_saveexec_b32 s4, s0
	s_cbranch_execz .LBB67_34
; %bb.31:
	v_add_nc_u32_e32 v12, -1, v17
	v_lshl_add_u32 v13, v18, 5, 0x48
	s_mov_b32 s7, 40
	s_mov_b32 s0, 0
.LBB67_32:                              ; =>This Inner Loop Header: Depth=1
	v_mov_b32_e32 v18, s7
	s_add_co_i32 s7, s7, 8
	ds_load_b64 v[14:15], v13
	ds_load_b64 v[18:19], v18
	v_add_nc_u32_e32 v12, -1, v12
	s_delay_alu instid0(VALU_DEP_1) | instskip(SKIP_3) | instid1(VALU_DEP_1)
	v_cmp_eq_u32_e32 vcc_lo, 0, v12
	s_or_b32 s0, vcc_lo, s0
	s_wait_dscnt 0x0
	v_dual_mul_f32 v20, v19, v15 :: v_dual_mul_f32 v15, v18, v15
	v_dual_fma_f32 v18, v18, v14, -v20 :: v_dual_fmac_f32 v15, v19, v14
	s_delay_alu instid0(VALU_DEP_1) | instskip(NEXT) | instid1(VALU_DEP_2)
	v_dual_add_f32 v8, v8, v18 :: v_dual_add_nc_u32 v13, 8, v13
	v_add_f32_e32 v9, v9, v15
	s_and_not1_b32 exec_lo, exec_lo, s0
	s_cbranch_execnz .LBB67_32
; %bb.33:
	s_or_b32 exec_lo, exec_lo, s0
.LBB67_34:
	s_delay_alu instid0(SALU_CYCLE_1)
	s_or_b32 exec_lo, exec_lo, s4
	v_mov_b32_e32 v12, 0
	s_mov_b32 s4, exec_lo
	v_add_nc_u32_e32 v14, 4, v16
	ds_load_b64 v[12:13], v12
	s_wait_dscnt 0x0
	v_dual_mul_f32 v15, v9, v13 :: v_dual_mul_f32 v13, v8, v13
	s_delay_alu instid0(VALU_DEP_1)
	v_dual_fma_f32 v8, v8, v12, -v15 :: v_dual_fmac_f32 v13, v9, v12
	ds_store_b32 v16, v8
.LBB67_35:
	s_or_b32 exec_lo, exec_lo, s6
	s_delay_alu instid0(SALU_CYCLE_1)
	s_and_b32 vcc_lo, exec_lo, s1
	s_cbranch_vccz .LBB67_61
.LBB67_36:
	ds_load_b64 v[8:9], v16 offset:8
	v_cmp_eq_u32_e64 s0, 0, v17
	s_wait_dscnt 0x0
	ds_store_b64 v10, v[8:9]
	s_wait_dscnt 0x0
	s_barrier_signal -1
	s_barrier_wait -1
	s_and_saveexec_b32 s1, s0
	s_cbranch_execz .LBB67_42
; %bb.37:
	s_and_b32 vcc_lo, exec_lo, s5
	s_cbranch_vccz .LBB67_39
; %bb.38:
	ds_load_b64 v[8:9], v11
	ds_load_b64 v[12:13], v10
	s_wait_dscnt 0x0
	v_pk_mul_f32 v[14:15], v[12:13], v[8:9] op_sel:[1,1] op_sel_hi:[0,1]
	v_pk_mul_f32 v[18:19], v[12:13], v[8:9] op_sel_hi:[1,0]
	s_delay_alu instid0(VALU_DEP_2) | instskip(NEXT) | instid1(VALU_DEP_2)
	v_pk_fma_f32 v[8:9], v[12:13], v[8:9], v[14:15] op_sel_hi:[1,0,1]
	v_sub_f32_e32 v8, v18, v14
	s_cbranch_execz .LBB67_40
	s_branch .LBB67_41
.LBB67_39:
                                        ; implicit-def: $vgpr9
.LBB67_40:
	ds_load_b64 v[8:9], v10
.LBB67_41:
	s_wait_dscnt 0x0
	v_dual_mov_b32 v12, 0 :: v_dual_mov_b32 v14, v9
	v_mov_b32_e32 v15, v8
	ds_load_b64 v[12:13], v12 offset:8
	s_wait_dscnt 0x0
	v_pk_mul_f32 v[14:15], v[14:15], v[12:13] op_sel:[0,1]
	s_delay_alu instid0(VALU_DEP_1) | instskip(SKIP_1) | instid1(VALU_DEP_2)
	v_pk_fma_f32 v[18:19], v[8:9], v[12:13], v[14:15] op_sel_hi:[1,0,1]
	v_pk_fma_f32 v[8:9], v[8:9], v[12:13], v[14:15] neg_lo:[0,0,1] neg_hi:[0,0,1]
	v_mov_b32_e32 v9, v19
	ds_store_b64 v16, v[8:9] offset:8
.LBB67_42:
	s_or_b32 exec_lo, exec_lo, s1
	ds_load_b64 v[8:9], v16 offset:16
	v_cmp_gt_u32_e64 s1, 2, v17
	v_cndmask_b32_e64 v12, 0, 1, s5
	s_wait_dscnt 0x0
	ds_store_b64 v10, v[8:9]
	s_wait_dscnt 0x0
	s_barrier_signal -1
	s_barrier_wait -1
	s_and_saveexec_b32 s6, s1
	s_cbranch_execz .LBB67_50
; %bb.43:
	s_and_not1_b32 vcc_lo, exec_lo, s5
	s_cbranch_vccnz .LBB67_45
; %bb.44:
	ds_load_b64 v[8:9], v11
	ds_load_b64 v[14:15], v10
	s_wait_dscnt 0x0
	v_pk_mul_f32 v[18:19], v[14:15], v[8:9] op_sel:[1,1] op_sel_hi:[0,1]
	s_delay_alu instid0(VALU_DEP_1) | instskip(SKIP_1) | instid1(VALU_DEP_2)
	v_pk_fma_f32 v[20:21], v[14:15], v[8:9], v[18:19] op_sel_hi:[1,0,1]
	v_pk_fma_f32 v[8:9], v[14:15], v[8:9], v[18:19] neg_lo:[0,0,1] neg_hi:[0,0,1]
	v_mov_b32_e32 v9, v21
	s_cbranch_execz .LBB67_46
	s_branch .LBB67_47
.LBB67_45:
                                        ; implicit-def: $vgpr8_vgpr9
.LBB67_46:
	ds_load_b64 v[8:9], v10
.LBB67_47:
	s_and_saveexec_b32 s5, s0
	s_cbranch_execz .LBB67_49
; %bb.48:
	v_mov_b32_e32 v13, 0
	ds_load_b64 v[14:15], v16 offset:8
	ds_load_b64 v[18:19], v13 offset:40
	s_wait_dscnt 0x0
	v_pk_mul_f32 v[20:21], v[18:19], v[14:15] op_sel:[1,1] op_sel_hi:[0,1]
	s_delay_alu instid0(VALU_DEP_1) | instskip(SKIP_1) | instid1(VALU_DEP_2)
	v_pk_fma_f32 v[22:23], v[18:19], v[14:15], v[20:21] op_sel_hi:[1,0,1]
	v_pk_fma_f32 v[14:15], v[18:19], v[14:15], v[20:21] neg_lo:[0,0,1] neg_hi:[0,0,1]
	v_mov_b32_e32 v15, v23
	s_delay_alu instid0(VALU_DEP_1)
	v_pk_add_f32 v[8:9], v[8:9], v[14:15]
.LBB67_49:
	s_or_b32 exec_lo, exec_lo, s5
	v_mov_b32_e32 v13, 0
	ds_load_b64 v[14:15], v13 offset:16
	s_wait_dscnt 0x0
	v_pk_mul_f32 v[18:19], v[8:9], v[14:15] op_sel:[1,1] op_sel_hi:[0,1]
	s_delay_alu instid0(VALU_DEP_1) | instskip(SKIP_1) | instid1(VALU_DEP_2)
	v_pk_fma_f32 v[20:21], v[8:9], v[14:15], v[18:19] op_sel_hi:[1,0,1]
	v_pk_fma_f32 v[8:9], v[8:9], v[14:15], v[18:19] neg_lo:[0,0,1] neg_hi:[0,0,1]
	v_mov_b32_e32 v9, v21
	ds_store_b64 v16, v[8:9] offset:16
.LBB67_50:
	s_or_b32 exec_lo, exec_lo, s6
	ds_load_b64 v[8:9], v16 offset:24
	s_mov_b32 s5, exec_lo
                                        ; implicit-def: $vgpr13
                                        ; implicit-def: $vgpr14
	s_wait_dscnt 0x0
	ds_store_b64 v10, v[8:9]
	s_wait_dscnt 0x0
	s_barrier_signal -1
	s_barrier_wait -1
	v_cmpx_ne_u32_e32 3, v17
	s_cbranch_execz .LBB67_60
; %bb.51:
	v_cmp_ne_u32_e32 vcc_lo, 1, v12
	s_cbranch_vccnz .LBB67_53
; %bb.52:
	ds_load_b64 v[12:13], v11
	ds_load_b64 v[14:15], v10
	s_wait_dscnt 0x0
	v_dual_mul_f32 v8, v15, v13 :: v_dual_mul_f32 v9, v14, v13
	s_delay_alu instid0(VALU_DEP_1)
	v_dual_fma_f32 v8, v14, v12, -v8 :: v_dual_fmac_f32 v9, v15, v12
	s_cbranch_execz .LBB67_54
	s_branch .LBB67_55
.LBB67_53:
                                        ; implicit-def: $vgpr9
.LBB67_54:
	ds_load_b64 v[8:9], v10
.LBB67_55:
	s_and_saveexec_b32 s6, s1
	s_cbranch_execz .LBB67_59
; %bb.56:
	ds_load_b64 v[12:13], v11 offset:8
	ds_load_b64 v[10:11], v10 offset:8
	s_wait_dscnt 0x0
	v_dual_mul_f32 v14, v11, v13 :: v_dual_mul_f32 v13, v10, v13
	s_delay_alu instid0(VALU_DEP_1) | instskip(NEXT) | instid1(VALU_DEP_1)
	v_dual_fma_f32 v10, v10, v12, -v14 :: v_dual_fmac_f32 v13, v11, v12
	v_dual_add_f32 v8, v8, v10 :: v_dual_add_f32 v9, v9, v13
	s_and_saveexec_b32 s1, s0
	s_cbranch_execz .LBB67_58
; %bb.57:
	v_mov_b32_e32 v12, 0
	ds_load_b64 v[10:11], v16 offset:16
	ds_load_b64 v[12:13], v12 offset:48
	s_wait_dscnt 0x0
	v_dual_mul_f32 v14, v12, v11 :: v_dual_mul_f32 v11, v13, v11
	s_delay_alu instid0(VALU_DEP_1) | instskip(NEXT) | instid1(VALU_DEP_1)
	v_dual_fmac_f32 v14, v13, v10 :: v_dual_fma_f32 v10, v12, v10, -v11
	v_add_f32_e32 v8, v8, v10
	s_delay_alu instid0(VALU_DEP_2)
	v_add_f32_e32 v9, v9, v14
.LBB67_58:
	s_or_b32 exec_lo, exec_lo, s1
.LBB67_59:
	s_delay_alu instid0(SALU_CYCLE_1)
	s_or_b32 exec_lo, exec_lo, s6
	v_mov_b32_e32 v10, 0
	s_or_b32 s4, s4, exec_lo
	v_add_nc_u32_e32 v14, 28, v16
	ds_load_b64 v[10:11], v10 offset:24
	s_wait_dscnt 0x0
	v_dual_mul_f32 v12, v9, v11 :: v_dual_mul_f32 v13, v8, v11
	s_delay_alu instid0(VALU_DEP_1)
	v_dual_fma_f32 v8, v8, v10, -v12 :: v_dual_fmac_f32 v13, v9, v10
	ds_store_b32 v16, v8 offset:24
.LBB67_60:
	s_or_b32 exec_lo, exec_lo, s5
.LBB67_61:
	v_lshl_add_u64 v[8:9], v[4:5], 3, s[2:3]
	v_lshl_add_u64 v[4:5], v[6:7], 3, s[2:3]
	s_and_saveexec_b32 s0, s4
; %bb.62:
	ds_store_b32 v14, v13
; %bb.63:
	s_or_b32 exec_lo, exec_lo, s0
	ds_load_b64 v[6:7], v16
	s_wait_dscnt 0x0
	flat_store_b64 v[0:1], v[6:7]
	s_wait_xcnt 0x0
	ds_load_b64 v[0:1], v16 offset:8
	s_wait_dscnt 0x0
	flat_store_b64 v[2:3], v[0:1]
	s_wait_xcnt 0x0
	ds_load_b64 v[0:1], v16 offset:16
	;; [unrolled: 4-line block ×3, first 2 shown]
	s_wait_dscnt 0x0
	flat_store_b64 v[4:5], v[0:1]
.LBB67_64:
	s_endpgm
	.section	.rodata,"a",@progbits
	.p2align	6, 0x0
	.amdhsa_kernel _ZN9rocsolver6v33100L18trti2_kernel_smallILi4E19rocblas_complex_numIfEPKPS3_EEv13rocblas_fill_17rocblas_diagonal_T1_iil
		.amdhsa_group_segment_fixed_size 2112
		.amdhsa_private_segment_fixed_size 0
		.amdhsa_kernarg_size 32
		.amdhsa_user_sgpr_count 4
		.amdhsa_user_sgpr_dispatch_ptr 1
		.amdhsa_user_sgpr_queue_ptr 0
		.amdhsa_user_sgpr_kernarg_segment_ptr 1
		.amdhsa_user_sgpr_dispatch_id 0
		.amdhsa_user_sgpr_kernarg_preload_length 0
		.amdhsa_user_sgpr_kernarg_preload_offset 0
		.amdhsa_user_sgpr_private_segment_size 0
		.amdhsa_wavefront_size32 1
		.amdhsa_uses_dynamic_stack 0
		.amdhsa_enable_private_segment 0
		.amdhsa_system_sgpr_workgroup_id_x 1
		.amdhsa_system_sgpr_workgroup_id_y 0
		.amdhsa_system_sgpr_workgroup_id_z 0
		.amdhsa_system_sgpr_workgroup_info 0
		.amdhsa_system_vgpr_workitem_id 2
		.amdhsa_next_free_vgpr 24
		.amdhsa_next_free_sgpr 12
		.amdhsa_named_barrier_count 0
		.amdhsa_reserve_vcc 1
		.amdhsa_float_round_mode_32 0
		.amdhsa_float_round_mode_16_64 0
		.amdhsa_float_denorm_mode_32 3
		.amdhsa_float_denorm_mode_16_64 3
		.amdhsa_fp16_overflow 0
		.amdhsa_memory_ordered 1
		.amdhsa_forward_progress 1
		.amdhsa_inst_pref_size 21
		.amdhsa_round_robin_scheduling 0
		.amdhsa_exception_fp_ieee_invalid_op 0
		.amdhsa_exception_fp_denorm_src 0
		.amdhsa_exception_fp_ieee_div_zero 0
		.amdhsa_exception_fp_ieee_overflow 0
		.amdhsa_exception_fp_ieee_underflow 0
		.amdhsa_exception_fp_ieee_inexact 0
		.amdhsa_exception_int_div_zero 0
	.end_amdhsa_kernel
	.section	.text._ZN9rocsolver6v33100L18trti2_kernel_smallILi4E19rocblas_complex_numIfEPKPS3_EEv13rocblas_fill_17rocblas_diagonal_T1_iil,"axG",@progbits,_ZN9rocsolver6v33100L18trti2_kernel_smallILi4E19rocblas_complex_numIfEPKPS3_EEv13rocblas_fill_17rocblas_diagonal_T1_iil,comdat
.Lfunc_end67:
	.size	_ZN9rocsolver6v33100L18trti2_kernel_smallILi4E19rocblas_complex_numIfEPKPS3_EEv13rocblas_fill_17rocblas_diagonal_T1_iil, .Lfunc_end67-_ZN9rocsolver6v33100L18trti2_kernel_smallILi4E19rocblas_complex_numIfEPKPS3_EEv13rocblas_fill_17rocblas_diagonal_T1_iil
                                        ; -- End function
	.set _ZN9rocsolver6v33100L18trti2_kernel_smallILi4E19rocblas_complex_numIfEPKPS3_EEv13rocblas_fill_17rocblas_diagonal_T1_iil.num_vgpr, 24
	.set _ZN9rocsolver6v33100L18trti2_kernel_smallILi4E19rocblas_complex_numIfEPKPS3_EEv13rocblas_fill_17rocblas_diagonal_T1_iil.num_agpr, 0
	.set _ZN9rocsolver6v33100L18trti2_kernel_smallILi4E19rocblas_complex_numIfEPKPS3_EEv13rocblas_fill_17rocblas_diagonal_T1_iil.numbered_sgpr, 12
	.set _ZN9rocsolver6v33100L18trti2_kernel_smallILi4E19rocblas_complex_numIfEPKPS3_EEv13rocblas_fill_17rocblas_diagonal_T1_iil.num_named_barrier, 0
	.set _ZN9rocsolver6v33100L18trti2_kernel_smallILi4E19rocblas_complex_numIfEPKPS3_EEv13rocblas_fill_17rocblas_diagonal_T1_iil.private_seg_size, 0
	.set _ZN9rocsolver6v33100L18trti2_kernel_smallILi4E19rocblas_complex_numIfEPKPS3_EEv13rocblas_fill_17rocblas_diagonal_T1_iil.uses_vcc, 1
	.set _ZN9rocsolver6v33100L18trti2_kernel_smallILi4E19rocblas_complex_numIfEPKPS3_EEv13rocblas_fill_17rocblas_diagonal_T1_iil.uses_flat_scratch, 0
	.set _ZN9rocsolver6v33100L18trti2_kernel_smallILi4E19rocblas_complex_numIfEPKPS3_EEv13rocblas_fill_17rocblas_diagonal_T1_iil.has_dyn_sized_stack, 0
	.set _ZN9rocsolver6v33100L18trti2_kernel_smallILi4E19rocblas_complex_numIfEPKPS3_EEv13rocblas_fill_17rocblas_diagonal_T1_iil.has_recursion, 0
	.set _ZN9rocsolver6v33100L18trti2_kernel_smallILi4E19rocblas_complex_numIfEPKPS3_EEv13rocblas_fill_17rocblas_diagonal_T1_iil.has_indirect_call, 0
	.section	.AMDGPU.csdata,"",@progbits
; Kernel info:
; codeLenInByte = 2676
; TotalNumSgprs: 14
; NumVgprs: 24
; ScratchSize: 0
; MemoryBound: 0
; FloatMode: 240
; IeeeMode: 1
; LDSByteSize: 2112 bytes/workgroup (compile time only)
; SGPRBlocks: 0
; VGPRBlocks: 1
; NumSGPRsForWavesPerEU: 14
; NumVGPRsForWavesPerEU: 24
; NamedBarCnt: 0
; Occupancy: 16
; WaveLimiterHint : 1
; COMPUTE_PGM_RSRC2:SCRATCH_EN: 0
; COMPUTE_PGM_RSRC2:USER_SGPR: 4
; COMPUTE_PGM_RSRC2:TRAP_HANDLER: 0
; COMPUTE_PGM_RSRC2:TGID_X_EN: 1
; COMPUTE_PGM_RSRC2:TGID_Y_EN: 0
; COMPUTE_PGM_RSRC2:TGID_Z_EN: 0
; COMPUTE_PGM_RSRC2:TIDIG_COMP_CNT: 2
	.section	.text._ZN9rocsolver6v33100L18trti2_kernel_smallILi5E19rocblas_complex_numIfEPKPS3_EEv13rocblas_fill_17rocblas_diagonal_T1_iil,"axG",@progbits,_ZN9rocsolver6v33100L18trti2_kernel_smallILi5E19rocblas_complex_numIfEPKPS3_EEv13rocblas_fill_17rocblas_diagonal_T1_iil,comdat
	.globl	_ZN9rocsolver6v33100L18trti2_kernel_smallILi5E19rocblas_complex_numIfEPKPS3_EEv13rocblas_fill_17rocblas_diagonal_T1_iil ; -- Begin function _ZN9rocsolver6v33100L18trti2_kernel_smallILi5E19rocblas_complex_numIfEPKPS3_EEv13rocblas_fill_17rocblas_diagonal_T1_iil
	.p2align	8
	.type	_ZN9rocsolver6v33100L18trti2_kernel_smallILi5E19rocblas_complex_numIfEPKPS3_EEv13rocblas_fill_17rocblas_diagonal_T1_iil,@function
_ZN9rocsolver6v33100L18trti2_kernel_smallILi5E19rocblas_complex_numIfEPKPS3_EEv13rocblas_fill_17rocblas_diagonal_T1_iil: ; @_ZN9rocsolver6v33100L18trti2_kernel_smallILi5E19rocblas_complex_numIfEPKPS3_EEv13rocblas_fill_17rocblas_diagonal_T1_iil
; %bb.0:
	v_and_b32_e32 v18, 0x3ff, v0
	s_mov_b32 s4, exec_lo
	s_delay_alu instid0(VALU_DEP_1)
	v_cmpx_gt_u32_e32 5, v18
	s_cbranch_execz .LBB68_84
; %bb.1:
	s_load_b64 s[8:9], s[0:1], 0x4
	s_clause 0x1
	s_load_b64 s[10:11], s[2:3], 0x10
	s_load_b128 s[4:7], s[2:3], 0x0
	s_wait_xcnt 0x0
	s_bfe_u32 s0, ttmp6, 0x4000c
	s_and_b32 s1, ttmp6, 15
	s_add_co_i32 s0, s0, 1
	s_getreg_b32 s2, hwreg(HW_REG_IB_STS2, 6, 4)
	s_mul_i32 s0, ttmp9, s0
	v_bfe_u32 v1, v0, 10, 10
	s_add_co_i32 s0, s1, s0
	v_bfe_u32 v0, v0, 20, 10
	v_dual_mov_b32 v11, 0 :: v_dual_lshlrev_b32 v10, 3, v18
	s_wait_kmcnt 0x0
	s_lshr_b32 s8, s8, 16
	s_ashr_i32 s1, s10, 31
	s_cmp_eq_u32 s2, 0
	s_mul_i32 s8, s8, s9
	s_cselect_b32 s2, ttmp9, s0
	s_mov_b32 s0, s10
	s_ashr_i32 s3, s2, 31
	s_lshl_b64 s[0:1], s[0:1], 3
	s_lshl_b64 s[2:3], s[2:3], 3
	v_mul_u32_u24_e32 v1, s9, v1
	s_add_nc_u64 s[2:3], s[6:7], s[2:3]
	v_mul_u32_u24_e32 v2, s8, v18
	s_load_b64 s[2:3], s[2:3], 0x0
	s_delay_alu instid0(VALU_DEP_1) | instskip(NEXT) | instid1(VALU_DEP_1)
	v_add3_u32 v21, v2, v1, v0
	v_mul_lo_u32 v20, v21, 40
	s_delay_alu instid0(VALU_DEP_1)
	v_add_nc_u32_e32 v19, 0x60, v20
	s_wait_kmcnt 0x0
	s_add_nc_u64 s[2:3], s[2:3], s[0:1]
	s_mov_b32 s0, s11
	flat_load_b64 v[4:5], v18, s[2:3] scale_offset
	v_add_nc_u64_e32 v[0:1], s[2:3], v[10:11]
	s_ashr_i32 s1, s11, 31
	s_cmp_lg_u32 s5, 0x84
	s_cselect_b32 s5, -1, 0
	s_delay_alu instid0(SALU_CYCLE_1) | instskip(NEXT) | instid1(VALU_DEP_1)
	s_and_b32 vcc_lo, exec_lo, s5
	v_lshl_add_u64 v[2:3], s[0:1], 3, v[0:1]
	s_mov_b32 s0, -1
	s_wait_loadcnt_dscnt 0x0
	ds_store_b64 v20, v[4:5] offset:96
	flat_load_b64 v[6:7], v[2:3]
	v_add3_u32 v4, s11, s11, v18
	s_wait_loadcnt_dscnt 0x0
	ds_store_b64 v20, v[6:7] offset:104
	flat_load_b64 v[8:9], v4, s[2:3] scale_offset
	v_add_nc_u32_e32 v6, s11, v4
	s_wait_loadcnt_dscnt 0x0
	ds_store_b64 v20, v[8:9] offset:112
	flat_load_b64 v[12:13], v6, s[2:3] scale_offset
	v_add_nc_u32_e32 v8, s11, v6
	s_wait_loadcnt_dscnt 0x0
	ds_store_b64 v20, v[12:13] offset:120
	flat_load_b64 v[12:13], v8, s[2:3] scale_offset
	s_wait_loadcnt_dscnt 0x0
	ds_store_b64 v20, v[12:13] offset:128
	s_cbranch_vccz .LBB68_7
; %bb.2:
	v_lshl_add_u32 v5, v18, 3, v19
                                        ; implicit-def: $vgpr17
                                        ; implicit-def: $vgpr14
	ds_load_b64 v[12:13], v5
	s_wait_dscnt 0x0
	v_cmp_ngt_f32_e64 s0, |v12|, |v13|
	s_and_saveexec_b32 s1, s0
	s_delay_alu instid0(SALU_CYCLE_1)
	s_xor_b32 s0, exec_lo, s1
	s_cbranch_execz .LBB68_4
; %bb.3:
	v_div_scale_f32 v7, null, v13, v13, v12
	v_div_scale_f32 v14, vcc_lo, v12, v13, v12
	s_delay_alu instid0(VALU_DEP_2) | instskip(SKIP_1) | instid1(TRANS32_DEP_1)
	v_rcp_f32_e32 v9, v7
	v_nop
	v_fma_f32 v11, -v7, v9, 1.0
	s_delay_alu instid0(VALU_DEP_1) | instskip(NEXT) | instid1(VALU_DEP_1)
	v_fmac_f32_e32 v9, v11, v9
	v_mul_f32_e32 v11, v14, v9
	s_delay_alu instid0(VALU_DEP_1) | instskip(NEXT) | instid1(VALU_DEP_1)
	v_fma_f32 v15, -v7, v11, v14
	v_fmac_f32_e32 v11, v15, v9
	s_delay_alu instid0(VALU_DEP_1) | instskip(NEXT) | instid1(VALU_DEP_1)
	v_fma_f32 v7, -v7, v11, v14
	v_div_fmas_f32 v7, v7, v9, v11
	s_delay_alu instid0(VALU_DEP_1) | instskip(NEXT) | instid1(VALU_DEP_1)
	v_div_fixup_f32 v7, v7, v13, v12
	v_fmac_f32_e32 v13, v12, v7
	s_delay_alu instid0(VALU_DEP_1) | instskip(NEXT) | instid1(VALU_DEP_1)
	v_div_scale_f32 v9, null, v13, v13, -1.0
	v_rcp_f32_e32 v11, v9
	v_nop
	s_delay_alu instid0(TRANS32_DEP_1) | instskip(NEXT) | instid1(VALU_DEP_1)
	v_fma_f32 v12, -v9, v11, 1.0
	v_fmac_f32_e32 v11, v12, v11
	v_div_scale_f32 v12, vcc_lo, -1.0, v13, -1.0
	s_delay_alu instid0(VALU_DEP_1) | instskip(NEXT) | instid1(VALU_DEP_1)
	v_mul_f32_e32 v14, v12, v11
	v_fma_f32 v15, -v9, v14, v12
	s_delay_alu instid0(VALU_DEP_1) | instskip(NEXT) | instid1(VALU_DEP_1)
	v_fmac_f32_e32 v14, v15, v11
	v_fma_f32 v9, -v9, v14, v12
	s_delay_alu instid0(VALU_DEP_1) | instskip(NEXT) | instid1(VALU_DEP_1)
	v_div_fmas_f32 v9, v9, v11, v14
	v_div_fixup_f32 v17, v9, v13, -1.0
                                        ; implicit-def: $vgpr12_vgpr13
	s_delay_alu instid0(VALU_DEP_1) | instskip(NEXT) | instid1(VALU_DEP_1)
	v_mul_f32_e32 v14, v7, v17
	v_xor_b32_e32 v16, 0x80000000, v14
.LBB68_4:
	s_and_not1_saveexec_b32 s0, s0
	s_cbranch_execz .LBB68_6
; %bb.5:
	v_div_scale_f32 v7, null, v12, v12, v13
	v_div_scale_f32 v14, vcc_lo, v13, v12, v13
	s_delay_alu instid0(VALU_DEP_2) | instskip(SKIP_1) | instid1(TRANS32_DEP_1)
	v_rcp_f32_e32 v9, v7
	v_nop
	v_fma_f32 v11, -v7, v9, 1.0
	s_delay_alu instid0(VALU_DEP_1) | instskip(NEXT) | instid1(VALU_DEP_1)
	v_fmac_f32_e32 v9, v11, v9
	v_mul_f32_e32 v11, v14, v9
	s_delay_alu instid0(VALU_DEP_1) | instskip(NEXT) | instid1(VALU_DEP_1)
	v_fma_f32 v15, -v7, v11, v14
	v_fmac_f32_e32 v11, v15, v9
	s_delay_alu instid0(VALU_DEP_1) | instskip(NEXT) | instid1(VALU_DEP_1)
	v_fma_f32 v7, -v7, v11, v14
	v_div_fmas_f32 v7, v7, v9, v11
	s_delay_alu instid0(VALU_DEP_1) | instskip(NEXT) | instid1(VALU_DEP_1)
	v_div_fixup_f32 v7, v7, v12, v13
	v_fmac_f32_e32 v12, v13, v7
	s_delay_alu instid0(VALU_DEP_1) | instskip(SKIP_1) | instid1(VALU_DEP_2)
	v_div_scale_f32 v9, null, v12, v12, 1.0
	v_div_scale_f32 v14, vcc_lo, 1.0, v12, 1.0
	v_rcp_f32_e32 v11, v9
	v_nop
	s_delay_alu instid0(TRANS32_DEP_1) | instskip(NEXT) | instid1(VALU_DEP_1)
	v_fma_f32 v13, -v9, v11, 1.0
	v_fmac_f32_e32 v11, v13, v11
	s_delay_alu instid0(VALU_DEP_1) | instskip(NEXT) | instid1(VALU_DEP_1)
	v_mul_f32_e32 v13, v14, v11
	v_fma_f32 v15, -v9, v13, v14
	s_delay_alu instid0(VALU_DEP_1) | instskip(NEXT) | instid1(VALU_DEP_1)
	v_fmac_f32_e32 v13, v15, v11
	v_fma_f32 v9, -v9, v13, v14
	s_delay_alu instid0(VALU_DEP_1) | instskip(NEXT) | instid1(VALU_DEP_1)
	v_div_fmas_f32 v9, v9, v11, v13
	v_div_fixup_f32 v16, v9, v12, 1.0
	s_delay_alu instid0(VALU_DEP_1)
	v_xor_b32_e32 v14, 0x80000000, v16
	v_mul_f32_e64 v17, v7, -v16
.LBB68_6:
	s_or_b32 exec_lo, exec_lo, s0
	s_delay_alu instid0(VALU_DEP_1)
	v_xor_b32_e32 v15, 0x80000000, v17
	s_mov_b32 s0, 0
	ds_store_b64 v5, v[16:17]
	ds_store_b64 v10, v[14:15]
.LBB68_7:
	s_and_b32 vcc_lo, exec_lo, s0
	s_cbranch_vccz .LBB68_9
; %bb.8:
	s_mov_b64 s[0:1], 0xbf800000
	s_delay_alu instid0(SALU_CYCLE_1)
	v_mov_b64_e32 v[12:13], s[0:1]
	ds_store_b64 v10, v[12:13]
.LBB68_9:
	v_dual_ashrrev_i32 v5, 31, v4 :: v_dual_ashrrev_i32 v7, 31, v6
	v_dual_ashrrev_i32 v9, 31, v8 :: v_dual_add_nc_u32 v11, 48, v10
	v_add_nc_u32_e32 v14, v19, v10
	s_cmp_eq_u32 s4, 0x79
	s_cbranch_scc1 .LBB68_13
; %bb.10:
	ds_load_b64 v[12:13], v19 offset:24
	v_cmp_eq_u32_e64 s0, 4, v18
	s_wait_dscnt 0x0
	ds_store_b64 v11, v[12:13]
	s_wait_dscnt 0x0
	s_barrier_signal -1
	s_barrier_wait -1
	s_and_saveexec_b32 s1, s0
	s_cbranch_execz .LBB68_17
; %bb.11:
	s_and_b32 vcc_lo, exec_lo, s5
	s_cbranch_vccz .LBB68_14
; %bb.12:
	ds_load_b64 v[12:13], v14
	ds_load_b64 v[16:17], v11
	s_wait_dscnt 0x0
	v_pk_mul_f32 v[22:23], v[16:17], v[12:13] op_sel:[1,1] op_sel_hi:[0,1]
	v_pk_mul_f32 v[24:25], v[16:17], v[12:13] op_sel_hi:[1,0]
	s_delay_alu instid0(VALU_DEP_2) | instskip(NEXT) | instid1(VALU_DEP_2)
	v_pk_fma_f32 v[12:13], v[16:17], v[12:13], v[22:23] op_sel_hi:[1,0,1]
	v_sub_f32_e32 v12, v24, v22
	s_cbranch_execz .LBB68_15
	s_branch .LBB68_16
.LBB68_13:
	s_mov_b32 s4, 0
                                        ; implicit-def: $vgpr16
                                        ; implicit-def: $vgpr17
	s_cbranch_execnz .LBB68_46
	s_branch .LBB68_81
.LBB68_14:
                                        ; implicit-def: $vgpr13
.LBB68_15:
	ds_load_b64 v[12:13], v11
.LBB68_16:
	s_wait_dscnt 0x0
	v_dual_mov_b32 v15, 0 :: v_dual_mov_b32 v22, v13
	v_mov_b32_e32 v23, v12
	ds_load_b64 v[16:17], v15 offset:24
	s_wait_dscnt 0x0
	v_pk_mul_f32 v[22:23], v[22:23], v[16:17] op_sel:[0,1]
	s_delay_alu instid0(VALU_DEP_1) | instskip(SKIP_1) | instid1(VALU_DEP_2)
	v_pk_fma_f32 v[24:25], v[12:13], v[16:17], v[22:23] op_sel_hi:[1,0,1]
	v_pk_fma_f32 v[12:13], v[12:13], v[16:17], v[22:23] neg_lo:[0,0,1] neg_hi:[0,0,1]
	v_mov_b32_e32 v13, v25
	ds_store_b64 v19, v[12:13] offset:24
.LBB68_17:
	s_or_b32 exec_lo, exec_lo, s1
	ds_load_b64 v[12:13], v19 offset:16
	v_cmp_lt_u32_e64 s1, 2, v18
	s_wait_dscnt 0x0
	ds_store_b64 v11, v[12:13]
	s_wait_dscnt 0x0
	s_barrier_signal -1
	s_barrier_wait -1
	s_and_saveexec_b32 s4, s1
	s_cbranch_execz .LBB68_25
; %bb.18:
	s_and_not1_b32 vcc_lo, exec_lo, s5
	s_cbranch_vccnz .LBB68_20
; %bb.19:
	ds_load_b64 v[12:13], v14
	ds_load_b64 v[16:17], v11
	s_wait_dscnt 0x0
	v_pk_mul_f32 v[22:23], v[16:17], v[12:13] op_sel:[1,1] op_sel_hi:[0,1]
	s_delay_alu instid0(VALU_DEP_1) | instskip(SKIP_1) | instid1(VALU_DEP_2)
	v_pk_fma_f32 v[24:25], v[16:17], v[12:13], v[22:23] op_sel_hi:[1,0,1]
	v_pk_fma_f32 v[12:13], v[16:17], v[12:13], v[22:23] neg_lo:[0,0,1] neg_hi:[0,0,1]
	v_mov_b32_e32 v13, v25
	s_cbranch_execz .LBB68_21
	s_branch .LBB68_22
.LBB68_20:
                                        ; implicit-def: $vgpr12_vgpr13
.LBB68_21:
	ds_load_b64 v[12:13], v11
.LBB68_22:
	s_and_saveexec_b32 s6, s0
	s_cbranch_execz .LBB68_24
; %bb.23:
	v_mov_b32_e32 v15, 0
	ds_load_b64 v[16:17], v19 offset:24
	ds_load_b64 v[22:23], v15 offset:72
	s_wait_dscnt 0x0
	v_pk_mul_f32 v[24:25], v[22:23], v[16:17] op_sel:[1,1] op_sel_hi:[0,1]
	s_delay_alu instid0(VALU_DEP_1) | instskip(SKIP_1) | instid1(VALU_DEP_2)
	v_pk_fma_f32 v[26:27], v[22:23], v[16:17], v[24:25] op_sel_hi:[1,0,1]
	v_pk_fma_f32 v[16:17], v[22:23], v[16:17], v[24:25] neg_lo:[0,0,1] neg_hi:[0,0,1]
	v_mov_b32_e32 v17, v27
	s_delay_alu instid0(VALU_DEP_1)
	v_pk_add_f32 v[12:13], v[12:13], v[16:17]
.LBB68_24:
	s_or_b32 exec_lo, exec_lo, s6
	v_mov_b32_e32 v15, 0
	ds_load_b64 v[16:17], v15 offset:16
	s_wait_dscnt 0x0
	v_pk_mul_f32 v[22:23], v[12:13], v[16:17] op_sel:[1,1] op_sel_hi:[0,1]
	s_delay_alu instid0(VALU_DEP_1) | instskip(SKIP_1) | instid1(VALU_DEP_2)
	v_pk_fma_f32 v[24:25], v[12:13], v[16:17], v[22:23] op_sel_hi:[1,0,1]
	v_pk_fma_f32 v[12:13], v[12:13], v[16:17], v[22:23] neg_lo:[0,0,1] neg_hi:[0,0,1]
	v_mov_b32_e32 v13, v25
	ds_store_b64 v19, v[12:13] offset:16
.LBB68_25:
	s_or_b32 exec_lo, exec_lo, s4
	ds_load_b64 v[12:13], v19 offset:8
	v_cmp_lt_u32_e64 s0, 1, v18
	s_wait_dscnt 0x0
	ds_store_b64 v11, v[12:13]
	s_wait_dscnt 0x0
	s_barrier_signal -1
	s_barrier_wait -1
	s_and_saveexec_b32 s4, s0
	s_cbranch_execz .LBB68_35
; %bb.26:
	s_and_not1_b32 vcc_lo, exec_lo, s5
	s_cbranch_vccnz .LBB68_28
; %bb.27:
	ds_load_b64 v[12:13], v14
	ds_load_b64 v[16:17], v11
	s_wait_dscnt 0x0
	v_pk_mul_f32 v[22:23], v[16:17], v[12:13] op_sel:[1,1] op_sel_hi:[0,1]
	s_delay_alu instid0(VALU_DEP_1) | instskip(SKIP_1) | instid1(VALU_DEP_2)
	v_pk_fma_f32 v[24:25], v[16:17], v[12:13], v[22:23] op_sel_hi:[1,0,1]
	v_pk_fma_f32 v[12:13], v[16:17], v[12:13], v[22:23] neg_lo:[0,0,1] neg_hi:[0,0,1]
	v_mov_b32_e32 v13, v25
	s_cbranch_execz .LBB68_29
	s_branch .LBB68_30
.LBB68_28:
                                        ; implicit-def: $vgpr12_vgpr13
.LBB68_29:
	ds_load_b64 v[12:13], v11
.LBB68_30:
	s_and_saveexec_b32 s6, s1
	s_cbranch_execz .LBB68_34
; %bb.31:
	v_mad_u32 v15, v21, 40, 0x70
	v_add_nc_u32_e32 v16, -2, v18
	s_mov_b32 s7, 64
	s_mov_b32 s1, 0
.LBB68_32:                              ; =>This Inner Loop Header: Depth=1
	s_delay_alu instid0(VALU_DEP_1)
	v_dual_mov_b32 v17, s7 :: v_dual_add_nc_u32 v16, -1, v16
	s_add_co_i32 s7, s7, 8
	ds_load_b64 v[22:23], v15
	ds_load_b64 v[24:25], v17
	v_add_nc_u32_e32 v15, 8, v15
	v_cmp_eq_u32_e32 vcc_lo, 0, v16
	s_or_b32 s1, vcc_lo, s1
	s_wait_dscnt 0x0
	v_pk_mul_f32 v[26:27], v[24:25], v[22:23] op_sel:[1,1] op_sel_hi:[0,1]
	s_delay_alu instid0(VALU_DEP_1) | instskip(SKIP_1) | instid1(VALU_DEP_2)
	v_pk_fma_f32 v[28:29], v[24:25], v[22:23], v[26:27] op_sel_hi:[1,0,1]
	v_pk_fma_f32 v[22:23], v[24:25], v[22:23], v[26:27] neg_lo:[0,0,1] neg_hi:[0,0,1]
	v_mov_b32_e32 v23, v29
	s_delay_alu instid0(VALU_DEP_1)
	v_pk_add_f32 v[12:13], v[12:13], v[22:23]
	s_and_not1_b32 exec_lo, exec_lo, s1
	s_cbranch_execnz .LBB68_32
; %bb.33:
	s_or_b32 exec_lo, exec_lo, s1
.LBB68_34:
	s_delay_alu instid0(SALU_CYCLE_1) | instskip(SKIP_4) | instid1(VALU_DEP_1)
	s_or_b32 exec_lo, exec_lo, s6
	v_mov_b32_e32 v15, 0
	ds_load_b64 v[16:17], v15 offset:8
	s_wait_dscnt 0x0
	v_pk_mul_f32 v[22:23], v[12:13], v[16:17] op_sel:[1,1] op_sel_hi:[0,1]
	v_pk_fma_f32 v[24:25], v[12:13], v[16:17], v[22:23] op_sel_hi:[1,0,1]
	v_pk_fma_f32 v[12:13], v[12:13], v[16:17], v[22:23] neg_lo:[0,0,1] neg_hi:[0,0,1]
	s_delay_alu instid0(VALU_DEP_2)
	v_mov_b32_e32 v13, v25
	ds_store_b64 v19, v[12:13] offset:8
.LBB68_35:
	s_or_b32 exec_lo, exec_lo, s4
	ds_load_b64 v[12:13], v19
	s_mov_b32 s1, 0
	s_mov_b32 s4, 0
	s_mov_b32 s6, exec_lo
                                        ; implicit-def: $vgpr16
                                        ; implicit-def: $vgpr17
	s_wait_dscnt 0x0
	ds_store_b64 v11, v[12:13]
	s_wait_dscnt 0x0
	s_barrier_signal -1
	s_barrier_wait -1
	v_cmpx_ne_u32_e32 0, v18
	s_cbranch_execz .LBB68_45
; %bb.36:
	s_and_not1_b32 vcc_lo, exec_lo, s5
	s_cbranch_vccnz .LBB68_38
; %bb.37:
	ds_load_b64 v[16:17], v14
	ds_load_b64 v[22:23], v11
	s_wait_dscnt 0x0
	v_dual_mul_f32 v12, v23, v17 :: v_dual_mul_f32 v13, v22, v17
	s_delay_alu instid0(VALU_DEP_1)
	v_dual_fma_f32 v12, v22, v16, -v12 :: v_dual_fmac_f32 v13, v23, v16
	s_and_not1_b32 vcc_lo, exec_lo, s4
	s_cbranch_vccz .LBB68_39
	s_branch .LBB68_40
.LBB68_38:
                                        ; implicit-def: $vgpr12
.LBB68_39:
	ds_load_b64 v[12:13], v11
.LBB68_40:
	s_and_saveexec_b32 s4, s0
	s_cbranch_execz .LBB68_44
; %bb.41:
	v_mad_u32 v15, v21, 40, 0x68
	v_add_nc_u32_e32 v16, -1, v18
	s_mov_b32 s7, 56
	s_mov_b32 s0, 0
.LBB68_42:                              ; =>This Inner Loop Header: Depth=1
	v_mov_b32_e32 v17, s7
	s_add_co_i32 s7, s7, 8
	ds_load_b64 v[22:23], v15
	ds_load_b64 v[24:25], v17
	v_dual_add_nc_u32 v16, -1, v16 :: v_dual_add_nc_u32 v15, 8, v15
	s_delay_alu instid0(VALU_DEP_1) | instskip(SKIP_3) | instid1(VALU_DEP_1)
	v_cmp_eq_u32_e32 vcc_lo, 0, v16
	s_or_b32 s0, vcc_lo, s0
	s_wait_dscnt 0x0
	v_dual_mul_f32 v17, v25, v23 :: v_dual_mul_f32 v21, v24, v23
	v_fma_f32 v17, v24, v22, -v17
	s_delay_alu instid0(VALU_DEP_1) | instskip(NEXT) | instid1(VALU_DEP_1)
	v_dual_fmac_f32 v21, v25, v22 :: v_dual_add_f32 v12, v12, v17
	v_add_f32_e32 v13, v13, v21
	s_and_not1_b32 exec_lo, exec_lo, s0
	s_cbranch_execnz .LBB68_42
; %bb.43:
	s_or_b32 exec_lo, exec_lo, s0
.LBB68_44:
	s_delay_alu instid0(SALU_CYCLE_1)
	s_or_b32 exec_lo, exec_lo, s4
	v_mov_b32_e32 v15, 0
	s_mov_b32 s4, exec_lo
	ds_load_b64 v[22:23], v15
	s_wait_dscnt 0x0
	v_dual_mul_f32 v16, v12, v23 :: v_dual_mul_f32 v15, v13, v23
	s_delay_alu instid0(VALU_DEP_1) | instskip(NEXT) | instid1(VALU_DEP_2)
	v_dual_fmac_f32 v16, v13, v22 :: v_dual_add_nc_u32 v17, 4, v19
	v_fma_f32 v12, v12, v22, -v15
	ds_store_b32 v19, v12
.LBB68_45:
	s_or_b32 exec_lo, exec_lo, s6
	s_delay_alu instid0(SALU_CYCLE_1)
	s_and_b32 vcc_lo, exec_lo, s1
	s_cbranch_vccz .LBB68_81
.LBB68_46:
	ds_load_b64 v[12:13], v19 offset:8
	v_cmp_eq_u32_e64 s0, 0, v18
	s_wait_dscnt 0x0
	ds_store_b64 v11, v[12:13]
	s_wait_dscnt 0x0
	s_barrier_signal -1
	s_barrier_wait -1
	s_and_saveexec_b32 s1, s0
	s_cbranch_execz .LBB68_52
; %bb.47:
	s_and_b32 vcc_lo, exec_lo, s5
	s_cbranch_vccz .LBB68_49
; %bb.48:
	ds_load_b64 v[12:13], v14
	ds_load_b64 v[16:17], v11
	s_wait_dscnt 0x0
	v_pk_mul_f32 v[22:23], v[16:17], v[12:13] op_sel:[1,1] op_sel_hi:[0,1]
	v_pk_mul_f32 v[24:25], v[16:17], v[12:13] op_sel_hi:[1,0]
	s_delay_alu instid0(VALU_DEP_2) | instskip(NEXT) | instid1(VALU_DEP_2)
	v_pk_fma_f32 v[12:13], v[16:17], v[12:13], v[22:23] op_sel_hi:[1,0,1]
	v_sub_f32_e32 v12, v24, v22
	s_cbranch_execz .LBB68_50
	s_branch .LBB68_51
.LBB68_49:
                                        ; implicit-def: $vgpr13
.LBB68_50:
	ds_load_b64 v[12:13], v11
.LBB68_51:
	s_wait_dscnt 0x0
	v_dual_mov_b32 v15, 0 :: v_dual_mov_b32 v22, v13
	v_mov_b32_e32 v23, v12
	ds_load_b64 v[16:17], v15 offset:8
	s_wait_dscnt 0x0
	v_pk_mul_f32 v[22:23], v[22:23], v[16:17] op_sel:[0,1]
	s_delay_alu instid0(VALU_DEP_1) | instskip(SKIP_1) | instid1(VALU_DEP_2)
	v_pk_fma_f32 v[24:25], v[12:13], v[16:17], v[22:23] op_sel_hi:[1,0,1]
	v_pk_fma_f32 v[12:13], v[12:13], v[16:17], v[22:23] neg_lo:[0,0,1] neg_hi:[0,0,1]
	v_mov_b32_e32 v13, v25
	ds_store_b64 v19, v[12:13] offset:8
.LBB68_52:
	s_or_b32 exec_lo, exec_lo, s1
	ds_load_b64 v[12:13], v19 offset:16
	v_cndmask_b32_e64 v15, 0, 1, s5
	s_mov_b32 s1, exec_lo
	s_wait_dscnt 0x0
	ds_store_b64 v11, v[12:13]
	s_wait_dscnt 0x0
	s_barrier_signal -1
	s_barrier_wait -1
	v_cmpx_gt_u32_e32 2, v18
	s_cbranch_execz .LBB68_60
; %bb.53:
	s_and_not1_b32 vcc_lo, exec_lo, s5
	s_cbranch_vccnz .LBB68_55
; %bb.54:
	ds_load_b64 v[12:13], v14
	ds_load_b64 v[16:17], v11
	s_wait_dscnt 0x0
	v_pk_mul_f32 v[22:23], v[16:17], v[12:13] op_sel:[1,1] op_sel_hi:[0,1]
	s_delay_alu instid0(VALU_DEP_1) | instskip(SKIP_1) | instid1(VALU_DEP_2)
	v_pk_fma_f32 v[24:25], v[16:17], v[12:13], v[22:23] op_sel_hi:[1,0,1]
	v_pk_fma_f32 v[12:13], v[16:17], v[12:13], v[22:23] neg_lo:[0,0,1] neg_hi:[0,0,1]
	v_mov_b32_e32 v13, v25
	s_cbranch_execz .LBB68_56
	s_branch .LBB68_57
.LBB68_55:
                                        ; implicit-def: $vgpr12_vgpr13
.LBB68_56:
	ds_load_b64 v[12:13], v11
.LBB68_57:
	s_and_saveexec_b32 s5, s0
	s_cbranch_execz .LBB68_59
; %bb.58:
	v_mov_b32_e32 v21, 0
	ds_load_b64 v[16:17], v19 offset:8
	ds_load_b64 v[22:23], v21 offset:56
	s_wait_dscnt 0x0
	v_pk_mul_f32 v[24:25], v[22:23], v[16:17] op_sel:[1,1] op_sel_hi:[0,1]
	s_delay_alu instid0(VALU_DEP_1) | instskip(SKIP_1) | instid1(VALU_DEP_2)
	v_pk_fma_f32 v[26:27], v[22:23], v[16:17], v[24:25] op_sel_hi:[1,0,1]
	v_pk_fma_f32 v[16:17], v[22:23], v[16:17], v[24:25] neg_lo:[0,0,1] neg_hi:[0,0,1]
	v_mov_b32_e32 v17, v27
	s_delay_alu instid0(VALU_DEP_1)
	v_pk_add_f32 v[12:13], v[12:13], v[16:17]
.LBB68_59:
	s_or_b32 exec_lo, exec_lo, s5
	v_mov_b32_e32 v16, 0
	ds_load_b64 v[16:17], v16 offset:16
	s_wait_dscnt 0x0
	v_pk_mul_f32 v[22:23], v[12:13], v[16:17] op_sel:[1,1] op_sel_hi:[0,1]
	s_delay_alu instid0(VALU_DEP_1) | instskip(SKIP_1) | instid1(VALU_DEP_2)
	v_pk_fma_f32 v[24:25], v[12:13], v[16:17], v[22:23] op_sel_hi:[1,0,1]
	v_pk_fma_f32 v[12:13], v[12:13], v[16:17], v[22:23] neg_lo:[0,0,1] neg_hi:[0,0,1]
	v_mov_b32_e32 v13, v25
	ds_store_b64 v19, v[12:13] offset:16
.LBB68_60:
	s_or_b32 exec_lo, exec_lo, s1
	ds_load_b64 v[12:13], v19 offset:24
	v_cmp_gt_u32_e64 s1, 3, v18
	s_wait_dscnt 0x0
	ds_store_b64 v11, v[12:13]
	s_wait_dscnt 0x0
	s_barrier_signal -1
	s_barrier_wait -1
	s_and_saveexec_b32 s5, s1
	s_cbranch_execz .LBB68_70
; %bb.61:
	v_cmp_ne_u32_e32 vcc_lo, 1, v15
	s_cbranch_vccnz .LBB68_63
; %bb.62:
	ds_load_b64 v[12:13], v14
	ds_load_b64 v[16:17], v11
	s_wait_dscnt 0x0
	v_pk_mul_f32 v[22:23], v[16:17], v[12:13] op_sel:[1,1] op_sel_hi:[0,1]
	s_delay_alu instid0(VALU_DEP_1) | instskip(SKIP_1) | instid1(VALU_DEP_2)
	v_pk_fma_f32 v[24:25], v[16:17], v[12:13], v[22:23] op_sel_hi:[1,0,1]
	v_pk_fma_f32 v[12:13], v[16:17], v[12:13], v[22:23] neg_lo:[0,0,1] neg_hi:[0,0,1]
	v_mov_b32_e32 v13, v25
	s_cbranch_execz .LBB68_64
	s_branch .LBB68_65
.LBB68_63:
                                        ; implicit-def: $vgpr12_vgpr13
.LBB68_64:
	ds_load_b64 v[12:13], v11
.LBB68_65:
	s_mov_b32 s6, exec_lo
	v_cmpx_ne_u32_e32 2, v18
	s_cbranch_execz .LBB68_69
; %bb.66:
	ds_load_b64 v[16:17], v14 offset:8
	ds_load_b64 v[22:23], v11 offset:8
	s_wait_dscnt 0x0
	v_pk_mul_f32 v[24:25], v[22:23], v[16:17] op_sel:[1,1] op_sel_hi:[0,1]
	s_delay_alu instid0(VALU_DEP_1) | instskip(SKIP_1) | instid1(VALU_DEP_2)
	v_pk_fma_f32 v[26:27], v[22:23], v[16:17], v[24:25] op_sel_hi:[1,0,1]
	v_pk_fma_f32 v[16:17], v[22:23], v[16:17], v[24:25] neg_lo:[0,0,1] neg_hi:[0,0,1]
	v_mov_b32_e32 v17, v27
	s_delay_alu instid0(VALU_DEP_1)
	v_pk_add_f32 v[12:13], v[12:13], v[16:17]
	s_and_saveexec_b32 s7, s0
	s_cbranch_execz .LBB68_68
; %bb.67:
	v_mov_b32_e32 v16, 0
	ds_load_b64 v[16:17], v16 offset:64
	ds_load_b64 v[22:23], v19 offset:16
	s_wait_dscnt 0x0
	v_pk_mul_f32 v[24:25], v[16:17], v[22:23] op_sel:[1,1] op_sel_hi:[0,1]
	s_delay_alu instid0(VALU_DEP_1) | instskip(SKIP_1) | instid1(VALU_DEP_2)
	v_pk_fma_f32 v[26:27], v[16:17], v[22:23], v[24:25] op_sel_hi:[1,0,1]
	v_pk_fma_f32 v[16:17], v[16:17], v[22:23], v[24:25] neg_lo:[0,0,1] neg_hi:[0,0,1]
	v_mov_b32_e32 v17, v27
	s_delay_alu instid0(VALU_DEP_1)
	v_pk_add_f32 v[12:13], v[12:13], v[16:17]
.LBB68_68:
	s_or_b32 exec_lo, exec_lo, s7
.LBB68_69:
	s_delay_alu instid0(SALU_CYCLE_1) | instskip(SKIP_4) | instid1(VALU_DEP_1)
	s_or_b32 exec_lo, exec_lo, s6
	v_mov_b32_e32 v16, 0
	ds_load_b64 v[16:17], v16 offset:24
	s_wait_dscnt 0x0
	v_pk_mul_f32 v[22:23], v[12:13], v[16:17] op_sel:[1,1] op_sel_hi:[0,1]
	v_pk_fma_f32 v[24:25], v[12:13], v[16:17], v[22:23] op_sel_hi:[1,0,1]
	v_pk_fma_f32 v[12:13], v[12:13], v[16:17], v[22:23] neg_lo:[0,0,1] neg_hi:[0,0,1]
	s_delay_alu instid0(VALU_DEP_2)
	v_mov_b32_e32 v13, v25
	ds_store_b64 v19, v[12:13] offset:24
.LBB68_70:
	s_or_b32 exec_lo, exec_lo, s5
	ds_load_b64 v[12:13], v19 offset:32
	s_mov_b32 s0, exec_lo
                                        ; implicit-def: $vgpr16
                                        ; implicit-def: $vgpr17
	s_wait_dscnt 0x0
	ds_store_b64 v11, v[12:13]
	s_wait_dscnt 0x0
	s_barrier_signal -1
	s_barrier_wait -1
	v_cmpx_ne_u32_e32 4, v18
	s_cbranch_execz .LBB68_80
; %bb.71:
	v_cmp_ne_u32_e32 vcc_lo, 1, v15
	s_cbranch_vccnz .LBB68_73
; %bb.72:
	ds_load_b64 v[14:15], v14
	ds_load_b64 v[16:17], v11
	s_wait_dscnt 0x0
	v_dual_mul_f32 v12, v17, v15 :: v_dual_mul_f32 v13, v16, v15
	s_delay_alu instid0(VALU_DEP_1)
	v_dual_fma_f32 v12, v16, v14, -v12 :: v_dual_fmac_f32 v13, v17, v14
	s_cbranch_execz .LBB68_74
	s_branch .LBB68_75
.LBB68_73:
                                        ; implicit-def: $vgpr13
.LBB68_74:
	ds_load_b64 v[12:13], v11
.LBB68_75:
	s_and_saveexec_b32 s5, s1
	s_cbranch_execz .LBB68_79
; %bb.76:
	v_add_nc_u32_e32 v11, 56, v10
	v_add3_u32 v10, v20, v10, 0x68
	s_mov_b32 s1, 0
.LBB68_77:                              ; =>This Inner Loop Header: Depth=1
	ds_load_b64 v[14:15], v10
	ds_load_b64 v[16:17], v11
	v_dual_add_nc_u32 v18, 1, v18 :: v_dual_add_nc_u32 v11, 8, v11
	s_delay_alu instid0(VALU_DEP_1) | instskip(SKIP_3) | instid1(VALU_DEP_1)
	v_cmp_lt_u32_e32 vcc_lo, 2, v18
	s_or_b32 s1, vcc_lo, s1
	s_wait_dscnt 0x0
	v_dual_mul_f32 v20, v17, v15 :: v_dual_mul_f32 v15, v16, v15
	v_dual_fma_f32 v16, v16, v14, -v20 :: v_dual_fmac_f32 v15, v17, v14
	s_delay_alu instid0(VALU_DEP_1) | instskip(NEXT) | instid1(VALU_DEP_2)
	v_dual_add_nc_u32 v10, 8, v10 :: v_dual_add_f32 v12, v12, v16
	v_add_f32_e32 v13, v13, v15
	s_and_not1_b32 exec_lo, exec_lo, s1
	s_cbranch_execnz .LBB68_77
; %bb.78:
	s_or_b32 exec_lo, exec_lo, s1
.LBB68_79:
	s_delay_alu instid0(SALU_CYCLE_1)
	s_or_b32 exec_lo, exec_lo, s5
	v_mov_b32_e32 v10, 0
	s_or_b32 s4, s4, exec_lo
	ds_load_b64 v[10:11], v10 offset:32
	s_wait_dscnt 0x0
	v_dual_mul_f32 v14, v13, v11 :: v_dual_mul_f32 v16, v12, v11
	s_delay_alu instid0(VALU_DEP_1) | instskip(NEXT) | instid1(VALU_DEP_2)
	v_dual_fma_f32 v11, v12, v10, -v14 :: v_dual_add_nc_u32 v17, 36, v19
	v_fmac_f32_e32 v16, v13, v10
	ds_store_b32 v19, v11 offset:32
.LBB68_80:
	s_or_b32 exec_lo, exec_lo, s0
.LBB68_81:
	v_lshl_add_u64 v[10:11], v[4:5], 3, s[2:3]
	v_lshl_add_u64 v[6:7], v[6:7], 3, s[2:3]
	;; [unrolled: 1-line block ×3, first 2 shown]
	s_and_saveexec_b32 s0, s4
; %bb.82:
	ds_store_b32 v17, v16
; %bb.83:
	s_or_b32 exec_lo, exec_lo, s0
	ds_load_b64 v[8:9], v19
	s_wait_dscnt 0x0
	flat_store_b64 v[0:1], v[8:9]
	s_wait_xcnt 0x0
	ds_load_b64 v[0:1], v19 offset:8
	s_wait_dscnt 0x0
	flat_store_b64 v[2:3], v[0:1]
	s_wait_xcnt 0x0
	ds_load_b64 v[0:1], v19 offset:16
	;; [unrolled: 4-line block ×4, first 2 shown]
	s_wait_dscnt 0x0
	flat_store_b64 v[4:5], v[0:1]
.LBB68_84:
	s_endpgm
	.section	.rodata,"a",@progbits
	.p2align	6, 0x0
	.amdhsa_kernel _ZN9rocsolver6v33100L18trti2_kernel_smallILi5E19rocblas_complex_numIfEPKPS3_EEv13rocblas_fill_17rocblas_diagonal_T1_iil
		.amdhsa_group_segment_fixed_size 2656
		.amdhsa_private_segment_fixed_size 0
		.amdhsa_kernarg_size 32
		.amdhsa_user_sgpr_count 4
		.amdhsa_user_sgpr_dispatch_ptr 1
		.amdhsa_user_sgpr_queue_ptr 0
		.amdhsa_user_sgpr_kernarg_segment_ptr 1
		.amdhsa_user_sgpr_dispatch_id 0
		.amdhsa_user_sgpr_kernarg_preload_length 0
		.amdhsa_user_sgpr_kernarg_preload_offset 0
		.amdhsa_user_sgpr_private_segment_size 0
		.amdhsa_wavefront_size32 1
		.amdhsa_uses_dynamic_stack 0
		.amdhsa_enable_private_segment 0
		.amdhsa_system_sgpr_workgroup_id_x 1
		.amdhsa_system_sgpr_workgroup_id_y 0
		.amdhsa_system_sgpr_workgroup_id_z 0
		.amdhsa_system_sgpr_workgroup_info 0
		.amdhsa_system_vgpr_workitem_id 2
		.amdhsa_next_free_vgpr 30
		.amdhsa_next_free_sgpr 12
		.amdhsa_named_barrier_count 0
		.amdhsa_reserve_vcc 1
		.amdhsa_float_round_mode_32 0
		.amdhsa_float_round_mode_16_64 0
		.amdhsa_float_denorm_mode_32 3
		.amdhsa_float_denorm_mode_16_64 3
		.amdhsa_fp16_overflow 0
		.amdhsa_memory_ordered 1
		.amdhsa_forward_progress 1
		.amdhsa_inst_pref_size 27
		.amdhsa_round_robin_scheduling 0
		.amdhsa_exception_fp_ieee_invalid_op 0
		.amdhsa_exception_fp_denorm_src 0
		.amdhsa_exception_fp_ieee_div_zero 0
		.amdhsa_exception_fp_ieee_overflow 0
		.amdhsa_exception_fp_ieee_underflow 0
		.amdhsa_exception_fp_ieee_inexact 0
		.amdhsa_exception_int_div_zero 0
	.end_amdhsa_kernel
	.section	.text._ZN9rocsolver6v33100L18trti2_kernel_smallILi5E19rocblas_complex_numIfEPKPS3_EEv13rocblas_fill_17rocblas_diagonal_T1_iil,"axG",@progbits,_ZN9rocsolver6v33100L18trti2_kernel_smallILi5E19rocblas_complex_numIfEPKPS3_EEv13rocblas_fill_17rocblas_diagonal_T1_iil,comdat
.Lfunc_end68:
	.size	_ZN9rocsolver6v33100L18trti2_kernel_smallILi5E19rocblas_complex_numIfEPKPS3_EEv13rocblas_fill_17rocblas_diagonal_T1_iil, .Lfunc_end68-_ZN9rocsolver6v33100L18trti2_kernel_smallILi5E19rocblas_complex_numIfEPKPS3_EEv13rocblas_fill_17rocblas_diagonal_T1_iil
                                        ; -- End function
	.set _ZN9rocsolver6v33100L18trti2_kernel_smallILi5E19rocblas_complex_numIfEPKPS3_EEv13rocblas_fill_17rocblas_diagonal_T1_iil.num_vgpr, 30
	.set _ZN9rocsolver6v33100L18trti2_kernel_smallILi5E19rocblas_complex_numIfEPKPS3_EEv13rocblas_fill_17rocblas_diagonal_T1_iil.num_agpr, 0
	.set _ZN9rocsolver6v33100L18trti2_kernel_smallILi5E19rocblas_complex_numIfEPKPS3_EEv13rocblas_fill_17rocblas_diagonal_T1_iil.numbered_sgpr, 12
	.set _ZN9rocsolver6v33100L18trti2_kernel_smallILi5E19rocblas_complex_numIfEPKPS3_EEv13rocblas_fill_17rocblas_diagonal_T1_iil.num_named_barrier, 0
	.set _ZN9rocsolver6v33100L18trti2_kernel_smallILi5E19rocblas_complex_numIfEPKPS3_EEv13rocblas_fill_17rocblas_diagonal_T1_iil.private_seg_size, 0
	.set _ZN9rocsolver6v33100L18trti2_kernel_smallILi5E19rocblas_complex_numIfEPKPS3_EEv13rocblas_fill_17rocblas_diagonal_T1_iil.uses_vcc, 1
	.set _ZN9rocsolver6v33100L18trti2_kernel_smallILi5E19rocblas_complex_numIfEPKPS3_EEv13rocblas_fill_17rocblas_diagonal_T1_iil.uses_flat_scratch, 0
	.set _ZN9rocsolver6v33100L18trti2_kernel_smallILi5E19rocblas_complex_numIfEPKPS3_EEv13rocblas_fill_17rocblas_diagonal_T1_iil.has_dyn_sized_stack, 0
	.set _ZN9rocsolver6v33100L18trti2_kernel_smallILi5E19rocblas_complex_numIfEPKPS3_EEv13rocblas_fill_17rocblas_diagonal_T1_iil.has_recursion, 0
	.set _ZN9rocsolver6v33100L18trti2_kernel_smallILi5E19rocblas_complex_numIfEPKPS3_EEv13rocblas_fill_17rocblas_diagonal_T1_iil.has_indirect_call, 0
	.section	.AMDGPU.csdata,"",@progbits
; Kernel info:
; codeLenInByte = 3416
; TotalNumSgprs: 14
; NumVgprs: 30
; ScratchSize: 0
; MemoryBound: 0
; FloatMode: 240
; IeeeMode: 1
; LDSByteSize: 2656 bytes/workgroup (compile time only)
; SGPRBlocks: 0
; VGPRBlocks: 1
; NumSGPRsForWavesPerEU: 14
; NumVGPRsForWavesPerEU: 30
; NamedBarCnt: 0
; Occupancy: 16
; WaveLimiterHint : 1
; COMPUTE_PGM_RSRC2:SCRATCH_EN: 0
; COMPUTE_PGM_RSRC2:USER_SGPR: 4
; COMPUTE_PGM_RSRC2:TRAP_HANDLER: 0
; COMPUTE_PGM_RSRC2:TGID_X_EN: 1
; COMPUTE_PGM_RSRC2:TGID_Y_EN: 0
; COMPUTE_PGM_RSRC2:TGID_Z_EN: 0
; COMPUTE_PGM_RSRC2:TIDIG_COMP_CNT: 2
	.section	.text._ZN9rocsolver6v33100L18trti2_kernel_smallILi6E19rocblas_complex_numIfEPKPS3_EEv13rocblas_fill_17rocblas_diagonal_T1_iil,"axG",@progbits,_ZN9rocsolver6v33100L18trti2_kernel_smallILi6E19rocblas_complex_numIfEPKPS3_EEv13rocblas_fill_17rocblas_diagonal_T1_iil,comdat
	.globl	_ZN9rocsolver6v33100L18trti2_kernel_smallILi6E19rocblas_complex_numIfEPKPS3_EEv13rocblas_fill_17rocblas_diagonal_T1_iil ; -- Begin function _ZN9rocsolver6v33100L18trti2_kernel_smallILi6E19rocblas_complex_numIfEPKPS3_EEv13rocblas_fill_17rocblas_diagonal_T1_iil
	.p2align	8
	.type	_ZN9rocsolver6v33100L18trti2_kernel_smallILi6E19rocblas_complex_numIfEPKPS3_EEv13rocblas_fill_17rocblas_diagonal_T1_iil,@function
_ZN9rocsolver6v33100L18trti2_kernel_smallILi6E19rocblas_complex_numIfEPKPS3_EEv13rocblas_fill_17rocblas_diagonal_T1_iil: ; @_ZN9rocsolver6v33100L18trti2_kernel_smallILi6E19rocblas_complex_numIfEPKPS3_EEv13rocblas_fill_17rocblas_diagonal_T1_iil
; %bb.0:
	v_and_b32_e32 v20, 0x3ff, v0
	s_mov_b32 s4, exec_lo
	s_delay_alu instid0(VALU_DEP_1)
	v_cmpx_gt_u32_e32 6, v20
	s_cbranch_execz .LBB69_104
; %bb.1:
	s_load_b64 s[8:9], s[0:1], 0x4
	s_clause 0x1
	s_load_b64 s[10:11], s[2:3], 0x10
	s_load_b128 s[4:7], s[2:3], 0x0
	s_wait_xcnt 0x0
	s_bfe_u32 s0, ttmp6, 0x4000c
	s_and_b32 s1, ttmp6, 15
	s_add_co_i32 s0, s0, 1
	s_getreg_b32 s2, hwreg(HW_REG_IB_STS2, 6, 4)
	s_mul_i32 s0, ttmp9, s0
	v_bfe_u32 v1, v0, 10, 10
	s_add_co_i32 s0, s1, s0
	v_bfe_u32 v0, v0, 20, 10
	v_dual_mov_b32 v13, 0 :: v_dual_lshlrev_b32 v12, 3, v20
	s_wait_kmcnt 0x0
	s_lshr_b32 s8, s8, 16
	s_ashr_i32 s1, s10, 31
	s_cmp_eq_u32 s2, 0
	s_mul_i32 s8, s8, s9
	s_cselect_b32 s2, ttmp9, s0
	s_mov_b32 s0, s10
	s_ashr_i32 s3, s2, 31
	s_lshl_b64 s[0:1], s[0:1], 3
	s_lshl_b64 s[2:3], s[2:3], 3
	v_mul_u32_u24_e32 v1, s9, v1
	s_add_nc_u64 s[2:3], s[6:7], s[2:3]
	v_mul_u32_u24_e32 v2, s8, v20
	s_load_b64 s[2:3], s[2:3], 0x0
	s_delay_alu instid0(VALU_DEP_1) | instskip(NEXT) | instid1(VALU_DEP_1)
	v_add3_u32 v23, v2, v1, v0
	v_mul_lo_u32 v22, v23, 48
	s_delay_alu instid0(VALU_DEP_1)
	v_add_nc_u32_e32 v21, 0x60, v22
	s_wait_kmcnt 0x0
	s_add_nc_u64 s[2:3], s[2:3], s[0:1]
	s_mov_b32 s0, s11
	flat_load_b64 v[4:5], v20, s[2:3] scale_offset
	v_add_nc_u64_e32 v[0:1], s[2:3], v[12:13]
	s_ashr_i32 s1, s11, 31
	s_cmp_lg_u32 s5, 0x84
	s_cselect_b32 s5, -1, 0
	s_delay_alu instid0(SALU_CYCLE_1) | instskip(NEXT) | instid1(VALU_DEP_1)
	s_and_b32 vcc_lo, exec_lo, s5
	v_lshl_add_u64 v[2:3], s[0:1], 3, v[0:1]
	s_mov_b32 s0, -1
	s_wait_loadcnt_dscnt 0x0
	ds_store_b64 v22, v[4:5] offset:96
	flat_load_b64 v[6:7], v[2:3]
	v_add3_u32 v4, s11, s11, v20
	s_wait_loadcnt_dscnt 0x0
	ds_store_b64 v22, v[6:7] offset:104
	flat_load_b64 v[8:9], v4, s[2:3] scale_offset
	v_add_nc_u32_e32 v6, s11, v4
	s_wait_loadcnt_dscnt 0x0
	ds_store_b64 v22, v[8:9] offset:112
	flat_load_b64 v[10:11], v6, s[2:3] scale_offset
	v_add_nc_u32_e32 v8, s11, v6
	;; [unrolled: 4-line block ×3, first 2 shown]
	s_wait_loadcnt_dscnt 0x0
	ds_store_b64 v22, v[14:15] offset:128
	flat_load_b64 v[14:15], v10, s[2:3] scale_offset
	s_wait_loadcnt_dscnt 0x0
	ds_store_b64 v22, v[14:15] offset:136
	s_cbranch_vccz .LBB69_7
; %bb.2:
	v_lshl_add_u32 v5, v20, 3, v21
                                        ; implicit-def: $vgpr19
                                        ; implicit-def: $vgpr16
	ds_load_b64 v[14:15], v5
	s_wait_dscnt 0x0
	v_cmp_ngt_f32_e64 s0, |v14|, |v15|
	s_and_saveexec_b32 s1, s0
	s_delay_alu instid0(SALU_CYCLE_1)
	s_xor_b32 s0, exec_lo, s1
	s_cbranch_execz .LBB69_4
; %bb.3:
	v_div_scale_f32 v7, null, v15, v15, v14
	v_div_scale_f32 v13, vcc_lo, v14, v15, v14
	s_delay_alu instid0(VALU_DEP_2) | instskip(SKIP_1) | instid1(TRANS32_DEP_1)
	v_rcp_f32_e32 v9, v7
	v_nop
	v_fma_f32 v11, -v7, v9, 1.0
	s_delay_alu instid0(VALU_DEP_1) | instskip(NEXT) | instid1(VALU_DEP_1)
	v_fmac_f32_e32 v9, v11, v9
	v_mul_f32_e32 v11, v13, v9
	s_delay_alu instid0(VALU_DEP_1) | instskip(NEXT) | instid1(VALU_DEP_1)
	v_fma_f32 v16, -v7, v11, v13
	v_fmac_f32_e32 v11, v16, v9
	s_delay_alu instid0(VALU_DEP_1) | instskip(NEXT) | instid1(VALU_DEP_1)
	v_fma_f32 v7, -v7, v11, v13
	v_div_fmas_f32 v7, v7, v9, v11
	s_delay_alu instid0(VALU_DEP_1) | instskip(NEXT) | instid1(VALU_DEP_1)
	v_div_fixup_f32 v7, v7, v15, v14
	v_fmac_f32_e32 v15, v14, v7
	s_delay_alu instid0(VALU_DEP_1) | instskip(NEXT) | instid1(VALU_DEP_1)
	v_div_scale_f32 v9, null, v15, v15, -1.0
	v_rcp_f32_e32 v11, v9
	v_nop
	s_delay_alu instid0(TRANS32_DEP_1) | instskip(NEXT) | instid1(VALU_DEP_1)
	v_fma_f32 v13, -v9, v11, 1.0
	v_fmac_f32_e32 v11, v13, v11
	v_div_scale_f32 v13, vcc_lo, -1.0, v15, -1.0
	s_delay_alu instid0(VALU_DEP_1) | instskip(NEXT) | instid1(VALU_DEP_1)
	v_mul_f32_e32 v14, v13, v11
	v_fma_f32 v16, -v9, v14, v13
	s_delay_alu instid0(VALU_DEP_1) | instskip(NEXT) | instid1(VALU_DEP_1)
	v_fmac_f32_e32 v14, v16, v11
	v_fma_f32 v9, -v9, v14, v13
	s_delay_alu instid0(VALU_DEP_1) | instskip(NEXT) | instid1(VALU_DEP_1)
	v_div_fmas_f32 v9, v9, v11, v14
	v_div_fixup_f32 v19, v9, v15, -1.0
                                        ; implicit-def: $vgpr14_vgpr15
	s_delay_alu instid0(VALU_DEP_1) | instskip(NEXT) | instid1(VALU_DEP_1)
	v_mul_f32_e32 v16, v7, v19
	v_xor_b32_e32 v18, 0x80000000, v16
.LBB69_4:
	s_and_not1_saveexec_b32 s0, s0
	s_cbranch_execz .LBB69_6
; %bb.5:
	v_div_scale_f32 v7, null, v14, v14, v15
	v_div_scale_f32 v13, vcc_lo, v15, v14, v15
	s_delay_alu instid0(VALU_DEP_2) | instskip(SKIP_1) | instid1(TRANS32_DEP_1)
	v_rcp_f32_e32 v9, v7
	v_nop
	v_fma_f32 v11, -v7, v9, 1.0
	s_delay_alu instid0(VALU_DEP_1) | instskip(NEXT) | instid1(VALU_DEP_1)
	v_fmac_f32_e32 v9, v11, v9
	v_mul_f32_e32 v11, v13, v9
	s_delay_alu instid0(VALU_DEP_1) | instskip(NEXT) | instid1(VALU_DEP_1)
	v_fma_f32 v16, -v7, v11, v13
	v_fmac_f32_e32 v11, v16, v9
	s_delay_alu instid0(VALU_DEP_1) | instskip(NEXT) | instid1(VALU_DEP_1)
	v_fma_f32 v7, -v7, v11, v13
	v_div_fmas_f32 v7, v7, v9, v11
	s_delay_alu instid0(VALU_DEP_1) | instskip(NEXT) | instid1(VALU_DEP_1)
	v_div_fixup_f32 v7, v7, v14, v15
	v_fmac_f32_e32 v14, v15, v7
	s_delay_alu instid0(VALU_DEP_1) | instskip(SKIP_1) | instid1(VALU_DEP_2)
	v_div_scale_f32 v9, null, v14, v14, 1.0
	v_div_scale_f32 v15, vcc_lo, 1.0, v14, 1.0
	v_rcp_f32_e32 v11, v9
	v_nop
	s_delay_alu instid0(TRANS32_DEP_1) | instskip(NEXT) | instid1(VALU_DEP_1)
	v_fma_f32 v13, -v9, v11, 1.0
	v_fmac_f32_e32 v11, v13, v11
	s_delay_alu instid0(VALU_DEP_1) | instskip(NEXT) | instid1(VALU_DEP_1)
	v_mul_f32_e32 v13, v15, v11
	v_fma_f32 v16, -v9, v13, v15
	s_delay_alu instid0(VALU_DEP_1) | instskip(NEXT) | instid1(VALU_DEP_1)
	v_fmac_f32_e32 v13, v16, v11
	v_fma_f32 v9, -v9, v13, v15
	s_delay_alu instid0(VALU_DEP_1) | instskip(NEXT) | instid1(VALU_DEP_1)
	v_div_fmas_f32 v9, v9, v11, v13
	v_div_fixup_f32 v18, v9, v14, 1.0
	s_delay_alu instid0(VALU_DEP_1)
	v_xor_b32_e32 v16, 0x80000000, v18
	v_mul_f32_e64 v19, v7, -v18
.LBB69_6:
	s_or_b32 exec_lo, exec_lo, s0
	s_delay_alu instid0(VALU_DEP_1)
	v_xor_b32_e32 v17, 0x80000000, v19
	s_mov_b32 s0, 0
	ds_store_b64 v5, v[18:19]
	ds_store_b64 v12, v[16:17]
.LBB69_7:
	s_and_b32 vcc_lo, exec_lo, s0
	s_cbranch_vccz .LBB69_9
; %bb.8:
	s_mov_b64 s[0:1], 0xbf800000
	s_delay_alu instid0(SALU_CYCLE_1)
	v_mov_b64_e32 v[14:15], s[0:1]
	ds_store_b64 v12, v[14:15]
.LBB69_9:
	v_dual_ashrrev_i32 v5, 31, v4 :: v_dual_ashrrev_i32 v7, 31, v6
	v_dual_ashrrev_i32 v9, 31, v8 :: v_dual_ashrrev_i32 v11, 31, v10
	v_dual_add_nc_u32 v13, 48, v12 :: v_dual_add_nc_u32 v16, v21, v12
	s_cmp_eq_u32 s4, 0x79
	s_cbranch_scc1 .LBB69_13
; %bb.10:
	ds_load_b64 v[14:15], v21 offset:32
	v_cmp_eq_u32_e64 s1, 5, v20
	s_wait_dscnt 0x0
	ds_store_b64 v13, v[14:15]
	s_wait_dscnt 0x0
	s_barrier_signal -1
	s_barrier_wait -1
	s_and_saveexec_b32 s0, s1
	s_cbranch_execz .LBB69_17
; %bb.11:
	s_and_b32 vcc_lo, exec_lo, s5
	s_cbranch_vccz .LBB69_14
; %bb.12:
	ds_load_b64 v[14:15], v16
	ds_load_b64 v[18:19], v13
	s_wait_dscnt 0x0
	v_pk_mul_f32 v[24:25], v[18:19], v[14:15] op_sel:[1,1] op_sel_hi:[0,1]
	v_pk_mul_f32 v[26:27], v[18:19], v[14:15] op_sel_hi:[1,0]
	s_delay_alu instid0(VALU_DEP_2) | instskip(NEXT) | instid1(VALU_DEP_2)
	v_pk_fma_f32 v[14:15], v[18:19], v[14:15], v[24:25] op_sel_hi:[1,0,1]
	v_sub_f32_e32 v14, v26, v24
	s_cbranch_execz .LBB69_15
	s_branch .LBB69_16
.LBB69_13:
	s_mov_b32 s1, 0
                                        ; implicit-def: $vgpr18
                                        ; implicit-def: $vgpr19
	s_cbranch_execnz .LBB69_56
	s_branch .LBB69_101
.LBB69_14:
                                        ; implicit-def: $vgpr15
.LBB69_15:
	ds_load_b64 v[14:15], v13
.LBB69_16:
	s_wait_dscnt 0x0
	v_dual_mov_b32 v17, 0 :: v_dual_mov_b32 v24, v15
	v_mov_b32_e32 v25, v14
	ds_load_b64 v[18:19], v17 offset:32
	s_wait_dscnt 0x0
	v_pk_mul_f32 v[24:25], v[24:25], v[18:19] op_sel:[0,1]
	s_delay_alu instid0(VALU_DEP_1) | instskip(SKIP_1) | instid1(VALU_DEP_2)
	v_pk_fma_f32 v[26:27], v[14:15], v[18:19], v[24:25] op_sel_hi:[1,0,1]
	v_pk_fma_f32 v[14:15], v[14:15], v[18:19], v[24:25] neg_lo:[0,0,1] neg_hi:[0,0,1]
	v_mov_b32_e32 v15, v27
	ds_store_b64 v21, v[14:15] offset:32
.LBB69_17:
	s_or_b32 exec_lo, exec_lo, s0
	ds_load_b64 v[14:15], v21 offset:24
	v_cmp_lt_u32_e64 s0, 3, v20
	s_wait_dscnt 0x0
	ds_store_b64 v13, v[14:15]
	s_wait_dscnt 0x0
	s_barrier_signal -1
	s_barrier_wait -1
	s_and_saveexec_b32 s4, s0
	s_cbranch_execz .LBB69_25
; %bb.18:
	s_and_not1_b32 vcc_lo, exec_lo, s5
	s_cbranch_vccnz .LBB69_20
; %bb.19:
	ds_load_b64 v[14:15], v16
	ds_load_b64 v[18:19], v13
	s_wait_dscnt 0x0
	v_pk_mul_f32 v[24:25], v[18:19], v[14:15] op_sel:[1,1] op_sel_hi:[0,1]
	s_delay_alu instid0(VALU_DEP_1) | instskip(SKIP_1) | instid1(VALU_DEP_2)
	v_pk_fma_f32 v[26:27], v[18:19], v[14:15], v[24:25] op_sel_hi:[1,0,1]
	v_pk_fma_f32 v[14:15], v[18:19], v[14:15], v[24:25] neg_lo:[0,0,1] neg_hi:[0,0,1]
	v_mov_b32_e32 v15, v27
	s_cbranch_execz .LBB69_21
	s_branch .LBB69_22
.LBB69_20:
                                        ; implicit-def: $vgpr14_vgpr15
.LBB69_21:
	ds_load_b64 v[14:15], v13
.LBB69_22:
	s_and_saveexec_b32 s6, s1
	s_cbranch_execz .LBB69_24
; %bb.23:
	v_mov_b32_e32 v17, 0
	ds_load_b64 v[18:19], v21 offset:32
	ds_load_b64 v[24:25], v17 offset:80
	s_wait_dscnt 0x0
	v_pk_mul_f32 v[26:27], v[24:25], v[18:19] op_sel:[1,1] op_sel_hi:[0,1]
	s_delay_alu instid0(VALU_DEP_1) | instskip(SKIP_1) | instid1(VALU_DEP_2)
	v_pk_fma_f32 v[28:29], v[24:25], v[18:19], v[26:27] op_sel_hi:[1,0,1]
	v_pk_fma_f32 v[18:19], v[24:25], v[18:19], v[26:27] neg_lo:[0,0,1] neg_hi:[0,0,1]
	v_mov_b32_e32 v19, v29
	s_delay_alu instid0(VALU_DEP_1)
	v_pk_add_f32 v[14:15], v[14:15], v[18:19]
.LBB69_24:
	s_or_b32 exec_lo, exec_lo, s6
	v_mov_b32_e32 v17, 0
	ds_load_b64 v[18:19], v17 offset:24
	s_wait_dscnt 0x0
	v_pk_mul_f32 v[24:25], v[14:15], v[18:19] op_sel:[1,1] op_sel_hi:[0,1]
	s_delay_alu instid0(VALU_DEP_1) | instskip(SKIP_1) | instid1(VALU_DEP_2)
	v_pk_fma_f32 v[26:27], v[14:15], v[18:19], v[24:25] op_sel_hi:[1,0,1]
	v_pk_fma_f32 v[14:15], v[14:15], v[18:19], v[24:25] neg_lo:[0,0,1] neg_hi:[0,0,1]
	v_mov_b32_e32 v15, v27
	ds_store_b64 v21, v[14:15] offset:24
.LBB69_25:
	s_or_b32 exec_lo, exec_lo, s4
	ds_load_b64 v[14:15], v21 offset:16
	v_cmp_lt_u32_e64 s1, 2, v20
	s_wait_dscnt 0x0
	ds_store_b64 v13, v[14:15]
	s_wait_dscnt 0x0
	s_barrier_signal -1
	s_barrier_wait -1
	s_and_saveexec_b32 s4, s1
	s_cbranch_execz .LBB69_35
; %bb.26:
	s_and_not1_b32 vcc_lo, exec_lo, s5
	s_cbranch_vccnz .LBB69_28
; %bb.27:
	ds_load_b64 v[14:15], v16
	ds_load_b64 v[18:19], v13
	s_wait_dscnt 0x0
	v_pk_mul_f32 v[24:25], v[18:19], v[14:15] op_sel:[1,1] op_sel_hi:[0,1]
	s_delay_alu instid0(VALU_DEP_1) | instskip(SKIP_1) | instid1(VALU_DEP_2)
	v_pk_fma_f32 v[26:27], v[18:19], v[14:15], v[24:25] op_sel_hi:[1,0,1]
	v_pk_fma_f32 v[14:15], v[18:19], v[14:15], v[24:25] neg_lo:[0,0,1] neg_hi:[0,0,1]
	v_mov_b32_e32 v15, v27
	s_cbranch_execz .LBB69_29
	s_branch .LBB69_30
.LBB69_28:
                                        ; implicit-def: $vgpr14_vgpr15
.LBB69_29:
	ds_load_b64 v[14:15], v13
.LBB69_30:
	s_and_saveexec_b32 s6, s0
	s_cbranch_execz .LBB69_34
; %bb.31:
	v_mad_u32 v17, v23, 48, 0x78
	v_add_nc_u32_e32 v18, -3, v20
	s_movk_i32 s7, 0x48
	s_mov_b32 s0, 0
.LBB69_32:                              ; =>This Inner Loop Header: Depth=1
	s_delay_alu instid0(VALU_DEP_1)
	v_dual_mov_b32 v19, s7 :: v_dual_add_nc_u32 v18, -1, v18
	s_add_co_i32 s7, s7, 8
	ds_load_b64 v[24:25], v17
	ds_load_b64 v[26:27], v19
	v_add_nc_u32_e32 v17, 8, v17
	v_cmp_eq_u32_e32 vcc_lo, 0, v18
	s_or_b32 s0, vcc_lo, s0
	s_wait_dscnt 0x0
	v_pk_mul_f32 v[28:29], v[26:27], v[24:25] op_sel:[1,1] op_sel_hi:[0,1]
	s_delay_alu instid0(VALU_DEP_1) | instskip(SKIP_1) | instid1(VALU_DEP_2)
	v_pk_fma_f32 v[30:31], v[26:27], v[24:25], v[28:29] op_sel_hi:[1,0,1]
	v_pk_fma_f32 v[24:25], v[26:27], v[24:25], v[28:29] neg_lo:[0,0,1] neg_hi:[0,0,1]
	v_mov_b32_e32 v25, v31
	s_delay_alu instid0(VALU_DEP_1)
	v_pk_add_f32 v[14:15], v[14:15], v[24:25]
	s_and_not1_b32 exec_lo, exec_lo, s0
	s_cbranch_execnz .LBB69_32
; %bb.33:
	s_or_b32 exec_lo, exec_lo, s0
.LBB69_34:
	s_delay_alu instid0(SALU_CYCLE_1) | instskip(SKIP_4) | instid1(VALU_DEP_1)
	s_or_b32 exec_lo, exec_lo, s6
	v_mov_b32_e32 v17, 0
	ds_load_b64 v[18:19], v17 offset:16
	s_wait_dscnt 0x0
	v_pk_mul_f32 v[24:25], v[14:15], v[18:19] op_sel:[1,1] op_sel_hi:[0,1]
	v_pk_fma_f32 v[26:27], v[14:15], v[18:19], v[24:25] op_sel_hi:[1,0,1]
	v_pk_fma_f32 v[14:15], v[14:15], v[18:19], v[24:25] neg_lo:[0,0,1] neg_hi:[0,0,1]
	s_delay_alu instid0(VALU_DEP_2)
	v_mov_b32_e32 v15, v27
	ds_store_b64 v21, v[14:15] offset:16
.LBB69_35:
	s_or_b32 exec_lo, exec_lo, s4
	ds_load_b64 v[14:15], v21 offset:8
	v_cmp_lt_u32_e64 s0, 1, v20
	s_wait_dscnt 0x0
	ds_store_b64 v13, v[14:15]
	s_wait_dscnt 0x0
	s_barrier_signal -1
	s_barrier_wait -1
	s_and_saveexec_b32 s4, s0
	s_cbranch_execz .LBB69_45
; %bb.36:
	s_and_not1_b32 vcc_lo, exec_lo, s5
	s_cbranch_vccnz .LBB69_38
; %bb.37:
	ds_load_b64 v[14:15], v16
	ds_load_b64 v[18:19], v13
	s_wait_dscnt 0x0
	v_pk_mul_f32 v[24:25], v[18:19], v[14:15] op_sel:[1,1] op_sel_hi:[0,1]
	s_delay_alu instid0(VALU_DEP_1) | instskip(SKIP_1) | instid1(VALU_DEP_2)
	v_pk_fma_f32 v[26:27], v[18:19], v[14:15], v[24:25] op_sel_hi:[1,0,1]
	v_pk_fma_f32 v[14:15], v[18:19], v[14:15], v[24:25] neg_lo:[0,0,1] neg_hi:[0,0,1]
	v_mov_b32_e32 v15, v27
	s_cbranch_execz .LBB69_39
	s_branch .LBB69_40
.LBB69_38:
                                        ; implicit-def: $vgpr14_vgpr15
.LBB69_39:
	ds_load_b64 v[14:15], v13
.LBB69_40:
	s_and_saveexec_b32 s6, s1
	s_cbranch_execz .LBB69_44
; %bb.41:
	v_mad_u32 v17, v23, 48, 0x70
	v_add_nc_u32_e32 v18, -2, v20
	s_mov_b32 s7, 64
	s_mov_b32 s1, 0
.LBB69_42:                              ; =>This Inner Loop Header: Depth=1
	s_delay_alu instid0(VALU_DEP_1)
	v_dual_mov_b32 v19, s7 :: v_dual_add_nc_u32 v18, -1, v18
	s_add_co_i32 s7, s7, 8
	ds_load_b64 v[24:25], v17
	ds_load_b64 v[26:27], v19
	v_add_nc_u32_e32 v17, 8, v17
	v_cmp_eq_u32_e32 vcc_lo, 0, v18
	s_or_b32 s1, vcc_lo, s1
	s_wait_dscnt 0x0
	v_pk_mul_f32 v[28:29], v[26:27], v[24:25] op_sel:[1,1] op_sel_hi:[0,1]
	s_delay_alu instid0(VALU_DEP_1) | instskip(SKIP_1) | instid1(VALU_DEP_2)
	v_pk_fma_f32 v[30:31], v[26:27], v[24:25], v[28:29] op_sel_hi:[1,0,1]
	v_pk_fma_f32 v[24:25], v[26:27], v[24:25], v[28:29] neg_lo:[0,0,1] neg_hi:[0,0,1]
	v_mov_b32_e32 v25, v31
	s_delay_alu instid0(VALU_DEP_1)
	v_pk_add_f32 v[14:15], v[14:15], v[24:25]
	s_and_not1_b32 exec_lo, exec_lo, s1
	s_cbranch_execnz .LBB69_42
; %bb.43:
	s_or_b32 exec_lo, exec_lo, s1
.LBB69_44:
	s_delay_alu instid0(SALU_CYCLE_1) | instskip(SKIP_4) | instid1(VALU_DEP_1)
	s_or_b32 exec_lo, exec_lo, s6
	v_mov_b32_e32 v17, 0
	ds_load_b64 v[18:19], v17 offset:8
	s_wait_dscnt 0x0
	v_pk_mul_f32 v[24:25], v[14:15], v[18:19] op_sel:[1,1] op_sel_hi:[0,1]
	v_pk_fma_f32 v[26:27], v[14:15], v[18:19], v[24:25] op_sel_hi:[1,0,1]
	v_pk_fma_f32 v[14:15], v[14:15], v[18:19], v[24:25] neg_lo:[0,0,1] neg_hi:[0,0,1]
	s_delay_alu instid0(VALU_DEP_2)
	v_mov_b32_e32 v15, v27
	ds_store_b64 v21, v[14:15] offset:8
.LBB69_45:
	s_or_b32 exec_lo, exec_lo, s4
	ds_load_b64 v[14:15], v21
	s_mov_b32 s4, 0
	s_mov_b32 s1, 0
	s_mov_b32 s6, exec_lo
                                        ; implicit-def: $vgpr18
                                        ; implicit-def: $vgpr19
	s_wait_dscnt 0x0
	ds_store_b64 v13, v[14:15]
	s_wait_dscnt 0x0
	s_barrier_signal -1
	s_barrier_wait -1
	v_cmpx_ne_u32_e32 0, v20
	s_cbranch_execz .LBB69_55
; %bb.46:
	s_and_not1_b32 vcc_lo, exec_lo, s5
	s_cbranch_vccnz .LBB69_48
; %bb.47:
	ds_load_b64 v[18:19], v16
	ds_load_b64 v[24:25], v13
	s_wait_dscnt 0x0
	v_dual_mul_f32 v14, v25, v19 :: v_dual_mul_f32 v15, v24, v19
	s_delay_alu instid0(VALU_DEP_1)
	v_dual_fma_f32 v14, v24, v18, -v14 :: v_dual_fmac_f32 v15, v25, v18
	s_and_not1_b32 vcc_lo, exec_lo, s1
	s_cbranch_vccz .LBB69_49
	s_branch .LBB69_50
.LBB69_48:
                                        ; implicit-def: $vgpr14
.LBB69_49:
	ds_load_b64 v[14:15], v13
.LBB69_50:
	s_and_saveexec_b32 s1, s0
	s_cbranch_execz .LBB69_54
; %bb.51:
	v_mad_u32 v17, v23, 48, 0x68
	v_add_nc_u32_e32 v18, -1, v20
	s_mov_b32 s7, 56
	s_mov_b32 s0, 0
.LBB69_52:                              ; =>This Inner Loop Header: Depth=1
	v_mov_b32_e32 v19, s7
	s_add_co_i32 s7, s7, 8
	ds_load_b64 v[24:25], v17
	ds_load_b64 v[26:27], v19
	v_dual_add_nc_u32 v18, -1, v18 :: v_dual_add_nc_u32 v17, 8, v17
	s_delay_alu instid0(VALU_DEP_1) | instskip(SKIP_3) | instid1(VALU_DEP_1)
	v_cmp_eq_u32_e32 vcc_lo, 0, v18
	s_or_b32 s0, vcc_lo, s0
	s_wait_dscnt 0x0
	v_dual_mul_f32 v19, v27, v25 :: v_dual_mul_f32 v23, v26, v25
	v_fma_f32 v19, v26, v24, -v19
	s_delay_alu instid0(VALU_DEP_1) | instskip(NEXT) | instid1(VALU_DEP_1)
	v_dual_fmac_f32 v23, v27, v24 :: v_dual_add_f32 v14, v14, v19
	v_add_f32_e32 v15, v15, v23
	s_and_not1_b32 exec_lo, exec_lo, s0
	s_cbranch_execnz .LBB69_52
; %bb.53:
	s_or_b32 exec_lo, exec_lo, s0
.LBB69_54:
	s_delay_alu instid0(SALU_CYCLE_1)
	s_or_b32 exec_lo, exec_lo, s1
	v_mov_b32_e32 v17, 0
	s_mov_b32 s1, exec_lo
	ds_load_b64 v[24:25], v17
	s_wait_dscnt 0x0
	v_dual_mul_f32 v18, v14, v25 :: v_dual_mul_f32 v17, v15, v25
	s_delay_alu instid0(VALU_DEP_1) | instskip(NEXT) | instid1(VALU_DEP_2)
	v_dual_fmac_f32 v18, v15, v24 :: v_dual_add_nc_u32 v19, 4, v21
	v_fma_f32 v14, v14, v24, -v17
	ds_store_b32 v21, v14
.LBB69_55:
	s_or_b32 exec_lo, exec_lo, s6
	s_delay_alu instid0(SALU_CYCLE_1)
	s_and_b32 vcc_lo, exec_lo, s4
	s_cbranch_vccz .LBB69_101
.LBB69_56:
	ds_load_b64 v[14:15], v21 offset:8
	v_cmp_eq_u32_e64 s0, 0, v20
	s_wait_dscnt 0x0
	ds_store_b64 v13, v[14:15]
	s_wait_dscnt 0x0
	s_barrier_signal -1
	s_barrier_wait -1
	s_and_saveexec_b32 s4, s0
	s_cbranch_execz .LBB69_62
; %bb.57:
	s_and_b32 vcc_lo, exec_lo, s5
	s_cbranch_vccz .LBB69_59
; %bb.58:
	ds_load_b64 v[14:15], v16
	ds_load_b64 v[18:19], v13
	s_wait_dscnt 0x0
	v_pk_mul_f32 v[24:25], v[18:19], v[14:15] op_sel:[1,1] op_sel_hi:[0,1]
	v_pk_mul_f32 v[26:27], v[18:19], v[14:15] op_sel_hi:[1,0]
	s_delay_alu instid0(VALU_DEP_2) | instskip(NEXT) | instid1(VALU_DEP_2)
	v_pk_fma_f32 v[14:15], v[18:19], v[14:15], v[24:25] op_sel_hi:[1,0,1]
	v_sub_f32_e32 v14, v26, v24
	s_cbranch_execz .LBB69_60
	s_branch .LBB69_61
.LBB69_59:
                                        ; implicit-def: $vgpr15
.LBB69_60:
	ds_load_b64 v[14:15], v13
.LBB69_61:
	s_wait_dscnt 0x0
	v_dual_mov_b32 v17, 0 :: v_dual_mov_b32 v24, v15
	v_mov_b32_e32 v25, v14
	ds_load_b64 v[18:19], v17 offset:8
	s_wait_dscnt 0x0
	v_pk_mul_f32 v[24:25], v[24:25], v[18:19] op_sel:[0,1]
	s_delay_alu instid0(VALU_DEP_1) | instskip(SKIP_1) | instid1(VALU_DEP_2)
	v_pk_fma_f32 v[26:27], v[14:15], v[18:19], v[24:25] op_sel_hi:[1,0,1]
	v_pk_fma_f32 v[14:15], v[14:15], v[18:19], v[24:25] neg_lo:[0,0,1] neg_hi:[0,0,1]
	v_mov_b32_e32 v15, v27
	ds_store_b64 v21, v[14:15] offset:8
.LBB69_62:
	s_or_b32 exec_lo, exec_lo, s4
	ds_load_b64 v[14:15], v21 offset:16
	v_cndmask_b32_e64 v17, 0, 1, s5
	s_mov_b32 s4, exec_lo
	s_wait_dscnt 0x0
	ds_store_b64 v13, v[14:15]
	s_wait_dscnt 0x0
	s_barrier_signal -1
	s_barrier_wait -1
	v_cmpx_gt_u32_e32 2, v20
	s_cbranch_execz .LBB69_70
; %bb.63:
	s_and_not1_b32 vcc_lo, exec_lo, s5
	s_cbranch_vccnz .LBB69_65
; %bb.64:
	ds_load_b64 v[14:15], v16
	ds_load_b64 v[18:19], v13
	s_wait_dscnt 0x0
	v_pk_mul_f32 v[24:25], v[18:19], v[14:15] op_sel:[1,1] op_sel_hi:[0,1]
	s_delay_alu instid0(VALU_DEP_1) | instskip(SKIP_1) | instid1(VALU_DEP_2)
	v_pk_fma_f32 v[26:27], v[18:19], v[14:15], v[24:25] op_sel_hi:[1,0,1]
	v_pk_fma_f32 v[14:15], v[18:19], v[14:15], v[24:25] neg_lo:[0,0,1] neg_hi:[0,0,1]
	v_mov_b32_e32 v15, v27
	s_cbranch_execz .LBB69_66
	s_branch .LBB69_67
.LBB69_65:
                                        ; implicit-def: $vgpr14_vgpr15
.LBB69_66:
	ds_load_b64 v[14:15], v13
.LBB69_67:
	s_and_saveexec_b32 s5, s0
	s_cbranch_execz .LBB69_69
; %bb.68:
	v_mov_b32_e32 v23, 0
	ds_load_b64 v[18:19], v21 offset:8
	ds_load_b64 v[24:25], v23 offset:56
	s_wait_dscnt 0x0
	v_pk_mul_f32 v[26:27], v[24:25], v[18:19] op_sel:[1,1] op_sel_hi:[0,1]
	s_delay_alu instid0(VALU_DEP_1) | instskip(SKIP_1) | instid1(VALU_DEP_2)
	v_pk_fma_f32 v[28:29], v[24:25], v[18:19], v[26:27] op_sel_hi:[1,0,1]
	v_pk_fma_f32 v[18:19], v[24:25], v[18:19], v[26:27] neg_lo:[0,0,1] neg_hi:[0,0,1]
	v_mov_b32_e32 v19, v29
	s_delay_alu instid0(VALU_DEP_1)
	v_pk_add_f32 v[14:15], v[14:15], v[18:19]
.LBB69_69:
	s_or_b32 exec_lo, exec_lo, s5
	v_mov_b32_e32 v18, 0
	ds_load_b64 v[18:19], v18 offset:16
	s_wait_dscnt 0x0
	v_pk_mul_f32 v[24:25], v[14:15], v[18:19] op_sel:[1,1] op_sel_hi:[0,1]
	s_delay_alu instid0(VALU_DEP_1) | instskip(SKIP_1) | instid1(VALU_DEP_2)
	v_pk_fma_f32 v[26:27], v[14:15], v[18:19], v[24:25] op_sel_hi:[1,0,1]
	v_pk_fma_f32 v[14:15], v[14:15], v[18:19], v[24:25] neg_lo:[0,0,1] neg_hi:[0,0,1]
	v_mov_b32_e32 v15, v27
	ds_store_b64 v21, v[14:15] offset:16
.LBB69_70:
	s_or_b32 exec_lo, exec_lo, s4
	ds_load_b64 v[14:15], v21 offset:24
	s_mov_b32 s4, exec_lo
	s_wait_dscnt 0x0
	ds_store_b64 v13, v[14:15]
	s_wait_dscnt 0x0
	s_barrier_signal -1
	s_barrier_wait -1
	v_cmpx_gt_u32_e32 3, v20
	s_cbranch_execz .LBB69_80
; %bb.71:
	v_cmp_ne_u32_e32 vcc_lo, 1, v17
	s_cbranch_vccnz .LBB69_73
; %bb.72:
	ds_load_b64 v[14:15], v16
	ds_load_b64 v[18:19], v13
	s_wait_dscnt 0x0
	v_pk_mul_f32 v[24:25], v[18:19], v[14:15] op_sel:[1,1] op_sel_hi:[0,1]
	s_delay_alu instid0(VALU_DEP_1) | instskip(SKIP_1) | instid1(VALU_DEP_2)
	v_pk_fma_f32 v[26:27], v[18:19], v[14:15], v[24:25] op_sel_hi:[1,0,1]
	v_pk_fma_f32 v[14:15], v[18:19], v[14:15], v[24:25] neg_lo:[0,0,1] neg_hi:[0,0,1]
	v_mov_b32_e32 v15, v27
	s_cbranch_execz .LBB69_74
	s_branch .LBB69_75
.LBB69_73:
                                        ; implicit-def: $vgpr14_vgpr15
.LBB69_74:
	ds_load_b64 v[14:15], v13
.LBB69_75:
	s_mov_b32 s5, exec_lo
	v_cmpx_ne_u32_e32 2, v20
	s_cbranch_execz .LBB69_79
; %bb.76:
	ds_load_b64 v[18:19], v16 offset:8
	ds_load_b64 v[24:25], v13 offset:8
	s_wait_dscnt 0x0
	v_pk_mul_f32 v[26:27], v[24:25], v[18:19] op_sel:[1,1] op_sel_hi:[0,1]
	s_delay_alu instid0(VALU_DEP_1) | instskip(SKIP_1) | instid1(VALU_DEP_2)
	v_pk_fma_f32 v[28:29], v[24:25], v[18:19], v[26:27] op_sel_hi:[1,0,1]
	v_pk_fma_f32 v[18:19], v[24:25], v[18:19], v[26:27] neg_lo:[0,0,1] neg_hi:[0,0,1]
	v_mov_b32_e32 v19, v29
	s_delay_alu instid0(VALU_DEP_1)
	v_pk_add_f32 v[14:15], v[14:15], v[18:19]
	s_and_saveexec_b32 s6, s0
	s_cbranch_execz .LBB69_78
; %bb.77:
	v_mov_b32_e32 v18, 0
	ds_load_b64 v[18:19], v18 offset:64
	ds_load_b64 v[24:25], v21 offset:16
	s_wait_dscnt 0x0
	v_pk_mul_f32 v[26:27], v[18:19], v[24:25] op_sel:[1,1] op_sel_hi:[0,1]
	s_delay_alu instid0(VALU_DEP_1) | instskip(SKIP_1) | instid1(VALU_DEP_2)
	v_pk_fma_f32 v[28:29], v[18:19], v[24:25], v[26:27] op_sel_hi:[1,0,1]
	v_pk_fma_f32 v[18:19], v[18:19], v[24:25], v[26:27] neg_lo:[0,0,1] neg_hi:[0,0,1]
	v_mov_b32_e32 v19, v29
	s_delay_alu instid0(VALU_DEP_1)
	v_pk_add_f32 v[14:15], v[14:15], v[18:19]
.LBB69_78:
	s_or_b32 exec_lo, exec_lo, s6
.LBB69_79:
	s_delay_alu instid0(SALU_CYCLE_1) | instskip(SKIP_4) | instid1(VALU_DEP_1)
	s_or_b32 exec_lo, exec_lo, s5
	v_mov_b32_e32 v18, 0
	ds_load_b64 v[18:19], v18 offset:24
	s_wait_dscnt 0x0
	v_pk_mul_f32 v[24:25], v[14:15], v[18:19] op_sel:[1,1] op_sel_hi:[0,1]
	v_pk_fma_f32 v[26:27], v[14:15], v[18:19], v[24:25] op_sel_hi:[1,0,1]
	v_pk_fma_f32 v[14:15], v[14:15], v[18:19], v[24:25] neg_lo:[0,0,1] neg_hi:[0,0,1]
	s_delay_alu instid0(VALU_DEP_2)
	v_mov_b32_e32 v15, v27
	ds_store_b64 v21, v[14:15] offset:24
.LBB69_80:
	s_or_b32 exec_lo, exec_lo, s4
	ds_load_b64 v[14:15], v21 offset:32
	v_cmp_gt_u32_e64 s0, 4, v20
	s_wait_dscnt 0x0
	ds_store_b64 v13, v[14:15]
	s_wait_dscnt 0x0
	s_barrier_signal -1
	s_barrier_wait -1
	s_and_saveexec_b32 s4, s0
	s_cbranch_execz .LBB69_90
; %bb.81:
	v_cmp_ne_u32_e32 vcc_lo, 1, v17
	s_cbranch_vccnz .LBB69_83
; %bb.82:
	ds_load_b64 v[14:15], v16
	ds_load_b64 v[18:19], v13
	s_wait_dscnt 0x0
	v_pk_mul_f32 v[24:25], v[18:19], v[14:15] op_sel:[1,1] op_sel_hi:[0,1]
	s_delay_alu instid0(VALU_DEP_1) | instskip(SKIP_1) | instid1(VALU_DEP_2)
	v_pk_fma_f32 v[26:27], v[18:19], v[14:15], v[24:25] op_sel_hi:[1,0,1]
	v_pk_fma_f32 v[14:15], v[18:19], v[14:15], v[24:25] neg_lo:[0,0,1] neg_hi:[0,0,1]
	v_mov_b32_e32 v15, v27
	s_cbranch_execz .LBB69_84
	s_branch .LBB69_85
.LBB69_83:
                                        ; implicit-def: $vgpr14_vgpr15
.LBB69_84:
	ds_load_b64 v[14:15], v13
.LBB69_85:
	s_mov_b32 s5, exec_lo
	v_cmpx_ne_u32_e32 3, v20
	s_cbranch_execz .LBB69_89
; %bb.86:
	v_dual_mov_b32 v23, v20 :: v_dual_add_nc_u32 v18, 56, v12
	v_add3_u32 v19, v22, v12, 0x68
	s_mov_b32 s6, 0
.LBB69_87:                              ; =>This Inner Loop Header: Depth=1
	ds_load_b64 v[24:25], v19
	ds_load_b64 v[26:27], v18
	v_dual_add_nc_u32 v18, 8, v18 :: v_dual_add_nc_u32 v19, 8, v19
	s_wait_dscnt 0x0
	v_pk_mul_f32 v[28:29], v[26:27], v[24:25] op_sel:[1,1] op_sel_hi:[0,1]
	s_delay_alu instid0(VALU_DEP_1) | instskip(SKIP_2) | instid1(VALU_DEP_3)
	v_pk_fma_f32 v[30:31], v[26:27], v[24:25], v[28:29] op_sel_hi:[1,0,1]
	v_add_nc_u32_e32 v23, 1, v23
	v_pk_fma_f32 v[24:25], v[26:27], v[24:25], v[28:29] neg_lo:[0,0,1] neg_hi:[0,0,1]
	v_mov_b32_e32 v25, v31
	s_delay_alu instid0(VALU_DEP_3) | instskip(NEXT) | instid1(VALU_DEP_2)
	v_cmp_lt_u32_e32 vcc_lo, 2, v23
	v_pk_add_f32 v[14:15], v[14:15], v[24:25]
	s_or_b32 s6, vcc_lo, s6
	s_delay_alu instid0(SALU_CYCLE_1)
	s_and_not1_b32 exec_lo, exec_lo, s6
	s_cbranch_execnz .LBB69_87
; %bb.88:
	s_or_b32 exec_lo, exec_lo, s6
.LBB69_89:
	s_delay_alu instid0(SALU_CYCLE_1) | instskip(SKIP_4) | instid1(VALU_DEP_1)
	s_or_b32 exec_lo, exec_lo, s5
	v_mov_b32_e32 v18, 0
	ds_load_b64 v[18:19], v18 offset:32
	s_wait_dscnt 0x0
	v_pk_mul_f32 v[24:25], v[14:15], v[18:19] op_sel:[1,1] op_sel_hi:[0,1]
	v_pk_fma_f32 v[26:27], v[14:15], v[18:19], v[24:25] op_sel_hi:[1,0,1]
	v_pk_fma_f32 v[14:15], v[14:15], v[18:19], v[24:25] neg_lo:[0,0,1] neg_hi:[0,0,1]
	s_delay_alu instid0(VALU_DEP_2)
	v_mov_b32_e32 v15, v27
	ds_store_b64 v21, v[14:15] offset:32
.LBB69_90:
	s_or_b32 exec_lo, exec_lo, s4
	ds_load_b64 v[14:15], v21 offset:40
	s_mov_b32 s4, exec_lo
                                        ; implicit-def: $vgpr18
                                        ; implicit-def: $vgpr19
	s_wait_dscnt 0x0
	ds_store_b64 v13, v[14:15]
	s_wait_dscnt 0x0
	s_barrier_signal -1
	s_barrier_wait -1
	v_cmpx_ne_u32_e32 5, v20
	s_cbranch_execz .LBB69_100
; %bb.91:
	v_cmp_ne_u32_e32 vcc_lo, 1, v17
	s_cbranch_vccnz .LBB69_93
; %bb.92:
	ds_load_b64 v[16:17], v16
	ds_load_b64 v[18:19], v13
	s_wait_dscnt 0x0
	v_dual_mul_f32 v14, v19, v17 :: v_dual_mul_f32 v15, v18, v17
	s_delay_alu instid0(VALU_DEP_1)
	v_dual_fma_f32 v14, v18, v16, -v14 :: v_dual_fmac_f32 v15, v19, v16
	s_cbranch_execz .LBB69_94
	s_branch .LBB69_95
.LBB69_93:
                                        ; implicit-def: $vgpr15
.LBB69_94:
	ds_load_b64 v[14:15], v13
.LBB69_95:
	s_and_saveexec_b32 s5, s0
	s_cbranch_execz .LBB69_99
; %bb.96:
	v_add_nc_u32_e32 v13, 56, v12
	v_add3_u32 v12, v22, v12, 0x68
	s_mov_b32 s0, 0
.LBB69_97:                              ; =>This Inner Loop Header: Depth=1
	ds_load_b64 v[16:17], v12
	ds_load_b64 v[18:19], v13
	v_dual_add_nc_u32 v20, 1, v20 :: v_dual_add_nc_u32 v13, 8, v13
	s_delay_alu instid0(VALU_DEP_1) | instskip(SKIP_3) | instid1(VALU_DEP_1)
	v_cmp_lt_u32_e32 vcc_lo, 3, v20
	s_or_b32 s0, vcc_lo, s0
	s_wait_dscnt 0x0
	v_dual_mul_f32 v22, v19, v17 :: v_dual_mul_f32 v17, v18, v17
	v_dual_fma_f32 v18, v18, v16, -v22 :: v_dual_fmac_f32 v17, v19, v16
	s_delay_alu instid0(VALU_DEP_1) | instskip(NEXT) | instid1(VALU_DEP_2)
	v_dual_add_nc_u32 v12, 8, v12 :: v_dual_add_f32 v14, v14, v18
	v_add_f32_e32 v15, v15, v17
	s_and_not1_b32 exec_lo, exec_lo, s0
	s_cbranch_execnz .LBB69_97
; %bb.98:
	s_or_b32 exec_lo, exec_lo, s0
.LBB69_99:
	s_delay_alu instid0(SALU_CYCLE_1)
	s_or_b32 exec_lo, exec_lo, s5
	v_mov_b32_e32 v12, 0
	s_or_b32 s1, s1, exec_lo
	ds_load_b64 v[12:13], v12 offset:40
	s_wait_dscnt 0x0
	v_dual_mul_f32 v16, v15, v13 :: v_dual_mul_f32 v18, v14, v13
	s_delay_alu instid0(VALU_DEP_1) | instskip(NEXT) | instid1(VALU_DEP_2)
	v_dual_fma_f32 v13, v14, v12, -v16 :: v_dual_add_nc_u32 v19, 44, v21
	v_fmac_f32_e32 v18, v15, v12
	ds_store_b32 v21, v13 offset:40
.LBB69_100:
	s_or_b32 exec_lo, exec_lo, s4
.LBB69_101:
	v_lshl_add_u64 v[14:15], v[4:5], 3, s[2:3]
	v_lshl_add_u64 v[12:13], v[6:7], 3, s[2:3]
	;; [unrolled: 1-line block ×4, first 2 shown]
	s_and_saveexec_b32 s0, s1
; %bb.102:
	ds_store_b32 v19, v18
; %bb.103:
	s_or_b32 exec_lo, exec_lo, s0
	ds_load_b64 v[8:9], v21
	s_wait_dscnt 0x0
	flat_store_b64 v[0:1], v[8:9]
	s_wait_xcnt 0x0
	ds_load_b64 v[0:1], v21 offset:8
	s_wait_dscnt 0x0
	flat_store_b64 v[2:3], v[0:1]
	s_wait_xcnt 0x0
	ds_load_b64 v[0:1], v21 offset:16
	;; [unrolled: 4-line block ×5, first 2 shown]
	s_wait_dscnt 0x0
	flat_store_b64 v[4:5], v[0:1]
.LBB69_104:
	s_endpgm
	.section	.rodata,"a",@progbits
	.p2align	6, 0x0
	.amdhsa_kernel _ZN9rocsolver6v33100L18trti2_kernel_smallILi6E19rocblas_complex_numIfEPKPS3_EEv13rocblas_fill_17rocblas_diagonal_T1_iil
		.amdhsa_group_segment_fixed_size 3168
		.amdhsa_private_segment_fixed_size 0
		.amdhsa_kernarg_size 32
		.amdhsa_user_sgpr_count 4
		.amdhsa_user_sgpr_dispatch_ptr 1
		.amdhsa_user_sgpr_queue_ptr 0
		.amdhsa_user_sgpr_kernarg_segment_ptr 1
		.amdhsa_user_sgpr_dispatch_id 0
		.amdhsa_user_sgpr_kernarg_preload_length 0
		.amdhsa_user_sgpr_kernarg_preload_offset 0
		.amdhsa_user_sgpr_private_segment_size 0
		.amdhsa_wavefront_size32 1
		.amdhsa_uses_dynamic_stack 0
		.amdhsa_enable_private_segment 0
		.amdhsa_system_sgpr_workgroup_id_x 1
		.amdhsa_system_sgpr_workgroup_id_y 0
		.amdhsa_system_sgpr_workgroup_id_z 0
		.amdhsa_system_sgpr_workgroup_info 0
		.amdhsa_system_vgpr_workitem_id 2
		.amdhsa_next_free_vgpr 32
		.amdhsa_next_free_sgpr 12
		.amdhsa_named_barrier_count 0
		.amdhsa_reserve_vcc 1
		.amdhsa_float_round_mode_32 0
		.amdhsa_float_round_mode_16_64 0
		.amdhsa_float_denorm_mode_32 3
		.amdhsa_float_denorm_mode_16_64 3
		.amdhsa_fp16_overflow 0
		.amdhsa_memory_ordered 1
		.amdhsa_forward_progress 1
		.amdhsa_inst_pref_size 33
		.amdhsa_round_robin_scheduling 0
		.amdhsa_exception_fp_ieee_invalid_op 0
		.amdhsa_exception_fp_denorm_src 0
		.amdhsa_exception_fp_ieee_div_zero 0
		.amdhsa_exception_fp_ieee_overflow 0
		.amdhsa_exception_fp_ieee_underflow 0
		.amdhsa_exception_fp_ieee_inexact 0
		.amdhsa_exception_int_div_zero 0
	.end_amdhsa_kernel
	.section	.text._ZN9rocsolver6v33100L18trti2_kernel_smallILi6E19rocblas_complex_numIfEPKPS3_EEv13rocblas_fill_17rocblas_diagonal_T1_iil,"axG",@progbits,_ZN9rocsolver6v33100L18trti2_kernel_smallILi6E19rocblas_complex_numIfEPKPS3_EEv13rocblas_fill_17rocblas_diagonal_T1_iil,comdat
.Lfunc_end69:
	.size	_ZN9rocsolver6v33100L18trti2_kernel_smallILi6E19rocblas_complex_numIfEPKPS3_EEv13rocblas_fill_17rocblas_diagonal_T1_iil, .Lfunc_end69-_ZN9rocsolver6v33100L18trti2_kernel_smallILi6E19rocblas_complex_numIfEPKPS3_EEv13rocblas_fill_17rocblas_diagonal_T1_iil
                                        ; -- End function
	.set _ZN9rocsolver6v33100L18trti2_kernel_smallILi6E19rocblas_complex_numIfEPKPS3_EEv13rocblas_fill_17rocblas_diagonal_T1_iil.num_vgpr, 32
	.set _ZN9rocsolver6v33100L18trti2_kernel_smallILi6E19rocblas_complex_numIfEPKPS3_EEv13rocblas_fill_17rocblas_diagonal_T1_iil.num_agpr, 0
	.set _ZN9rocsolver6v33100L18trti2_kernel_smallILi6E19rocblas_complex_numIfEPKPS3_EEv13rocblas_fill_17rocblas_diagonal_T1_iil.numbered_sgpr, 12
	.set _ZN9rocsolver6v33100L18trti2_kernel_smallILi6E19rocblas_complex_numIfEPKPS3_EEv13rocblas_fill_17rocblas_diagonal_T1_iil.num_named_barrier, 0
	.set _ZN9rocsolver6v33100L18trti2_kernel_smallILi6E19rocblas_complex_numIfEPKPS3_EEv13rocblas_fill_17rocblas_diagonal_T1_iil.private_seg_size, 0
	.set _ZN9rocsolver6v33100L18trti2_kernel_smallILi6E19rocblas_complex_numIfEPKPS3_EEv13rocblas_fill_17rocblas_diagonal_T1_iil.uses_vcc, 1
	.set _ZN9rocsolver6v33100L18trti2_kernel_smallILi6E19rocblas_complex_numIfEPKPS3_EEv13rocblas_fill_17rocblas_diagonal_T1_iil.uses_flat_scratch, 0
	.set _ZN9rocsolver6v33100L18trti2_kernel_smallILi6E19rocblas_complex_numIfEPKPS3_EEv13rocblas_fill_17rocblas_diagonal_T1_iil.has_dyn_sized_stack, 0
	.set _ZN9rocsolver6v33100L18trti2_kernel_smallILi6E19rocblas_complex_numIfEPKPS3_EEv13rocblas_fill_17rocblas_diagonal_T1_iil.has_recursion, 0
	.set _ZN9rocsolver6v33100L18trti2_kernel_smallILi6E19rocblas_complex_numIfEPKPS3_EEv13rocblas_fill_17rocblas_diagonal_T1_iil.has_indirect_call, 0
	.section	.AMDGPU.csdata,"",@progbits
; Kernel info:
; codeLenInByte = 4144
; TotalNumSgprs: 14
; NumVgprs: 32
; ScratchSize: 0
; MemoryBound: 0
; FloatMode: 240
; IeeeMode: 1
; LDSByteSize: 3168 bytes/workgroup (compile time only)
; SGPRBlocks: 0
; VGPRBlocks: 1
; NumSGPRsForWavesPerEU: 14
; NumVGPRsForWavesPerEU: 32
; NamedBarCnt: 0
; Occupancy: 16
; WaveLimiterHint : 1
; COMPUTE_PGM_RSRC2:SCRATCH_EN: 0
; COMPUTE_PGM_RSRC2:USER_SGPR: 4
; COMPUTE_PGM_RSRC2:TRAP_HANDLER: 0
; COMPUTE_PGM_RSRC2:TGID_X_EN: 1
; COMPUTE_PGM_RSRC2:TGID_Y_EN: 0
; COMPUTE_PGM_RSRC2:TGID_Z_EN: 0
; COMPUTE_PGM_RSRC2:TIDIG_COMP_CNT: 2
	.section	.text._ZN9rocsolver6v33100L18trti2_kernel_smallILi7E19rocblas_complex_numIfEPKPS3_EEv13rocblas_fill_17rocblas_diagonal_T1_iil,"axG",@progbits,_ZN9rocsolver6v33100L18trti2_kernel_smallILi7E19rocblas_complex_numIfEPKPS3_EEv13rocblas_fill_17rocblas_diagonal_T1_iil,comdat
	.globl	_ZN9rocsolver6v33100L18trti2_kernel_smallILi7E19rocblas_complex_numIfEPKPS3_EEv13rocblas_fill_17rocblas_diagonal_T1_iil ; -- Begin function _ZN9rocsolver6v33100L18trti2_kernel_smallILi7E19rocblas_complex_numIfEPKPS3_EEv13rocblas_fill_17rocblas_diagonal_T1_iil
	.p2align	8
	.type	_ZN9rocsolver6v33100L18trti2_kernel_smallILi7E19rocblas_complex_numIfEPKPS3_EEv13rocblas_fill_17rocblas_diagonal_T1_iil,@function
_ZN9rocsolver6v33100L18trti2_kernel_smallILi7E19rocblas_complex_numIfEPKPS3_EEv13rocblas_fill_17rocblas_diagonal_T1_iil: ; @_ZN9rocsolver6v33100L18trti2_kernel_smallILi7E19rocblas_complex_numIfEPKPS3_EEv13rocblas_fill_17rocblas_diagonal_T1_iil
; %bb.0:
	v_and_b32_e32 v22, 0x3ff, v0
	s_mov_b32 s4, exec_lo
	s_delay_alu instid0(VALU_DEP_1)
	v_cmpx_gt_u32_e32 7, v22
	s_cbranch_execz .LBB70_124
; %bb.1:
	s_load_b64 s[8:9], s[0:1], 0x4
	s_clause 0x1
	s_load_b64 s[10:11], s[2:3], 0x10
	s_load_b128 s[4:7], s[2:3], 0x0
	s_wait_xcnt 0x0
	s_bfe_u32 s0, ttmp6, 0x4000c
	s_and_b32 s1, ttmp6, 15
	s_add_co_i32 s0, s0, 1
	s_getreg_b32 s2, hwreg(HW_REG_IB_STS2, 6, 4)
	s_mul_i32 s0, ttmp9, s0
	v_bfe_u32 v1, v0, 10, 10
	s_add_co_i32 s0, s1, s0
	v_bfe_u32 v0, v0, 20, 10
	v_dual_mov_b32 v15, 0 :: v_dual_lshlrev_b32 v14, 3, v22
	s_wait_kmcnt 0x0
	s_lshr_b32 s8, s8, 16
	s_ashr_i32 s1, s10, 31
	s_cmp_eq_u32 s2, 0
	s_mul_i32 s8, s8, s9
	s_cselect_b32 s2, ttmp9, s0
	s_mov_b32 s0, s10
	s_ashr_i32 s3, s2, 31
	s_lshl_b64 s[0:1], s[0:1], 3
	s_lshl_b64 s[2:3], s[2:3], 3
	v_mul_u32_u24_e32 v1, s9, v1
	s_add_nc_u64 s[2:3], s[6:7], s[2:3]
	v_mul_u32_u24_e32 v2, s8, v22
	s_load_b64 s[2:3], s[2:3], 0x0
	s_delay_alu instid0(VALU_DEP_1) | instskip(NEXT) | instid1(VALU_DEP_1)
	v_add3_u32 v25, v2, v1, v0
	v_mul_lo_u32 v24, v25, 56
	s_delay_alu instid0(VALU_DEP_1)
	v_add_nc_u32_e32 v23, 0x80, v24
	s_wait_kmcnt 0x0
	s_add_nc_u64 s[2:3], s[2:3], s[0:1]
	s_mov_b32 s0, s11
	flat_load_b64 v[4:5], v22, s[2:3] scale_offset
	v_add_nc_u64_e32 v[0:1], s[2:3], v[14:15]
	s_ashr_i32 s1, s11, 31
	s_cmp_lg_u32 s5, 0x84
	s_cselect_b32 s5, -1, 0
	s_delay_alu instid0(SALU_CYCLE_1) | instskip(NEXT) | instid1(VALU_DEP_1)
	s_and_b32 vcc_lo, exec_lo, s5
	v_lshl_add_u64 v[2:3], s[0:1], 3, v[0:1]
	s_mov_b32 s0, -1
	s_wait_loadcnt_dscnt 0x0
	ds_store_b64 v24, v[4:5] offset:128
	flat_load_b64 v[6:7], v[2:3]
	v_add3_u32 v4, s11, s11, v22
	s_wait_loadcnt_dscnt 0x0
	ds_store_b64 v24, v[6:7] offset:136
	flat_load_b64 v[8:9], v4, s[2:3] scale_offset
	v_add_nc_u32_e32 v6, s11, v4
	s_wait_loadcnt_dscnt 0x0
	ds_store_b64 v24, v[8:9] offset:144
	flat_load_b64 v[10:11], v6, s[2:3] scale_offset
	v_add_nc_u32_e32 v8, s11, v6
	;; [unrolled: 4-line block ×4, first 2 shown]
	s_wait_loadcnt_dscnt 0x0
	ds_store_b64 v24, v[16:17] offset:168
	flat_load_b64 v[16:17], v12, s[2:3] scale_offset
	s_wait_loadcnt_dscnt 0x0
	ds_store_b64 v24, v[16:17] offset:176
	s_cbranch_vccz .LBB70_7
; %bb.2:
	v_lshl_add_u32 v5, v22, 3, v23
                                        ; implicit-def: $vgpr21
                                        ; implicit-def: $vgpr18
	ds_load_b64 v[16:17], v5
	s_wait_dscnt 0x0
	v_cmp_ngt_f32_e64 s0, |v16|, |v17|
	s_and_saveexec_b32 s1, s0
	s_delay_alu instid0(SALU_CYCLE_1)
	s_xor_b32 s0, exec_lo, s1
	s_cbranch_execz .LBB70_4
; %bb.3:
	v_div_scale_f32 v7, null, v17, v17, v16
	v_div_scale_f32 v13, vcc_lo, v16, v17, v16
	s_delay_alu instid0(VALU_DEP_2) | instskip(SKIP_1) | instid1(TRANS32_DEP_1)
	v_rcp_f32_e32 v9, v7
	v_nop
	v_fma_f32 v11, -v7, v9, 1.0
	s_delay_alu instid0(VALU_DEP_1) | instskip(NEXT) | instid1(VALU_DEP_1)
	v_fmac_f32_e32 v9, v11, v9
	v_mul_f32_e32 v11, v13, v9
	s_delay_alu instid0(VALU_DEP_1) | instskip(NEXT) | instid1(VALU_DEP_1)
	v_fma_f32 v15, -v7, v11, v13
	v_fmac_f32_e32 v11, v15, v9
	s_delay_alu instid0(VALU_DEP_1) | instskip(NEXT) | instid1(VALU_DEP_1)
	v_fma_f32 v7, -v7, v11, v13
	v_div_fmas_f32 v7, v7, v9, v11
	s_delay_alu instid0(VALU_DEP_1) | instskip(NEXT) | instid1(VALU_DEP_1)
	v_div_fixup_f32 v7, v7, v17, v16
	v_fmac_f32_e32 v17, v16, v7
	s_delay_alu instid0(VALU_DEP_1) | instskip(NEXT) | instid1(VALU_DEP_1)
	v_div_scale_f32 v9, null, v17, v17, -1.0
	v_rcp_f32_e32 v11, v9
	v_nop
	s_delay_alu instid0(TRANS32_DEP_1) | instskip(NEXT) | instid1(VALU_DEP_1)
	v_fma_f32 v13, -v9, v11, 1.0
	v_fmac_f32_e32 v11, v13, v11
	v_div_scale_f32 v13, vcc_lo, -1.0, v17, -1.0
	s_delay_alu instid0(VALU_DEP_1) | instskip(NEXT) | instid1(VALU_DEP_1)
	v_mul_f32_e32 v15, v13, v11
	v_fma_f32 v16, -v9, v15, v13
	s_delay_alu instid0(VALU_DEP_1) | instskip(NEXT) | instid1(VALU_DEP_1)
	v_fmac_f32_e32 v15, v16, v11
	v_fma_f32 v9, -v9, v15, v13
	s_delay_alu instid0(VALU_DEP_1) | instskip(NEXT) | instid1(VALU_DEP_1)
	v_div_fmas_f32 v9, v9, v11, v15
	v_div_fixup_f32 v21, v9, v17, -1.0
                                        ; implicit-def: $vgpr16_vgpr17
	s_delay_alu instid0(VALU_DEP_1) | instskip(NEXT) | instid1(VALU_DEP_1)
	v_mul_f32_e32 v18, v7, v21
	v_xor_b32_e32 v20, 0x80000000, v18
.LBB70_4:
	s_and_not1_saveexec_b32 s0, s0
	s_cbranch_execz .LBB70_6
; %bb.5:
	v_div_scale_f32 v7, null, v16, v16, v17
	v_div_scale_f32 v13, vcc_lo, v17, v16, v17
	s_delay_alu instid0(VALU_DEP_2) | instskip(SKIP_1) | instid1(TRANS32_DEP_1)
	v_rcp_f32_e32 v9, v7
	v_nop
	v_fma_f32 v11, -v7, v9, 1.0
	s_delay_alu instid0(VALU_DEP_1) | instskip(NEXT) | instid1(VALU_DEP_1)
	v_fmac_f32_e32 v9, v11, v9
	v_mul_f32_e32 v11, v13, v9
	s_delay_alu instid0(VALU_DEP_1) | instskip(NEXT) | instid1(VALU_DEP_1)
	v_fma_f32 v15, -v7, v11, v13
	v_fmac_f32_e32 v11, v15, v9
	s_delay_alu instid0(VALU_DEP_1) | instskip(NEXT) | instid1(VALU_DEP_1)
	v_fma_f32 v7, -v7, v11, v13
	v_div_fmas_f32 v7, v7, v9, v11
	s_delay_alu instid0(VALU_DEP_1) | instskip(NEXT) | instid1(VALU_DEP_1)
	v_div_fixup_f32 v7, v7, v16, v17
	v_fmac_f32_e32 v16, v17, v7
	s_delay_alu instid0(VALU_DEP_1) | instskip(SKIP_1) | instid1(VALU_DEP_2)
	v_div_scale_f32 v9, null, v16, v16, 1.0
	v_div_scale_f32 v15, vcc_lo, 1.0, v16, 1.0
	v_rcp_f32_e32 v11, v9
	v_nop
	s_delay_alu instid0(TRANS32_DEP_1) | instskip(NEXT) | instid1(VALU_DEP_1)
	v_fma_f32 v13, -v9, v11, 1.0
	v_fmac_f32_e32 v11, v13, v11
	s_delay_alu instid0(VALU_DEP_1) | instskip(NEXT) | instid1(VALU_DEP_1)
	v_mul_f32_e32 v13, v15, v11
	v_fma_f32 v17, -v9, v13, v15
	s_delay_alu instid0(VALU_DEP_1) | instskip(NEXT) | instid1(VALU_DEP_1)
	v_fmac_f32_e32 v13, v17, v11
	v_fma_f32 v9, -v9, v13, v15
	s_delay_alu instid0(VALU_DEP_1) | instskip(NEXT) | instid1(VALU_DEP_1)
	v_div_fmas_f32 v9, v9, v11, v13
	v_div_fixup_f32 v20, v9, v16, 1.0
	s_delay_alu instid0(VALU_DEP_1)
	v_xor_b32_e32 v18, 0x80000000, v20
	v_mul_f32_e64 v21, v7, -v20
.LBB70_6:
	s_or_b32 exec_lo, exec_lo, s0
	s_delay_alu instid0(VALU_DEP_1)
	v_xor_b32_e32 v19, 0x80000000, v21
	s_mov_b32 s0, 0
	ds_store_b64 v5, v[20:21]
	ds_store_b64 v14, v[18:19]
.LBB70_7:
	s_and_b32 vcc_lo, exec_lo, s0
	s_cbranch_vccz .LBB70_9
; %bb.8:
	s_mov_b64 s[0:1], 0xbf800000
	s_delay_alu instid0(SALU_CYCLE_1)
	v_mov_b64_e32 v[16:17], s[0:1]
	ds_store_b64 v14, v[16:17]
.LBB70_9:
	v_dual_ashrrev_i32 v5, 31, v4 :: v_dual_ashrrev_i32 v7, 31, v6
	v_dual_ashrrev_i32 v9, 31, v8 :: v_dual_ashrrev_i32 v11, 31, v10
	v_dual_ashrrev_i32 v13, 31, v12 :: v_dual_add_nc_u32 v15, 64, v14
	v_add_nc_u32_e32 v18, v23, v14
	s_cmp_eq_u32 s4, 0x79
	s_cbranch_scc1 .LBB70_13
; %bb.10:
	ds_load_b64 v[16:17], v23 offset:40
	v_cmp_eq_u32_e64 s0, 6, v22
	s_wait_dscnt 0x0
	ds_store_b64 v15, v[16:17]
	s_wait_dscnt 0x0
	s_barrier_signal -1
	s_barrier_wait -1
	s_and_saveexec_b32 s1, s0
	s_cbranch_execz .LBB70_17
; %bb.11:
	s_and_b32 vcc_lo, exec_lo, s5
	s_cbranch_vccz .LBB70_14
; %bb.12:
	ds_load_b64 v[16:17], v18
	ds_load_b64 v[20:21], v15
	s_wait_dscnt 0x0
	v_pk_mul_f32 v[26:27], v[20:21], v[16:17] op_sel:[1,1] op_sel_hi:[0,1]
	v_pk_mul_f32 v[28:29], v[20:21], v[16:17] op_sel_hi:[1,0]
	s_delay_alu instid0(VALU_DEP_2) | instskip(NEXT) | instid1(VALU_DEP_2)
	v_pk_fma_f32 v[16:17], v[20:21], v[16:17], v[26:27] op_sel_hi:[1,0,1]
	v_sub_f32_e32 v16, v28, v26
	s_cbranch_execz .LBB70_15
	s_branch .LBB70_16
.LBB70_13:
	s_mov_b32 s1, 0
                                        ; implicit-def: $vgpr20
                                        ; implicit-def: $vgpr21
	s_cbranch_execnz .LBB70_66
	s_branch .LBB70_121
.LBB70_14:
                                        ; implicit-def: $vgpr17
.LBB70_15:
	ds_load_b64 v[16:17], v15
.LBB70_16:
	s_wait_dscnt 0x0
	v_dual_mov_b32 v19, 0 :: v_dual_mov_b32 v26, v17
	v_mov_b32_e32 v27, v16
	ds_load_b64 v[20:21], v19 offset:40
	s_wait_dscnt 0x0
	v_pk_mul_f32 v[26:27], v[26:27], v[20:21] op_sel:[0,1]
	s_delay_alu instid0(VALU_DEP_1) | instskip(SKIP_1) | instid1(VALU_DEP_2)
	v_pk_fma_f32 v[28:29], v[16:17], v[20:21], v[26:27] op_sel_hi:[1,0,1]
	v_pk_fma_f32 v[16:17], v[16:17], v[20:21], v[26:27] neg_lo:[0,0,1] neg_hi:[0,0,1]
	v_mov_b32_e32 v17, v29
	ds_store_b64 v23, v[16:17] offset:40
.LBB70_17:
	s_or_b32 exec_lo, exec_lo, s1
	ds_load_b64 v[16:17], v23 offset:32
	v_cmp_lt_u32_e64 s1, 4, v22
	s_wait_dscnt 0x0
	ds_store_b64 v15, v[16:17]
	s_wait_dscnt 0x0
	s_barrier_signal -1
	s_barrier_wait -1
	s_and_saveexec_b32 s4, s1
	s_cbranch_execz .LBB70_25
; %bb.18:
	s_and_not1_b32 vcc_lo, exec_lo, s5
	s_cbranch_vccnz .LBB70_20
; %bb.19:
	ds_load_b64 v[16:17], v18
	ds_load_b64 v[20:21], v15
	s_wait_dscnt 0x0
	v_pk_mul_f32 v[26:27], v[20:21], v[16:17] op_sel:[1,1] op_sel_hi:[0,1]
	s_delay_alu instid0(VALU_DEP_1) | instskip(SKIP_1) | instid1(VALU_DEP_2)
	v_pk_fma_f32 v[28:29], v[20:21], v[16:17], v[26:27] op_sel_hi:[1,0,1]
	v_pk_fma_f32 v[16:17], v[20:21], v[16:17], v[26:27] neg_lo:[0,0,1] neg_hi:[0,0,1]
	v_mov_b32_e32 v17, v29
	s_cbranch_execz .LBB70_21
	s_branch .LBB70_22
.LBB70_20:
                                        ; implicit-def: $vgpr16_vgpr17
.LBB70_21:
	ds_load_b64 v[16:17], v15
.LBB70_22:
	s_and_saveexec_b32 s6, s0
	s_cbranch_execz .LBB70_24
; %bb.23:
	v_mov_b32_e32 v19, 0
	ds_load_b64 v[20:21], v23 offset:40
	ds_load_b64 v[26:27], v19 offset:104
	s_wait_dscnt 0x0
	v_pk_mul_f32 v[28:29], v[26:27], v[20:21] op_sel:[1,1] op_sel_hi:[0,1]
	s_delay_alu instid0(VALU_DEP_1) | instskip(SKIP_1) | instid1(VALU_DEP_2)
	v_pk_fma_f32 v[30:31], v[26:27], v[20:21], v[28:29] op_sel_hi:[1,0,1]
	v_pk_fma_f32 v[20:21], v[26:27], v[20:21], v[28:29] neg_lo:[0,0,1] neg_hi:[0,0,1]
	v_mov_b32_e32 v21, v31
	s_delay_alu instid0(VALU_DEP_1)
	v_pk_add_f32 v[16:17], v[16:17], v[20:21]
.LBB70_24:
	s_or_b32 exec_lo, exec_lo, s6
	v_mov_b32_e32 v19, 0
	ds_load_b64 v[20:21], v19 offset:32
	s_wait_dscnt 0x0
	v_pk_mul_f32 v[26:27], v[16:17], v[20:21] op_sel:[1,1] op_sel_hi:[0,1]
	s_delay_alu instid0(VALU_DEP_1) | instskip(SKIP_1) | instid1(VALU_DEP_2)
	v_pk_fma_f32 v[28:29], v[16:17], v[20:21], v[26:27] op_sel_hi:[1,0,1]
	v_pk_fma_f32 v[16:17], v[16:17], v[20:21], v[26:27] neg_lo:[0,0,1] neg_hi:[0,0,1]
	v_mov_b32_e32 v17, v29
	ds_store_b64 v23, v[16:17] offset:32
.LBB70_25:
	s_or_b32 exec_lo, exec_lo, s4
	ds_load_b64 v[16:17], v23 offset:24
	v_cmp_lt_u32_e64 s0, 3, v22
	s_wait_dscnt 0x0
	ds_store_b64 v15, v[16:17]
	s_wait_dscnt 0x0
	s_barrier_signal -1
	s_barrier_wait -1
	s_and_saveexec_b32 s4, s0
	s_cbranch_execz .LBB70_35
; %bb.26:
	s_and_not1_b32 vcc_lo, exec_lo, s5
	s_cbranch_vccnz .LBB70_28
; %bb.27:
	ds_load_b64 v[16:17], v18
	ds_load_b64 v[20:21], v15
	s_wait_dscnt 0x0
	v_pk_mul_f32 v[26:27], v[20:21], v[16:17] op_sel:[1,1] op_sel_hi:[0,1]
	s_delay_alu instid0(VALU_DEP_1) | instskip(SKIP_1) | instid1(VALU_DEP_2)
	v_pk_fma_f32 v[28:29], v[20:21], v[16:17], v[26:27] op_sel_hi:[1,0,1]
	v_pk_fma_f32 v[16:17], v[20:21], v[16:17], v[26:27] neg_lo:[0,0,1] neg_hi:[0,0,1]
	v_mov_b32_e32 v17, v29
	s_cbranch_execz .LBB70_29
	s_branch .LBB70_30
.LBB70_28:
                                        ; implicit-def: $vgpr16_vgpr17
.LBB70_29:
	ds_load_b64 v[16:17], v15
.LBB70_30:
	s_and_saveexec_b32 s6, s1
	s_cbranch_execz .LBB70_34
; %bb.31:
	v_mad_u32 v19, v25, 56, 0xa0
	v_add_nc_u32_e32 v20, -4, v22
	s_movk_i32 s7, 0x60
	s_mov_b32 s1, 0
.LBB70_32:                              ; =>This Inner Loop Header: Depth=1
	s_delay_alu instid0(VALU_DEP_1)
	v_dual_mov_b32 v21, s7 :: v_dual_add_nc_u32 v20, -1, v20
	s_add_co_i32 s7, s7, 8
	ds_load_b64 v[26:27], v19
	ds_load_b64 v[28:29], v21
	v_add_nc_u32_e32 v19, 8, v19
	v_cmp_eq_u32_e32 vcc_lo, 0, v20
	s_or_b32 s1, vcc_lo, s1
	s_wait_dscnt 0x0
	v_pk_mul_f32 v[30:31], v[28:29], v[26:27] op_sel:[1,1] op_sel_hi:[0,1]
	s_delay_alu instid0(VALU_DEP_1) | instskip(SKIP_1) | instid1(VALU_DEP_2)
	v_pk_fma_f32 v[32:33], v[28:29], v[26:27], v[30:31] op_sel_hi:[1,0,1]
	v_pk_fma_f32 v[26:27], v[28:29], v[26:27], v[30:31] neg_lo:[0,0,1] neg_hi:[0,0,1]
	v_mov_b32_e32 v27, v33
	s_delay_alu instid0(VALU_DEP_1)
	v_pk_add_f32 v[16:17], v[16:17], v[26:27]
	s_and_not1_b32 exec_lo, exec_lo, s1
	s_cbranch_execnz .LBB70_32
; %bb.33:
	s_or_b32 exec_lo, exec_lo, s1
.LBB70_34:
	s_delay_alu instid0(SALU_CYCLE_1) | instskip(SKIP_4) | instid1(VALU_DEP_1)
	s_or_b32 exec_lo, exec_lo, s6
	v_mov_b32_e32 v19, 0
	ds_load_b64 v[20:21], v19 offset:24
	s_wait_dscnt 0x0
	v_pk_mul_f32 v[26:27], v[16:17], v[20:21] op_sel:[1,1] op_sel_hi:[0,1]
	v_pk_fma_f32 v[28:29], v[16:17], v[20:21], v[26:27] op_sel_hi:[1,0,1]
	v_pk_fma_f32 v[16:17], v[16:17], v[20:21], v[26:27] neg_lo:[0,0,1] neg_hi:[0,0,1]
	s_delay_alu instid0(VALU_DEP_2)
	v_mov_b32_e32 v17, v29
	ds_store_b64 v23, v[16:17] offset:24
.LBB70_35:
	s_or_b32 exec_lo, exec_lo, s4
	ds_load_b64 v[16:17], v23 offset:16
	v_cmp_lt_u32_e64 s1, 2, v22
	s_wait_dscnt 0x0
	ds_store_b64 v15, v[16:17]
	s_wait_dscnt 0x0
	s_barrier_signal -1
	s_barrier_wait -1
	s_and_saveexec_b32 s4, s1
	s_cbranch_execz .LBB70_45
; %bb.36:
	s_and_not1_b32 vcc_lo, exec_lo, s5
	s_cbranch_vccnz .LBB70_38
; %bb.37:
	ds_load_b64 v[16:17], v18
	ds_load_b64 v[20:21], v15
	s_wait_dscnt 0x0
	v_pk_mul_f32 v[26:27], v[20:21], v[16:17] op_sel:[1,1] op_sel_hi:[0,1]
	s_delay_alu instid0(VALU_DEP_1) | instskip(SKIP_1) | instid1(VALU_DEP_2)
	v_pk_fma_f32 v[28:29], v[20:21], v[16:17], v[26:27] op_sel_hi:[1,0,1]
	v_pk_fma_f32 v[16:17], v[20:21], v[16:17], v[26:27] neg_lo:[0,0,1] neg_hi:[0,0,1]
	v_mov_b32_e32 v17, v29
	s_cbranch_execz .LBB70_39
	s_branch .LBB70_40
.LBB70_38:
                                        ; implicit-def: $vgpr16_vgpr17
.LBB70_39:
	ds_load_b64 v[16:17], v15
.LBB70_40:
	s_and_saveexec_b32 s6, s0
	s_cbranch_execz .LBB70_44
; %bb.41:
	v_mad_u32 v19, v25, 56, 0x98
	v_add_nc_u32_e32 v20, -3, v22
	s_movk_i32 s7, 0x58
	s_mov_b32 s0, 0
.LBB70_42:                              ; =>This Inner Loop Header: Depth=1
	s_delay_alu instid0(VALU_DEP_1)
	v_dual_mov_b32 v21, s7 :: v_dual_add_nc_u32 v20, -1, v20
	s_add_co_i32 s7, s7, 8
	ds_load_b64 v[26:27], v19
	ds_load_b64 v[28:29], v21
	v_add_nc_u32_e32 v19, 8, v19
	v_cmp_eq_u32_e32 vcc_lo, 0, v20
	s_or_b32 s0, vcc_lo, s0
	s_wait_dscnt 0x0
	v_pk_mul_f32 v[30:31], v[28:29], v[26:27] op_sel:[1,1] op_sel_hi:[0,1]
	s_delay_alu instid0(VALU_DEP_1) | instskip(SKIP_1) | instid1(VALU_DEP_2)
	v_pk_fma_f32 v[32:33], v[28:29], v[26:27], v[30:31] op_sel_hi:[1,0,1]
	v_pk_fma_f32 v[26:27], v[28:29], v[26:27], v[30:31] neg_lo:[0,0,1] neg_hi:[0,0,1]
	v_mov_b32_e32 v27, v33
	s_delay_alu instid0(VALU_DEP_1)
	v_pk_add_f32 v[16:17], v[16:17], v[26:27]
	s_and_not1_b32 exec_lo, exec_lo, s0
	s_cbranch_execnz .LBB70_42
; %bb.43:
	s_or_b32 exec_lo, exec_lo, s0
.LBB70_44:
	s_delay_alu instid0(SALU_CYCLE_1) | instskip(SKIP_4) | instid1(VALU_DEP_1)
	s_or_b32 exec_lo, exec_lo, s6
	v_mov_b32_e32 v19, 0
	ds_load_b64 v[20:21], v19 offset:16
	s_wait_dscnt 0x0
	v_pk_mul_f32 v[26:27], v[16:17], v[20:21] op_sel:[1,1] op_sel_hi:[0,1]
	v_pk_fma_f32 v[28:29], v[16:17], v[20:21], v[26:27] op_sel_hi:[1,0,1]
	v_pk_fma_f32 v[16:17], v[16:17], v[20:21], v[26:27] neg_lo:[0,0,1] neg_hi:[0,0,1]
	s_delay_alu instid0(VALU_DEP_2)
	v_mov_b32_e32 v17, v29
	ds_store_b64 v23, v[16:17] offset:16
.LBB70_45:
	s_or_b32 exec_lo, exec_lo, s4
	ds_load_b64 v[16:17], v23 offset:8
	v_cmp_lt_u32_e64 s0, 1, v22
	s_wait_dscnt 0x0
	ds_store_b64 v15, v[16:17]
	s_wait_dscnt 0x0
	s_barrier_signal -1
	s_barrier_wait -1
	s_and_saveexec_b32 s4, s0
	s_cbranch_execz .LBB70_55
; %bb.46:
	s_and_not1_b32 vcc_lo, exec_lo, s5
	s_cbranch_vccnz .LBB70_48
; %bb.47:
	ds_load_b64 v[16:17], v18
	ds_load_b64 v[20:21], v15
	s_wait_dscnt 0x0
	v_pk_mul_f32 v[26:27], v[20:21], v[16:17] op_sel:[1,1] op_sel_hi:[0,1]
	s_delay_alu instid0(VALU_DEP_1) | instskip(SKIP_1) | instid1(VALU_DEP_2)
	v_pk_fma_f32 v[28:29], v[20:21], v[16:17], v[26:27] op_sel_hi:[1,0,1]
	v_pk_fma_f32 v[16:17], v[20:21], v[16:17], v[26:27] neg_lo:[0,0,1] neg_hi:[0,0,1]
	v_mov_b32_e32 v17, v29
	s_cbranch_execz .LBB70_49
	s_branch .LBB70_50
.LBB70_48:
                                        ; implicit-def: $vgpr16_vgpr17
.LBB70_49:
	ds_load_b64 v[16:17], v15
.LBB70_50:
	s_and_saveexec_b32 s6, s1
	s_cbranch_execz .LBB70_54
; %bb.51:
	v_mad_u32 v19, v25, 56, 0x90
	v_add_nc_u32_e32 v20, -2, v22
	s_movk_i32 s7, 0x50
	s_mov_b32 s1, 0
.LBB70_52:                              ; =>This Inner Loop Header: Depth=1
	s_delay_alu instid0(VALU_DEP_1)
	v_dual_mov_b32 v21, s7 :: v_dual_add_nc_u32 v20, -1, v20
	s_add_co_i32 s7, s7, 8
	ds_load_b64 v[26:27], v19
	ds_load_b64 v[28:29], v21
	v_add_nc_u32_e32 v19, 8, v19
	v_cmp_eq_u32_e32 vcc_lo, 0, v20
	s_or_b32 s1, vcc_lo, s1
	s_wait_dscnt 0x0
	v_pk_mul_f32 v[30:31], v[28:29], v[26:27] op_sel:[1,1] op_sel_hi:[0,1]
	s_delay_alu instid0(VALU_DEP_1) | instskip(SKIP_1) | instid1(VALU_DEP_2)
	v_pk_fma_f32 v[32:33], v[28:29], v[26:27], v[30:31] op_sel_hi:[1,0,1]
	v_pk_fma_f32 v[26:27], v[28:29], v[26:27], v[30:31] neg_lo:[0,0,1] neg_hi:[0,0,1]
	v_mov_b32_e32 v27, v33
	s_delay_alu instid0(VALU_DEP_1)
	v_pk_add_f32 v[16:17], v[16:17], v[26:27]
	s_and_not1_b32 exec_lo, exec_lo, s1
	s_cbranch_execnz .LBB70_52
; %bb.53:
	s_or_b32 exec_lo, exec_lo, s1
.LBB70_54:
	s_delay_alu instid0(SALU_CYCLE_1) | instskip(SKIP_4) | instid1(VALU_DEP_1)
	s_or_b32 exec_lo, exec_lo, s6
	v_mov_b32_e32 v19, 0
	ds_load_b64 v[20:21], v19 offset:8
	s_wait_dscnt 0x0
	v_pk_mul_f32 v[26:27], v[16:17], v[20:21] op_sel:[1,1] op_sel_hi:[0,1]
	v_pk_fma_f32 v[28:29], v[16:17], v[20:21], v[26:27] op_sel_hi:[1,0,1]
	v_pk_fma_f32 v[16:17], v[16:17], v[20:21], v[26:27] neg_lo:[0,0,1] neg_hi:[0,0,1]
	s_delay_alu instid0(VALU_DEP_2)
	v_mov_b32_e32 v17, v29
	ds_store_b64 v23, v[16:17] offset:8
.LBB70_55:
	s_or_b32 exec_lo, exec_lo, s4
	ds_load_b64 v[16:17], v23
	s_mov_b32 s4, 0
	s_mov_b32 s1, 0
	s_mov_b32 s6, exec_lo
                                        ; implicit-def: $vgpr20
                                        ; implicit-def: $vgpr21
	s_wait_dscnt 0x0
	ds_store_b64 v15, v[16:17]
	s_wait_dscnt 0x0
	s_barrier_signal -1
	s_barrier_wait -1
	v_cmpx_ne_u32_e32 0, v22
	s_cbranch_execz .LBB70_65
; %bb.56:
	s_and_not1_b32 vcc_lo, exec_lo, s5
	s_cbranch_vccnz .LBB70_58
; %bb.57:
	ds_load_b64 v[20:21], v18
	ds_load_b64 v[26:27], v15
	s_wait_dscnt 0x0
	v_dual_mul_f32 v16, v27, v21 :: v_dual_mul_f32 v17, v26, v21
	s_delay_alu instid0(VALU_DEP_1)
	v_dual_fma_f32 v16, v26, v20, -v16 :: v_dual_fmac_f32 v17, v27, v20
	s_and_not1_b32 vcc_lo, exec_lo, s1
	s_cbranch_vccz .LBB70_59
	s_branch .LBB70_60
.LBB70_58:
                                        ; implicit-def: $vgpr16
.LBB70_59:
	ds_load_b64 v[16:17], v15
.LBB70_60:
	s_and_saveexec_b32 s1, s0
	s_cbranch_execz .LBB70_64
; %bb.61:
	v_mad_u32 v19, v25, 56, 0x88
	v_add_nc_u32_e32 v20, -1, v22
	s_movk_i32 s7, 0x48
	s_mov_b32 s0, 0
.LBB70_62:                              ; =>This Inner Loop Header: Depth=1
	v_mov_b32_e32 v21, s7
	s_add_co_i32 s7, s7, 8
	ds_load_b64 v[26:27], v19
	ds_load_b64 v[28:29], v21
	v_dual_add_nc_u32 v20, -1, v20 :: v_dual_add_nc_u32 v19, 8, v19
	s_delay_alu instid0(VALU_DEP_1) | instskip(SKIP_3) | instid1(VALU_DEP_1)
	v_cmp_eq_u32_e32 vcc_lo, 0, v20
	s_or_b32 s0, vcc_lo, s0
	s_wait_dscnt 0x0
	v_dual_mul_f32 v21, v29, v27 :: v_dual_mul_f32 v25, v28, v27
	v_fma_f32 v21, v28, v26, -v21
	s_delay_alu instid0(VALU_DEP_1) | instskip(NEXT) | instid1(VALU_DEP_1)
	v_dual_fmac_f32 v25, v29, v26 :: v_dual_add_f32 v16, v16, v21
	v_add_f32_e32 v17, v17, v25
	s_and_not1_b32 exec_lo, exec_lo, s0
	s_cbranch_execnz .LBB70_62
; %bb.63:
	s_or_b32 exec_lo, exec_lo, s0
.LBB70_64:
	s_delay_alu instid0(SALU_CYCLE_1)
	s_or_b32 exec_lo, exec_lo, s1
	v_mov_b32_e32 v19, 0
	s_mov_b32 s1, exec_lo
	ds_load_b64 v[26:27], v19
	s_wait_dscnt 0x0
	v_dual_mul_f32 v20, v16, v27 :: v_dual_mul_f32 v19, v17, v27
	s_delay_alu instid0(VALU_DEP_1) | instskip(NEXT) | instid1(VALU_DEP_2)
	v_dual_fmac_f32 v20, v17, v26 :: v_dual_add_nc_u32 v21, 4, v23
	v_fma_f32 v16, v16, v26, -v19
	ds_store_b32 v23, v16
.LBB70_65:
	s_or_b32 exec_lo, exec_lo, s6
	s_delay_alu instid0(SALU_CYCLE_1)
	s_and_b32 vcc_lo, exec_lo, s4
	s_cbranch_vccz .LBB70_121
.LBB70_66:
	ds_load_b64 v[16:17], v23 offset:8
	v_cmp_eq_u32_e64 s0, 0, v22
	s_wait_dscnt 0x0
	ds_store_b64 v15, v[16:17]
	s_wait_dscnt 0x0
	s_barrier_signal -1
	s_barrier_wait -1
	s_and_saveexec_b32 s4, s0
	s_cbranch_execz .LBB70_72
; %bb.67:
	s_and_b32 vcc_lo, exec_lo, s5
	s_cbranch_vccz .LBB70_69
; %bb.68:
	ds_load_b64 v[16:17], v18
	ds_load_b64 v[20:21], v15
	s_wait_dscnt 0x0
	v_pk_mul_f32 v[26:27], v[20:21], v[16:17] op_sel:[1,1] op_sel_hi:[0,1]
	v_pk_mul_f32 v[28:29], v[20:21], v[16:17] op_sel_hi:[1,0]
	s_delay_alu instid0(VALU_DEP_2) | instskip(NEXT) | instid1(VALU_DEP_2)
	v_pk_fma_f32 v[16:17], v[20:21], v[16:17], v[26:27] op_sel_hi:[1,0,1]
	v_sub_f32_e32 v16, v28, v26
	s_cbranch_execz .LBB70_70
	s_branch .LBB70_71
.LBB70_69:
                                        ; implicit-def: $vgpr17
.LBB70_70:
	ds_load_b64 v[16:17], v15
.LBB70_71:
	s_wait_dscnt 0x0
	v_dual_mov_b32 v19, 0 :: v_dual_mov_b32 v26, v17
	v_mov_b32_e32 v27, v16
	ds_load_b64 v[20:21], v19 offset:8
	s_wait_dscnt 0x0
	v_pk_mul_f32 v[26:27], v[26:27], v[20:21] op_sel:[0,1]
	s_delay_alu instid0(VALU_DEP_1) | instskip(SKIP_1) | instid1(VALU_DEP_2)
	v_pk_fma_f32 v[28:29], v[16:17], v[20:21], v[26:27] op_sel_hi:[1,0,1]
	v_pk_fma_f32 v[16:17], v[16:17], v[20:21], v[26:27] neg_lo:[0,0,1] neg_hi:[0,0,1]
	v_mov_b32_e32 v17, v29
	ds_store_b64 v23, v[16:17] offset:8
.LBB70_72:
	s_or_b32 exec_lo, exec_lo, s4
	ds_load_b64 v[16:17], v23 offset:16
	v_cndmask_b32_e64 v19, 0, 1, s5
	s_mov_b32 s4, exec_lo
	s_wait_dscnt 0x0
	ds_store_b64 v15, v[16:17]
	s_wait_dscnt 0x0
	s_barrier_signal -1
	s_barrier_wait -1
	v_cmpx_gt_u32_e32 2, v22
	s_cbranch_execz .LBB70_80
; %bb.73:
	s_and_not1_b32 vcc_lo, exec_lo, s5
	s_cbranch_vccnz .LBB70_75
; %bb.74:
	ds_load_b64 v[16:17], v18
	ds_load_b64 v[20:21], v15
	s_wait_dscnt 0x0
	v_pk_mul_f32 v[26:27], v[20:21], v[16:17] op_sel:[1,1] op_sel_hi:[0,1]
	s_delay_alu instid0(VALU_DEP_1) | instskip(SKIP_1) | instid1(VALU_DEP_2)
	v_pk_fma_f32 v[28:29], v[20:21], v[16:17], v[26:27] op_sel_hi:[1,0,1]
	v_pk_fma_f32 v[16:17], v[20:21], v[16:17], v[26:27] neg_lo:[0,0,1] neg_hi:[0,0,1]
	v_mov_b32_e32 v17, v29
	s_cbranch_execz .LBB70_76
	s_branch .LBB70_77
.LBB70_75:
                                        ; implicit-def: $vgpr16_vgpr17
.LBB70_76:
	ds_load_b64 v[16:17], v15
.LBB70_77:
	s_and_saveexec_b32 s5, s0
	s_cbranch_execz .LBB70_79
; %bb.78:
	v_mov_b32_e32 v25, 0
	ds_load_b64 v[20:21], v23 offset:8
	ds_load_b64 v[26:27], v25 offset:72
	s_wait_dscnt 0x0
	v_pk_mul_f32 v[28:29], v[26:27], v[20:21] op_sel:[1,1] op_sel_hi:[0,1]
	s_delay_alu instid0(VALU_DEP_1) | instskip(SKIP_1) | instid1(VALU_DEP_2)
	v_pk_fma_f32 v[30:31], v[26:27], v[20:21], v[28:29] op_sel_hi:[1,0,1]
	v_pk_fma_f32 v[20:21], v[26:27], v[20:21], v[28:29] neg_lo:[0,0,1] neg_hi:[0,0,1]
	v_mov_b32_e32 v21, v31
	s_delay_alu instid0(VALU_DEP_1)
	v_pk_add_f32 v[16:17], v[16:17], v[20:21]
.LBB70_79:
	s_or_b32 exec_lo, exec_lo, s5
	v_mov_b32_e32 v20, 0
	ds_load_b64 v[20:21], v20 offset:16
	s_wait_dscnt 0x0
	v_pk_mul_f32 v[26:27], v[16:17], v[20:21] op_sel:[1,1] op_sel_hi:[0,1]
	s_delay_alu instid0(VALU_DEP_1) | instskip(SKIP_1) | instid1(VALU_DEP_2)
	v_pk_fma_f32 v[28:29], v[16:17], v[20:21], v[26:27] op_sel_hi:[1,0,1]
	v_pk_fma_f32 v[16:17], v[16:17], v[20:21], v[26:27] neg_lo:[0,0,1] neg_hi:[0,0,1]
	v_mov_b32_e32 v17, v29
	ds_store_b64 v23, v[16:17] offset:16
.LBB70_80:
	s_or_b32 exec_lo, exec_lo, s4
	ds_load_b64 v[16:17], v23 offset:24
	s_mov_b32 s4, exec_lo
	s_wait_dscnt 0x0
	ds_store_b64 v15, v[16:17]
	s_wait_dscnt 0x0
	s_barrier_signal -1
	s_barrier_wait -1
	v_cmpx_gt_u32_e32 3, v22
	s_cbranch_execz .LBB70_90
; %bb.81:
	v_cmp_ne_u32_e32 vcc_lo, 1, v19
	s_cbranch_vccnz .LBB70_83
; %bb.82:
	ds_load_b64 v[16:17], v18
	ds_load_b64 v[20:21], v15
	s_wait_dscnt 0x0
	v_pk_mul_f32 v[26:27], v[20:21], v[16:17] op_sel:[1,1] op_sel_hi:[0,1]
	s_delay_alu instid0(VALU_DEP_1) | instskip(SKIP_1) | instid1(VALU_DEP_2)
	v_pk_fma_f32 v[28:29], v[20:21], v[16:17], v[26:27] op_sel_hi:[1,0,1]
	v_pk_fma_f32 v[16:17], v[20:21], v[16:17], v[26:27] neg_lo:[0,0,1] neg_hi:[0,0,1]
	v_mov_b32_e32 v17, v29
	s_cbranch_execz .LBB70_84
	s_branch .LBB70_85
.LBB70_83:
                                        ; implicit-def: $vgpr16_vgpr17
.LBB70_84:
	ds_load_b64 v[16:17], v15
.LBB70_85:
	s_mov_b32 s5, exec_lo
	v_cmpx_ne_u32_e32 2, v22
	s_cbranch_execz .LBB70_89
; %bb.86:
	ds_load_b64 v[20:21], v18 offset:8
	ds_load_b64 v[26:27], v15 offset:8
	s_wait_dscnt 0x0
	v_pk_mul_f32 v[28:29], v[26:27], v[20:21] op_sel:[1,1] op_sel_hi:[0,1]
	s_delay_alu instid0(VALU_DEP_1) | instskip(SKIP_1) | instid1(VALU_DEP_2)
	v_pk_fma_f32 v[30:31], v[26:27], v[20:21], v[28:29] op_sel_hi:[1,0,1]
	v_pk_fma_f32 v[20:21], v[26:27], v[20:21], v[28:29] neg_lo:[0,0,1] neg_hi:[0,0,1]
	v_mov_b32_e32 v21, v31
	s_delay_alu instid0(VALU_DEP_1)
	v_pk_add_f32 v[16:17], v[16:17], v[20:21]
	s_and_saveexec_b32 s6, s0
	s_cbranch_execz .LBB70_88
; %bb.87:
	v_mov_b32_e32 v20, 0
	ds_load_b64 v[20:21], v20 offset:80
	ds_load_b64 v[26:27], v23 offset:16
	s_wait_dscnt 0x0
	v_pk_mul_f32 v[28:29], v[20:21], v[26:27] op_sel:[1,1] op_sel_hi:[0,1]
	s_delay_alu instid0(VALU_DEP_1) | instskip(SKIP_1) | instid1(VALU_DEP_2)
	v_pk_fma_f32 v[30:31], v[20:21], v[26:27], v[28:29] op_sel_hi:[1,0,1]
	v_pk_fma_f32 v[20:21], v[20:21], v[26:27], v[28:29] neg_lo:[0,0,1] neg_hi:[0,0,1]
	v_mov_b32_e32 v21, v31
	s_delay_alu instid0(VALU_DEP_1)
	v_pk_add_f32 v[16:17], v[16:17], v[20:21]
.LBB70_88:
	s_or_b32 exec_lo, exec_lo, s6
.LBB70_89:
	s_delay_alu instid0(SALU_CYCLE_1) | instskip(SKIP_4) | instid1(VALU_DEP_1)
	s_or_b32 exec_lo, exec_lo, s5
	v_mov_b32_e32 v20, 0
	ds_load_b64 v[20:21], v20 offset:24
	s_wait_dscnt 0x0
	v_pk_mul_f32 v[26:27], v[16:17], v[20:21] op_sel:[1,1] op_sel_hi:[0,1]
	v_pk_fma_f32 v[28:29], v[16:17], v[20:21], v[26:27] op_sel_hi:[1,0,1]
	v_pk_fma_f32 v[16:17], v[16:17], v[20:21], v[26:27] neg_lo:[0,0,1] neg_hi:[0,0,1]
	s_delay_alu instid0(VALU_DEP_2)
	v_mov_b32_e32 v17, v29
	ds_store_b64 v23, v[16:17] offset:24
.LBB70_90:
	s_or_b32 exec_lo, exec_lo, s4
	ds_load_b64 v[16:17], v23 offset:32
	s_mov_b32 s0, exec_lo
	s_wait_dscnt 0x0
	ds_store_b64 v15, v[16:17]
	s_wait_dscnt 0x0
	s_barrier_signal -1
	s_barrier_wait -1
	v_cmpx_gt_u32_e32 4, v22
	s_cbranch_execz .LBB70_100
; %bb.91:
	v_cmp_ne_u32_e32 vcc_lo, 1, v19
	s_cbranch_vccnz .LBB70_93
; %bb.92:
	ds_load_b64 v[16:17], v18
	ds_load_b64 v[20:21], v15
	s_wait_dscnt 0x0
	v_pk_mul_f32 v[26:27], v[20:21], v[16:17] op_sel:[1,1] op_sel_hi:[0,1]
	s_delay_alu instid0(VALU_DEP_1) | instskip(SKIP_1) | instid1(VALU_DEP_2)
	v_pk_fma_f32 v[28:29], v[20:21], v[16:17], v[26:27] op_sel_hi:[1,0,1]
	v_pk_fma_f32 v[16:17], v[20:21], v[16:17], v[26:27] neg_lo:[0,0,1] neg_hi:[0,0,1]
	v_mov_b32_e32 v17, v29
	s_cbranch_execz .LBB70_94
	s_branch .LBB70_95
.LBB70_93:
                                        ; implicit-def: $vgpr16_vgpr17
.LBB70_94:
	ds_load_b64 v[16:17], v15
.LBB70_95:
	s_mov_b32 s4, exec_lo
	v_cmpx_ne_u32_e32 3, v22
	s_cbranch_execz .LBB70_99
; %bb.96:
	v_dual_mov_b32 v25, v22 :: v_dual_add_nc_u32 v20, 0x48, v14
	v_add3_u32 v21, v24, v14, 0x88
	s_mov_b32 s5, 0
.LBB70_97:                              ; =>This Inner Loop Header: Depth=1
	ds_load_b64 v[26:27], v21
	ds_load_b64 v[28:29], v20
	v_dual_add_nc_u32 v20, 8, v20 :: v_dual_add_nc_u32 v21, 8, v21
	s_wait_dscnt 0x0
	v_pk_mul_f32 v[30:31], v[28:29], v[26:27] op_sel:[1,1] op_sel_hi:[0,1]
	s_delay_alu instid0(VALU_DEP_1) | instskip(SKIP_2) | instid1(VALU_DEP_3)
	v_pk_fma_f32 v[32:33], v[28:29], v[26:27], v[30:31] op_sel_hi:[1,0,1]
	v_add_nc_u32_e32 v25, 1, v25
	v_pk_fma_f32 v[26:27], v[28:29], v[26:27], v[30:31] neg_lo:[0,0,1] neg_hi:[0,0,1]
	v_mov_b32_e32 v27, v33
	s_delay_alu instid0(VALU_DEP_3) | instskip(NEXT) | instid1(VALU_DEP_2)
	v_cmp_lt_u32_e32 vcc_lo, 2, v25
	v_pk_add_f32 v[16:17], v[16:17], v[26:27]
	s_or_b32 s5, vcc_lo, s5
	s_delay_alu instid0(SALU_CYCLE_1)
	s_and_not1_b32 exec_lo, exec_lo, s5
	s_cbranch_execnz .LBB70_97
; %bb.98:
	s_or_b32 exec_lo, exec_lo, s5
.LBB70_99:
	s_delay_alu instid0(SALU_CYCLE_1) | instskip(SKIP_4) | instid1(VALU_DEP_1)
	s_or_b32 exec_lo, exec_lo, s4
	v_mov_b32_e32 v20, 0
	ds_load_b64 v[20:21], v20 offset:32
	s_wait_dscnt 0x0
	v_pk_mul_f32 v[26:27], v[16:17], v[20:21] op_sel:[1,1] op_sel_hi:[0,1]
	v_pk_fma_f32 v[28:29], v[16:17], v[20:21], v[26:27] op_sel_hi:[1,0,1]
	v_pk_fma_f32 v[16:17], v[16:17], v[20:21], v[26:27] neg_lo:[0,0,1] neg_hi:[0,0,1]
	s_delay_alu instid0(VALU_DEP_2)
	v_mov_b32_e32 v17, v29
	ds_store_b64 v23, v[16:17] offset:32
.LBB70_100:
	s_or_b32 exec_lo, exec_lo, s0
	ds_load_b64 v[16:17], v23 offset:40
	v_cmp_gt_u32_e64 s0, 5, v22
	s_wait_dscnt 0x0
	ds_store_b64 v15, v[16:17]
	s_wait_dscnt 0x0
	s_barrier_signal -1
	s_barrier_wait -1
	s_and_saveexec_b32 s4, s0
	s_cbranch_execz .LBB70_110
; %bb.101:
	v_cmp_ne_u32_e32 vcc_lo, 1, v19
	s_cbranch_vccnz .LBB70_103
; %bb.102:
	ds_load_b64 v[16:17], v18
	ds_load_b64 v[20:21], v15
	s_wait_dscnt 0x0
	v_pk_mul_f32 v[26:27], v[20:21], v[16:17] op_sel:[1,1] op_sel_hi:[0,1]
	s_delay_alu instid0(VALU_DEP_1) | instskip(SKIP_1) | instid1(VALU_DEP_2)
	v_pk_fma_f32 v[28:29], v[20:21], v[16:17], v[26:27] op_sel_hi:[1,0,1]
	v_pk_fma_f32 v[16:17], v[20:21], v[16:17], v[26:27] neg_lo:[0,0,1] neg_hi:[0,0,1]
	v_mov_b32_e32 v17, v29
	s_cbranch_execz .LBB70_104
	s_branch .LBB70_105
.LBB70_103:
                                        ; implicit-def: $vgpr16_vgpr17
.LBB70_104:
	ds_load_b64 v[16:17], v15
.LBB70_105:
	s_mov_b32 s5, exec_lo
	v_cmpx_ne_u32_e32 4, v22
	s_cbranch_execz .LBB70_109
; %bb.106:
	v_dual_mov_b32 v25, v22 :: v_dual_add_nc_u32 v20, 0x48, v14
	v_add3_u32 v21, v24, v14, 0x88
	s_mov_b32 s6, 0
.LBB70_107:                             ; =>This Inner Loop Header: Depth=1
	ds_load_b64 v[26:27], v21
	ds_load_b64 v[28:29], v20
	v_dual_add_nc_u32 v20, 8, v20 :: v_dual_add_nc_u32 v21, 8, v21
	s_wait_dscnt 0x0
	v_pk_mul_f32 v[30:31], v[28:29], v[26:27] op_sel:[1,1] op_sel_hi:[0,1]
	s_delay_alu instid0(VALU_DEP_1) | instskip(SKIP_2) | instid1(VALU_DEP_3)
	v_pk_fma_f32 v[32:33], v[28:29], v[26:27], v[30:31] op_sel_hi:[1,0,1]
	v_add_nc_u32_e32 v25, 1, v25
	v_pk_fma_f32 v[26:27], v[28:29], v[26:27], v[30:31] neg_lo:[0,0,1] neg_hi:[0,0,1]
	v_mov_b32_e32 v27, v33
	s_delay_alu instid0(VALU_DEP_3) | instskip(NEXT) | instid1(VALU_DEP_2)
	v_cmp_lt_u32_e32 vcc_lo, 3, v25
	v_pk_add_f32 v[16:17], v[16:17], v[26:27]
	s_or_b32 s6, vcc_lo, s6
	s_delay_alu instid0(SALU_CYCLE_1)
	s_and_not1_b32 exec_lo, exec_lo, s6
	s_cbranch_execnz .LBB70_107
; %bb.108:
	s_or_b32 exec_lo, exec_lo, s6
.LBB70_109:
	s_delay_alu instid0(SALU_CYCLE_1) | instskip(SKIP_4) | instid1(VALU_DEP_1)
	s_or_b32 exec_lo, exec_lo, s5
	v_mov_b32_e32 v20, 0
	ds_load_b64 v[20:21], v20 offset:40
	s_wait_dscnt 0x0
	v_pk_mul_f32 v[26:27], v[16:17], v[20:21] op_sel:[1,1] op_sel_hi:[0,1]
	v_pk_fma_f32 v[28:29], v[16:17], v[20:21], v[26:27] op_sel_hi:[1,0,1]
	v_pk_fma_f32 v[16:17], v[16:17], v[20:21], v[26:27] neg_lo:[0,0,1] neg_hi:[0,0,1]
	s_delay_alu instid0(VALU_DEP_2)
	v_mov_b32_e32 v17, v29
	ds_store_b64 v23, v[16:17] offset:40
.LBB70_110:
	s_or_b32 exec_lo, exec_lo, s4
	ds_load_b64 v[16:17], v23 offset:48
	s_mov_b32 s4, exec_lo
                                        ; implicit-def: $vgpr20
                                        ; implicit-def: $vgpr21
	s_wait_dscnt 0x0
	ds_store_b64 v15, v[16:17]
	s_wait_dscnt 0x0
	s_barrier_signal -1
	s_barrier_wait -1
	v_cmpx_ne_u32_e32 6, v22
	s_cbranch_execz .LBB70_120
; %bb.111:
	v_cmp_ne_u32_e32 vcc_lo, 1, v19
	s_cbranch_vccnz .LBB70_113
; %bb.112:
	ds_load_b64 v[18:19], v18
	ds_load_b64 v[20:21], v15
	s_wait_dscnt 0x0
	v_dual_mul_f32 v16, v21, v19 :: v_dual_mul_f32 v17, v20, v19
	s_delay_alu instid0(VALU_DEP_1)
	v_dual_fma_f32 v16, v20, v18, -v16 :: v_dual_fmac_f32 v17, v21, v18
	s_cbranch_execz .LBB70_114
	s_branch .LBB70_115
.LBB70_113:
                                        ; implicit-def: $vgpr17
.LBB70_114:
	ds_load_b64 v[16:17], v15
.LBB70_115:
	s_and_saveexec_b32 s5, s0
	s_cbranch_execz .LBB70_119
; %bb.116:
	v_add_nc_u32_e32 v15, 0x48, v14
	v_add3_u32 v14, v24, v14, 0x88
	s_mov_b32 s0, 0
.LBB70_117:                             ; =>This Inner Loop Header: Depth=1
	ds_load_b64 v[18:19], v14
	ds_load_b64 v[20:21], v15
	v_dual_add_nc_u32 v22, 1, v22 :: v_dual_add_nc_u32 v15, 8, v15
	s_delay_alu instid0(VALU_DEP_1) | instskip(SKIP_3) | instid1(VALU_DEP_1)
	v_cmp_lt_u32_e32 vcc_lo, 4, v22
	s_or_b32 s0, vcc_lo, s0
	s_wait_dscnt 0x0
	v_dual_mul_f32 v24, v21, v19 :: v_dual_mul_f32 v19, v20, v19
	v_dual_fma_f32 v20, v20, v18, -v24 :: v_dual_fmac_f32 v19, v21, v18
	s_delay_alu instid0(VALU_DEP_1) | instskip(NEXT) | instid1(VALU_DEP_2)
	v_dual_add_nc_u32 v14, 8, v14 :: v_dual_add_f32 v16, v16, v20
	v_add_f32_e32 v17, v17, v19
	s_and_not1_b32 exec_lo, exec_lo, s0
	s_cbranch_execnz .LBB70_117
; %bb.118:
	s_or_b32 exec_lo, exec_lo, s0
.LBB70_119:
	s_delay_alu instid0(SALU_CYCLE_1)
	s_or_b32 exec_lo, exec_lo, s5
	v_mov_b32_e32 v14, 0
	s_or_b32 s1, s1, exec_lo
	ds_load_b64 v[14:15], v14 offset:48
	s_wait_dscnt 0x0
	v_dual_mul_f32 v18, v17, v15 :: v_dual_mul_f32 v20, v16, v15
	s_delay_alu instid0(VALU_DEP_1) | instskip(NEXT) | instid1(VALU_DEP_2)
	v_dual_fma_f32 v15, v16, v14, -v18 :: v_dual_add_nc_u32 v21, 52, v23
	v_fmac_f32_e32 v20, v17, v14
	ds_store_b32 v23, v15 offset:48
.LBB70_120:
	s_or_b32 exec_lo, exec_lo, s4
.LBB70_121:
	v_lshl_add_u64 v[16:17], v[4:5], 3, s[2:3]
	v_lshl_add_u64 v[14:15], v[6:7], 3, s[2:3]
	;; [unrolled: 1-line block ×5, first 2 shown]
	s_and_saveexec_b32 s0, s1
; %bb.122:
	ds_store_b32 v21, v20
; %bb.123:
	s_or_b32 exec_lo, exec_lo, s0
	ds_load_b64 v[10:11], v23
	s_wait_dscnt 0x0
	flat_store_b64 v[0:1], v[10:11]
	s_wait_xcnt 0x0
	ds_load_b64 v[0:1], v23 offset:8
	s_wait_dscnt 0x0
	flat_store_b64 v[2:3], v[0:1]
	s_wait_xcnt 0x0
	ds_load_b64 v[0:1], v23 offset:16
	;; [unrolled: 4-line block ×6, first 2 shown]
	s_wait_dscnt 0x0
	flat_store_b64 v[4:5], v[0:1]
.LBB70_124:
	s_endpgm
	.section	.rodata,"a",@progbits
	.p2align	6, 0x0
	.amdhsa_kernel _ZN9rocsolver6v33100L18trti2_kernel_smallILi7E19rocblas_complex_numIfEPKPS3_EEv13rocblas_fill_17rocblas_diagonal_T1_iil
		.amdhsa_group_segment_fixed_size 3712
		.amdhsa_private_segment_fixed_size 0
		.amdhsa_kernarg_size 32
		.amdhsa_user_sgpr_count 4
		.amdhsa_user_sgpr_dispatch_ptr 1
		.amdhsa_user_sgpr_queue_ptr 0
		.amdhsa_user_sgpr_kernarg_segment_ptr 1
		.amdhsa_user_sgpr_dispatch_id 0
		.amdhsa_user_sgpr_kernarg_preload_length 0
		.amdhsa_user_sgpr_kernarg_preload_offset 0
		.amdhsa_user_sgpr_private_segment_size 0
		.amdhsa_wavefront_size32 1
		.amdhsa_uses_dynamic_stack 0
		.amdhsa_enable_private_segment 0
		.amdhsa_system_sgpr_workgroup_id_x 1
		.amdhsa_system_sgpr_workgroup_id_y 0
		.amdhsa_system_sgpr_workgroup_id_z 0
		.amdhsa_system_sgpr_workgroup_info 0
		.amdhsa_system_vgpr_workitem_id 2
		.amdhsa_next_free_vgpr 34
		.amdhsa_next_free_sgpr 12
		.amdhsa_named_barrier_count 0
		.amdhsa_reserve_vcc 1
		.amdhsa_float_round_mode_32 0
		.amdhsa_float_round_mode_16_64 0
		.amdhsa_float_denorm_mode_32 3
		.amdhsa_float_denorm_mode_16_64 3
		.amdhsa_fp16_overflow 0
		.amdhsa_memory_ordered 1
		.amdhsa_forward_progress 1
		.amdhsa_inst_pref_size 39
		.amdhsa_round_robin_scheduling 0
		.amdhsa_exception_fp_ieee_invalid_op 0
		.amdhsa_exception_fp_denorm_src 0
		.amdhsa_exception_fp_ieee_div_zero 0
		.amdhsa_exception_fp_ieee_overflow 0
		.amdhsa_exception_fp_ieee_underflow 0
		.amdhsa_exception_fp_ieee_inexact 0
		.amdhsa_exception_int_div_zero 0
	.end_amdhsa_kernel
	.section	.text._ZN9rocsolver6v33100L18trti2_kernel_smallILi7E19rocblas_complex_numIfEPKPS3_EEv13rocblas_fill_17rocblas_diagonal_T1_iil,"axG",@progbits,_ZN9rocsolver6v33100L18trti2_kernel_smallILi7E19rocblas_complex_numIfEPKPS3_EEv13rocblas_fill_17rocblas_diagonal_T1_iil,comdat
.Lfunc_end70:
	.size	_ZN9rocsolver6v33100L18trti2_kernel_smallILi7E19rocblas_complex_numIfEPKPS3_EEv13rocblas_fill_17rocblas_diagonal_T1_iil, .Lfunc_end70-_ZN9rocsolver6v33100L18trti2_kernel_smallILi7E19rocblas_complex_numIfEPKPS3_EEv13rocblas_fill_17rocblas_diagonal_T1_iil
                                        ; -- End function
	.set _ZN9rocsolver6v33100L18trti2_kernel_smallILi7E19rocblas_complex_numIfEPKPS3_EEv13rocblas_fill_17rocblas_diagonal_T1_iil.num_vgpr, 34
	.set _ZN9rocsolver6v33100L18trti2_kernel_smallILi7E19rocblas_complex_numIfEPKPS3_EEv13rocblas_fill_17rocblas_diagonal_T1_iil.num_agpr, 0
	.set _ZN9rocsolver6v33100L18trti2_kernel_smallILi7E19rocblas_complex_numIfEPKPS3_EEv13rocblas_fill_17rocblas_diagonal_T1_iil.numbered_sgpr, 12
	.set _ZN9rocsolver6v33100L18trti2_kernel_smallILi7E19rocblas_complex_numIfEPKPS3_EEv13rocblas_fill_17rocblas_diagonal_T1_iil.num_named_barrier, 0
	.set _ZN9rocsolver6v33100L18trti2_kernel_smallILi7E19rocblas_complex_numIfEPKPS3_EEv13rocblas_fill_17rocblas_diagonal_T1_iil.private_seg_size, 0
	.set _ZN9rocsolver6v33100L18trti2_kernel_smallILi7E19rocblas_complex_numIfEPKPS3_EEv13rocblas_fill_17rocblas_diagonal_T1_iil.uses_vcc, 1
	.set _ZN9rocsolver6v33100L18trti2_kernel_smallILi7E19rocblas_complex_numIfEPKPS3_EEv13rocblas_fill_17rocblas_diagonal_T1_iil.uses_flat_scratch, 0
	.set _ZN9rocsolver6v33100L18trti2_kernel_smallILi7E19rocblas_complex_numIfEPKPS3_EEv13rocblas_fill_17rocblas_diagonal_T1_iil.has_dyn_sized_stack, 0
	.set _ZN9rocsolver6v33100L18trti2_kernel_smallILi7E19rocblas_complex_numIfEPKPS3_EEv13rocblas_fill_17rocblas_diagonal_T1_iil.has_recursion, 0
	.set _ZN9rocsolver6v33100L18trti2_kernel_smallILi7E19rocblas_complex_numIfEPKPS3_EEv13rocblas_fill_17rocblas_diagonal_T1_iil.has_indirect_call, 0
	.section	.AMDGPU.csdata,"",@progbits
; Kernel info:
; codeLenInByte = 4880
; TotalNumSgprs: 14
; NumVgprs: 34
; ScratchSize: 0
; MemoryBound: 0
; FloatMode: 240
; IeeeMode: 1
; LDSByteSize: 3712 bytes/workgroup (compile time only)
; SGPRBlocks: 0
; VGPRBlocks: 2
; NumSGPRsForWavesPerEU: 14
; NumVGPRsForWavesPerEU: 34
; NamedBarCnt: 0
; Occupancy: 16
; WaveLimiterHint : 1
; COMPUTE_PGM_RSRC2:SCRATCH_EN: 0
; COMPUTE_PGM_RSRC2:USER_SGPR: 4
; COMPUTE_PGM_RSRC2:TRAP_HANDLER: 0
; COMPUTE_PGM_RSRC2:TGID_X_EN: 1
; COMPUTE_PGM_RSRC2:TGID_Y_EN: 0
; COMPUTE_PGM_RSRC2:TGID_Z_EN: 0
; COMPUTE_PGM_RSRC2:TIDIG_COMP_CNT: 2
	.section	.text._ZN9rocsolver6v33100L18trti2_kernel_smallILi8E19rocblas_complex_numIfEPKPS3_EEv13rocblas_fill_17rocblas_diagonal_T1_iil,"axG",@progbits,_ZN9rocsolver6v33100L18trti2_kernel_smallILi8E19rocblas_complex_numIfEPKPS3_EEv13rocblas_fill_17rocblas_diagonal_T1_iil,comdat
	.globl	_ZN9rocsolver6v33100L18trti2_kernel_smallILi8E19rocblas_complex_numIfEPKPS3_EEv13rocblas_fill_17rocblas_diagonal_T1_iil ; -- Begin function _ZN9rocsolver6v33100L18trti2_kernel_smallILi8E19rocblas_complex_numIfEPKPS3_EEv13rocblas_fill_17rocblas_diagonal_T1_iil
	.p2align	8
	.type	_ZN9rocsolver6v33100L18trti2_kernel_smallILi8E19rocblas_complex_numIfEPKPS3_EEv13rocblas_fill_17rocblas_diagonal_T1_iil,@function
_ZN9rocsolver6v33100L18trti2_kernel_smallILi8E19rocblas_complex_numIfEPKPS3_EEv13rocblas_fill_17rocblas_diagonal_T1_iil: ; @_ZN9rocsolver6v33100L18trti2_kernel_smallILi8E19rocblas_complex_numIfEPKPS3_EEv13rocblas_fill_17rocblas_diagonal_T1_iil
; %bb.0:
	v_and_b32_e32 v24, 0x3ff, v0
	s_mov_b32 s4, exec_lo
	s_delay_alu instid0(VALU_DEP_1)
	v_cmpx_gt_u32_e32 8, v24
	s_cbranch_execz .LBB71_144
; %bb.1:
	s_load_b64 s[8:9], s[0:1], 0x4
	s_clause 0x1
	s_load_b64 s[10:11], s[2:3], 0x10
	s_load_b128 s[4:7], s[2:3], 0x0
	s_wait_xcnt 0x0
	s_bfe_u32 s0, ttmp6, 0x4000c
	s_and_b32 s1, ttmp6, 15
	s_add_co_i32 s0, s0, 1
	s_getreg_b32 s2, hwreg(HW_REG_IB_STS2, 6, 4)
	s_mul_i32 s0, ttmp9, s0
	v_bfe_u32 v1, v0, 10, 10
	s_add_co_i32 s0, s1, s0
	v_dual_mov_b32 v17, 0 :: v_dual_lshlrev_b32 v16, 3, v24
	v_bfe_u32 v2, v0, 20, 10
	s_wait_kmcnt 0x0
	s_lshr_b32 s8, s8, 16
	s_ashr_i32 s1, s10, 31
	s_cmp_eq_u32 s2, 0
	s_mul_i32 s8, s8, s9
	s_cselect_b32 s2, ttmp9, s0
	s_mov_b32 s0, s10
	s_ashr_i32 s3, s2, 31
	s_lshl_b64 s[0:1], s[0:1], 3
	s_lshl_b64 s[2:3], s[2:3], 3
	v_mul_u32_u24_e32 v3, s9, v1
	s_add_nc_u64 s[2:3], s[6:7], s[2:3]
	v_mul_u32_u24_e32 v6, s8, v24
	s_load_b64 s[2:3], s[2:3], 0x0
	s_delay_alu instid0(VALU_DEP_1)
	v_add3_u32 v26, v6, v3, v2
	s_wait_kmcnt 0x0
	s_add_nc_u64 s[6:7], s[2:3], s[0:1]
	s_mov_b32 s0, s11
	flat_load_b64 v[4:5], v24, s[6:7] scale_offset
	v_add_nc_u64_e32 v[0:1], s[6:7], v[16:17]
	s_ashr_i32 s1, s11, 31
	v_lshlrev_b32_e32 v17, 6, v26
	s_cmp_lg_u32 s5, 0x84
	s_cselect_b32 s3, -1, 0
	s_delay_alu instid0(VALU_DEP_2)
	v_lshl_add_u64 v[2:3], s[0:1], 3, v[0:1]
	s_mov_b32 s0, -1
	s_and_b32 vcc_lo, exec_lo, s3
	s_wait_loadcnt_dscnt 0x0
	ds_store_b64 v17, v[4:5] offset:128
	flat_load_b64 v[6:7], v[2:3]
	v_add3_u32 v4, s11, s11, v24
	s_wait_loadcnt_dscnt 0x0
	ds_store_b64 v17, v[6:7] offset:136
	flat_load_b64 v[8:9], v4, s[6:7] scale_offset
	v_add_nc_u32_e32 v6, s11, v4
	v_add_nc_u32_e32 v25, 0x80, v17
	s_wait_loadcnt_dscnt 0x0
	ds_store_b64 v17, v[8:9] offset:144
	flat_load_b64 v[10:11], v6, s[6:7] scale_offset
	v_add_nc_u32_e32 v8, s11, v6
	s_wait_loadcnt_dscnt 0x0
	ds_store_b64 v17, v[10:11] offset:152
	flat_load_b64 v[12:13], v8, s[6:7] scale_offset
	;; [unrolled: 4-line block ×5, first 2 shown]
	s_wait_loadcnt_dscnt 0x0
	ds_store_b64 v17, v[18:19] offset:184
	s_cbranch_vccz .LBB71_7
; %bb.2:
	v_lshl_add_u32 v5, v24, 3, v25
                                        ; implicit-def: $vgpr23
                                        ; implicit-def: $vgpr20
	ds_load_b64 v[18:19], v5
	s_wait_dscnt 0x0
	v_cmp_ngt_f32_e64 s0, |v18|, |v19|
	s_and_saveexec_b32 s1, s0
	s_delay_alu instid0(SALU_CYCLE_1)
	s_xor_b32 s0, exec_lo, s1
	s_cbranch_execz .LBB71_4
; %bb.3:
	v_div_scale_f32 v7, null, v19, v19, v18
	v_div_scale_f32 v13, vcc_lo, v18, v19, v18
	s_delay_alu instid0(VALU_DEP_2) | instskip(SKIP_1) | instid1(TRANS32_DEP_1)
	v_rcp_f32_e32 v9, v7
	v_nop
	v_fma_f32 v11, -v7, v9, 1.0
	s_delay_alu instid0(VALU_DEP_1) | instskip(NEXT) | instid1(VALU_DEP_1)
	v_fmac_f32_e32 v9, v11, v9
	v_mul_f32_e32 v11, v13, v9
	s_delay_alu instid0(VALU_DEP_1) | instskip(NEXT) | instid1(VALU_DEP_1)
	v_fma_f32 v15, -v7, v11, v13
	v_fmac_f32_e32 v11, v15, v9
	s_delay_alu instid0(VALU_DEP_1) | instskip(NEXT) | instid1(VALU_DEP_1)
	v_fma_f32 v7, -v7, v11, v13
	v_div_fmas_f32 v7, v7, v9, v11
	s_delay_alu instid0(VALU_DEP_1) | instskip(NEXT) | instid1(VALU_DEP_1)
	v_div_fixup_f32 v7, v7, v19, v18
	v_fmac_f32_e32 v19, v18, v7
	s_delay_alu instid0(VALU_DEP_1) | instskip(NEXT) | instid1(VALU_DEP_1)
	v_div_scale_f32 v9, null, v19, v19, -1.0
	v_rcp_f32_e32 v11, v9
	v_nop
	s_delay_alu instid0(TRANS32_DEP_1) | instskip(NEXT) | instid1(VALU_DEP_1)
	v_fma_f32 v13, -v9, v11, 1.0
	v_fmac_f32_e32 v11, v13, v11
	v_div_scale_f32 v13, vcc_lo, -1.0, v19, -1.0
	s_delay_alu instid0(VALU_DEP_1) | instskip(NEXT) | instid1(VALU_DEP_1)
	v_mul_f32_e32 v15, v13, v11
	v_fma_f32 v18, -v9, v15, v13
	s_delay_alu instid0(VALU_DEP_1) | instskip(NEXT) | instid1(VALU_DEP_1)
	v_fmac_f32_e32 v15, v18, v11
	v_fma_f32 v9, -v9, v15, v13
	s_delay_alu instid0(VALU_DEP_1) | instskip(NEXT) | instid1(VALU_DEP_1)
	v_div_fmas_f32 v9, v9, v11, v15
	v_div_fixup_f32 v23, v9, v19, -1.0
                                        ; implicit-def: $vgpr18_vgpr19
	s_delay_alu instid0(VALU_DEP_1) | instskip(NEXT) | instid1(VALU_DEP_1)
	v_mul_f32_e32 v20, v7, v23
	v_xor_b32_e32 v22, 0x80000000, v20
.LBB71_4:
	s_and_not1_saveexec_b32 s0, s0
	s_cbranch_execz .LBB71_6
; %bb.5:
	v_div_scale_f32 v7, null, v18, v18, v19
	v_div_scale_f32 v13, vcc_lo, v19, v18, v19
	s_delay_alu instid0(VALU_DEP_2) | instskip(SKIP_1) | instid1(TRANS32_DEP_1)
	v_rcp_f32_e32 v9, v7
	v_nop
	v_fma_f32 v11, -v7, v9, 1.0
	s_delay_alu instid0(VALU_DEP_1) | instskip(NEXT) | instid1(VALU_DEP_1)
	v_fmac_f32_e32 v9, v11, v9
	v_mul_f32_e32 v11, v13, v9
	s_delay_alu instid0(VALU_DEP_1) | instskip(NEXT) | instid1(VALU_DEP_1)
	v_fma_f32 v15, -v7, v11, v13
	v_fmac_f32_e32 v11, v15, v9
	s_delay_alu instid0(VALU_DEP_1) | instskip(NEXT) | instid1(VALU_DEP_1)
	v_fma_f32 v7, -v7, v11, v13
	v_div_fmas_f32 v7, v7, v9, v11
	s_delay_alu instid0(VALU_DEP_1) | instskip(NEXT) | instid1(VALU_DEP_1)
	v_div_fixup_f32 v7, v7, v18, v19
	v_fmac_f32_e32 v18, v19, v7
	s_delay_alu instid0(VALU_DEP_1) | instskip(SKIP_1) | instid1(VALU_DEP_2)
	v_div_scale_f32 v9, null, v18, v18, 1.0
	v_div_scale_f32 v15, vcc_lo, 1.0, v18, 1.0
	v_rcp_f32_e32 v11, v9
	v_nop
	s_delay_alu instid0(TRANS32_DEP_1) | instskip(NEXT) | instid1(VALU_DEP_1)
	v_fma_f32 v13, -v9, v11, 1.0
	v_fmac_f32_e32 v11, v13, v11
	s_delay_alu instid0(VALU_DEP_1) | instskip(NEXT) | instid1(VALU_DEP_1)
	v_mul_f32_e32 v13, v15, v11
	v_fma_f32 v19, -v9, v13, v15
	s_delay_alu instid0(VALU_DEP_1) | instskip(NEXT) | instid1(VALU_DEP_1)
	v_fmac_f32_e32 v13, v19, v11
	v_fma_f32 v9, -v9, v13, v15
	s_delay_alu instid0(VALU_DEP_1) | instskip(NEXT) | instid1(VALU_DEP_1)
	v_div_fmas_f32 v9, v9, v11, v13
	v_div_fixup_f32 v22, v9, v18, 1.0
	s_delay_alu instid0(VALU_DEP_1)
	v_xor_b32_e32 v20, 0x80000000, v22
	v_mul_f32_e64 v23, v7, -v22
.LBB71_6:
	s_or_b32 exec_lo, exec_lo, s0
	s_delay_alu instid0(VALU_DEP_1)
	v_xor_b32_e32 v21, 0x80000000, v23
	s_mov_b32 s0, 0
	ds_store_b64 v5, v[22:23]
	ds_store_b64 v16, v[20:21]
.LBB71_7:
	s_and_b32 vcc_lo, exec_lo, s0
	s_cbranch_vccz .LBB71_9
; %bb.8:
	s_mov_b64 s[0:1], 0xbf800000
	s_delay_alu instid0(SALU_CYCLE_1)
	v_mov_b64_e32 v[18:19], s[0:1]
	ds_store_b64 v16, v[18:19]
.LBB71_9:
	v_dual_ashrrev_i32 v5, 31, v4 :: v_dual_ashrrev_i32 v7, 31, v6
	v_dual_ashrrev_i32 v9, 31, v8 :: v_dual_ashrrev_i32 v11, 31, v10
	;; [unrolled: 1-line block ×3, first 2 shown]
	v_dual_add_nc_u32 v20, 64, v16 :: v_dual_add_nc_u32 v21, v25, v16
	s_cmp_eq_u32 s4, 0x79
	s_cbranch_scc1 .LBB71_13
; %bb.10:
	ds_load_b64 v[18:19], v25 offset:48
	v_cmp_eq_u32_e64 s0, 7, v24
	s_wait_dscnt 0x0
	ds_store_b64 v20, v[18:19]
	s_wait_dscnt 0x0
	s_barrier_signal -1
	s_barrier_wait -1
	s_and_saveexec_b32 s1, s0
	s_cbranch_execz .LBB71_17
; %bb.11:
	s_and_b32 vcc_lo, exec_lo, s3
	s_cbranch_vccz .LBB71_14
; %bb.12:
	ds_load_b64 v[18:19], v21
	ds_load_b64 v[22:23], v20
	s_wait_dscnt 0x0
	v_pk_mul_f32 v[28:29], v[22:23], v[18:19] op_sel:[1,1] op_sel_hi:[0,1]
	v_pk_mul_f32 v[30:31], v[22:23], v[18:19] op_sel_hi:[1,0]
	s_delay_alu instid0(VALU_DEP_2) | instskip(NEXT) | instid1(VALU_DEP_2)
	v_pk_fma_f32 v[18:19], v[22:23], v[18:19], v[28:29] op_sel_hi:[1,0,1]
	v_sub_f32_e32 v18, v30, v28
	s_cbranch_execz .LBB71_15
	s_branch .LBB71_16
.LBB71_13:
	s_mov_b32 s1, 0
                                        ; implicit-def: $vgpr23
                                        ; implicit-def: $vgpr27
	s_cbranch_execnz .LBB71_76
	s_branch .LBB71_141
.LBB71_14:
                                        ; implicit-def: $vgpr19
.LBB71_15:
	ds_load_b64 v[18:19], v20
.LBB71_16:
	s_wait_dscnt 0x0
	v_dual_mov_b32 v22, 0 :: v_dual_mov_b32 v28, v19
	v_mov_b32_e32 v29, v18
	ds_load_b64 v[22:23], v22 offset:48
	s_wait_dscnt 0x0
	v_pk_mul_f32 v[28:29], v[28:29], v[22:23] op_sel:[0,1]
	s_delay_alu instid0(VALU_DEP_1) | instskip(SKIP_1) | instid1(VALU_DEP_2)
	v_pk_fma_f32 v[30:31], v[18:19], v[22:23], v[28:29] op_sel_hi:[1,0,1]
	v_pk_fma_f32 v[18:19], v[18:19], v[22:23], v[28:29] neg_lo:[0,0,1] neg_hi:[0,0,1]
	v_mov_b32_e32 v19, v31
	ds_store_b64 v25, v[18:19] offset:48
.LBB71_17:
	s_or_b32 exec_lo, exec_lo, s1
	ds_load_b64 v[18:19], v25 offset:40
	v_cmp_lt_u32_e64 s1, 5, v24
	s_wait_dscnt 0x0
	ds_store_b64 v20, v[18:19]
	s_wait_dscnt 0x0
	s_barrier_signal -1
	s_barrier_wait -1
	s_and_saveexec_b32 s2, s1
	s_cbranch_execz .LBB71_25
; %bb.18:
	s_and_not1_b32 vcc_lo, exec_lo, s3
	s_cbranch_vccnz .LBB71_20
; %bb.19:
	ds_load_b64 v[18:19], v21
	ds_load_b64 v[22:23], v20
	s_wait_dscnt 0x0
	v_pk_mul_f32 v[28:29], v[22:23], v[18:19] op_sel:[1,1] op_sel_hi:[0,1]
	s_delay_alu instid0(VALU_DEP_1) | instskip(SKIP_1) | instid1(VALU_DEP_2)
	v_pk_fma_f32 v[30:31], v[22:23], v[18:19], v[28:29] op_sel_hi:[1,0,1]
	v_pk_fma_f32 v[18:19], v[22:23], v[18:19], v[28:29] neg_lo:[0,0,1] neg_hi:[0,0,1]
	v_mov_b32_e32 v19, v31
	s_cbranch_execz .LBB71_21
	s_branch .LBB71_22
.LBB71_20:
                                        ; implicit-def: $vgpr18_vgpr19
.LBB71_21:
	ds_load_b64 v[18:19], v20
.LBB71_22:
	s_and_saveexec_b32 s4, s0
	s_cbranch_execz .LBB71_24
; %bb.23:
	v_mov_b32_e32 v27, 0
	ds_load_b64 v[22:23], v25 offset:48
	ds_load_b64 v[28:29], v27 offset:112
	s_wait_dscnt 0x0
	v_pk_mul_f32 v[30:31], v[28:29], v[22:23] op_sel:[1,1] op_sel_hi:[0,1]
	s_delay_alu instid0(VALU_DEP_1) | instskip(SKIP_1) | instid1(VALU_DEP_2)
	v_pk_fma_f32 v[32:33], v[28:29], v[22:23], v[30:31] op_sel_hi:[1,0,1]
	v_pk_fma_f32 v[22:23], v[28:29], v[22:23], v[30:31] neg_lo:[0,0,1] neg_hi:[0,0,1]
	v_mov_b32_e32 v23, v33
	s_delay_alu instid0(VALU_DEP_1)
	v_pk_add_f32 v[18:19], v[18:19], v[22:23]
.LBB71_24:
	s_or_b32 exec_lo, exec_lo, s4
	v_mov_b32_e32 v22, 0
	ds_load_b64 v[22:23], v22 offset:40
	s_wait_dscnt 0x0
	v_pk_mul_f32 v[28:29], v[18:19], v[22:23] op_sel:[1,1] op_sel_hi:[0,1]
	s_delay_alu instid0(VALU_DEP_1) | instskip(SKIP_1) | instid1(VALU_DEP_2)
	v_pk_fma_f32 v[30:31], v[18:19], v[22:23], v[28:29] op_sel_hi:[1,0,1]
	v_pk_fma_f32 v[18:19], v[18:19], v[22:23], v[28:29] neg_lo:[0,0,1] neg_hi:[0,0,1]
	v_mov_b32_e32 v19, v31
	ds_store_b64 v25, v[18:19] offset:40
.LBB71_25:
	s_or_b32 exec_lo, exec_lo, s2
	ds_load_b64 v[18:19], v25 offset:32
	v_cmp_lt_u32_e64 s0, 4, v24
	s_wait_dscnt 0x0
	ds_store_b64 v20, v[18:19]
	s_wait_dscnt 0x0
	s_barrier_signal -1
	s_barrier_wait -1
	s_and_saveexec_b32 s2, s0
	s_cbranch_execz .LBB71_35
; %bb.26:
	s_and_not1_b32 vcc_lo, exec_lo, s3
	s_cbranch_vccnz .LBB71_28
; %bb.27:
	ds_load_b64 v[18:19], v21
	ds_load_b64 v[22:23], v20
	s_wait_dscnt 0x0
	v_pk_mul_f32 v[28:29], v[22:23], v[18:19] op_sel:[1,1] op_sel_hi:[0,1]
	s_delay_alu instid0(VALU_DEP_1) | instskip(SKIP_1) | instid1(VALU_DEP_2)
	v_pk_fma_f32 v[30:31], v[22:23], v[18:19], v[28:29] op_sel_hi:[1,0,1]
	v_pk_fma_f32 v[18:19], v[22:23], v[18:19], v[28:29] neg_lo:[0,0,1] neg_hi:[0,0,1]
	v_mov_b32_e32 v19, v31
	s_cbranch_execz .LBB71_29
	s_branch .LBB71_30
.LBB71_28:
                                        ; implicit-def: $vgpr18_vgpr19
.LBB71_29:
	ds_load_b64 v[18:19], v20
.LBB71_30:
	s_and_saveexec_b32 s4, s1
	s_cbranch_execz .LBB71_34
; %bb.31:
	v_add_nc_u32_e32 v22, -5, v24
	v_lshl_add_u32 v23, v26, 6, 0xa8
	s_movk_i32 s5, 0x68
	s_mov_b32 s1, 0
.LBB71_32:                              ; =>This Inner Loop Header: Depth=1
	s_delay_alu instid0(VALU_DEP_2)
	v_dual_mov_b32 v27, s5 :: v_dual_add_nc_u32 v22, -1, v22
	s_add_co_i32 s5, s5, 8
	ds_load_b64 v[28:29], v23
	ds_load_b64 v[30:31], v27
	v_add_nc_u32_e32 v23, 8, v23
	v_cmp_eq_u32_e32 vcc_lo, 0, v22
	s_or_b32 s1, vcc_lo, s1
	s_wait_dscnt 0x0
	v_pk_mul_f32 v[32:33], v[30:31], v[28:29] op_sel:[1,1] op_sel_hi:[0,1]
	s_delay_alu instid0(VALU_DEP_1) | instskip(SKIP_1) | instid1(VALU_DEP_2)
	v_pk_fma_f32 v[34:35], v[30:31], v[28:29], v[32:33] op_sel_hi:[1,0,1]
	v_pk_fma_f32 v[28:29], v[30:31], v[28:29], v[32:33] neg_lo:[0,0,1] neg_hi:[0,0,1]
	v_mov_b32_e32 v29, v35
	s_delay_alu instid0(VALU_DEP_1)
	v_pk_add_f32 v[18:19], v[18:19], v[28:29]
	s_and_not1_b32 exec_lo, exec_lo, s1
	s_cbranch_execnz .LBB71_32
; %bb.33:
	s_or_b32 exec_lo, exec_lo, s1
.LBB71_34:
	s_delay_alu instid0(SALU_CYCLE_1) | instskip(SKIP_4) | instid1(VALU_DEP_1)
	s_or_b32 exec_lo, exec_lo, s4
	v_mov_b32_e32 v22, 0
	ds_load_b64 v[22:23], v22 offset:32
	s_wait_dscnt 0x0
	v_pk_mul_f32 v[28:29], v[18:19], v[22:23] op_sel:[1,1] op_sel_hi:[0,1]
	v_pk_fma_f32 v[30:31], v[18:19], v[22:23], v[28:29] op_sel_hi:[1,0,1]
	v_pk_fma_f32 v[18:19], v[18:19], v[22:23], v[28:29] neg_lo:[0,0,1] neg_hi:[0,0,1]
	s_delay_alu instid0(VALU_DEP_2)
	v_mov_b32_e32 v19, v31
	ds_store_b64 v25, v[18:19] offset:32
.LBB71_35:
	s_or_b32 exec_lo, exec_lo, s2
	ds_load_b64 v[18:19], v25 offset:24
	v_cmp_lt_u32_e64 s1, 3, v24
	s_wait_dscnt 0x0
	ds_store_b64 v20, v[18:19]
	s_wait_dscnt 0x0
	s_barrier_signal -1
	s_barrier_wait -1
	s_and_saveexec_b32 s2, s1
	s_cbranch_execz .LBB71_45
; %bb.36:
	s_and_not1_b32 vcc_lo, exec_lo, s3
	s_cbranch_vccnz .LBB71_38
; %bb.37:
	ds_load_b64 v[18:19], v21
	ds_load_b64 v[22:23], v20
	s_wait_dscnt 0x0
	v_pk_mul_f32 v[28:29], v[22:23], v[18:19] op_sel:[1,1] op_sel_hi:[0,1]
	s_delay_alu instid0(VALU_DEP_1) | instskip(SKIP_1) | instid1(VALU_DEP_2)
	v_pk_fma_f32 v[30:31], v[22:23], v[18:19], v[28:29] op_sel_hi:[1,0,1]
	v_pk_fma_f32 v[18:19], v[22:23], v[18:19], v[28:29] neg_lo:[0,0,1] neg_hi:[0,0,1]
	v_mov_b32_e32 v19, v31
	s_cbranch_execz .LBB71_39
	s_branch .LBB71_40
.LBB71_38:
                                        ; implicit-def: $vgpr18_vgpr19
.LBB71_39:
	ds_load_b64 v[18:19], v20
.LBB71_40:
	s_and_saveexec_b32 s4, s0
	s_cbranch_execz .LBB71_44
; %bb.41:
	v_add_nc_u32_e32 v22, -4, v24
	v_lshl_add_u32 v23, v26, 6, 0xa0
	s_movk_i32 s5, 0x60
	s_mov_b32 s0, 0
.LBB71_42:                              ; =>This Inner Loop Header: Depth=1
	s_delay_alu instid0(VALU_DEP_2)
	v_dual_mov_b32 v27, s5 :: v_dual_add_nc_u32 v22, -1, v22
	s_add_co_i32 s5, s5, 8
	ds_load_b64 v[28:29], v23
	ds_load_b64 v[30:31], v27
	v_add_nc_u32_e32 v23, 8, v23
	v_cmp_eq_u32_e32 vcc_lo, 0, v22
	s_or_b32 s0, vcc_lo, s0
	s_wait_dscnt 0x0
	v_pk_mul_f32 v[32:33], v[30:31], v[28:29] op_sel:[1,1] op_sel_hi:[0,1]
	s_delay_alu instid0(VALU_DEP_1) | instskip(SKIP_1) | instid1(VALU_DEP_2)
	v_pk_fma_f32 v[34:35], v[30:31], v[28:29], v[32:33] op_sel_hi:[1,0,1]
	v_pk_fma_f32 v[28:29], v[30:31], v[28:29], v[32:33] neg_lo:[0,0,1] neg_hi:[0,0,1]
	v_mov_b32_e32 v29, v35
	s_delay_alu instid0(VALU_DEP_1)
	v_pk_add_f32 v[18:19], v[18:19], v[28:29]
	s_and_not1_b32 exec_lo, exec_lo, s0
	s_cbranch_execnz .LBB71_42
; %bb.43:
	s_or_b32 exec_lo, exec_lo, s0
.LBB71_44:
	s_delay_alu instid0(SALU_CYCLE_1) | instskip(SKIP_4) | instid1(VALU_DEP_1)
	s_or_b32 exec_lo, exec_lo, s4
	v_mov_b32_e32 v22, 0
	ds_load_b64 v[22:23], v22 offset:24
	s_wait_dscnt 0x0
	v_pk_mul_f32 v[28:29], v[18:19], v[22:23] op_sel:[1,1] op_sel_hi:[0,1]
	v_pk_fma_f32 v[30:31], v[18:19], v[22:23], v[28:29] op_sel_hi:[1,0,1]
	v_pk_fma_f32 v[18:19], v[18:19], v[22:23], v[28:29] neg_lo:[0,0,1] neg_hi:[0,0,1]
	s_delay_alu instid0(VALU_DEP_2)
	v_mov_b32_e32 v19, v31
	ds_store_b64 v25, v[18:19] offset:24
.LBB71_45:
	s_or_b32 exec_lo, exec_lo, s2
	ds_load_b64 v[18:19], v25 offset:16
	v_cmp_lt_u32_e64 s2, 2, v24
	s_wait_dscnt 0x0
	ds_store_b64 v20, v[18:19]
	s_wait_dscnt 0x0
	s_barrier_signal -1
	s_barrier_wait -1
	s_and_saveexec_b32 s0, s2
	s_cbranch_execz .LBB71_55
; %bb.46:
	s_and_not1_b32 vcc_lo, exec_lo, s3
	s_cbranch_vccnz .LBB71_48
; %bb.47:
	ds_load_b64 v[18:19], v21
	ds_load_b64 v[22:23], v20
	s_wait_dscnt 0x0
	v_pk_mul_f32 v[28:29], v[22:23], v[18:19] op_sel:[1,1] op_sel_hi:[0,1]
	s_delay_alu instid0(VALU_DEP_1) | instskip(SKIP_1) | instid1(VALU_DEP_2)
	v_pk_fma_f32 v[30:31], v[22:23], v[18:19], v[28:29] op_sel_hi:[1,0,1]
	v_pk_fma_f32 v[18:19], v[22:23], v[18:19], v[28:29] neg_lo:[0,0,1] neg_hi:[0,0,1]
	v_mov_b32_e32 v19, v31
	s_cbranch_execz .LBB71_49
	s_branch .LBB71_50
.LBB71_48:
                                        ; implicit-def: $vgpr18_vgpr19
.LBB71_49:
	ds_load_b64 v[18:19], v20
.LBB71_50:
	s_and_saveexec_b32 s4, s1
	s_cbranch_execz .LBB71_54
; %bb.51:
	v_add_nc_u32_e32 v22, -3, v24
	v_lshl_add_u32 v23, v26, 6, 0x98
	s_movk_i32 s5, 0x58
	s_mov_b32 s1, 0
.LBB71_52:                              ; =>This Inner Loop Header: Depth=1
	s_delay_alu instid0(VALU_DEP_2)
	v_dual_mov_b32 v27, s5 :: v_dual_add_nc_u32 v22, -1, v22
	s_add_co_i32 s5, s5, 8
	ds_load_b64 v[28:29], v23
	ds_load_b64 v[30:31], v27
	v_add_nc_u32_e32 v23, 8, v23
	v_cmp_eq_u32_e32 vcc_lo, 0, v22
	s_or_b32 s1, vcc_lo, s1
	s_wait_dscnt 0x0
	v_pk_mul_f32 v[32:33], v[30:31], v[28:29] op_sel:[1,1] op_sel_hi:[0,1]
	s_delay_alu instid0(VALU_DEP_1) | instskip(SKIP_1) | instid1(VALU_DEP_2)
	v_pk_fma_f32 v[34:35], v[30:31], v[28:29], v[32:33] op_sel_hi:[1,0,1]
	v_pk_fma_f32 v[28:29], v[30:31], v[28:29], v[32:33] neg_lo:[0,0,1] neg_hi:[0,0,1]
	v_mov_b32_e32 v29, v35
	s_delay_alu instid0(VALU_DEP_1)
	v_pk_add_f32 v[18:19], v[18:19], v[28:29]
	s_and_not1_b32 exec_lo, exec_lo, s1
	s_cbranch_execnz .LBB71_52
; %bb.53:
	s_or_b32 exec_lo, exec_lo, s1
.LBB71_54:
	s_delay_alu instid0(SALU_CYCLE_1) | instskip(SKIP_4) | instid1(VALU_DEP_1)
	s_or_b32 exec_lo, exec_lo, s4
	v_mov_b32_e32 v22, 0
	ds_load_b64 v[22:23], v22 offset:16
	s_wait_dscnt 0x0
	v_pk_mul_f32 v[28:29], v[18:19], v[22:23] op_sel:[1,1] op_sel_hi:[0,1]
	v_pk_fma_f32 v[30:31], v[18:19], v[22:23], v[28:29] op_sel_hi:[1,0,1]
	v_pk_fma_f32 v[18:19], v[18:19], v[22:23], v[28:29] neg_lo:[0,0,1] neg_hi:[0,0,1]
	s_delay_alu instid0(VALU_DEP_2)
	v_mov_b32_e32 v19, v31
	ds_store_b64 v25, v[18:19] offset:16
.LBB71_55:
	s_or_b32 exec_lo, exec_lo, s0
	ds_load_b64 v[18:19], v25 offset:8
	v_cmp_lt_u32_e64 s0, 1, v24
	s_wait_dscnt 0x0
	ds_store_b64 v20, v[18:19]
	s_wait_dscnt 0x0
	s_barrier_signal -1
	s_barrier_wait -1
	s_and_saveexec_b32 s1, s0
	s_cbranch_execz .LBB71_65
; %bb.56:
	s_and_not1_b32 vcc_lo, exec_lo, s3
	s_cbranch_vccnz .LBB71_58
; %bb.57:
	ds_load_b64 v[18:19], v21
	ds_load_b64 v[22:23], v20
	s_wait_dscnt 0x0
	v_pk_mul_f32 v[28:29], v[22:23], v[18:19] op_sel:[1,1] op_sel_hi:[0,1]
	s_delay_alu instid0(VALU_DEP_1) | instskip(SKIP_1) | instid1(VALU_DEP_2)
	v_pk_fma_f32 v[30:31], v[22:23], v[18:19], v[28:29] op_sel_hi:[1,0,1]
	v_pk_fma_f32 v[18:19], v[22:23], v[18:19], v[28:29] neg_lo:[0,0,1] neg_hi:[0,0,1]
	v_mov_b32_e32 v19, v31
	s_cbranch_execz .LBB71_59
	s_branch .LBB71_60
.LBB71_58:
                                        ; implicit-def: $vgpr18_vgpr19
.LBB71_59:
	ds_load_b64 v[18:19], v20
.LBB71_60:
	s_and_saveexec_b32 s4, s2
	s_cbranch_execz .LBB71_64
; %bb.61:
	v_add_nc_u32_e32 v22, -2, v24
	v_lshl_add_u32 v23, v26, 6, 0x90
	s_movk_i32 s5, 0x50
	s_mov_b32 s2, 0
.LBB71_62:                              ; =>This Inner Loop Header: Depth=1
	s_delay_alu instid0(VALU_DEP_2)
	v_dual_mov_b32 v27, s5 :: v_dual_add_nc_u32 v22, -1, v22
	s_add_co_i32 s5, s5, 8
	ds_load_b64 v[28:29], v23
	ds_load_b64 v[30:31], v27
	v_add_nc_u32_e32 v23, 8, v23
	v_cmp_eq_u32_e32 vcc_lo, 0, v22
	s_or_b32 s2, vcc_lo, s2
	s_wait_dscnt 0x0
	v_pk_mul_f32 v[32:33], v[30:31], v[28:29] op_sel:[1,1] op_sel_hi:[0,1]
	s_delay_alu instid0(VALU_DEP_1) | instskip(SKIP_1) | instid1(VALU_DEP_2)
	v_pk_fma_f32 v[34:35], v[30:31], v[28:29], v[32:33] op_sel_hi:[1,0,1]
	v_pk_fma_f32 v[28:29], v[30:31], v[28:29], v[32:33] neg_lo:[0,0,1] neg_hi:[0,0,1]
	v_mov_b32_e32 v29, v35
	s_delay_alu instid0(VALU_DEP_1)
	v_pk_add_f32 v[18:19], v[18:19], v[28:29]
	s_and_not1_b32 exec_lo, exec_lo, s2
	s_cbranch_execnz .LBB71_62
; %bb.63:
	s_or_b32 exec_lo, exec_lo, s2
.LBB71_64:
	s_delay_alu instid0(SALU_CYCLE_1) | instskip(SKIP_4) | instid1(VALU_DEP_1)
	s_or_b32 exec_lo, exec_lo, s4
	v_mov_b32_e32 v22, 0
	ds_load_b64 v[22:23], v22 offset:8
	s_wait_dscnt 0x0
	v_pk_mul_f32 v[28:29], v[18:19], v[22:23] op_sel:[1,1] op_sel_hi:[0,1]
	v_pk_fma_f32 v[30:31], v[18:19], v[22:23], v[28:29] op_sel_hi:[1,0,1]
	v_pk_fma_f32 v[18:19], v[18:19], v[22:23], v[28:29] neg_lo:[0,0,1] neg_hi:[0,0,1]
	s_delay_alu instid0(VALU_DEP_2)
	v_mov_b32_e32 v19, v31
	ds_store_b64 v25, v[18:19] offset:8
.LBB71_65:
	s_or_b32 exec_lo, exec_lo, s1
	ds_load_b64 v[18:19], v25
	s_mov_b32 s2, 0
	s_mov_b32 s1, 0
	s_mov_b32 s4, exec_lo
                                        ; implicit-def: $vgpr23
                                        ; implicit-def: $vgpr27
	s_wait_dscnt 0x0
	ds_store_b64 v20, v[18:19]
	s_wait_dscnt 0x0
	s_barrier_signal -1
	s_barrier_wait -1
	v_cmpx_ne_u32_e32 0, v24
	s_cbranch_execz .LBB71_75
; %bb.66:
	s_and_not1_b32 vcc_lo, exec_lo, s3
	s_cbranch_vccnz .LBB71_68
; %bb.67:
	ds_load_b64 v[22:23], v21
	ds_load_b64 v[28:29], v20
	s_wait_dscnt 0x0
	v_dual_mul_f32 v18, v29, v23 :: v_dual_mul_f32 v19, v28, v23
	s_delay_alu instid0(VALU_DEP_1)
	v_dual_fma_f32 v18, v28, v22, -v18 :: v_dual_fmac_f32 v19, v29, v22
	s_and_not1_b32 vcc_lo, exec_lo, s1
	s_cbranch_vccz .LBB71_69
	s_branch .LBB71_70
.LBB71_68:
                                        ; implicit-def: $vgpr18
.LBB71_69:
	ds_load_b64 v[18:19], v20
.LBB71_70:
	s_and_saveexec_b32 s1, s0
	s_cbranch_execz .LBB71_74
; %bb.71:
	v_add_nc_u32_e32 v22, -1, v24
	v_lshl_add_u32 v23, v26, 6, 0x88
	s_movk_i32 s5, 0x48
	s_mov_b32 s0, 0
.LBB71_72:                              ; =>This Inner Loop Header: Depth=1
	v_mov_b32_e32 v28, s5
	s_add_co_i32 s5, s5, 8
	ds_load_b64 v[26:27], v23
	ds_load_b64 v[28:29], v28
	v_add_nc_u32_e32 v22, -1, v22
	s_delay_alu instid0(VALU_DEP_1) | instskip(SKIP_3) | instid1(VALU_DEP_1)
	v_cmp_eq_u32_e32 vcc_lo, 0, v22
	s_or_b32 s0, vcc_lo, s0
	s_wait_dscnt 0x0
	v_dual_mul_f32 v30, v29, v27 :: v_dual_mul_f32 v27, v28, v27
	v_dual_fma_f32 v28, v28, v26, -v30 :: v_dual_fmac_f32 v27, v29, v26
	s_delay_alu instid0(VALU_DEP_1) | instskip(NEXT) | instid1(VALU_DEP_2)
	v_dual_add_f32 v18, v18, v28 :: v_dual_add_nc_u32 v23, 8, v23
	v_add_f32_e32 v19, v19, v27
	s_and_not1_b32 exec_lo, exec_lo, s0
	s_cbranch_execnz .LBB71_72
; %bb.73:
	s_or_b32 exec_lo, exec_lo, s0
.LBB71_74:
	s_delay_alu instid0(SALU_CYCLE_1)
	s_or_b32 exec_lo, exec_lo, s1
	v_mov_b32_e32 v22, 0
	s_mov_b32 s1, exec_lo
	v_add_nc_u32_e32 v27, 4, v25
	ds_load_b64 v[22:23], v22
	s_wait_dscnt 0x0
	v_dual_mul_f32 v26, v19, v23 :: v_dual_mul_f32 v23, v18, v23
	s_delay_alu instid0(VALU_DEP_1)
	v_dual_fma_f32 v18, v18, v22, -v26 :: v_dual_fmac_f32 v23, v19, v22
	ds_store_b32 v25, v18
.LBB71_75:
	s_or_b32 exec_lo, exec_lo, s4
	s_delay_alu instid0(SALU_CYCLE_1)
	s_and_b32 vcc_lo, exec_lo, s2
	s_cbranch_vccz .LBB71_141
.LBB71_76:
	ds_load_b64 v[18:19], v25 offset:8
	v_cmp_eq_u32_e64 s0, 0, v24
	s_wait_dscnt 0x0
	ds_store_b64 v20, v[18:19]
	s_wait_dscnt 0x0
	s_barrier_signal -1
	s_barrier_wait -1
	s_and_saveexec_b32 s2, s0
	s_cbranch_execz .LBB71_82
; %bb.77:
	s_and_b32 vcc_lo, exec_lo, s3
	s_cbranch_vccz .LBB71_79
; %bb.78:
	ds_load_b64 v[18:19], v21
	ds_load_b64 v[22:23], v20
	s_wait_dscnt 0x0
	v_pk_mul_f32 v[26:27], v[22:23], v[18:19] op_sel:[1,1] op_sel_hi:[0,1]
	v_pk_mul_f32 v[28:29], v[22:23], v[18:19] op_sel_hi:[1,0]
	s_delay_alu instid0(VALU_DEP_2) | instskip(NEXT) | instid1(VALU_DEP_2)
	v_pk_fma_f32 v[18:19], v[22:23], v[18:19], v[26:27] op_sel_hi:[1,0,1]
	v_sub_f32_e32 v18, v28, v26
	s_cbranch_execz .LBB71_80
	s_branch .LBB71_81
.LBB71_79:
                                        ; implicit-def: $vgpr19
.LBB71_80:
	ds_load_b64 v[18:19], v20
.LBB71_81:
	s_wait_dscnt 0x0
	v_dual_mov_b32 v22, 0 :: v_dual_mov_b32 v26, v19
	v_mov_b32_e32 v27, v18
	ds_load_b64 v[22:23], v22 offset:8
	s_wait_dscnt 0x0
	v_pk_mul_f32 v[26:27], v[26:27], v[22:23] op_sel:[0,1]
	s_delay_alu instid0(VALU_DEP_1) | instskip(SKIP_1) | instid1(VALU_DEP_2)
	v_pk_fma_f32 v[28:29], v[18:19], v[22:23], v[26:27] op_sel_hi:[1,0,1]
	v_pk_fma_f32 v[18:19], v[18:19], v[22:23], v[26:27] neg_lo:[0,0,1] neg_hi:[0,0,1]
	v_mov_b32_e32 v19, v29
	ds_store_b64 v25, v[18:19] offset:8
.LBB71_82:
	s_or_b32 exec_lo, exec_lo, s2
	ds_load_b64 v[18:19], v25 offset:16
	v_cndmask_b32_e64 v22, 0, 1, s3
	s_mov_b32 s2, exec_lo
	s_wait_dscnt 0x0
	ds_store_b64 v20, v[18:19]
	s_wait_dscnt 0x0
	s_barrier_signal -1
	s_barrier_wait -1
	v_cmpx_gt_u32_e32 2, v24
	s_cbranch_execz .LBB71_90
; %bb.83:
	s_and_not1_b32 vcc_lo, exec_lo, s3
	s_cbranch_vccnz .LBB71_85
; %bb.84:
	ds_load_b64 v[18:19], v21
	ds_load_b64 v[26:27], v20
	s_wait_dscnt 0x0
	v_pk_mul_f32 v[28:29], v[26:27], v[18:19] op_sel:[1,1] op_sel_hi:[0,1]
	s_delay_alu instid0(VALU_DEP_1) | instskip(SKIP_1) | instid1(VALU_DEP_2)
	v_pk_fma_f32 v[30:31], v[26:27], v[18:19], v[28:29] op_sel_hi:[1,0,1]
	v_pk_fma_f32 v[18:19], v[26:27], v[18:19], v[28:29] neg_lo:[0,0,1] neg_hi:[0,0,1]
	v_mov_b32_e32 v19, v31
	s_cbranch_execz .LBB71_86
	s_branch .LBB71_87
.LBB71_85:
                                        ; implicit-def: $vgpr18_vgpr19
.LBB71_86:
	ds_load_b64 v[18:19], v20
.LBB71_87:
	s_and_saveexec_b32 s3, s0
	s_cbranch_execz .LBB71_89
; %bb.88:
	v_mov_b32_e32 v23, 0
	ds_load_b64 v[26:27], v25 offset:8
	ds_load_b64 v[28:29], v23 offset:72
	s_wait_dscnt 0x0
	v_pk_mul_f32 v[30:31], v[28:29], v[26:27] op_sel:[1,1] op_sel_hi:[0,1]
	s_delay_alu instid0(VALU_DEP_1) | instskip(SKIP_1) | instid1(VALU_DEP_2)
	v_pk_fma_f32 v[32:33], v[28:29], v[26:27], v[30:31] op_sel_hi:[1,0,1]
	v_pk_fma_f32 v[26:27], v[28:29], v[26:27], v[30:31] neg_lo:[0,0,1] neg_hi:[0,0,1]
	v_mov_b32_e32 v27, v33
	s_delay_alu instid0(VALU_DEP_1)
	v_pk_add_f32 v[18:19], v[18:19], v[26:27]
.LBB71_89:
	s_or_b32 exec_lo, exec_lo, s3
	v_mov_b32_e32 v23, 0
	ds_load_b64 v[26:27], v23 offset:16
	s_wait_dscnt 0x0
	v_pk_mul_f32 v[28:29], v[18:19], v[26:27] op_sel:[1,1] op_sel_hi:[0,1]
	s_delay_alu instid0(VALU_DEP_1) | instskip(SKIP_1) | instid1(VALU_DEP_2)
	v_pk_fma_f32 v[30:31], v[18:19], v[26:27], v[28:29] op_sel_hi:[1,0,1]
	v_pk_fma_f32 v[18:19], v[18:19], v[26:27], v[28:29] neg_lo:[0,0,1] neg_hi:[0,0,1]
	v_mov_b32_e32 v19, v31
	ds_store_b64 v25, v[18:19] offset:16
.LBB71_90:
	s_or_b32 exec_lo, exec_lo, s2
	ds_load_b64 v[18:19], v25 offset:24
	s_mov_b32 s2, exec_lo
	s_wait_dscnt 0x0
	ds_store_b64 v20, v[18:19]
	s_wait_dscnt 0x0
	s_barrier_signal -1
	s_barrier_wait -1
	v_cmpx_gt_u32_e32 3, v24
	s_cbranch_execz .LBB71_100
; %bb.91:
	v_cmp_ne_u32_e32 vcc_lo, 1, v22
	s_cbranch_vccnz .LBB71_93
; %bb.92:
	ds_load_b64 v[18:19], v21
	ds_load_b64 v[26:27], v20
	s_wait_dscnt 0x0
	v_pk_mul_f32 v[28:29], v[26:27], v[18:19] op_sel:[1,1] op_sel_hi:[0,1]
	s_delay_alu instid0(VALU_DEP_1) | instskip(SKIP_1) | instid1(VALU_DEP_2)
	v_pk_fma_f32 v[30:31], v[26:27], v[18:19], v[28:29] op_sel_hi:[1,0,1]
	v_pk_fma_f32 v[18:19], v[26:27], v[18:19], v[28:29] neg_lo:[0,0,1] neg_hi:[0,0,1]
	v_mov_b32_e32 v19, v31
	s_cbranch_execz .LBB71_94
	s_branch .LBB71_95
.LBB71_93:
                                        ; implicit-def: $vgpr18_vgpr19
.LBB71_94:
	ds_load_b64 v[18:19], v20
.LBB71_95:
	s_mov_b32 s3, exec_lo
	v_cmpx_ne_u32_e32 2, v24
	s_cbranch_execz .LBB71_99
; %bb.96:
	ds_load_b64 v[26:27], v21 offset:8
	ds_load_b64 v[28:29], v20 offset:8
	s_wait_dscnt 0x0
	v_pk_mul_f32 v[30:31], v[28:29], v[26:27] op_sel:[1,1] op_sel_hi:[0,1]
	s_delay_alu instid0(VALU_DEP_1) | instskip(SKIP_1) | instid1(VALU_DEP_2)
	v_pk_fma_f32 v[32:33], v[28:29], v[26:27], v[30:31] op_sel_hi:[1,0,1]
	v_pk_fma_f32 v[26:27], v[28:29], v[26:27], v[30:31] neg_lo:[0,0,1] neg_hi:[0,0,1]
	v_mov_b32_e32 v27, v33
	s_delay_alu instid0(VALU_DEP_1)
	v_pk_add_f32 v[18:19], v[18:19], v[26:27]
	s_and_saveexec_b32 s4, s0
	s_cbranch_execz .LBB71_98
; %bb.97:
	v_mov_b32_e32 v23, 0
	ds_load_b64 v[26:27], v23 offset:80
	ds_load_b64 v[28:29], v25 offset:16
	s_wait_dscnt 0x0
	v_pk_mul_f32 v[30:31], v[26:27], v[28:29] op_sel:[1,1] op_sel_hi:[0,1]
	s_delay_alu instid0(VALU_DEP_1) | instskip(SKIP_1) | instid1(VALU_DEP_2)
	v_pk_fma_f32 v[32:33], v[26:27], v[28:29], v[30:31] op_sel_hi:[1,0,1]
	v_pk_fma_f32 v[26:27], v[26:27], v[28:29], v[30:31] neg_lo:[0,0,1] neg_hi:[0,0,1]
	v_mov_b32_e32 v27, v33
	s_delay_alu instid0(VALU_DEP_1)
	v_pk_add_f32 v[18:19], v[18:19], v[26:27]
.LBB71_98:
	s_or_b32 exec_lo, exec_lo, s4
.LBB71_99:
	s_delay_alu instid0(SALU_CYCLE_1) | instskip(SKIP_4) | instid1(VALU_DEP_1)
	s_or_b32 exec_lo, exec_lo, s3
	v_mov_b32_e32 v23, 0
	ds_load_b64 v[26:27], v23 offset:24
	s_wait_dscnt 0x0
	v_pk_mul_f32 v[28:29], v[18:19], v[26:27] op_sel:[1,1] op_sel_hi:[0,1]
	v_pk_fma_f32 v[30:31], v[18:19], v[26:27], v[28:29] op_sel_hi:[1,0,1]
	v_pk_fma_f32 v[18:19], v[18:19], v[26:27], v[28:29] neg_lo:[0,0,1] neg_hi:[0,0,1]
	s_delay_alu instid0(VALU_DEP_2)
	v_mov_b32_e32 v19, v31
	ds_store_b64 v25, v[18:19] offset:24
.LBB71_100:
	s_or_b32 exec_lo, exec_lo, s2
	ds_load_b64 v[18:19], v25 offset:32
	s_mov_b32 s0, exec_lo
	s_wait_dscnt 0x0
	ds_store_b64 v20, v[18:19]
	s_wait_dscnt 0x0
	s_barrier_signal -1
	s_barrier_wait -1
	v_cmpx_gt_u32_e32 4, v24
	s_cbranch_execz .LBB71_110
; %bb.101:
	v_cmp_ne_u32_e32 vcc_lo, 1, v22
	s_cbranch_vccnz .LBB71_103
; %bb.102:
	ds_load_b64 v[18:19], v21
	ds_load_b64 v[26:27], v20
	s_wait_dscnt 0x0
	v_pk_mul_f32 v[28:29], v[26:27], v[18:19] op_sel:[1,1] op_sel_hi:[0,1]
	s_delay_alu instid0(VALU_DEP_1) | instskip(SKIP_1) | instid1(VALU_DEP_2)
	v_pk_fma_f32 v[30:31], v[26:27], v[18:19], v[28:29] op_sel_hi:[1,0,1]
	v_pk_fma_f32 v[18:19], v[26:27], v[18:19], v[28:29] neg_lo:[0,0,1] neg_hi:[0,0,1]
	v_mov_b32_e32 v19, v31
	s_cbranch_execz .LBB71_104
	s_branch .LBB71_105
.LBB71_103:
                                        ; implicit-def: $vgpr18_vgpr19
.LBB71_104:
	ds_load_b64 v[18:19], v20
.LBB71_105:
	s_mov_b32 s2, exec_lo
	v_cmpx_ne_u32_e32 3, v24
	s_cbranch_execz .LBB71_109
; %bb.106:
	v_add_nc_u32_e32 v23, 0x48, v16
	v_add3_u32 v26, v17, v16, 0x88
	v_mov_b32_e32 v27, v24
	s_mov_b32 s3, 0
.LBB71_107:                             ; =>This Inner Loop Header: Depth=1
	ds_load_b64 v[28:29], v26
	ds_load_b64 v[30:31], v23
	v_dual_add_nc_u32 v23, 8, v23 :: v_dual_add_nc_u32 v26, 8, v26
	s_wait_dscnt 0x0
	v_pk_mul_f32 v[32:33], v[30:31], v[28:29] op_sel:[1,1] op_sel_hi:[0,1]
	s_delay_alu instid0(VALU_DEP_1) | instskip(SKIP_2) | instid1(VALU_DEP_3)
	v_pk_fma_f32 v[34:35], v[30:31], v[28:29], v[32:33] op_sel_hi:[1,0,1]
	v_add_nc_u32_e32 v27, 1, v27
	v_pk_fma_f32 v[28:29], v[30:31], v[28:29], v[32:33] neg_lo:[0,0,1] neg_hi:[0,0,1]
	v_mov_b32_e32 v29, v35
	s_delay_alu instid0(VALU_DEP_3) | instskip(NEXT) | instid1(VALU_DEP_2)
	v_cmp_lt_u32_e32 vcc_lo, 2, v27
	v_pk_add_f32 v[18:19], v[18:19], v[28:29]
	s_or_b32 s3, vcc_lo, s3
	s_delay_alu instid0(SALU_CYCLE_1)
	s_and_not1_b32 exec_lo, exec_lo, s3
	s_cbranch_execnz .LBB71_107
; %bb.108:
	s_or_b32 exec_lo, exec_lo, s3
.LBB71_109:
	s_delay_alu instid0(SALU_CYCLE_1) | instskip(SKIP_4) | instid1(VALU_DEP_1)
	s_or_b32 exec_lo, exec_lo, s2
	v_mov_b32_e32 v23, 0
	ds_load_b64 v[26:27], v23 offset:32
	s_wait_dscnt 0x0
	v_pk_mul_f32 v[28:29], v[18:19], v[26:27] op_sel:[1,1] op_sel_hi:[0,1]
	v_pk_fma_f32 v[30:31], v[18:19], v[26:27], v[28:29] op_sel_hi:[1,0,1]
	v_pk_fma_f32 v[18:19], v[18:19], v[26:27], v[28:29] neg_lo:[0,0,1] neg_hi:[0,0,1]
	s_delay_alu instid0(VALU_DEP_2)
	v_mov_b32_e32 v19, v31
	ds_store_b64 v25, v[18:19] offset:32
.LBB71_110:
	s_or_b32 exec_lo, exec_lo, s0
	ds_load_b64 v[18:19], v25 offset:40
	s_mov_b32 s0, exec_lo
	s_wait_dscnt 0x0
	ds_store_b64 v20, v[18:19]
	s_wait_dscnt 0x0
	s_barrier_signal -1
	s_barrier_wait -1
	v_cmpx_gt_u32_e32 5, v24
	s_cbranch_execz .LBB71_120
; %bb.111:
	v_cmp_ne_u32_e32 vcc_lo, 1, v22
	s_cbranch_vccnz .LBB71_113
; %bb.112:
	ds_load_b64 v[18:19], v21
	ds_load_b64 v[26:27], v20
	s_wait_dscnt 0x0
	v_pk_mul_f32 v[28:29], v[26:27], v[18:19] op_sel:[1,1] op_sel_hi:[0,1]
	s_delay_alu instid0(VALU_DEP_1) | instskip(SKIP_1) | instid1(VALU_DEP_2)
	v_pk_fma_f32 v[30:31], v[26:27], v[18:19], v[28:29] op_sel_hi:[1,0,1]
	v_pk_fma_f32 v[18:19], v[26:27], v[18:19], v[28:29] neg_lo:[0,0,1] neg_hi:[0,0,1]
	v_mov_b32_e32 v19, v31
	s_cbranch_execz .LBB71_114
	s_branch .LBB71_115
.LBB71_113:
                                        ; implicit-def: $vgpr18_vgpr19
.LBB71_114:
	ds_load_b64 v[18:19], v20
.LBB71_115:
	s_mov_b32 s2, exec_lo
	v_cmpx_ne_u32_e32 4, v24
	s_cbranch_execz .LBB71_119
; %bb.116:
	v_add_nc_u32_e32 v23, 0x48, v16
	v_add3_u32 v26, v17, v16, 0x88
	v_mov_b32_e32 v27, v24
	s_mov_b32 s3, 0
.LBB71_117:                             ; =>This Inner Loop Header: Depth=1
	ds_load_b64 v[28:29], v26
	ds_load_b64 v[30:31], v23
	v_dual_add_nc_u32 v23, 8, v23 :: v_dual_add_nc_u32 v26, 8, v26
	s_wait_dscnt 0x0
	v_pk_mul_f32 v[32:33], v[30:31], v[28:29] op_sel:[1,1] op_sel_hi:[0,1]
	s_delay_alu instid0(VALU_DEP_1) | instskip(SKIP_2) | instid1(VALU_DEP_3)
	v_pk_fma_f32 v[34:35], v[30:31], v[28:29], v[32:33] op_sel_hi:[1,0,1]
	v_add_nc_u32_e32 v27, 1, v27
	v_pk_fma_f32 v[28:29], v[30:31], v[28:29], v[32:33] neg_lo:[0,0,1] neg_hi:[0,0,1]
	v_mov_b32_e32 v29, v35
	s_delay_alu instid0(VALU_DEP_3) | instskip(NEXT) | instid1(VALU_DEP_2)
	v_cmp_lt_u32_e32 vcc_lo, 3, v27
	v_pk_add_f32 v[18:19], v[18:19], v[28:29]
	s_or_b32 s3, vcc_lo, s3
	s_delay_alu instid0(SALU_CYCLE_1)
	s_and_not1_b32 exec_lo, exec_lo, s3
	s_cbranch_execnz .LBB71_117
; %bb.118:
	s_or_b32 exec_lo, exec_lo, s3
.LBB71_119:
	s_delay_alu instid0(SALU_CYCLE_1) | instskip(SKIP_4) | instid1(VALU_DEP_1)
	s_or_b32 exec_lo, exec_lo, s2
	v_mov_b32_e32 v23, 0
	ds_load_b64 v[26:27], v23 offset:40
	s_wait_dscnt 0x0
	v_pk_mul_f32 v[28:29], v[18:19], v[26:27] op_sel:[1,1] op_sel_hi:[0,1]
	v_pk_fma_f32 v[30:31], v[18:19], v[26:27], v[28:29] op_sel_hi:[1,0,1]
	v_pk_fma_f32 v[18:19], v[18:19], v[26:27], v[28:29] neg_lo:[0,0,1] neg_hi:[0,0,1]
	s_delay_alu instid0(VALU_DEP_2)
	v_mov_b32_e32 v19, v31
	ds_store_b64 v25, v[18:19] offset:40
.LBB71_120:
	s_or_b32 exec_lo, exec_lo, s0
	ds_load_b64 v[18:19], v25 offset:48
	v_cmp_gt_u32_e64 s0, 6, v24
	s_wait_dscnt 0x0
	ds_store_b64 v20, v[18:19]
	s_wait_dscnt 0x0
	s_barrier_signal -1
	s_barrier_wait -1
	s_and_saveexec_b32 s2, s0
	s_cbranch_execz .LBB71_130
; %bb.121:
	v_cmp_ne_u32_e32 vcc_lo, 1, v22
	s_cbranch_vccnz .LBB71_123
; %bb.122:
	ds_load_b64 v[18:19], v21
	ds_load_b64 v[26:27], v20
	s_wait_dscnt 0x0
	v_pk_mul_f32 v[28:29], v[26:27], v[18:19] op_sel:[1,1] op_sel_hi:[0,1]
	s_delay_alu instid0(VALU_DEP_1) | instskip(SKIP_1) | instid1(VALU_DEP_2)
	v_pk_fma_f32 v[30:31], v[26:27], v[18:19], v[28:29] op_sel_hi:[1,0,1]
	v_pk_fma_f32 v[18:19], v[26:27], v[18:19], v[28:29] neg_lo:[0,0,1] neg_hi:[0,0,1]
	v_mov_b32_e32 v19, v31
	s_cbranch_execz .LBB71_124
	s_branch .LBB71_125
.LBB71_123:
                                        ; implicit-def: $vgpr18_vgpr19
.LBB71_124:
	ds_load_b64 v[18:19], v20
.LBB71_125:
	s_mov_b32 s3, exec_lo
	v_cmpx_ne_u32_e32 5, v24
	s_cbranch_execz .LBB71_129
; %bb.126:
	v_add_nc_u32_e32 v23, 0x48, v16
	v_add3_u32 v26, v17, v16, 0x88
	v_mov_b32_e32 v27, v24
	s_mov_b32 s4, 0
.LBB71_127:                             ; =>This Inner Loop Header: Depth=1
	ds_load_b64 v[28:29], v26
	ds_load_b64 v[30:31], v23
	v_dual_add_nc_u32 v23, 8, v23 :: v_dual_add_nc_u32 v26, 8, v26
	s_wait_dscnt 0x0
	v_pk_mul_f32 v[32:33], v[30:31], v[28:29] op_sel:[1,1] op_sel_hi:[0,1]
	s_delay_alu instid0(VALU_DEP_1) | instskip(SKIP_2) | instid1(VALU_DEP_3)
	v_pk_fma_f32 v[34:35], v[30:31], v[28:29], v[32:33] op_sel_hi:[1,0,1]
	v_add_nc_u32_e32 v27, 1, v27
	v_pk_fma_f32 v[28:29], v[30:31], v[28:29], v[32:33] neg_lo:[0,0,1] neg_hi:[0,0,1]
	v_mov_b32_e32 v29, v35
	s_delay_alu instid0(VALU_DEP_3) | instskip(NEXT) | instid1(VALU_DEP_2)
	v_cmp_lt_u32_e32 vcc_lo, 4, v27
	v_pk_add_f32 v[18:19], v[18:19], v[28:29]
	s_or_b32 s4, vcc_lo, s4
	s_delay_alu instid0(SALU_CYCLE_1)
	s_and_not1_b32 exec_lo, exec_lo, s4
	s_cbranch_execnz .LBB71_127
; %bb.128:
	s_or_b32 exec_lo, exec_lo, s4
.LBB71_129:
	s_delay_alu instid0(SALU_CYCLE_1) | instskip(SKIP_4) | instid1(VALU_DEP_1)
	s_or_b32 exec_lo, exec_lo, s3
	v_mov_b32_e32 v23, 0
	ds_load_b64 v[26:27], v23 offset:48
	s_wait_dscnt 0x0
	v_pk_mul_f32 v[28:29], v[18:19], v[26:27] op_sel:[1,1] op_sel_hi:[0,1]
	v_pk_fma_f32 v[30:31], v[18:19], v[26:27], v[28:29] op_sel_hi:[1,0,1]
	v_pk_fma_f32 v[18:19], v[18:19], v[26:27], v[28:29] neg_lo:[0,0,1] neg_hi:[0,0,1]
	s_delay_alu instid0(VALU_DEP_2)
	v_mov_b32_e32 v19, v31
	ds_store_b64 v25, v[18:19] offset:48
.LBB71_130:
	s_or_b32 exec_lo, exec_lo, s2
	ds_load_b64 v[18:19], v25 offset:56
	s_mov_b32 s2, exec_lo
                                        ; implicit-def: $vgpr23
                                        ; implicit-def: $vgpr27
	s_wait_dscnt 0x0
	ds_store_b64 v20, v[18:19]
	s_wait_dscnt 0x0
	s_barrier_signal -1
	s_barrier_wait -1
	v_cmpx_ne_u32_e32 7, v24
	s_cbranch_execz .LBB71_140
; %bb.131:
	v_cmp_ne_u32_e32 vcc_lo, 1, v22
	s_cbranch_vccnz .LBB71_133
; %bb.132:
	ds_load_b64 v[22:23], v21
	ds_load_b64 v[26:27], v20
	s_wait_dscnt 0x0
	v_dual_mul_f32 v18, v27, v23 :: v_dual_mul_f32 v19, v26, v23
	s_delay_alu instid0(VALU_DEP_1)
	v_dual_fma_f32 v18, v26, v22, -v18 :: v_dual_fmac_f32 v19, v27, v22
	s_cbranch_execz .LBB71_134
	s_branch .LBB71_135
.LBB71_133:
                                        ; implicit-def: $vgpr19
.LBB71_134:
	ds_load_b64 v[18:19], v20
.LBB71_135:
	s_and_saveexec_b32 s3, s0
	s_cbranch_execz .LBB71_139
; %bb.136:
	v_add_nc_u32_e32 v20, 0x48, v16
	v_add3_u32 v16, v17, v16, 0x88
	s_mov_b32 s0, 0
.LBB71_137:                             ; =>This Inner Loop Header: Depth=1
	ds_load_b64 v[22:23], v16
	ds_load_b64 v[26:27], v20
	s_wait_dscnt 0x0
	v_dual_mul_f32 v17, v27, v23 :: v_dual_add_nc_u32 v20, 8, v20
	v_dual_mul_f32 v21, v26, v23 :: v_dual_add_nc_u32 v24, 1, v24
	s_delay_alu instid0(VALU_DEP_2) | instskip(NEXT) | instid1(VALU_DEP_2)
	v_fma_f32 v17, v26, v22, -v17
	v_fmac_f32_e32 v21, v27, v22
	s_delay_alu instid0(VALU_DEP_3) | instskip(NEXT) | instid1(VALU_DEP_3)
	v_cmp_lt_u32_e32 vcc_lo, 5, v24
	v_dual_add_nc_u32 v16, 8, v16 :: v_dual_add_f32 v18, v18, v17
	s_delay_alu instid0(VALU_DEP_3) | instskip(SKIP_1) | instid1(SALU_CYCLE_1)
	v_add_f32_e32 v19, v19, v21
	s_or_b32 s0, vcc_lo, s0
	s_and_not1_b32 exec_lo, exec_lo, s0
	s_cbranch_execnz .LBB71_137
; %bb.138:
	s_or_b32 exec_lo, exec_lo, s0
.LBB71_139:
	s_delay_alu instid0(SALU_CYCLE_1)
	s_or_b32 exec_lo, exec_lo, s3
	v_mov_b32_e32 v16, 0
	s_or_b32 s1, s1, exec_lo
	ds_load_b64 v[16:17], v16 offset:56
	s_wait_dscnt 0x0
	v_dual_mul_f32 v20, v19, v17 :: v_dual_mul_f32 v23, v18, v17
	s_delay_alu instid0(VALU_DEP_1) | instskip(NEXT) | instid1(VALU_DEP_2)
	v_dual_fma_f32 v17, v18, v16, -v20 :: v_dual_add_nc_u32 v27, 60, v25
	v_fmac_f32_e32 v23, v19, v16
	ds_store_b32 v25, v17 offset:56
.LBB71_140:
	s_or_b32 exec_lo, exec_lo, s2
.LBB71_141:
	v_lshl_add_u64 v[20:21], v[4:5], 3, s[6:7]
	v_lshl_add_u64 v[18:19], v[6:7], 3, s[6:7]
	;; [unrolled: 1-line block ×6, first 2 shown]
	s_and_saveexec_b32 s0, s1
; %bb.142:
	ds_store_b32 v27, v23
; %bb.143:
	s_or_b32 exec_lo, exec_lo, s0
	ds_load_b64 v[10:11], v25
	s_wait_dscnt 0x0
	flat_store_b64 v[0:1], v[10:11]
	s_wait_xcnt 0x0
	ds_load_b64 v[0:1], v25 offset:8
	s_wait_dscnt 0x0
	flat_store_b64 v[2:3], v[0:1]
	s_wait_xcnt 0x0
	ds_load_b64 v[0:1], v25 offset:16
	;; [unrolled: 4-line block ×7, first 2 shown]
	s_wait_dscnt 0x0
	flat_store_b64 v[4:5], v[0:1]
.LBB71_144:
	s_endpgm
	.section	.rodata,"a",@progbits
	.p2align	6, 0x0
	.amdhsa_kernel _ZN9rocsolver6v33100L18trti2_kernel_smallILi8E19rocblas_complex_numIfEPKPS3_EEv13rocblas_fill_17rocblas_diagonal_T1_iil
		.amdhsa_group_segment_fixed_size 4224
		.amdhsa_private_segment_fixed_size 0
		.amdhsa_kernarg_size 32
		.amdhsa_user_sgpr_count 4
		.amdhsa_user_sgpr_dispatch_ptr 1
		.amdhsa_user_sgpr_queue_ptr 0
		.amdhsa_user_sgpr_kernarg_segment_ptr 1
		.amdhsa_user_sgpr_dispatch_id 0
		.amdhsa_user_sgpr_kernarg_preload_length 0
		.amdhsa_user_sgpr_kernarg_preload_offset 0
		.amdhsa_user_sgpr_private_segment_size 0
		.amdhsa_wavefront_size32 1
		.amdhsa_uses_dynamic_stack 0
		.amdhsa_enable_private_segment 0
		.amdhsa_system_sgpr_workgroup_id_x 1
		.amdhsa_system_sgpr_workgroup_id_y 0
		.amdhsa_system_sgpr_workgroup_id_z 0
		.amdhsa_system_sgpr_workgroup_info 0
		.amdhsa_system_vgpr_workitem_id 2
		.amdhsa_next_free_vgpr 36
		.amdhsa_next_free_sgpr 12
		.amdhsa_named_barrier_count 0
		.amdhsa_reserve_vcc 1
		.amdhsa_float_round_mode_32 0
		.amdhsa_float_round_mode_16_64 0
		.amdhsa_float_denorm_mode_32 3
		.amdhsa_float_denorm_mode_16_64 3
		.amdhsa_fp16_overflow 0
		.amdhsa_memory_ordered 1
		.amdhsa_forward_progress 1
		.amdhsa_inst_pref_size 44
		.amdhsa_round_robin_scheduling 0
		.amdhsa_exception_fp_ieee_invalid_op 0
		.amdhsa_exception_fp_denorm_src 0
		.amdhsa_exception_fp_ieee_div_zero 0
		.amdhsa_exception_fp_ieee_overflow 0
		.amdhsa_exception_fp_ieee_underflow 0
		.amdhsa_exception_fp_ieee_inexact 0
		.amdhsa_exception_int_div_zero 0
	.end_amdhsa_kernel
	.section	.text._ZN9rocsolver6v33100L18trti2_kernel_smallILi8E19rocblas_complex_numIfEPKPS3_EEv13rocblas_fill_17rocblas_diagonal_T1_iil,"axG",@progbits,_ZN9rocsolver6v33100L18trti2_kernel_smallILi8E19rocblas_complex_numIfEPKPS3_EEv13rocblas_fill_17rocblas_diagonal_T1_iil,comdat
.Lfunc_end71:
	.size	_ZN9rocsolver6v33100L18trti2_kernel_smallILi8E19rocblas_complex_numIfEPKPS3_EEv13rocblas_fill_17rocblas_diagonal_T1_iil, .Lfunc_end71-_ZN9rocsolver6v33100L18trti2_kernel_smallILi8E19rocblas_complex_numIfEPKPS3_EEv13rocblas_fill_17rocblas_diagonal_T1_iil
                                        ; -- End function
	.set _ZN9rocsolver6v33100L18trti2_kernel_smallILi8E19rocblas_complex_numIfEPKPS3_EEv13rocblas_fill_17rocblas_diagonal_T1_iil.num_vgpr, 36
	.set _ZN9rocsolver6v33100L18trti2_kernel_smallILi8E19rocblas_complex_numIfEPKPS3_EEv13rocblas_fill_17rocblas_diagonal_T1_iil.num_agpr, 0
	.set _ZN9rocsolver6v33100L18trti2_kernel_smallILi8E19rocblas_complex_numIfEPKPS3_EEv13rocblas_fill_17rocblas_diagonal_T1_iil.numbered_sgpr, 12
	.set _ZN9rocsolver6v33100L18trti2_kernel_smallILi8E19rocblas_complex_numIfEPKPS3_EEv13rocblas_fill_17rocblas_diagonal_T1_iil.num_named_barrier, 0
	.set _ZN9rocsolver6v33100L18trti2_kernel_smallILi8E19rocblas_complex_numIfEPKPS3_EEv13rocblas_fill_17rocblas_diagonal_T1_iil.private_seg_size, 0
	.set _ZN9rocsolver6v33100L18trti2_kernel_smallILi8E19rocblas_complex_numIfEPKPS3_EEv13rocblas_fill_17rocblas_diagonal_T1_iil.uses_vcc, 1
	.set _ZN9rocsolver6v33100L18trti2_kernel_smallILi8E19rocblas_complex_numIfEPKPS3_EEv13rocblas_fill_17rocblas_diagonal_T1_iil.uses_flat_scratch, 0
	.set _ZN9rocsolver6v33100L18trti2_kernel_smallILi8E19rocblas_complex_numIfEPKPS3_EEv13rocblas_fill_17rocblas_diagonal_T1_iil.has_dyn_sized_stack, 0
	.set _ZN9rocsolver6v33100L18trti2_kernel_smallILi8E19rocblas_complex_numIfEPKPS3_EEv13rocblas_fill_17rocblas_diagonal_T1_iil.has_recursion, 0
	.set _ZN9rocsolver6v33100L18trti2_kernel_smallILi8E19rocblas_complex_numIfEPKPS3_EEv13rocblas_fill_17rocblas_diagonal_T1_iil.has_indirect_call, 0
	.section	.AMDGPU.csdata,"",@progbits
; Kernel info:
; codeLenInByte = 5600
; TotalNumSgprs: 14
; NumVgprs: 36
; ScratchSize: 0
; MemoryBound: 0
; FloatMode: 240
; IeeeMode: 1
; LDSByteSize: 4224 bytes/workgroup (compile time only)
; SGPRBlocks: 0
; VGPRBlocks: 2
; NumSGPRsForWavesPerEU: 14
; NumVGPRsForWavesPerEU: 36
; NamedBarCnt: 0
; Occupancy: 16
; WaveLimiterHint : 1
; COMPUTE_PGM_RSRC2:SCRATCH_EN: 0
; COMPUTE_PGM_RSRC2:USER_SGPR: 4
; COMPUTE_PGM_RSRC2:TRAP_HANDLER: 0
; COMPUTE_PGM_RSRC2:TGID_X_EN: 1
; COMPUTE_PGM_RSRC2:TGID_Y_EN: 0
; COMPUTE_PGM_RSRC2:TGID_Z_EN: 0
; COMPUTE_PGM_RSRC2:TIDIG_COMP_CNT: 2
	.section	.text._ZN9rocsolver6v33100L18trti2_kernel_smallILi9E19rocblas_complex_numIfEPKPS3_EEv13rocblas_fill_17rocblas_diagonal_T1_iil,"axG",@progbits,_ZN9rocsolver6v33100L18trti2_kernel_smallILi9E19rocblas_complex_numIfEPKPS3_EEv13rocblas_fill_17rocblas_diagonal_T1_iil,comdat
	.globl	_ZN9rocsolver6v33100L18trti2_kernel_smallILi9E19rocblas_complex_numIfEPKPS3_EEv13rocblas_fill_17rocblas_diagonal_T1_iil ; -- Begin function _ZN9rocsolver6v33100L18trti2_kernel_smallILi9E19rocblas_complex_numIfEPKPS3_EEv13rocblas_fill_17rocblas_diagonal_T1_iil
	.p2align	8
	.type	_ZN9rocsolver6v33100L18trti2_kernel_smallILi9E19rocblas_complex_numIfEPKPS3_EEv13rocblas_fill_17rocblas_diagonal_T1_iil,@function
_ZN9rocsolver6v33100L18trti2_kernel_smallILi9E19rocblas_complex_numIfEPKPS3_EEv13rocblas_fill_17rocblas_diagonal_T1_iil: ; @_ZN9rocsolver6v33100L18trti2_kernel_smallILi9E19rocblas_complex_numIfEPKPS3_EEv13rocblas_fill_17rocblas_diagonal_T1_iil
; %bb.0:
	v_and_b32_e32 v26, 0x3ff, v0
	s_mov_b32 s4, exec_lo
	s_delay_alu instid0(VALU_DEP_1)
	v_cmpx_gt_u32_e32 9, v26
	s_cbranch_execz .LBB72_164
; %bb.1:
	s_load_b64 s[8:9], s[0:1], 0x4
	s_clause 0x1
	s_load_b64 s[10:11], s[2:3], 0x10
	s_load_b128 s[4:7], s[2:3], 0x0
	s_wait_xcnt 0x0
	s_bfe_u32 s0, ttmp6, 0x4000c
	s_and_b32 s1, ttmp6, 15
	s_add_co_i32 s0, s0, 1
	s_getreg_b32 s2, hwreg(HW_REG_IB_STS2, 6, 4)
	s_mul_i32 s0, ttmp9, s0
	v_bfe_u32 v1, v0, 10, 10
	s_add_co_i32 s0, s1, s0
	v_bfe_u32 v0, v0, 20, 10
	v_dual_mov_b32 v19, 0 :: v_dual_lshlrev_b32 v18, 3, v26
	s_wait_kmcnt 0x0
	s_lshr_b32 s8, s8, 16
	s_ashr_i32 s1, s10, 31
	s_cmp_eq_u32 s2, 0
	s_mul_i32 s8, s8, s9
	s_cselect_b32 s2, ttmp9, s0
	s_mov_b32 s0, s10
	s_ashr_i32 s3, s2, 31
	s_lshl_b64 s[0:1], s[0:1], 3
	s_lshl_b64 s[2:3], s[2:3], 3
	v_mul_u32_u24_e32 v1, s9, v1
	s_add_nc_u64 s[2:3], s[6:7], s[2:3]
	v_mul_u32_u24_e32 v2, s8, v26
	s_load_b64 s[2:3], s[2:3], 0x0
	s_delay_alu instid0(VALU_DEP_1) | instskip(NEXT) | instid1(VALU_DEP_1)
	v_add3_u32 v29, v2, v1, v0
	v_mul_lo_u32 v28, 0x48, v29
	s_delay_alu instid0(VALU_DEP_1)
	v_add_nc_u32_e32 v27, 0xa0, v28
	s_wait_kmcnt 0x0
	s_add_nc_u64 s[2:3], s[2:3], s[0:1]
	s_mov_b32 s0, s11
	flat_load_b64 v[4:5], v26, s[2:3] scale_offset
	v_add_nc_u64_e32 v[0:1], s[2:3], v[18:19]
	s_ashr_i32 s1, s11, 31
	s_cmp_lg_u32 s5, 0x84
	s_cselect_b32 s5, -1, 0
	s_delay_alu instid0(SALU_CYCLE_1) | instskip(NEXT) | instid1(VALU_DEP_1)
	s_and_b32 vcc_lo, exec_lo, s5
	v_lshl_add_u64 v[2:3], s[0:1], 3, v[0:1]
	s_mov_b32 s0, -1
	s_wait_loadcnt_dscnt 0x0
	ds_store_b64 v28, v[4:5] offset:160
	flat_load_b64 v[6:7], v[2:3]
	v_add3_u32 v4, s11, s11, v26
	s_wait_loadcnt_dscnt 0x0
	ds_store_b64 v28, v[6:7] offset:168
	flat_load_b64 v[8:9], v4, s[2:3] scale_offset
	v_add_nc_u32_e32 v6, s11, v4
	s_wait_loadcnt_dscnt 0x0
	ds_store_b64 v28, v[8:9] offset:176
	flat_load_b64 v[10:11], v6, s[2:3] scale_offset
	v_add_nc_u32_e32 v8, s11, v6
	;; [unrolled: 4-line block ×6, first 2 shown]
	s_wait_loadcnt_dscnt 0x0
	ds_store_b64 v28, v[20:21] offset:216
	flat_load_b64 v[20:21], v16, s[2:3] scale_offset
	s_wait_loadcnt_dscnt 0x0
	ds_store_b64 v28, v[20:21] offset:224
	s_cbranch_vccz .LBB72_7
; %bb.2:
	v_lshl_add_u32 v5, v26, 3, v27
                                        ; implicit-def: $vgpr25
                                        ; implicit-def: $vgpr22
	ds_load_b64 v[20:21], v5
	s_wait_dscnt 0x0
	v_cmp_ngt_f32_e64 s0, |v20|, |v21|
	s_and_saveexec_b32 s1, s0
	s_delay_alu instid0(SALU_CYCLE_1)
	s_xor_b32 s0, exec_lo, s1
	s_cbranch_execz .LBB72_4
; %bb.3:
	v_div_scale_f32 v7, null, v21, v21, v20
	v_div_scale_f32 v13, vcc_lo, v20, v21, v20
	s_delay_alu instid0(VALU_DEP_2) | instskip(SKIP_1) | instid1(TRANS32_DEP_1)
	v_rcp_f32_e32 v9, v7
	v_nop
	v_fma_f32 v11, -v7, v9, 1.0
	s_delay_alu instid0(VALU_DEP_1) | instskip(NEXT) | instid1(VALU_DEP_1)
	v_fmac_f32_e32 v9, v11, v9
	v_mul_f32_e32 v11, v13, v9
	s_delay_alu instid0(VALU_DEP_1) | instskip(NEXT) | instid1(VALU_DEP_1)
	v_fma_f32 v15, -v7, v11, v13
	v_fmac_f32_e32 v11, v15, v9
	s_delay_alu instid0(VALU_DEP_1) | instskip(NEXT) | instid1(VALU_DEP_1)
	v_fma_f32 v7, -v7, v11, v13
	v_div_fmas_f32 v7, v7, v9, v11
	s_delay_alu instid0(VALU_DEP_1) | instskip(NEXT) | instid1(VALU_DEP_1)
	v_div_fixup_f32 v7, v7, v21, v20
	v_fmac_f32_e32 v21, v20, v7
	s_delay_alu instid0(VALU_DEP_1) | instskip(NEXT) | instid1(VALU_DEP_1)
	v_div_scale_f32 v9, null, v21, v21, -1.0
	v_rcp_f32_e32 v11, v9
	v_nop
	s_delay_alu instid0(TRANS32_DEP_1) | instskip(NEXT) | instid1(VALU_DEP_1)
	v_fma_f32 v13, -v9, v11, 1.0
	v_fmac_f32_e32 v11, v13, v11
	v_div_scale_f32 v13, vcc_lo, -1.0, v21, -1.0
	s_delay_alu instid0(VALU_DEP_1) | instskip(NEXT) | instid1(VALU_DEP_1)
	v_mul_f32_e32 v15, v13, v11
	v_fma_f32 v17, -v9, v15, v13
	s_delay_alu instid0(VALU_DEP_1) | instskip(NEXT) | instid1(VALU_DEP_1)
	v_fmac_f32_e32 v15, v17, v11
	v_fma_f32 v9, -v9, v15, v13
	s_delay_alu instid0(VALU_DEP_1) | instskip(NEXT) | instid1(VALU_DEP_1)
	v_div_fmas_f32 v9, v9, v11, v15
	v_div_fixup_f32 v25, v9, v21, -1.0
                                        ; implicit-def: $vgpr20_vgpr21
	s_delay_alu instid0(VALU_DEP_1) | instskip(NEXT) | instid1(VALU_DEP_1)
	v_mul_f32_e32 v22, v7, v25
	v_xor_b32_e32 v24, 0x80000000, v22
.LBB72_4:
	s_and_not1_saveexec_b32 s0, s0
	s_cbranch_execz .LBB72_6
; %bb.5:
	v_div_scale_f32 v7, null, v20, v20, v21
	v_div_scale_f32 v13, vcc_lo, v21, v20, v21
	s_delay_alu instid0(VALU_DEP_2) | instskip(SKIP_1) | instid1(TRANS32_DEP_1)
	v_rcp_f32_e32 v9, v7
	v_nop
	v_fma_f32 v11, -v7, v9, 1.0
	s_delay_alu instid0(VALU_DEP_1) | instskip(NEXT) | instid1(VALU_DEP_1)
	v_fmac_f32_e32 v9, v11, v9
	v_mul_f32_e32 v11, v13, v9
	s_delay_alu instid0(VALU_DEP_1) | instskip(NEXT) | instid1(VALU_DEP_1)
	v_fma_f32 v15, -v7, v11, v13
	v_fmac_f32_e32 v11, v15, v9
	s_delay_alu instid0(VALU_DEP_1) | instskip(NEXT) | instid1(VALU_DEP_1)
	v_fma_f32 v7, -v7, v11, v13
	v_div_fmas_f32 v7, v7, v9, v11
	s_delay_alu instid0(VALU_DEP_1) | instskip(NEXT) | instid1(VALU_DEP_1)
	v_div_fixup_f32 v7, v7, v20, v21
	v_fmac_f32_e32 v20, v21, v7
	s_delay_alu instid0(VALU_DEP_1) | instskip(SKIP_1) | instid1(VALU_DEP_2)
	v_div_scale_f32 v9, null, v20, v20, 1.0
	v_div_scale_f32 v15, vcc_lo, 1.0, v20, 1.0
	v_rcp_f32_e32 v11, v9
	v_nop
	s_delay_alu instid0(TRANS32_DEP_1) | instskip(NEXT) | instid1(VALU_DEP_1)
	v_fma_f32 v13, -v9, v11, 1.0
	v_fmac_f32_e32 v11, v13, v11
	s_delay_alu instid0(VALU_DEP_1) | instskip(NEXT) | instid1(VALU_DEP_1)
	v_mul_f32_e32 v13, v15, v11
	v_fma_f32 v17, -v9, v13, v15
	s_delay_alu instid0(VALU_DEP_1) | instskip(NEXT) | instid1(VALU_DEP_1)
	v_fmac_f32_e32 v13, v17, v11
	v_fma_f32 v9, -v9, v13, v15
	s_delay_alu instid0(VALU_DEP_1) | instskip(NEXT) | instid1(VALU_DEP_1)
	v_div_fmas_f32 v9, v9, v11, v13
	v_div_fixup_f32 v24, v9, v20, 1.0
	s_delay_alu instid0(VALU_DEP_1)
	v_xor_b32_e32 v22, 0x80000000, v24
	v_mul_f32_e64 v25, v7, -v24
.LBB72_6:
	s_or_b32 exec_lo, exec_lo, s0
	s_delay_alu instid0(VALU_DEP_1)
	v_xor_b32_e32 v23, 0x80000000, v25
	s_mov_b32 s0, 0
	ds_store_b64 v5, v[24:25]
	ds_store_b64 v18, v[22:23]
.LBB72_7:
	s_and_b32 vcc_lo, exec_lo, s0
	s_cbranch_vccz .LBB72_9
; %bb.8:
	s_mov_b64 s[0:1], 0xbf800000
	s_delay_alu instid0(SALU_CYCLE_1)
	v_mov_b64_e32 v[20:21], s[0:1]
	ds_store_b64 v18, v[20:21]
.LBB72_9:
	v_dual_ashrrev_i32 v5, 31, v4 :: v_dual_ashrrev_i32 v7, 31, v6
	v_dual_ashrrev_i32 v9, 31, v8 :: v_dual_ashrrev_i32 v11, 31, v10
	;; [unrolled: 1-line block ×3, first 2 shown]
	v_dual_ashrrev_i32 v17, 31, v16 :: v_dual_add_nc_u32 v22, v27, v18
	v_add_nc_u32_e32 v19, 0x50, v18
	s_cmp_eq_u32 s4, 0x79
	s_cbranch_scc1 .LBB72_13
; %bb.10:
	ds_load_b64 v[20:21], v27 offset:56
	v_cmp_eq_u32_e64 s0, 8, v26
	s_wait_dscnt 0x0
	ds_store_b64 v19, v[20:21]
	s_wait_dscnt 0x0
	s_barrier_signal -1
	s_barrier_wait -1
	s_and_saveexec_b32 s1, s0
	s_cbranch_execz .LBB72_17
; %bb.11:
	s_and_b32 vcc_lo, exec_lo, s5
	s_cbranch_vccz .LBB72_14
; %bb.12:
	ds_load_b64 v[20:21], v22
	ds_load_b64 v[24:25], v19
	s_wait_dscnt 0x0
	v_pk_mul_f32 v[30:31], v[24:25], v[20:21] op_sel:[1,1] op_sel_hi:[0,1]
	v_pk_mul_f32 v[32:33], v[24:25], v[20:21] op_sel_hi:[1,0]
	s_delay_alu instid0(VALU_DEP_2) | instskip(NEXT) | instid1(VALU_DEP_2)
	v_pk_fma_f32 v[20:21], v[24:25], v[20:21], v[30:31] op_sel_hi:[1,0,1]
	v_sub_f32_e32 v20, v32, v30
	s_cbranch_execz .LBB72_15
	s_branch .LBB72_16
.LBB72_13:
	s_mov_b32 s1, 0
                                        ; implicit-def: $vgpr24
                                        ; implicit-def: $vgpr25
	s_cbranch_execnz .LBB72_86
	s_branch .LBB72_161
.LBB72_14:
                                        ; implicit-def: $vgpr21
.LBB72_15:
	ds_load_b64 v[20:21], v19
.LBB72_16:
	s_wait_dscnt 0x0
	v_dual_mov_b32 v23, 0 :: v_dual_mov_b32 v30, v21
	v_mov_b32_e32 v31, v20
	ds_load_b64 v[24:25], v23 offset:56
	s_wait_dscnt 0x0
	v_pk_mul_f32 v[30:31], v[30:31], v[24:25] op_sel:[0,1]
	s_delay_alu instid0(VALU_DEP_1) | instskip(SKIP_1) | instid1(VALU_DEP_2)
	v_pk_fma_f32 v[32:33], v[20:21], v[24:25], v[30:31] op_sel_hi:[1,0,1]
	v_pk_fma_f32 v[20:21], v[20:21], v[24:25], v[30:31] neg_lo:[0,0,1] neg_hi:[0,0,1]
	v_mov_b32_e32 v21, v33
	ds_store_b64 v27, v[20:21] offset:56
.LBB72_17:
	s_or_b32 exec_lo, exec_lo, s1
	ds_load_b64 v[20:21], v27 offset:48
	v_cmp_lt_u32_e64 s1, 6, v26
	s_wait_dscnt 0x0
	ds_store_b64 v19, v[20:21]
	s_wait_dscnt 0x0
	s_barrier_signal -1
	s_barrier_wait -1
	s_and_saveexec_b32 s4, s1
	s_cbranch_execz .LBB72_25
; %bb.18:
	s_and_not1_b32 vcc_lo, exec_lo, s5
	s_cbranch_vccnz .LBB72_20
; %bb.19:
	ds_load_b64 v[20:21], v22
	ds_load_b64 v[24:25], v19
	s_wait_dscnt 0x0
	v_pk_mul_f32 v[30:31], v[24:25], v[20:21] op_sel:[1,1] op_sel_hi:[0,1]
	s_delay_alu instid0(VALU_DEP_1) | instskip(SKIP_1) | instid1(VALU_DEP_2)
	v_pk_fma_f32 v[32:33], v[24:25], v[20:21], v[30:31] op_sel_hi:[1,0,1]
	v_pk_fma_f32 v[20:21], v[24:25], v[20:21], v[30:31] neg_lo:[0,0,1] neg_hi:[0,0,1]
	v_mov_b32_e32 v21, v33
	s_cbranch_execz .LBB72_21
	s_branch .LBB72_22
.LBB72_20:
                                        ; implicit-def: $vgpr20_vgpr21
.LBB72_21:
	ds_load_b64 v[20:21], v19
.LBB72_22:
	s_and_saveexec_b32 s6, s0
	s_cbranch_execz .LBB72_24
; %bb.23:
	v_mov_b32_e32 v23, 0
	ds_load_b64 v[24:25], v27 offset:56
	ds_load_b64 v[30:31], v23 offset:136
	s_wait_dscnt 0x0
	v_pk_mul_f32 v[32:33], v[30:31], v[24:25] op_sel:[1,1] op_sel_hi:[0,1]
	s_delay_alu instid0(VALU_DEP_1) | instskip(SKIP_1) | instid1(VALU_DEP_2)
	v_pk_fma_f32 v[34:35], v[30:31], v[24:25], v[32:33] op_sel_hi:[1,0,1]
	v_pk_fma_f32 v[24:25], v[30:31], v[24:25], v[32:33] neg_lo:[0,0,1] neg_hi:[0,0,1]
	v_mov_b32_e32 v25, v35
	s_delay_alu instid0(VALU_DEP_1)
	v_pk_add_f32 v[20:21], v[20:21], v[24:25]
.LBB72_24:
	s_or_b32 exec_lo, exec_lo, s6
	v_mov_b32_e32 v23, 0
	ds_load_b64 v[24:25], v23 offset:48
	s_wait_dscnt 0x0
	v_pk_mul_f32 v[30:31], v[20:21], v[24:25] op_sel:[1,1] op_sel_hi:[0,1]
	s_delay_alu instid0(VALU_DEP_1) | instskip(SKIP_1) | instid1(VALU_DEP_2)
	v_pk_fma_f32 v[32:33], v[20:21], v[24:25], v[30:31] op_sel_hi:[1,0,1]
	v_pk_fma_f32 v[20:21], v[20:21], v[24:25], v[30:31] neg_lo:[0,0,1] neg_hi:[0,0,1]
	v_mov_b32_e32 v21, v33
	ds_store_b64 v27, v[20:21] offset:48
.LBB72_25:
	s_or_b32 exec_lo, exec_lo, s4
	ds_load_b64 v[20:21], v27 offset:40
	v_cmp_lt_u32_e64 s0, 5, v26
	s_wait_dscnt 0x0
	ds_store_b64 v19, v[20:21]
	s_wait_dscnt 0x0
	s_barrier_signal -1
	s_barrier_wait -1
	s_and_saveexec_b32 s4, s0
	s_cbranch_execz .LBB72_35
; %bb.26:
	s_and_not1_b32 vcc_lo, exec_lo, s5
	s_cbranch_vccnz .LBB72_28
; %bb.27:
	ds_load_b64 v[20:21], v22
	ds_load_b64 v[24:25], v19
	s_wait_dscnt 0x0
	v_pk_mul_f32 v[30:31], v[24:25], v[20:21] op_sel:[1,1] op_sel_hi:[0,1]
	s_delay_alu instid0(VALU_DEP_1) | instskip(SKIP_1) | instid1(VALU_DEP_2)
	v_pk_fma_f32 v[32:33], v[24:25], v[20:21], v[30:31] op_sel_hi:[1,0,1]
	v_pk_fma_f32 v[20:21], v[24:25], v[20:21], v[30:31] neg_lo:[0,0,1] neg_hi:[0,0,1]
	v_mov_b32_e32 v21, v33
	s_cbranch_execz .LBB72_29
	s_branch .LBB72_30
.LBB72_28:
                                        ; implicit-def: $vgpr20_vgpr21
.LBB72_29:
	ds_load_b64 v[20:21], v19
.LBB72_30:
	s_and_saveexec_b32 s6, s1
	s_cbranch_execz .LBB72_34
; %bb.31:
	s_movk_i32 s1, 0x48
	v_add_nc_u32_e32 v24, -6, v26
	v_mad_u32 v23, v29, s1, 0xd0
	s_movk_i32 s7, 0x80
	s_mov_b32 s1, 0
.LBB72_32:                              ; =>This Inner Loop Header: Depth=1
	s_delay_alu instid0(VALU_DEP_2)
	v_dual_mov_b32 v25, s7 :: v_dual_add_nc_u32 v24, -1, v24
	s_add_co_i32 s7, s7, 8
	ds_load_b64 v[30:31], v23
	ds_load_b64 v[32:33], v25
	v_add_nc_u32_e32 v23, 8, v23
	v_cmp_eq_u32_e32 vcc_lo, 0, v24
	s_or_b32 s1, vcc_lo, s1
	s_wait_dscnt 0x0
	v_pk_mul_f32 v[34:35], v[32:33], v[30:31] op_sel:[1,1] op_sel_hi:[0,1]
	s_delay_alu instid0(VALU_DEP_1) | instskip(SKIP_1) | instid1(VALU_DEP_2)
	v_pk_fma_f32 v[36:37], v[32:33], v[30:31], v[34:35] op_sel_hi:[1,0,1]
	v_pk_fma_f32 v[30:31], v[32:33], v[30:31], v[34:35] neg_lo:[0,0,1] neg_hi:[0,0,1]
	v_mov_b32_e32 v31, v37
	s_delay_alu instid0(VALU_DEP_1)
	v_pk_add_f32 v[20:21], v[20:21], v[30:31]
	s_and_not1_b32 exec_lo, exec_lo, s1
	s_cbranch_execnz .LBB72_32
; %bb.33:
	s_or_b32 exec_lo, exec_lo, s1
.LBB72_34:
	s_delay_alu instid0(SALU_CYCLE_1) | instskip(SKIP_4) | instid1(VALU_DEP_1)
	s_or_b32 exec_lo, exec_lo, s6
	v_mov_b32_e32 v23, 0
	ds_load_b64 v[24:25], v23 offset:40
	s_wait_dscnt 0x0
	v_pk_mul_f32 v[30:31], v[20:21], v[24:25] op_sel:[1,1] op_sel_hi:[0,1]
	v_pk_fma_f32 v[32:33], v[20:21], v[24:25], v[30:31] op_sel_hi:[1,0,1]
	v_pk_fma_f32 v[20:21], v[20:21], v[24:25], v[30:31] neg_lo:[0,0,1] neg_hi:[0,0,1]
	s_delay_alu instid0(VALU_DEP_2)
	v_mov_b32_e32 v21, v33
	ds_store_b64 v27, v[20:21] offset:40
.LBB72_35:
	s_or_b32 exec_lo, exec_lo, s4
	ds_load_b64 v[20:21], v27 offset:32
	v_cmp_lt_u32_e64 s1, 4, v26
	s_wait_dscnt 0x0
	ds_store_b64 v19, v[20:21]
	s_wait_dscnt 0x0
	s_barrier_signal -1
	s_barrier_wait -1
	s_and_saveexec_b32 s4, s1
	s_cbranch_execz .LBB72_45
; %bb.36:
	s_and_not1_b32 vcc_lo, exec_lo, s5
	s_cbranch_vccnz .LBB72_38
; %bb.37:
	ds_load_b64 v[20:21], v22
	ds_load_b64 v[24:25], v19
	s_wait_dscnt 0x0
	v_pk_mul_f32 v[30:31], v[24:25], v[20:21] op_sel:[1,1] op_sel_hi:[0,1]
	s_delay_alu instid0(VALU_DEP_1) | instskip(SKIP_1) | instid1(VALU_DEP_2)
	v_pk_fma_f32 v[32:33], v[24:25], v[20:21], v[30:31] op_sel_hi:[1,0,1]
	v_pk_fma_f32 v[20:21], v[24:25], v[20:21], v[30:31] neg_lo:[0,0,1] neg_hi:[0,0,1]
	v_mov_b32_e32 v21, v33
	s_cbranch_execz .LBB72_39
	s_branch .LBB72_40
.LBB72_38:
                                        ; implicit-def: $vgpr20_vgpr21
.LBB72_39:
	ds_load_b64 v[20:21], v19
.LBB72_40:
	s_and_saveexec_b32 s6, s0
	s_cbranch_execz .LBB72_44
; %bb.41:
	s_movk_i32 s0, 0x48
	v_add_nc_u32_e32 v24, -5, v26
	v_mad_u32 v23, v29, s0, 0xc8
	s_movk_i32 s7, 0x78
	s_mov_b32 s0, 0
.LBB72_42:                              ; =>This Inner Loop Header: Depth=1
	s_delay_alu instid0(VALU_DEP_2)
	v_dual_mov_b32 v25, s7 :: v_dual_add_nc_u32 v24, -1, v24
	s_add_co_i32 s7, s7, 8
	ds_load_b64 v[30:31], v23
	ds_load_b64 v[32:33], v25
	v_add_nc_u32_e32 v23, 8, v23
	v_cmp_eq_u32_e32 vcc_lo, 0, v24
	s_or_b32 s0, vcc_lo, s0
	s_wait_dscnt 0x0
	v_pk_mul_f32 v[34:35], v[32:33], v[30:31] op_sel:[1,1] op_sel_hi:[0,1]
	s_delay_alu instid0(VALU_DEP_1) | instskip(SKIP_1) | instid1(VALU_DEP_2)
	v_pk_fma_f32 v[36:37], v[32:33], v[30:31], v[34:35] op_sel_hi:[1,0,1]
	v_pk_fma_f32 v[30:31], v[32:33], v[30:31], v[34:35] neg_lo:[0,0,1] neg_hi:[0,0,1]
	v_mov_b32_e32 v31, v37
	s_delay_alu instid0(VALU_DEP_1)
	v_pk_add_f32 v[20:21], v[20:21], v[30:31]
	s_and_not1_b32 exec_lo, exec_lo, s0
	s_cbranch_execnz .LBB72_42
; %bb.43:
	s_or_b32 exec_lo, exec_lo, s0
.LBB72_44:
	s_delay_alu instid0(SALU_CYCLE_1) | instskip(SKIP_4) | instid1(VALU_DEP_1)
	s_or_b32 exec_lo, exec_lo, s6
	v_mov_b32_e32 v23, 0
	ds_load_b64 v[24:25], v23 offset:32
	s_wait_dscnt 0x0
	v_pk_mul_f32 v[30:31], v[20:21], v[24:25] op_sel:[1,1] op_sel_hi:[0,1]
	v_pk_fma_f32 v[32:33], v[20:21], v[24:25], v[30:31] op_sel_hi:[1,0,1]
	v_pk_fma_f32 v[20:21], v[20:21], v[24:25], v[30:31] neg_lo:[0,0,1] neg_hi:[0,0,1]
	s_delay_alu instid0(VALU_DEP_2)
	v_mov_b32_e32 v21, v33
	ds_store_b64 v27, v[20:21] offset:32
.LBB72_45:
	s_or_b32 exec_lo, exec_lo, s4
	ds_load_b64 v[20:21], v27 offset:24
	v_cmp_lt_u32_e64 s0, 3, v26
	s_wait_dscnt 0x0
	ds_store_b64 v19, v[20:21]
	s_wait_dscnt 0x0
	s_barrier_signal -1
	s_barrier_wait -1
	s_and_saveexec_b32 s4, s0
	s_cbranch_execz .LBB72_55
; %bb.46:
	s_and_not1_b32 vcc_lo, exec_lo, s5
	s_cbranch_vccnz .LBB72_48
; %bb.47:
	ds_load_b64 v[20:21], v22
	ds_load_b64 v[24:25], v19
	s_wait_dscnt 0x0
	v_pk_mul_f32 v[30:31], v[24:25], v[20:21] op_sel:[1,1] op_sel_hi:[0,1]
	s_delay_alu instid0(VALU_DEP_1) | instskip(SKIP_1) | instid1(VALU_DEP_2)
	v_pk_fma_f32 v[32:33], v[24:25], v[20:21], v[30:31] op_sel_hi:[1,0,1]
	v_pk_fma_f32 v[20:21], v[24:25], v[20:21], v[30:31] neg_lo:[0,0,1] neg_hi:[0,0,1]
	v_mov_b32_e32 v21, v33
	s_cbranch_execz .LBB72_49
	s_branch .LBB72_50
.LBB72_48:
                                        ; implicit-def: $vgpr20_vgpr21
.LBB72_49:
	ds_load_b64 v[20:21], v19
.LBB72_50:
	s_and_saveexec_b32 s6, s1
	s_cbranch_execz .LBB72_54
; %bb.51:
	s_movk_i32 s1, 0x48
	v_add_nc_u32_e32 v24, -4, v26
	v_mad_u32 v23, v29, s1, 0xc0
	s_movk_i32 s7, 0x70
	s_mov_b32 s1, 0
.LBB72_52:                              ; =>This Inner Loop Header: Depth=1
	s_delay_alu instid0(VALU_DEP_2)
	v_dual_mov_b32 v25, s7 :: v_dual_add_nc_u32 v24, -1, v24
	s_add_co_i32 s7, s7, 8
	ds_load_b64 v[30:31], v23
	ds_load_b64 v[32:33], v25
	v_add_nc_u32_e32 v23, 8, v23
	v_cmp_eq_u32_e32 vcc_lo, 0, v24
	s_or_b32 s1, vcc_lo, s1
	s_wait_dscnt 0x0
	v_pk_mul_f32 v[34:35], v[32:33], v[30:31] op_sel:[1,1] op_sel_hi:[0,1]
	s_delay_alu instid0(VALU_DEP_1) | instskip(SKIP_1) | instid1(VALU_DEP_2)
	v_pk_fma_f32 v[36:37], v[32:33], v[30:31], v[34:35] op_sel_hi:[1,0,1]
	v_pk_fma_f32 v[30:31], v[32:33], v[30:31], v[34:35] neg_lo:[0,0,1] neg_hi:[0,0,1]
	v_mov_b32_e32 v31, v37
	s_delay_alu instid0(VALU_DEP_1)
	v_pk_add_f32 v[20:21], v[20:21], v[30:31]
	s_and_not1_b32 exec_lo, exec_lo, s1
	s_cbranch_execnz .LBB72_52
; %bb.53:
	s_or_b32 exec_lo, exec_lo, s1
.LBB72_54:
	s_delay_alu instid0(SALU_CYCLE_1) | instskip(SKIP_4) | instid1(VALU_DEP_1)
	s_or_b32 exec_lo, exec_lo, s6
	v_mov_b32_e32 v23, 0
	ds_load_b64 v[24:25], v23 offset:24
	s_wait_dscnt 0x0
	v_pk_mul_f32 v[30:31], v[20:21], v[24:25] op_sel:[1,1] op_sel_hi:[0,1]
	v_pk_fma_f32 v[32:33], v[20:21], v[24:25], v[30:31] op_sel_hi:[1,0,1]
	v_pk_fma_f32 v[20:21], v[20:21], v[24:25], v[30:31] neg_lo:[0,0,1] neg_hi:[0,0,1]
	s_delay_alu instid0(VALU_DEP_2)
	v_mov_b32_e32 v21, v33
	ds_store_b64 v27, v[20:21] offset:24
.LBB72_55:
	s_or_b32 exec_lo, exec_lo, s4
	ds_load_b64 v[20:21], v27 offset:16
	v_cmp_lt_u32_e64 s1, 2, v26
	s_wait_dscnt 0x0
	ds_store_b64 v19, v[20:21]
	s_wait_dscnt 0x0
	s_barrier_signal -1
	s_barrier_wait -1
	s_and_saveexec_b32 s4, s1
	s_cbranch_execz .LBB72_65
; %bb.56:
	s_and_not1_b32 vcc_lo, exec_lo, s5
	s_cbranch_vccnz .LBB72_58
; %bb.57:
	ds_load_b64 v[20:21], v22
	ds_load_b64 v[24:25], v19
	s_wait_dscnt 0x0
	v_pk_mul_f32 v[30:31], v[24:25], v[20:21] op_sel:[1,1] op_sel_hi:[0,1]
	s_delay_alu instid0(VALU_DEP_1) | instskip(SKIP_1) | instid1(VALU_DEP_2)
	v_pk_fma_f32 v[32:33], v[24:25], v[20:21], v[30:31] op_sel_hi:[1,0,1]
	v_pk_fma_f32 v[20:21], v[24:25], v[20:21], v[30:31] neg_lo:[0,0,1] neg_hi:[0,0,1]
	v_mov_b32_e32 v21, v33
	s_cbranch_execz .LBB72_59
	s_branch .LBB72_60
.LBB72_58:
                                        ; implicit-def: $vgpr20_vgpr21
.LBB72_59:
	ds_load_b64 v[20:21], v19
.LBB72_60:
	s_and_saveexec_b32 s6, s0
	s_cbranch_execz .LBB72_64
; %bb.61:
	s_movk_i32 s0, 0x48
	v_add_nc_u32_e32 v24, -3, v26
	v_mad_u32 v23, v29, s0, 0xb8
	s_movk_i32 s7, 0x68
	s_mov_b32 s0, 0
.LBB72_62:                              ; =>This Inner Loop Header: Depth=1
	s_delay_alu instid0(VALU_DEP_2)
	v_dual_mov_b32 v25, s7 :: v_dual_add_nc_u32 v24, -1, v24
	s_add_co_i32 s7, s7, 8
	ds_load_b64 v[30:31], v23
	ds_load_b64 v[32:33], v25
	v_add_nc_u32_e32 v23, 8, v23
	v_cmp_eq_u32_e32 vcc_lo, 0, v24
	s_or_b32 s0, vcc_lo, s0
	s_wait_dscnt 0x0
	v_pk_mul_f32 v[34:35], v[32:33], v[30:31] op_sel:[1,1] op_sel_hi:[0,1]
	s_delay_alu instid0(VALU_DEP_1) | instskip(SKIP_1) | instid1(VALU_DEP_2)
	v_pk_fma_f32 v[36:37], v[32:33], v[30:31], v[34:35] op_sel_hi:[1,0,1]
	v_pk_fma_f32 v[30:31], v[32:33], v[30:31], v[34:35] neg_lo:[0,0,1] neg_hi:[0,0,1]
	v_mov_b32_e32 v31, v37
	s_delay_alu instid0(VALU_DEP_1)
	v_pk_add_f32 v[20:21], v[20:21], v[30:31]
	s_and_not1_b32 exec_lo, exec_lo, s0
	s_cbranch_execnz .LBB72_62
; %bb.63:
	s_or_b32 exec_lo, exec_lo, s0
.LBB72_64:
	s_delay_alu instid0(SALU_CYCLE_1) | instskip(SKIP_4) | instid1(VALU_DEP_1)
	s_or_b32 exec_lo, exec_lo, s6
	v_mov_b32_e32 v23, 0
	ds_load_b64 v[24:25], v23 offset:16
	s_wait_dscnt 0x0
	v_pk_mul_f32 v[30:31], v[20:21], v[24:25] op_sel:[1,1] op_sel_hi:[0,1]
	v_pk_fma_f32 v[32:33], v[20:21], v[24:25], v[30:31] op_sel_hi:[1,0,1]
	v_pk_fma_f32 v[20:21], v[20:21], v[24:25], v[30:31] neg_lo:[0,0,1] neg_hi:[0,0,1]
	s_delay_alu instid0(VALU_DEP_2)
	v_mov_b32_e32 v21, v33
	ds_store_b64 v27, v[20:21] offset:16
.LBB72_65:
	s_or_b32 exec_lo, exec_lo, s4
	ds_load_b64 v[20:21], v27 offset:8
	v_cmp_lt_u32_e64 s0, 1, v26
	s_wait_dscnt 0x0
	ds_store_b64 v19, v[20:21]
	s_wait_dscnt 0x0
	s_barrier_signal -1
	s_barrier_wait -1
	s_and_saveexec_b32 s4, s0
	s_cbranch_execz .LBB72_75
; %bb.66:
	s_and_not1_b32 vcc_lo, exec_lo, s5
	s_cbranch_vccnz .LBB72_68
; %bb.67:
	ds_load_b64 v[20:21], v22
	ds_load_b64 v[24:25], v19
	s_wait_dscnt 0x0
	v_pk_mul_f32 v[30:31], v[24:25], v[20:21] op_sel:[1,1] op_sel_hi:[0,1]
	s_delay_alu instid0(VALU_DEP_1) | instskip(SKIP_1) | instid1(VALU_DEP_2)
	v_pk_fma_f32 v[32:33], v[24:25], v[20:21], v[30:31] op_sel_hi:[1,0,1]
	v_pk_fma_f32 v[20:21], v[24:25], v[20:21], v[30:31] neg_lo:[0,0,1] neg_hi:[0,0,1]
	v_mov_b32_e32 v21, v33
	s_cbranch_execz .LBB72_69
	s_branch .LBB72_70
.LBB72_68:
                                        ; implicit-def: $vgpr20_vgpr21
.LBB72_69:
	ds_load_b64 v[20:21], v19
.LBB72_70:
	s_and_saveexec_b32 s6, s1
	s_cbranch_execz .LBB72_74
; %bb.71:
	s_movk_i32 s1, 0x48
	v_add_nc_u32_e32 v24, -2, v26
	v_mad_u32 v23, v29, s1, 0xb0
	s_movk_i32 s7, 0x60
	s_mov_b32 s1, 0
.LBB72_72:                              ; =>This Inner Loop Header: Depth=1
	s_delay_alu instid0(VALU_DEP_2)
	v_dual_mov_b32 v25, s7 :: v_dual_add_nc_u32 v24, -1, v24
	s_add_co_i32 s7, s7, 8
	ds_load_b64 v[30:31], v23
	ds_load_b64 v[32:33], v25
	v_add_nc_u32_e32 v23, 8, v23
	v_cmp_eq_u32_e32 vcc_lo, 0, v24
	s_or_b32 s1, vcc_lo, s1
	s_wait_dscnt 0x0
	v_pk_mul_f32 v[34:35], v[32:33], v[30:31] op_sel:[1,1] op_sel_hi:[0,1]
	s_delay_alu instid0(VALU_DEP_1) | instskip(SKIP_1) | instid1(VALU_DEP_2)
	v_pk_fma_f32 v[36:37], v[32:33], v[30:31], v[34:35] op_sel_hi:[1,0,1]
	v_pk_fma_f32 v[30:31], v[32:33], v[30:31], v[34:35] neg_lo:[0,0,1] neg_hi:[0,0,1]
	v_mov_b32_e32 v31, v37
	s_delay_alu instid0(VALU_DEP_1)
	v_pk_add_f32 v[20:21], v[20:21], v[30:31]
	s_and_not1_b32 exec_lo, exec_lo, s1
	s_cbranch_execnz .LBB72_72
; %bb.73:
	s_or_b32 exec_lo, exec_lo, s1
.LBB72_74:
	s_delay_alu instid0(SALU_CYCLE_1) | instskip(SKIP_4) | instid1(VALU_DEP_1)
	s_or_b32 exec_lo, exec_lo, s6
	v_mov_b32_e32 v23, 0
	ds_load_b64 v[24:25], v23 offset:8
	s_wait_dscnt 0x0
	v_pk_mul_f32 v[30:31], v[20:21], v[24:25] op_sel:[1,1] op_sel_hi:[0,1]
	v_pk_fma_f32 v[32:33], v[20:21], v[24:25], v[30:31] op_sel_hi:[1,0,1]
	v_pk_fma_f32 v[20:21], v[20:21], v[24:25], v[30:31] neg_lo:[0,0,1] neg_hi:[0,0,1]
	s_delay_alu instid0(VALU_DEP_2)
	v_mov_b32_e32 v21, v33
	ds_store_b64 v27, v[20:21] offset:8
.LBB72_75:
	s_or_b32 exec_lo, exec_lo, s4
	ds_load_b64 v[20:21], v27
	s_mov_b32 s4, 0
	s_mov_b32 s1, 0
	s_mov_b32 s6, exec_lo
                                        ; implicit-def: $vgpr24
                                        ; implicit-def: $vgpr25
	s_wait_dscnt 0x0
	ds_store_b64 v19, v[20:21]
	s_wait_dscnt 0x0
	s_barrier_signal -1
	s_barrier_wait -1
	v_cmpx_ne_u32_e32 0, v26
	s_cbranch_execz .LBB72_85
; %bb.76:
	s_and_not1_b32 vcc_lo, exec_lo, s5
	s_cbranch_vccnz .LBB72_78
; %bb.77:
	ds_load_b64 v[24:25], v22
	ds_load_b64 v[30:31], v19
	s_wait_dscnt 0x0
	v_dual_mul_f32 v20, v31, v25 :: v_dual_mul_f32 v21, v30, v25
	s_delay_alu instid0(VALU_DEP_1)
	v_dual_fma_f32 v20, v30, v24, -v20 :: v_dual_fmac_f32 v21, v31, v24
	s_and_not1_b32 vcc_lo, exec_lo, s1
	s_cbranch_vccz .LBB72_79
	s_branch .LBB72_80
.LBB72_78:
                                        ; implicit-def: $vgpr20
.LBB72_79:
	ds_load_b64 v[20:21], v19
.LBB72_80:
	s_and_saveexec_b32 s1, s0
	s_cbranch_execz .LBB72_84
; %bb.81:
	s_movk_i32 s0, 0x48
	v_add_nc_u32_e32 v24, -1, v26
	v_mad_u32 v23, v29, s0, 0xa8
	s_movk_i32 s7, 0x58
	s_mov_b32 s0, 0
.LBB72_82:                              ; =>This Inner Loop Header: Depth=1
	v_mov_b32_e32 v25, s7
	s_add_co_i32 s7, s7, 8
	ds_load_b64 v[30:31], v23
	ds_load_b64 v[32:33], v25
	v_dual_add_nc_u32 v24, -1, v24 :: v_dual_add_nc_u32 v23, 8, v23
	s_delay_alu instid0(VALU_DEP_1) | instskip(SKIP_3) | instid1(VALU_DEP_1)
	v_cmp_eq_u32_e32 vcc_lo, 0, v24
	s_or_b32 s0, vcc_lo, s0
	s_wait_dscnt 0x0
	v_dual_mul_f32 v25, v33, v31 :: v_dual_mul_f32 v29, v32, v31
	v_fma_f32 v25, v32, v30, -v25
	s_delay_alu instid0(VALU_DEP_1) | instskip(NEXT) | instid1(VALU_DEP_1)
	v_dual_fmac_f32 v29, v33, v30 :: v_dual_add_f32 v20, v20, v25
	v_add_f32_e32 v21, v21, v29
	s_and_not1_b32 exec_lo, exec_lo, s0
	s_cbranch_execnz .LBB72_82
; %bb.83:
	s_or_b32 exec_lo, exec_lo, s0
.LBB72_84:
	s_delay_alu instid0(SALU_CYCLE_1)
	s_or_b32 exec_lo, exec_lo, s1
	v_mov_b32_e32 v23, 0
	s_mov_b32 s1, exec_lo
	ds_load_b64 v[30:31], v23
	s_wait_dscnt 0x0
	v_dual_mul_f32 v24, v20, v31 :: v_dual_mul_f32 v23, v21, v31
	s_delay_alu instid0(VALU_DEP_1) | instskip(NEXT) | instid1(VALU_DEP_2)
	v_dual_fmac_f32 v24, v21, v30 :: v_dual_add_nc_u32 v25, 4, v27
	v_fma_f32 v20, v20, v30, -v23
	ds_store_b32 v27, v20
.LBB72_85:
	s_or_b32 exec_lo, exec_lo, s6
	s_delay_alu instid0(SALU_CYCLE_1)
	s_and_b32 vcc_lo, exec_lo, s4
	s_cbranch_vccz .LBB72_161
.LBB72_86:
	ds_load_b64 v[20:21], v27 offset:8
	v_cmp_eq_u32_e64 s0, 0, v26
	s_wait_dscnt 0x0
	ds_store_b64 v19, v[20:21]
	s_wait_dscnt 0x0
	s_barrier_signal -1
	s_barrier_wait -1
	s_and_saveexec_b32 s4, s0
	s_cbranch_execz .LBB72_92
; %bb.87:
	s_and_b32 vcc_lo, exec_lo, s5
	s_cbranch_vccz .LBB72_89
; %bb.88:
	ds_load_b64 v[20:21], v22
	ds_load_b64 v[24:25], v19
	s_wait_dscnt 0x0
	v_pk_mul_f32 v[30:31], v[24:25], v[20:21] op_sel:[1,1] op_sel_hi:[0,1]
	v_pk_mul_f32 v[32:33], v[24:25], v[20:21] op_sel_hi:[1,0]
	s_delay_alu instid0(VALU_DEP_2) | instskip(NEXT) | instid1(VALU_DEP_2)
	v_pk_fma_f32 v[20:21], v[24:25], v[20:21], v[30:31] op_sel_hi:[1,0,1]
	v_sub_f32_e32 v20, v32, v30
	s_cbranch_execz .LBB72_90
	s_branch .LBB72_91
.LBB72_89:
                                        ; implicit-def: $vgpr21
.LBB72_90:
	ds_load_b64 v[20:21], v19
.LBB72_91:
	s_wait_dscnt 0x0
	v_dual_mov_b32 v23, 0 :: v_dual_mov_b32 v30, v21
	v_mov_b32_e32 v31, v20
	ds_load_b64 v[24:25], v23 offset:8
	s_wait_dscnt 0x0
	v_pk_mul_f32 v[30:31], v[30:31], v[24:25] op_sel:[0,1]
	s_delay_alu instid0(VALU_DEP_1) | instskip(SKIP_1) | instid1(VALU_DEP_2)
	v_pk_fma_f32 v[32:33], v[20:21], v[24:25], v[30:31] op_sel_hi:[1,0,1]
	v_pk_fma_f32 v[20:21], v[20:21], v[24:25], v[30:31] neg_lo:[0,0,1] neg_hi:[0,0,1]
	v_mov_b32_e32 v21, v33
	ds_store_b64 v27, v[20:21] offset:8
.LBB72_92:
	s_or_b32 exec_lo, exec_lo, s4
	ds_load_b64 v[20:21], v27 offset:16
	v_cndmask_b32_e64 v23, 0, 1, s5
	s_mov_b32 s4, exec_lo
	s_wait_dscnt 0x0
	ds_store_b64 v19, v[20:21]
	s_wait_dscnt 0x0
	s_barrier_signal -1
	s_barrier_wait -1
	v_cmpx_gt_u32_e32 2, v26
	s_cbranch_execz .LBB72_100
; %bb.93:
	s_and_not1_b32 vcc_lo, exec_lo, s5
	s_cbranch_vccnz .LBB72_95
; %bb.94:
	ds_load_b64 v[20:21], v22
	ds_load_b64 v[24:25], v19
	s_wait_dscnt 0x0
	v_pk_mul_f32 v[30:31], v[24:25], v[20:21] op_sel:[1,1] op_sel_hi:[0,1]
	s_delay_alu instid0(VALU_DEP_1) | instskip(SKIP_1) | instid1(VALU_DEP_2)
	v_pk_fma_f32 v[32:33], v[24:25], v[20:21], v[30:31] op_sel_hi:[1,0,1]
	v_pk_fma_f32 v[20:21], v[24:25], v[20:21], v[30:31] neg_lo:[0,0,1] neg_hi:[0,0,1]
	v_mov_b32_e32 v21, v33
	s_cbranch_execz .LBB72_96
	s_branch .LBB72_97
.LBB72_95:
                                        ; implicit-def: $vgpr20_vgpr21
.LBB72_96:
	ds_load_b64 v[20:21], v19
.LBB72_97:
	s_and_saveexec_b32 s5, s0
	s_cbranch_execz .LBB72_99
; %bb.98:
	v_mov_b32_e32 v29, 0
	ds_load_b64 v[24:25], v27 offset:8
	ds_load_b64 v[30:31], v29 offset:88
	s_wait_dscnt 0x0
	v_pk_mul_f32 v[32:33], v[30:31], v[24:25] op_sel:[1,1] op_sel_hi:[0,1]
	s_delay_alu instid0(VALU_DEP_1) | instskip(SKIP_1) | instid1(VALU_DEP_2)
	v_pk_fma_f32 v[34:35], v[30:31], v[24:25], v[32:33] op_sel_hi:[1,0,1]
	v_pk_fma_f32 v[24:25], v[30:31], v[24:25], v[32:33] neg_lo:[0,0,1] neg_hi:[0,0,1]
	v_mov_b32_e32 v25, v35
	s_delay_alu instid0(VALU_DEP_1)
	v_pk_add_f32 v[20:21], v[20:21], v[24:25]
.LBB72_99:
	s_or_b32 exec_lo, exec_lo, s5
	v_mov_b32_e32 v24, 0
	ds_load_b64 v[24:25], v24 offset:16
	s_wait_dscnt 0x0
	v_pk_mul_f32 v[30:31], v[20:21], v[24:25] op_sel:[1,1] op_sel_hi:[0,1]
	s_delay_alu instid0(VALU_DEP_1) | instskip(SKIP_1) | instid1(VALU_DEP_2)
	v_pk_fma_f32 v[32:33], v[20:21], v[24:25], v[30:31] op_sel_hi:[1,0,1]
	v_pk_fma_f32 v[20:21], v[20:21], v[24:25], v[30:31] neg_lo:[0,0,1] neg_hi:[0,0,1]
	v_mov_b32_e32 v21, v33
	ds_store_b64 v27, v[20:21] offset:16
.LBB72_100:
	s_or_b32 exec_lo, exec_lo, s4
	ds_load_b64 v[20:21], v27 offset:24
	s_mov_b32 s4, exec_lo
	s_wait_dscnt 0x0
	ds_store_b64 v19, v[20:21]
	s_wait_dscnt 0x0
	s_barrier_signal -1
	s_barrier_wait -1
	v_cmpx_gt_u32_e32 3, v26
	s_cbranch_execz .LBB72_110
; %bb.101:
	v_cmp_ne_u32_e32 vcc_lo, 1, v23
	s_cbranch_vccnz .LBB72_103
; %bb.102:
	ds_load_b64 v[20:21], v22
	ds_load_b64 v[24:25], v19
	s_wait_dscnt 0x0
	v_pk_mul_f32 v[30:31], v[24:25], v[20:21] op_sel:[1,1] op_sel_hi:[0,1]
	s_delay_alu instid0(VALU_DEP_1) | instskip(SKIP_1) | instid1(VALU_DEP_2)
	v_pk_fma_f32 v[32:33], v[24:25], v[20:21], v[30:31] op_sel_hi:[1,0,1]
	v_pk_fma_f32 v[20:21], v[24:25], v[20:21], v[30:31] neg_lo:[0,0,1] neg_hi:[0,0,1]
	v_mov_b32_e32 v21, v33
	s_cbranch_execz .LBB72_104
	s_branch .LBB72_105
.LBB72_103:
                                        ; implicit-def: $vgpr20_vgpr21
.LBB72_104:
	ds_load_b64 v[20:21], v19
.LBB72_105:
	s_mov_b32 s5, exec_lo
	v_cmpx_ne_u32_e32 2, v26
	s_cbranch_execz .LBB72_109
; %bb.106:
	ds_load_b64 v[24:25], v22 offset:8
	ds_load_b64 v[30:31], v19 offset:8
	s_wait_dscnt 0x0
	v_pk_mul_f32 v[32:33], v[30:31], v[24:25] op_sel:[1,1] op_sel_hi:[0,1]
	s_delay_alu instid0(VALU_DEP_1) | instskip(SKIP_1) | instid1(VALU_DEP_2)
	v_pk_fma_f32 v[34:35], v[30:31], v[24:25], v[32:33] op_sel_hi:[1,0,1]
	v_pk_fma_f32 v[24:25], v[30:31], v[24:25], v[32:33] neg_lo:[0,0,1] neg_hi:[0,0,1]
	v_mov_b32_e32 v25, v35
	s_delay_alu instid0(VALU_DEP_1)
	v_pk_add_f32 v[20:21], v[20:21], v[24:25]
	s_and_saveexec_b32 s6, s0
	s_cbranch_execz .LBB72_108
; %bb.107:
	v_mov_b32_e32 v24, 0
	ds_load_b64 v[24:25], v24 offset:96
	ds_load_b64 v[30:31], v27 offset:16
	s_wait_dscnt 0x0
	v_pk_mul_f32 v[32:33], v[24:25], v[30:31] op_sel:[1,1] op_sel_hi:[0,1]
	s_delay_alu instid0(VALU_DEP_1) | instskip(SKIP_1) | instid1(VALU_DEP_2)
	v_pk_fma_f32 v[34:35], v[24:25], v[30:31], v[32:33] op_sel_hi:[1,0,1]
	v_pk_fma_f32 v[24:25], v[24:25], v[30:31], v[32:33] neg_lo:[0,0,1] neg_hi:[0,0,1]
	v_mov_b32_e32 v25, v35
	s_delay_alu instid0(VALU_DEP_1)
	v_pk_add_f32 v[20:21], v[20:21], v[24:25]
.LBB72_108:
	s_or_b32 exec_lo, exec_lo, s6
.LBB72_109:
	s_delay_alu instid0(SALU_CYCLE_1) | instskip(SKIP_4) | instid1(VALU_DEP_1)
	s_or_b32 exec_lo, exec_lo, s5
	v_mov_b32_e32 v24, 0
	ds_load_b64 v[24:25], v24 offset:24
	s_wait_dscnt 0x0
	v_pk_mul_f32 v[30:31], v[20:21], v[24:25] op_sel:[1,1] op_sel_hi:[0,1]
	v_pk_fma_f32 v[32:33], v[20:21], v[24:25], v[30:31] op_sel_hi:[1,0,1]
	v_pk_fma_f32 v[20:21], v[20:21], v[24:25], v[30:31] neg_lo:[0,0,1] neg_hi:[0,0,1]
	s_delay_alu instid0(VALU_DEP_2)
	v_mov_b32_e32 v21, v33
	ds_store_b64 v27, v[20:21] offset:24
.LBB72_110:
	s_or_b32 exec_lo, exec_lo, s4
	ds_load_b64 v[20:21], v27 offset:32
	s_mov_b32 s0, exec_lo
	s_wait_dscnt 0x0
	ds_store_b64 v19, v[20:21]
	s_wait_dscnt 0x0
	s_barrier_signal -1
	s_barrier_wait -1
	v_cmpx_gt_u32_e32 4, v26
	s_cbranch_execz .LBB72_120
; %bb.111:
	v_cmp_ne_u32_e32 vcc_lo, 1, v23
	s_cbranch_vccnz .LBB72_113
; %bb.112:
	ds_load_b64 v[20:21], v22
	ds_load_b64 v[24:25], v19
	s_wait_dscnt 0x0
	v_pk_mul_f32 v[30:31], v[24:25], v[20:21] op_sel:[1,1] op_sel_hi:[0,1]
	s_delay_alu instid0(VALU_DEP_1) | instskip(SKIP_1) | instid1(VALU_DEP_2)
	v_pk_fma_f32 v[32:33], v[24:25], v[20:21], v[30:31] op_sel_hi:[1,0,1]
	v_pk_fma_f32 v[20:21], v[24:25], v[20:21], v[30:31] neg_lo:[0,0,1] neg_hi:[0,0,1]
	v_mov_b32_e32 v21, v33
	s_cbranch_execz .LBB72_114
	s_branch .LBB72_115
.LBB72_113:
                                        ; implicit-def: $vgpr20_vgpr21
.LBB72_114:
	ds_load_b64 v[20:21], v19
.LBB72_115:
	s_mov_b32 s4, exec_lo
	v_cmpx_ne_u32_e32 3, v26
	s_cbranch_execz .LBB72_119
; %bb.116:
	v_dual_mov_b32 v29, v26 :: v_dual_add_nc_u32 v24, 0x58, v18
	v_add3_u32 v25, v28, v18, 0xa8
	s_mov_b32 s5, 0
.LBB72_117:                             ; =>This Inner Loop Header: Depth=1
	ds_load_b64 v[30:31], v25
	ds_load_b64 v[32:33], v24
	v_dual_add_nc_u32 v24, 8, v24 :: v_dual_add_nc_u32 v25, 8, v25
	s_wait_dscnt 0x0
	v_pk_mul_f32 v[34:35], v[32:33], v[30:31] op_sel:[1,1] op_sel_hi:[0,1]
	s_delay_alu instid0(VALU_DEP_1) | instskip(SKIP_2) | instid1(VALU_DEP_3)
	v_pk_fma_f32 v[36:37], v[32:33], v[30:31], v[34:35] op_sel_hi:[1,0,1]
	v_add_nc_u32_e32 v29, 1, v29
	v_pk_fma_f32 v[30:31], v[32:33], v[30:31], v[34:35] neg_lo:[0,0,1] neg_hi:[0,0,1]
	v_mov_b32_e32 v31, v37
	s_delay_alu instid0(VALU_DEP_3) | instskip(NEXT) | instid1(VALU_DEP_2)
	v_cmp_lt_u32_e32 vcc_lo, 2, v29
	v_pk_add_f32 v[20:21], v[20:21], v[30:31]
	s_or_b32 s5, vcc_lo, s5
	s_delay_alu instid0(SALU_CYCLE_1)
	s_and_not1_b32 exec_lo, exec_lo, s5
	s_cbranch_execnz .LBB72_117
; %bb.118:
	s_or_b32 exec_lo, exec_lo, s5
.LBB72_119:
	s_delay_alu instid0(SALU_CYCLE_1) | instskip(SKIP_4) | instid1(VALU_DEP_1)
	s_or_b32 exec_lo, exec_lo, s4
	v_mov_b32_e32 v24, 0
	ds_load_b64 v[24:25], v24 offset:32
	s_wait_dscnt 0x0
	v_pk_mul_f32 v[30:31], v[20:21], v[24:25] op_sel:[1,1] op_sel_hi:[0,1]
	v_pk_fma_f32 v[32:33], v[20:21], v[24:25], v[30:31] op_sel_hi:[1,0,1]
	v_pk_fma_f32 v[20:21], v[20:21], v[24:25], v[30:31] neg_lo:[0,0,1] neg_hi:[0,0,1]
	s_delay_alu instid0(VALU_DEP_2)
	v_mov_b32_e32 v21, v33
	ds_store_b64 v27, v[20:21] offset:32
.LBB72_120:
	s_or_b32 exec_lo, exec_lo, s0
	ds_load_b64 v[20:21], v27 offset:40
	s_mov_b32 s0, exec_lo
	s_wait_dscnt 0x0
	ds_store_b64 v19, v[20:21]
	s_wait_dscnt 0x0
	s_barrier_signal -1
	s_barrier_wait -1
	v_cmpx_gt_u32_e32 5, v26
	s_cbranch_execz .LBB72_130
; %bb.121:
	v_cmp_ne_u32_e32 vcc_lo, 1, v23
	s_cbranch_vccnz .LBB72_123
; %bb.122:
	ds_load_b64 v[20:21], v22
	ds_load_b64 v[24:25], v19
	s_wait_dscnt 0x0
	v_pk_mul_f32 v[30:31], v[24:25], v[20:21] op_sel:[1,1] op_sel_hi:[0,1]
	s_delay_alu instid0(VALU_DEP_1) | instskip(SKIP_1) | instid1(VALU_DEP_2)
	v_pk_fma_f32 v[32:33], v[24:25], v[20:21], v[30:31] op_sel_hi:[1,0,1]
	v_pk_fma_f32 v[20:21], v[24:25], v[20:21], v[30:31] neg_lo:[0,0,1] neg_hi:[0,0,1]
	v_mov_b32_e32 v21, v33
	s_cbranch_execz .LBB72_124
	s_branch .LBB72_125
.LBB72_123:
                                        ; implicit-def: $vgpr20_vgpr21
.LBB72_124:
	ds_load_b64 v[20:21], v19
.LBB72_125:
	s_mov_b32 s4, exec_lo
	v_cmpx_ne_u32_e32 4, v26
	s_cbranch_execz .LBB72_129
; %bb.126:
	v_dual_mov_b32 v29, v26 :: v_dual_add_nc_u32 v24, 0x58, v18
	v_add3_u32 v25, v28, v18, 0xa8
	s_mov_b32 s5, 0
.LBB72_127:                             ; =>This Inner Loop Header: Depth=1
	ds_load_b64 v[30:31], v25
	ds_load_b64 v[32:33], v24
	v_dual_add_nc_u32 v24, 8, v24 :: v_dual_add_nc_u32 v25, 8, v25
	s_wait_dscnt 0x0
	v_pk_mul_f32 v[34:35], v[32:33], v[30:31] op_sel:[1,1] op_sel_hi:[0,1]
	s_delay_alu instid0(VALU_DEP_1) | instskip(SKIP_2) | instid1(VALU_DEP_3)
	v_pk_fma_f32 v[36:37], v[32:33], v[30:31], v[34:35] op_sel_hi:[1,0,1]
	v_add_nc_u32_e32 v29, 1, v29
	v_pk_fma_f32 v[30:31], v[32:33], v[30:31], v[34:35] neg_lo:[0,0,1] neg_hi:[0,0,1]
	v_mov_b32_e32 v31, v37
	s_delay_alu instid0(VALU_DEP_3) | instskip(NEXT) | instid1(VALU_DEP_2)
	v_cmp_lt_u32_e32 vcc_lo, 3, v29
	v_pk_add_f32 v[20:21], v[20:21], v[30:31]
	s_or_b32 s5, vcc_lo, s5
	s_delay_alu instid0(SALU_CYCLE_1)
	s_and_not1_b32 exec_lo, exec_lo, s5
	s_cbranch_execnz .LBB72_127
; %bb.128:
	s_or_b32 exec_lo, exec_lo, s5
.LBB72_129:
	s_delay_alu instid0(SALU_CYCLE_1) | instskip(SKIP_4) | instid1(VALU_DEP_1)
	s_or_b32 exec_lo, exec_lo, s4
	v_mov_b32_e32 v24, 0
	ds_load_b64 v[24:25], v24 offset:40
	s_wait_dscnt 0x0
	v_pk_mul_f32 v[30:31], v[20:21], v[24:25] op_sel:[1,1] op_sel_hi:[0,1]
	v_pk_fma_f32 v[32:33], v[20:21], v[24:25], v[30:31] op_sel_hi:[1,0,1]
	v_pk_fma_f32 v[20:21], v[20:21], v[24:25], v[30:31] neg_lo:[0,0,1] neg_hi:[0,0,1]
	s_delay_alu instid0(VALU_DEP_2)
	v_mov_b32_e32 v21, v33
	ds_store_b64 v27, v[20:21] offset:40
.LBB72_130:
	s_or_b32 exec_lo, exec_lo, s0
	ds_load_b64 v[20:21], v27 offset:48
	s_mov_b32 s0, exec_lo
	s_wait_dscnt 0x0
	ds_store_b64 v19, v[20:21]
	s_wait_dscnt 0x0
	s_barrier_signal -1
	s_barrier_wait -1
	v_cmpx_gt_u32_e32 6, v26
	s_cbranch_execz .LBB72_140
; %bb.131:
	v_cmp_ne_u32_e32 vcc_lo, 1, v23
	s_cbranch_vccnz .LBB72_133
; %bb.132:
	ds_load_b64 v[20:21], v22
	ds_load_b64 v[24:25], v19
	s_wait_dscnt 0x0
	v_pk_mul_f32 v[30:31], v[24:25], v[20:21] op_sel:[1,1] op_sel_hi:[0,1]
	s_delay_alu instid0(VALU_DEP_1) | instskip(SKIP_1) | instid1(VALU_DEP_2)
	v_pk_fma_f32 v[32:33], v[24:25], v[20:21], v[30:31] op_sel_hi:[1,0,1]
	v_pk_fma_f32 v[20:21], v[24:25], v[20:21], v[30:31] neg_lo:[0,0,1] neg_hi:[0,0,1]
	v_mov_b32_e32 v21, v33
	s_cbranch_execz .LBB72_134
	s_branch .LBB72_135
.LBB72_133:
                                        ; implicit-def: $vgpr20_vgpr21
.LBB72_134:
	ds_load_b64 v[20:21], v19
.LBB72_135:
	s_mov_b32 s4, exec_lo
	v_cmpx_ne_u32_e32 5, v26
	s_cbranch_execz .LBB72_139
; %bb.136:
	v_dual_mov_b32 v29, v26 :: v_dual_add_nc_u32 v24, 0x58, v18
	v_add3_u32 v25, v28, v18, 0xa8
	s_mov_b32 s5, 0
.LBB72_137:                             ; =>This Inner Loop Header: Depth=1
	ds_load_b64 v[30:31], v25
	ds_load_b64 v[32:33], v24
	v_dual_add_nc_u32 v24, 8, v24 :: v_dual_add_nc_u32 v25, 8, v25
	s_wait_dscnt 0x0
	v_pk_mul_f32 v[34:35], v[32:33], v[30:31] op_sel:[1,1] op_sel_hi:[0,1]
	s_delay_alu instid0(VALU_DEP_1) | instskip(SKIP_2) | instid1(VALU_DEP_3)
	v_pk_fma_f32 v[36:37], v[32:33], v[30:31], v[34:35] op_sel_hi:[1,0,1]
	v_add_nc_u32_e32 v29, 1, v29
	v_pk_fma_f32 v[30:31], v[32:33], v[30:31], v[34:35] neg_lo:[0,0,1] neg_hi:[0,0,1]
	v_mov_b32_e32 v31, v37
	s_delay_alu instid0(VALU_DEP_3) | instskip(NEXT) | instid1(VALU_DEP_2)
	v_cmp_lt_u32_e32 vcc_lo, 4, v29
	v_pk_add_f32 v[20:21], v[20:21], v[30:31]
	s_or_b32 s5, vcc_lo, s5
	s_delay_alu instid0(SALU_CYCLE_1)
	s_and_not1_b32 exec_lo, exec_lo, s5
	s_cbranch_execnz .LBB72_137
; %bb.138:
	s_or_b32 exec_lo, exec_lo, s5
.LBB72_139:
	s_delay_alu instid0(SALU_CYCLE_1) | instskip(SKIP_4) | instid1(VALU_DEP_1)
	s_or_b32 exec_lo, exec_lo, s4
	v_mov_b32_e32 v24, 0
	ds_load_b64 v[24:25], v24 offset:48
	s_wait_dscnt 0x0
	v_pk_mul_f32 v[30:31], v[20:21], v[24:25] op_sel:[1,1] op_sel_hi:[0,1]
	v_pk_fma_f32 v[32:33], v[20:21], v[24:25], v[30:31] op_sel_hi:[1,0,1]
	v_pk_fma_f32 v[20:21], v[20:21], v[24:25], v[30:31] neg_lo:[0,0,1] neg_hi:[0,0,1]
	s_delay_alu instid0(VALU_DEP_2)
	v_mov_b32_e32 v21, v33
	ds_store_b64 v27, v[20:21] offset:48
.LBB72_140:
	s_or_b32 exec_lo, exec_lo, s0
	ds_load_b64 v[20:21], v27 offset:56
	v_cmp_gt_u32_e64 s0, 7, v26
	s_wait_dscnt 0x0
	ds_store_b64 v19, v[20:21]
	s_wait_dscnt 0x0
	s_barrier_signal -1
	s_barrier_wait -1
	s_and_saveexec_b32 s4, s0
	s_cbranch_execz .LBB72_150
; %bb.141:
	v_cmp_ne_u32_e32 vcc_lo, 1, v23
	s_cbranch_vccnz .LBB72_143
; %bb.142:
	ds_load_b64 v[20:21], v22
	ds_load_b64 v[24:25], v19
	s_wait_dscnt 0x0
	v_pk_mul_f32 v[30:31], v[24:25], v[20:21] op_sel:[1,1] op_sel_hi:[0,1]
	s_delay_alu instid0(VALU_DEP_1) | instskip(SKIP_1) | instid1(VALU_DEP_2)
	v_pk_fma_f32 v[32:33], v[24:25], v[20:21], v[30:31] op_sel_hi:[1,0,1]
	v_pk_fma_f32 v[20:21], v[24:25], v[20:21], v[30:31] neg_lo:[0,0,1] neg_hi:[0,0,1]
	v_mov_b32_e32 v21, v33
	s_cbranch_execz .LBB72_144
	s_branch .LBB72_145
.LBB72_143:
                                        ; implicit-def: $vgpr20_vgpr21
.LBB72_144:
	ds_load_b64 v[20:21], v19
.LBB72_145:
	s_mov_b32 s5, exec_lo
	v_cmpx_ne_u32_e32 6, v26
	s_cbranch_execz .LBB72_149
; %bb.146:
	v_dual_mov_b32 v29, v26 :: v_dual_add_nc_u32 v24, 0x58, v18
	v_add3_u32 v25, v28, v18, 0xa8
	s_mov_b32 s6, 0
.LBB72_147:                             ; =>This Inner Loop Header: Depth=1
	ds_load_b64 v[30:31], v25
	ds_load_b64 v[32:33], v24
	v_dual_add_nc_u32 v24, 8, v24 :: v_dual_add_nc_u32 v25, 8, v25
	s_wait_dscnt 0x0
	v_pk_mul_f32 v[34:35], v[32:33], v[30:31] op_sel:[1,1] op_sel_hi:[0,1]
	s_delay_alu instid0(VALU_DEP_1) | instskip(SKIP_2) | instid1(VALU_DEP_3)
	v_pk_fma_f32 v[36:37], v[32:33], v[30:31], v[34:35] op_sel_hi:[1,0,1]
	v_add_nc_u32_e32 v29, 1, v29
	v_pk_fma_f32 v[30:31], v[32:33], v[30:31], v[34:35] neg_lo:[0,0,1] neg_hi:[0,0,1]
	v_mov_b32_e32 v31, v37
	s_delay_alu instid0(VALU_DEP_3) | instskip(NEXT) | instid1(VALU_DEP_2)
	v_cmp_lt_u32_e32 vcc_lo, 5, v29
	v_pk_add_f32 v[20:21], v[20:21], v[30:31]
	s_or_b32 s6, vcc_lo, s6
	s_delay_alu instid0(SALU_CYCLE_1)
	s_and_not1_b32 exec_lo, exec_lo, s6
	s_cbranch_execnz .LBB72_147
; %bb.148:
	s_or_b32 exec_lo, exec_lo, s6
.LBB72_149:
	s_delay_alu instid0(SALU_CYCLE_1) | instskip(SKIP_4) | instid1(VALU_DEP_1)
	s_or_b32 exec_lo, exec_lo, s5
	v_mov_b32_e32 v24, 0
	ds_load_b64 v[24:25], v24 offset:56
	s_wait_dscnt 0x0
	v_pk_mul_f32 v[30:31], v[20:21], v[24:25] op_sel:[1,1] op_sel_hi:[0,1]
	v_pk_fma_f32 v[32:33], v[20:21], v[24:25], v[30:31] op_sel_hi:[1,0,1]
	v_pk_fma_f32 v[20:21], v[20:21], v[24:25], v[30:31] neg_lo:[0,0,1] neg_hi:[0,0,1]
	s_delay_alu instid0(VALU_DEP_2)
	v_mov_b32_e32 v21, v33
	ds_store_b64 v27, v[20:21] offset:56
.LBB72_150:
	s_or_b32 exec_lo, exec_lo, s4
	ds_load_b64 v[20:21], v27 offset:64
	s_mov_b32 s4, exec_lo
                                        ; implicit-def: $vgpr24
                                        ; implicit-def: $vgpr25
	s_wait_dscnt 0x0
	ds_store_b64 v19, v[20:21]
	s_wait_dscnt 0x0
	s_barrier_signal -1
	s_barrier_wait -1
	v_cmpx_ne_u32_e32 8, v26
	s_cbranch_execz .LBB72_160
; %bb.151:
	v_cmp_ne_u32_e32 vcc_lo, 1, v23
	s_cbranch_vccnz .LBB72_153
; %bb.152:
	ds_load_b64 v[22:23], v22
	ds_load_b64 v[24:25], v19
	s_wait_dscnt 0x0
	v_dual_mul_f32 v20, v25, v23 :: v_dual_mul_f32 v21, v24, v23
	s_delay_alu instid0(VALU_DEP_1)
	v_dual_fma_f32 v20, v24, v22, -v20 :: v_dual_fmac_f32 v21, v25, v22
	s_cbranch_execz .LBB72_154
	s_branch .LBB72_155
.LBB72_153:
                                        ; implicit-def: $vgpr21
.LBB72_154:
	ds_load_b64 v[20:21], v19
.LBB72_155:
	s_and_saveexec_b32 s5, s0
	s_cbranch_execz .LBB72_159
; %bb.156:
	v_add_nc_u32_e32 v19, 0x58, v18
	v_add3_u32 v18, v28, v18, 0xa8
	s_mov_b32 s0, 0
.LBB72_157:                             ; =>This Inner Loop Header: Depth=1
	ds_load_b64 v[22:23], v18
	ds_load_b64 v[24:25], v19
	v_dual_add_nc_u32 v26, 1, v26 :: v_dual_add_nc_u32 v19, 8, v19
	s_delay_alu instid0(VALU_DEP_1) | instskip(SKIP_3) | instid1(VALU_DEP_1)
	v_cmp_lt_u32_e32 vcc_lo, 6, v26
	s_or_b32 s0, vcc_lo, s0
	s_wait_dscnt 0x0
	v_dual_mul_f32 v28, v25, v23 :: v_dual_mul_f32 v23, v24, v23
	v_dual_fma_f32 v24, v24, v22, -v28 :: v_dual_fmac_f32 v23, v25, v22
	s_delay_alu instid0(VALU_DEP_1) | instskip(NEXT) | instid1(VALU_DEP_2)
	v_dual_add_nc_u32 v18, 8, v18 :: v_dual_add_f32 v20, v20, v24
	v_add_f32_e32 v21, v21, v23
	s_and_not1_b32 exec_lo, exec_lo, s0
	s_cbranch_execnz .LBB72_157
; %bb.158:
	s_or_b32 exec_lo, exec_lo, s0
.LBB72_159:
	s_delay_alu instid0(SALU_CYCLE_1)
	s_or_b32 exec_lo, exec_lo, s5
	v_mov_b32_e32 v18, 0
	s_or_b32 s1, s1, exec_lo
	ds_load_b64 v[18:19], v18 offset:64
	s_wait_dscnt 0x0
	v_dual_mul_f32 v22, v21, v19 :: v_dual_mul_f32 v24, v20, v19
	s_delay_alu instid0(VALU_DEP_1) | instskip(NEXT) | instid1(VALU_DEP_2)
	v_fma_f32 v19, v20, v18, -v22
	v_dual_fmac_f32 v24, v21, v18 :: v_dual_add_nc_u32 v25, 0x44, v27
	ds_store_b32 v27, v19 offset:64
.LBB72_160:
	s_or_b32 exec_lo, exec_lo, s4
.LBB72_161:
	v_lshl_add_u64 v[22:23], v[4:5], 3, s[2:3]
	v_lshl_add_u64 v[20:21], v[6:7], 3, s[2:3]
	;; [unrolled: 1-line block ×7, first 2 shown]
	s_and_saveexec_b32 s0, s1
; %bb.162:
	ds_store_b32 v25, v24
; %bb.163:
	s_or_b32 exec_lo, exec_lo, s0
	ds_load_b64 v[12:13], v27
	s_wait_dscnt 0x0
	flat_store_b64 v[0:1], v[12:13]
	s_wait_xcnt 0x0
	ds_load_b64 v[0:1], v27 offset:8
	s_wait_dscnt 0x0
	flat_store_b64 v[2:3], v[0:1]
	s_wait_xcnt 0x0
	ds_load_b64 v[0:1], v27 offset:16
	;; [unrolled: 4-line block ×8, first 2 shown]
	s_wait_dscnt 0x0
	flat_store_b64 v[4:5], v[0:1]
.LBB72_164:
	s_endpgm
	.section	.rodata,"a",@progbits
	.p2align	6, 0x0
	.amdhsa_kernel _ZN9rocsolver6v33100L18trti2_kernel_smallILi9E19rocblas_complex_numIfEPKPS3_EEv13rocblas_fill_17rocblas_diagonal_T1_iil
		.amdhsa_group_segment_fixed_size 4768
		.amdhsa_private_segment_fixed_size 0
		.amdhsa_kernarg_size 32
		.amdhsa_user_sgpr_count 4
		.amdhsa_user_sgpr_dispatch_ptr 1
		.amdhsa_user_sgpr_queue_ptr 0
		.amdhsa_user_sgpr_kernarg_segment_ptr 1
		.amdhsa_user_sgpr_dispatch_id 0
		.amdhsa_user_sgpr_kernarg_preload_length 0
		.amdhsa_user_sgpr_kernarg_preload_offset 0
		.amdhsa_user_sgpr_private_segment_size 0
		.amdhsa_wavefront_size32 1
		.amdhsa_uses_dynamic_stack 0
		.amdhsa_enable_private_segment 0
		.amdhsa_system_sgpr_workgroup_id_x 1
		.amdhsa_system_sgpr_workgroup_id_y 0
		.amdhsa_system_sgpr_workgroup_id_z 0
		.amdhsa_system_sgpr_workgroup_info 0
		.amdhsa_system_vgpr_workitem_id 2
		.amdhsa_next_free_vgpr 38
		.amdhsa_next_free_sgpr 12
		.amdhsa_named_barrier_count 0
		.amdhsa_reserve_vcc 1
		.amdhsa_float_round_mode_32 0
		.amdhsa_float_round_mode_16_64 0
		.amdhsa_float_denorm_mode_32 3
		.amdhsa_float_denorm_mode_16_64 3
		.amdhsa_fp16_overflow 0
		.amdhsa_memory_ordered 1
		.amdhsa_forward_progress 1
		.amdhsa_inst_pref_size 50
		.amdhsa_round_robin_scheduling 0
		.amdhsa_exception_fp_ieee_invalid_op 0
		.amdhsa_exception_fp_denorm_src 0
		.amdhsa_exception_fp_ieee_div_zero 0
		.amdhsa_exception_fp_ieee_overflow 0
		.amdhsa_exception_fp_ieee_underflow 0
		.amdhsa_exception_fp_ieee_inexact 0
		.amdhsa_exception_int_div_zero 0
	.end_amdhsa_kernel
	.section	.text._ZN9rocsolver6v33100L18trti2_kernel_smallILi9E19rocblas_complex_numIfEPKPS3_EEv13rocblas_fill_17rocblas_diagonal_T1_iil,"axG",@progbits,_ZN9rocsolver6v33100L18trti2_kernel_smallILi9E19rocblas_complex_numIfEPKPS3_EEv13rocblas_fill_17rocblas_diagonal_T1_iil,comdat
.Lfunc_end72:
	.size	_ZN9rocsolver6v33100L18trti2_kernel_smallILi9E19rocblas_complex_numIfEPKPS3_EEv13rocblas_fill_17rocblas_diagonal_T1_iil, .Lfunc_end72-_ZN9rocsolver6v33100L18trti2_kernel_smallILi9E19rocblas_complex_numIfEPKPS3_EEv13rocblas_fill_17rocblas_diagonal_T1_iil
                                        ; -- End function
	.set _ZN9rocsolver6v33100L18trti2_kernel_smallILi9E19rocblas_complex_numIfEPKPS3_EEv13rocblas_fill_17rocblas_diagonal_T1_iil.num_vgpr, 38
	.set _ZN9rocsolver6v33100L18trti2_kernel_smallILi9E19rocblas_complex_numIfEPKPS3_EEv13rocblas_fill_17rocblas_diagonal_T1_iil.num_agpr, 0
	.set _ZN9rocsolver6v33100L18trti2_kernel_smallILi9E19rocblas_complex_numIfEPKPS3_EEv13rocblas_fill_17rocblas_diagonal_T1_iil.numbered_sgpr, 12
	.set _ZN9rocsolver6v33100L18trti2_kernel_smallILi9E19rocblas_complex_numIfEPKPS3_EEv13rocblas_fill_17rocblas_diagonal_T1_iil.num_named_barrier, 0
	.set _ZN9rocsolver6v33100L18trti2_kernel_smallILi9E19rocblas_complex_numIfEPKPS3_EEv13rocblas_fill_17rocblas_diagonal_T1_iil.private_seg_size, 0
	.set _ZN9rocsolver6v33100L18trti2_kernel_smallILi9E19rocblas_complex_numIfEPKPS3_EEv13rocblas_fill_17rocblas_diagonal_T1_iil.uses_vcc, 1
	.set _ZN9rocsolver6v33100L18trti2_kernel_smallILi9E19rocblas_complex_numIfEPKPS3_EEv13rocblas_fill_17rocblas_diagonal_T1_iil.uses_flat_scratch, 0
	.set _ZN9rocsolver6v33100L18trti2_kernel_smallILi9E19rocblas_complex_numIfEPKPS3_EEv13rocblas_fill_17rocblas_diagonal_T1_iil.has_dyn_sized_stack, 0
	.set _ZN9rocsolver6v33100L18trti2_kernel_smallILi9E19rocblas_complex_numIfEPKPS3_EEv13rocblas_fill_17rocblas_diagonal_T1_iil.has_recursion, 0
	.set _ZN9rocsolver6v33100L18trti2_kernel_smallILi9E19rocblas_complex_numIfEPKPS3_EEv13rocblas_fill_17rocblas_diagonal_T1_iil.has_indirect_call, 0
	.section	.AMDGPU.csdata,"",@progbits
; Kernel info:
; codeLenInByte = 6376
; TotalNumSgprs: 14
; NumVgprs: 38
; ScratchSize: 0
; MemoryBound: 0
; FloatMode: 240
; IeeeMode: 1
; LDSByteSize: 4768 bytes/workgroup (compile time only)
; SGPRBlocks: 0
; VGPRBlocks: 2
; NumSGPRsForWavesPerEU: 14
; NumVGPRsForWavesPerEU: 38
; NamedBarCnt: 0
; Occupancy: 16
; WaveLimiterHint : 1
; COMPUTE_PGM_RSRC2:SCRATCH_EN: 0
; COMPUTE_PGM_RSRC2:USER_SGPR: 4
; COMPUTE_PGM_RSRC2:TRAP_HANDLER: 0
; COMPUTE_PGM_RSRC2:TGID_X_EN: 1
; COMPUTE_PGM_RSRC2:TGID_Y_EN: 0
; COMPUTE_PGM_RSRC2:TGID_Z_EN: 0
; COMPUTE_PGM_RSRC2:TIDIG_COMP_CNT: 2
	.section	.text._ZN9rocsolver6v33100L18trti2_kernel_smallILi10E19rocblas_complex_numIfEPKPS3_EEv13rocblas_fill_17rocblas_diagonal_T1_iil,"axG",@progbits,_ZN9rocsolver6v33100L18trti2_kernel_smallILi10E19rocblas_complex_numIfEPKPS3_EEv13rocblas_fill_17rocblas_diagonal_T1_iil,comdat
	.globl	_ZN9rocsolver6v33100L18trti2_kernel_smallILi10E19rocblas_complex_numIfEPKPS3_EEv13rocblas_fill_17rocblas_diagonal_T1_iil ; -- Begin function _ZN9rocsolver6v33100L18trti2_kernel_smallILi10E19rocblas_complex_numIfEPKPS3_EEv13rocblas_fill_17rocblas_diagonal_T1_iil
	.p2align	8
	.type	_ZN9rocsolver6v33100L18trti2_kernel_smallILi10E19rocblas_complex_numIfEPKPS3_EEv13rocblas_fill_17rocblas_diagonal_T1_iil,@function
_ZN9rocsolver6v33100L18trti2_kernel_smallILi10E19rocblas_complex_numIfEPKPS3_EEv13rocblas_fill_17rocblas_diagonal_T1_iil: ; @_ZN9rocsolver6v33100L18trti2_kernel_smallILi10E19rocblas_complex_numIfEPKPS3_EEv13rocblas_fill_17rocblas_diagonal_T1_iil
; %bb.0:
	v_and_b32_e32 v28, 0x3ff, v0
	s_mov_b32 s4, exec_lo
	s_delay_alu instid0(VALU_DEP_1)
	v_cmpx_gt_u32_e32 10, v28
	s_cbranch_execz .LBB73_184
; %bb.1:
	s_load_b64 s[8:9], s[0:1], 0x4
	s_clause 0x1
	s_load_b64 s[10:11], s[2:3], 0x10
	s_load_b128 s[4:7], s[2:3], 0x0
	s_wait_xcnt 0x0
	s_bfe_u32 s0, ttmp6, 0x4000c
	s_and_b32 s1, ttmp6, 15
	s_add_co_i32 s0, s0, 1
	s_getreg_b32 s2, hwreg(HW_REG_IB_STS2, 6, 4)
	s_mul_i32 s0, ttmp9, s0
	v_bfe_u32 v1, v0, 10, 10
	s_add_co_i32 s0, s1, s0
	v_bfe_u32 v0, v0, 20, 10
	v_dual_mov_b32 v21, 0 :: v_dual_lshlrev_b32 v20, 3, v28
	s_wait_kmcnt 0x0
	s_lshr_b32 s8, s8, 16
	s_ashr_i32 s1, s10, 31
	s_cmp_eq_u32 s2, 0
	s_mul_i32 s8, s8, s9
	s_cselect_b32 s2, ttmp9, s0
	s_mov_b32 s0, s10
	s_ashr_i32 s3, s2, 31
	s_lshl_b64 s[0:1], s[0:1], 3
	s_lshl_b64 s[2:3], s[2:3], 3
	v_mul_u32_u24_e32 v1, s9, v1
	s_add_nc_u64 s[2:3], s[6:7], s[2:3]
	v_mul_u32_u24_e32 v2, s8, v28
	s_load_b64 s[2:3], s[2:3], 0x0
	s_delay_alu instid0(VALU_DEP_1) | instskip(NEXT) | instid1(VALU_DEP_1)
	v_add3_u32 v31, v2, v1, v0
	v_mul_lo_u32 v30, 0x50, v31
	s_delay_alu instid0(VALU_DEP_1)
	v_add_nc_u32_e32 v29, 0xa0, v30
	s_wait_kmcnt 0x0
	s_add_nc_u64 s[6:7], s[2:3], s[0:1]
	s_mov_b32 s0, s11
	flat_load_b64 v[4:5], v28, s[6:7] scale_offset
	v_add_nc_u64_e32 v[0:1], s[6:7], v[20:21]
	s_ashr_i32 s1, s11, 31
	s_cmp_lg_u32 s5, 0x84
	s_cselect_b32 s3, -1, 0
	s_delay_alu instid0(SALU_CYCLE_1) | instskip(NEXT) | instid1(VALU_DEP_1)
	s_and_b32 vcc_lo, exec_lo, s3
	v_lshl_add_u64 v[2:3], s[0:1], 3, v[0:1]
	s_mov_b32 s0, -1
	s_wait_loadcnt_dscnt 0x0
	ds_store_b64 v30, v[4:5] offset:160
	flat_load_b64 v[6:7], v[2:3]
	v_add3_u32 v4, s11, s11, v28
	s_wait_loadcnt_dscnt 0x0
	ds_store_b64 v30, v[6:7] offset:168
	flat_load_b64 v[8:9], v4, s[6:7] scale_offset
	v_add_nc_u32_e32 v6, s11, v4
	s_wait_loadcnt_dscnt 0x0
	ds_store_b64 v30, v[8:9] offset:176
	flat_load_b64 v[10:11], v6, s[6:7] scale_offset
	v_add_nc_u32_e32 v8, s11, v6
	;; [unrolled: 4-line block ×7, first 2 shown]
	s_wait_loadcnt_dscnt 0x0
	ds_store_b64 v30, v[22:23] offset:224
	flat_load_b64 v[22:23], v18, s[6:7] scale_offset
	s_wait_loadcnt_dscnt 0x0
	ds_store_b64 v30, v[22:23] offset:232
	s_cbranch_vccz .LBB73_7
; %bb.2:
	v_lshl_add_u32 v5, v28, 3, v29
                                        ; implicit-def: $vgpr27
                                        ; implicit-def: $vgpr24
	ds_load_b64 v[22:23], v5
	s_wait_dscnt 0x0
	v_cmp_ngt_f32_e64 s0, |v22|, |v23|
	s_and_saveexec_b32 s1, s0
	s_delay_alu instid0(SALU_CYCLE_1)
	s_xor_b32 s0, exec_lo, s1
	s_cbranch_execz .LBB73_4
; %bb.3:
	v_div_scale_f32 v7, null, v23, v23, v22
	v_div_scale_f32 v13, vcc_lo, v22, v23, v22
	s_delay_alu instid0(VALU_DEP_2) | instskip(SKIP_1) | instid1(TRANS32_DEP_1)
	v_rcp_f32_e32 v9, v7
	v_nop
	v_fma_f32 v11, -v7, v9, 1.0
	s_delay_alu instid0(VALU_DEP_1) | instskip(NEXT) | instid1(VALU_DEP_1)
	v_fmac_f32_e32 v9, v11, v9
	v_mul_f32_e32 v11, v13, v9
	s_delay_alu instid0(VALU_DEP_1) | instskip(NEXT) | instid1(VALU_DEP_1)
	v_fma_f32 v15, -v7, v11, v13
	v_fmac_f32_e32 v11, v15, v9
	s_delay_alu instid0(VALU_DEP_1) | instskip(NEXT) | instid1(VALU_DEP_1)
	v_fma_f32 v7, -v7, v11, v13
	v_div_fmas_f32 v7, v7, v9, v11
	s_delay_alu instid0(VALU_DEP_1) | instskip(NEXT) | instid1(VALU_DEP_1)
	v_div_fixup_f32 v7, v7, v23, v22
	v_fmac_f32_e32 v23, v22, v7
	s_delay_alu instid0(VALU_DEP_1) | instskip(NEXT) | instid1(VALU_DEP_1)
	v_div_scale_f32 v9, null, v23, v23, -1.0
	v_rcp_f32_e32 v11, v9
	v_nop
	s_delay_alu instid0(TRANS32_DEP_1) | instskip(NEXT) | instid1(VALU_DEP_1)
	v_fma_f32 v13, -v9, v11, 1.0
	v_fmac_f32_e32 v11, v13, v11
	v_div_scale_f32 v13, vcc_lo, -1.0, v23, -1.0
	s_delay_alu instid0(VALU_DEP_1) | instskip(NEXT) | instid1(VALU_DEP_1)
	v_mul_f32_e32 v15, v13, v11
	v_fma_f32 v17, -v9, v15, v13
	s_delay_alu instid0(VALU_DEP_1) | instskip(NEXT) | instid1(VALU_DEP_1)
	v_fmac_f32_e32 v15, v17, v11
	v_fma_f32 v9, -v9, v15, v13
	s_delay_alu instid0(VALU_DEP_1) | instskip(NEXT) | instid1(VALU_DEP_1)
	v_div_fmas_f32 v9, v9, v11, v15
	v_div_fixup_f32 v27, v9, v23, -1.0
                                        ; implicit-def: $vgpr22_vgpr23
	s_delay_alu instid0(VALU_DEP_1) | instskip(NEXT) | instid1(VALU_DEP_1)
	v_mul_f32_e32 v24, v7, v27
	v_xor_b32_e32 v26, 0x80000000, v24
.LBB73_4:
	s_and_not1_saveexec_b32 s0, s0
	s_cbranch_execz .LBB73_6
; %bb.5:
	v_div_scale_f32 v7, null, v22, v22, v23
	v_div_scale_f32 v13, vcc_lo, v23, v22, v23
	s_delay_alu instid0(VALU_DEP_2) | instskip(SKIP_1) | instid1(TRANS32_DEP_1)
	v_rcp_f32_e32 v9, v7
	v_nop
	v_fma_f32 v11, -v7, v9, 1.0
	s_delay_alu instid0(VALU_DEP_1) | instskip(NEXT) | instid1(VALU_DEP_1)
	v_fmac_f32_e32 v9, v11, v9
	v_mul_f32_e32 v11, v13, v9
	s_delay_alu instid0(VALU_DEP_1) | instskip(NEXT) | instid1(VALU_DEP_1)
	v_fma_f32 v15, -v7, v11, v13
	v_fmac_f32_e32 v11, v15, v9
	s_delay_alu instid0(VALU_DEP_1) | instskip(NEXT) | instid1(VALU_DEP_1)
	v_fma_f32 v7, -v7, v11, v13
	v_div_fmas_f32 v7, v7, v9, v11
	s_delay_alu instid0(VALU_DEP_1) | instskip(NEXT) | instid1(VALU_DEP_1)
	v_div_fixup_f32 v7, v7, v22, v23
	v_fmac_f32_e32 v22, v23, v7
	s_delay_alu instid0(VALU_DEP_1) | instskip(SKIP_1) | instid1(VALU_DEP_2)
	v_div_scale_f32 v9, null, v22, v22, 1.0
	v_div_scale_f32 v15, vcc_lo, 1.0, v22, 1.0
	v_rcp_f32_e32 v11, v9
	v_nop
	s_delay_alu instid0(TRANS32_DEP_1) | instskip(NEXT) | instid1(VALU_DEP_1)
	v_fma_f32 v13, -v9, v11, 1.0
	v_fmac_f32_e32 v11, v13, v11
	s_delay_alu instid0(VALU_DEP_1) | instskip(NEXT) | instid1(VALU_DEP_1)
	v_mul_f32_e32 v13, v15, v11
	v_fma_f32 v17, -v9, v13, v15
	s_delay_alu instid0(VALU_DEP_1) | instskip(NEXT) | instid1(VALU_DEP_1)
	v_fmac_f32_e32 v13, v17, v11
	v_fma_f32 v9, -v9, v13, v15
	s_delay_alu instid0(VALU_DEP_1) | instskip(NEXT) | instid1(VALU_DEP_1)
	v_div_fmas_f32 v9, v9, v11, v13
	v_div_fixup_f32 v26, v9, v22, 1.0
	s_delay_alu instid0(VALU_DEP_1)
	v_xor_b32_e32 v24, 0x80000000, v26
	v_mul_f32_e64 v27, v7, -v26
.LBB73_6:
	s_or_b32 exec_lo, exec_lo, s0
	s_delay_alu instid0(VALU_DEP_1)
	v_xor_b32_e32 v25, 0x80000000, v27
	s_mov_b32 s0, 0
	ds_store_b64 v5, v[26:27]
	ds_store_b64 v20, v[24:25]
.LBB73_7:
	s_and_b32 vcc_lo, exec_lo, s0
	s_cbranch_vccz .LBB73_9
; %bb.8:
	s_mov_b64 s[0:1], 0xbf800000
	s_delay_alu instid0(SALU_CYCLE_1)
	v_mov_b64_e32 v[22:23], s[0:1]
	ds_store_b64 v20, v[22:23]
.LBB73_9:
	v_dual_ashrrev_i32 v5, 31, v4 :: v_dual_ashrrev_i32 v7, 31, v6
	v_dual_ashrrev_i32 v9, 31, v8 :: v_dual_ashrrev_i32 v11, 31, v10
	;; [unrolled: 1-line block ×4, first 2 shown]
	v_add_nc_u32_e32 v21, 0x50, v20
	v_add_nc_u32_e32 v24, v29, v20
	s_cmp_eq_u32 s4, 0x79
	s_cbranch_scc1 .LBB73_13
; %bb.10:
	ds_load_b64 v[22:23], v29 offset:64
	v_cmp_eq_u32_e64 s0, 9, v28
	s_wait_dscnt 0x0
	ds_store_b64 v21, v[22:23]
	s_wait_dscnt 0x0
	s_barrier_signal -1
	s_barrier_wait -1
	s_and_saveexec_b32 s1, s0
	s_cbranch_execz .LBB73_17
; %bb.11:
	s_and_b32 vcc_lo, exec_lo, s3
	s_cbranch_vccz .LBB73_14
; %bb.12:
	ds_load_b64 v[22:23], v24
	ds_load_b64 v[26:27], v21
	s_wait_dscnt 0x0
	v_pk_mul_f32 v[32:33], v[26:27], v[22:23] op_sel:[1,1] op_sel_hi:[0,1]
	v_pk_mul_f32 v[34:35], v[26:27], v[22:23] op_sel_hi:[1,0]
	s_delay_alu instid0(VALU_DEP_2) | instskip(NEXT) | instid1(VALU_DEP_2)
	v_pk_fma_f32 v[22:23], v[26:27], v[22:23], v[32:33] op_sel_hi:[1,0,1]
	v_sub_f32_e32 v22, v34, v32
	s_cbranch_execz .LBB73_15
	s_branch .LBB73_16
.LBB73_13:
	s_mov_b32 s1, 0
                                        ; implicit-def: $vgpr32
                                        ; implicit-def: $vgpr33
	s_cbranch_execnz .LBB73_96
	s_branch .LBB73_181
.LBB73_14:
                                        ; implicit-def: $vgpr23
.LBB73_15:
	ds_load_b64 v[22:23], v21
.LBB73_16:
	s_wait_dscnt 0x0
	v_dual_mov_b32 v25, 0 :: v_dual_mov_b32 v32, v23
	v_mov_b32_e32 v33, v22
	ds_load_b64 v[26:27], v25 offset:64
	s_wait_dscnt 0x0
	v_pk_mul_f32 v[32:33], v[32:33], v[26:27] op_sel:[0,1]
	s_delay_alu instid0(VALU_DEP_1) | instskip(SKIP_1) | instid1(VALU_DEP_2)
	v_pk_fma_f32 v[34:35], v[22:23], v[26:27], v[32:33] op_sel_hi:[1,0,1]
	v_pk_fma_f32 v[22:23], v[22:23], v[26:27], v[32:33] neg_lo:[0,0,1] neg_hi:[0,0,1]
	v_mov_b32_e32 v23, v35
	ds_store_b64 v29, v[22:23] offset:64
.LBB73_17:
	s_or_b32 exec_lo, exec_lo, s1
	ds_load_b64 v[22:23], v29 offset:56
	v_cmp_lt_u32_e64 s1, 7, v28
	s_wait_dscnt 0x0
	ds_store_b64 v21, v[22:23]
	s_wait_dscnt 0x0
	s_barrier_signal -1
	s_barrier_wait -1
	s_and_saveexec_b32 s2, s1
	s_cbranch_execz .LBB73_25
; %bb.18:
	s_and_not1_b32 vcc_lo, exec_lo, s3
	s_cbranch_vccnz .LBB73_20
; %bb.19:
	ds_load_b64 v[22:23], v24
	ds_load_b64 v[26:27], v21
	s_wait_dscnt 0x0
	v_pk_mul_f32 v[32:33], v[26:27], v[22:23] op_sel:[1,1] op_sel_hi:[0,1]
	s_delay_alu instid0(VALU_DEP_1) | instskip(SKIP_1) | instid1(VALU_DEP_2)
	v_pk_fma_f32 v[34:35], v[26:27], v[22:23], v[32:33] op_sel_hi:[1,0,1]
	v_pk_fma_f32 v[22:23], v[26:27], v[22:23], v[32:33] neg_lo:[0,0,1] neg_hi:[0,0,1]
	v_mov_b32_e32 v23, v35
	s_cbranch_execz .LBB73_21
	s_branch .LBB73_22
.LBB73_20:
                                        ; implicit-def: $vgpr22_vgpr23
.LBB73_21:
	ds_load_b64 v[22:23], v21
.LBB73_22:
	s_and_saveexec_b32 s4, s0
	s_cbranch_execz .LBB73_24
; %bb.23:
	v_mov_b32_e32 v25, 0
	ds_load_b64 v[26:27], v29 offset:64
	ds_load_b64 v[32:33], v25 offset:144
	s_wait_dscnt 0x0
	v_pk_mul_f32 v[34:35], v[32:33], v[26:27] op_sel:[1,1] op_sel_hi:[0,1]
	s_delay_alu instid0(VALU_DEP_1) | instskip(SKIP_1) | instid1(VALU_DEP_2)
	v_pk_fma_f32 v[36:37], v[32:33], v[26:27], v[34:35] op_sel_hi:[1,0,1]
	v_pk_fma_f32 v[26:27], v[32:33], v[26:27], v[34:35] neg_lo:[0,0,1] neg_hi:[0,0,1]
	v_mov_b32_e32 v27, v37
	s_delay_alu instid0(VALU_DEP_1)
	v_pk_add_f32 v[22:23], v[22:23], v[26:27]
.LBB73_24:
	s_or_b32 exec_lo, exec_lo, s4
	v_mov_b32_e32 v25, 0
	ds_load_b64 v[26:27], v25 offset:56
	s_wait_dscnt 0x0
	v_pk_mul_f32 v[32:33], v[22:23], v[26:27] op_sel:[1,1] op_sel_hi:[0,1]
	s_delay_alu instid0(VALU_DEP_1) | instskip(SKIP_1) | instid1(VALU_DEP_2)
	v_pk_fma_f32 v[34:35], v[22:23], v[26:27], v[32:33] op_sel_hi:[1,0,1]
	v_pk_fma_f32 v[22:23], v[22:23], v[26:27], v[32:33] neg_lo:[0,0,1] neg_hi:[0,0,1]
	v_mov_b32_e32 v23, v35
	ds_store_b64 v29, v[22:23] offset:56
.LBB73_25:
	s_or_b32 exec_lo, exec_lo, s2
	ds_load_b64 v[22:23], v29 offset:48
	v_cmp_lt_u32_e64 s0, 6, v28
	s_wait_dscnt 0x0
	ds_store_b64 v21, v[22:23]
	s_wait_dscnt 0x0
	s_barrier_signal -1
	s_barrier_wait -1
	s_and_saveexec_b32 s2, s0
	s_cbranch_execz .LBB73_35
; %bb.26:
	s_and_not1_b32 vcc_lo, exec_lo, s3
	s_cbranch_vccnz .LBB73_28
; %bb.27:
	ds_load_b64 v[22:23], v24
	ds_load_b64 v[26:27], v21
	s_wait_dscnt 0x0
	v_pk_mul_f32 v[32:33], v[26:27], v[22:23] op_sel:[1,1] op_sel_hi:[0,1]
	s_delay_alu instid0(VALU_DEP_1) | instskip(SKIP_1) | instid1(VALU_DEP_2)
	v_pk_fma_f32 v[34:35], v[26:27], v[22:23], v[32:33] op_sel_hi:[1,0,1]
	v_pk_fma_f32 v[22:23], v[26:27], v[22:23], v[32:33] neg_lo:[0,0,1] neg_hi:[0,0,1]
	v_mov_b32_e32 v23, v35
	s_cbranch_execz .LBB73_29
	s_branch .LBB73_30
.LBB73_28:
                                        ; implicit-def: $vgpr22_vgpr23
.LBB73_29:
	ds_load_b64 v[22:23], v21
.LBB73_30:
	s_and_saveexec_b32 s4, s1
	s_cbranch_execz .LBB73_34
; %bb.31:
	s_movk_i32 s1, 0x50
	v_add_nc_u32_e32 v26, -7, v28
	v_mad_u32 v25, v31, s1, 0xd8
	s_movk_i32 s5, 0x88
	s_mov_b32 s1, 0
.LBB73_32:                              ; =>This Inner Loop Header: Depth=1
	s_delay_alu instid0(VALU_DEP_2)
	v_dual_mov_b32 v27, s5 :: v_dual_add_nc_u32 v26, -1, v26
	s_add_co_i32 s5, s5, 8
	ds_load_b64 v[32:33], v25
	ds_load_b64 v[34:35], v27
	v_add_nc_u32_e32 v25, 8, v25
	v_cmp_eq_u32_e32 vcc_lo, 0, v26
	s_or_b32 s1, vcc_lo, s1
	s_wait_dscnt 0x0
	v_pk_mul_f32 v[36:37], v[34:35], v[32:33] op_sel:[1,1] op_sel_hi:[0,1]
	s_delay_alu instid0(VALU_DEP_1) | instskip(SKIP_1) | instid1(VALU_DEP_2)
	v_pk_fma_f32 v[38:39], v[34:35], v[32:33], v[36:37] op_sel_hi:[1,0,1]
	v_pk_fma_f32 v[32:33], v[34:35], v[32:33], v[36:37] neg_lo:[0,0,1] neg_hi:[0,0,1]
	v_mov_b32_e32 v33, v39
	s_delay_alu instid0(VALU_DEP_1)
	v_pk_add_f32 v[22:23], v[22:23], v[32:33]
	s_and_not1_b32 exec_lo, exec_lo, s1
	s_cbranch_execnz .LBB73_32
; %bb.33:
	s_or_b32 exec_lo, exec_lo, s1
.LBB73_34:
	s_delay_alu instid0(SALU_CYCLE_1) | instskip(SKIP_4) | instid1(VALU_DEP_1)
	s_or_b32 exec_lo, exec_lo, s4
	v_mov_b32_e32 v25, 0
	ds_load_b64 v[26:27], v25 offset:48
	s_wait_dscnt 0x0
	v_pk_mul_f32 v[32:33], v[22:23], v[26:27] op_sel:[1,1] op_sel_hi:[0,1]
	v_pk_fma_f32 v[34:35], v[22:23], v[26:27], v[32:33] op_sel_hi:[1,0,1]
	v_pk_fma_f32 v[22:23], v[22:23], v[26:27], v[32:33] neg_lo:[0,0,1] neg_hi:[0,0,1]
	s_delay_alu instid0(VALU_DEP_2)
	v_mov_b32_e32 v23, v35
	ds_store_b64 v29, v[22:23] offset:48
.LBB73_35:
	s_or_b32 exec_lo, exec_lo, s2
	ds_load_b64 v[22:23], v29 offset:40
	v_cmp_lt_u32_e64 s1, 5, v28
	s_wait_dscnt 0x0
	ds_store_b64 v21, v[22:23]
	s_wait_dscnt 0x0
	s_barrier_signal -1
	s_barrier_wait -1
	s_and_saveexec_b32 s2, s1
	s_cbranch_execz .LBB73_45
; %bb.36:
	s_and_not1_b32 vcc_lo, exec_lo, s3
	s_cbranch_vccnz .LBB73_38
; %bb.37:
	ds_load_b64 v[22:23], v24
	ds_load_b64 v[26:27], v21
	s_wait_dscnt 0x0
	v_pk_mul_f32 v[32:33], v[26:27], v[22:23] op_sel:[1,1] op_sel_hi:[0,1]
	s_delay_alu instid0(VALU_DEP_1) | instskip(SKIP_1) | instid1(VALU_DEP_2)
	v_pk_fma_f32 v[34:35], v[26:27], v[22:23], v[32:33] op_sel_hi:[1,0,1]
	v_pk_fma_f32 v[22:23], v[26:27], v[22:23], v[32:33] neg_lo:[0,0,1] neg_hi:[0,0,1]
	v_mov_b32_e32 v23, v35
	s_cbranch_execz .LBB73_39
	s_branch .LBB73_40
.LBB73_38:
                                        ; implicit-def: $vgpr22_vgpr23
.LBB73_39:
	ds_load_b64 v[22:23], v21
.LBB73_40:
	s_and_saveexec_b32 s4, s0
	s_cbranch_execz .LBB73_44
; %bb.41:
	s_movk_i32 s0, 0x50
	v_add_nc_u32_e32 v26, -6, v28
	v_mad_u32 v25, v31, s0, 0xd0
	s_movk_i32 s5, 0x80
	s_mov_b32 s0, 0
.LBB73_42:                              ; =>This Inner Loop Header: Depth=1
	s_delay_alu instid0(VALU_DEP_2)
	v_dual_mov_b32 v27, s5 :: v_dual_add_nc_u32 v26, -1, v26
	s_add_co_i32 s5, s5, 8
	ds_load_b64 v[32:33], v25
	ds_load_b64 v[34:35], v27
	v_add_nc_u32_e32 v25, 8, v25
	v_cmp_eq_u32_e32 vcc_lo, 0, v26
	s_or_b32 s0, vcc_lo, s0
	s_wait_dscnt 0x0
	v_pk_mul_f32 v[36:37], v[34:35], v[32:33] op_sel:[1,1] op_sel_hi:[0,1]
	s_delay_alu instid0(VALU_DEP_1) | instskip(SKIP_1) | instid1(VALU_DEP_2)
	v_pk_fma_f32 v[38:39], v[34:35], v[32:33], v[36:37] op_sel_hi:[1,0,1]
	v_pk_fma_f32 v[32:33], v[34:35], v[32:33], v[36:37] neg_lo:[0,0,1] neg_hi:[0,0,1]
	v_mov_b32_e32 v33, v39
	s_delay_alu instid0(VALU_DEP_1)
	v_pk_add_f32 v[22:23], v[22:23], v[32:33]
	s_and_not1_b32 exec_lo, exec_lo, s0
	s_cbranch_execnz .LBB73_42
; %bb.43:
	s_or_b32 exec_lo, exec_lo, s0
.LBB73_44:
	s_delay_alu instid0(SALU_CYCLE_1) | instskip(SKIP_4) | instid1(VALU_DEP_1)
	s_or_b32 exec_lo, exec_lo, s4
	v_mov_b32_e32 v25, 0
	ds_load_b64 v[26:27], v25 offset:40
	s_wait_dscnt 0x0
	v_pk_mul_f32 v[32:33], v[22:23], v[26:27] op_sel:[1,1] op_sel_hi:[0,1]
	v_pk_fma_f32 v[34:35], v[22:23], v[26:27], v[32:33] op_sel_hi:[1,0,1]
	v_pk_fma_f32 v[22:23], v[22:23], v[26:27], v[32:33] neg_lo:[0,0,1] neg_hi:[0,0,1]
	s_delay_alu instid0(VALU_DEP_2)
	v_mov_b32_e32 v23, v35
	ds_store_b64 v29, v[22:23] offset:40
.LBB73_45:
	s_or_b32 exec_lo, exec_lo, s2
	ds_load_b64 v[22:23], v29 offset:32
	v_cmp_lt_u32_e64 s0, 4, v28
	s_wait_dscnt 0x0
	ds_store_b64 v21, v[22:23]
	s_wait_dscnt 0x0
	s_barrier_signal -1
	s_barrier_wait -1
	s_and_saveexec_b32 s2, s0
	s_cbranch_execz .LBB73_55
; %bb.46:
	s_and_not1_b32 vcc_lo, exec_lo, s3
	s_cbranch_vccnz .LBB73_48
; %bb.47:
	ds_load_b64 v[22:23], v24
	ds_load_b64 v[26:27], v21
	s_wait_dscnt 0x0
	v_pk_mul_f32 v[32:33], v[26:27], v[22:23] op_sel:[1,1] op_sel_hi:[0,1]
	s_delay_alu instid0(VALU_DEP_1) | instskip(SKIP_1) | instid1(VALU_DEP_2)
	v_pk_fma_f32 v[34:35], v[26:27], v[22:23], v[32:33] op_sel_hi:[1,0,1]
	v_pk_fma_f32 v[22:23], v[26:27], v[22:23], v[32:33] neg_lo:[0,0,1] neg_hi:[0,0,1]
	v_mov_b32_e32 v23, v35
	s_cbranch_execz .LBB73_49
	s_branch .LBB73_50
.LBB73_48:
                                        ; implicit-def: $vgpr22_vgpr23
.LBB73_49:
	ds_load_b64 v[22:23], v21
.LBB73_50:
	s_and_saveexec_b32 s4, s1
	s_cbranch_execz .LBB73_54
; %bb.51:
	s_movk_i32 s1, 0x50
	v_add_nc_u32_e32 v26, -5, v28
	v_mad_u32 v25, v31, s1, 0xc8
	s_movk_i32 s5, 0x78
	s_mov_b32 s1, 0
.LBB73_52:                              ; =>This Inner Loop Header: Depth=1
	s_delay_alu instid0(VALU_DEP_2)
	v_dual_mov_b32 v27, s5 :: v_dual_add_nc_u32 v26, -1, v26
	s_add_co_i32 s5, s5, 8
	ds_load_b64 v[32:33], v25
	ds_load_b64 v[34:35], v27
	v_add_nc_u32_e32 v25, 8, v25
	v_cmp_eq_u32_e32 vcc_lo, 0, v26
	s_or_b32 s1, vcc_lo, s1
	s_wait_dscnt 0x0
	v_pk_mul_f32 v[36:37], v[34:35], v[32:33] op_sel:[1,1] op_sel_hi:[0,1]
	s_delay_alu instid0(VALU_DEP_1) | instskip(SKIP_1) | instid1(VALU_DEP_2)
	v_pk_fma_f32 v[38:39], v[34:35], v[32:33], v[36:37] op_sel_hi:[1,0,1]
	v_pk_fma_f32 v[32:33], v[34:35], v[32:33], v[36:37] neg_lo:[0,0,1] neg_hi:[0,0,1]
	v_mov_b32_e32 v33, v39
	s_delay_alu instid0(VALU_DEP_1)
	v_pk_add_f32 v[22:23], v[22:23], v[32:33]
	s_and_not1_b32 exec_lo, exec_lo, s1
	s_cbranch_execnz .LBB73_52
; %bb.53:
	s_or_b32 exec_lo, exec_lo, s1
.LBB73_54:
	s_delay_alu instid0(SALU_CYCLE_1) | instskip(SKIP_4) | instid1(VALU_DEP_1)
	s_or_b32 exec_lo, exec_lo, s4
	v_mov_b32_e32 v25, 0
	ds_load_b64 v[26:27], v25 offset:32
	s_wait_dscnt 0x0
	v_pk_mul_f32 v[32:33], v[22:23], v[26:27] op_sel:[1,1] op_sel_hi:[0,1]
	v_pk_fma_f32 v[34:35], v[22:23], v[26:27], v[32:33] op_sel_hi:[1,0,1]
	v_pk_fma_f32 v[22:23], v[22:23], v[26:27], v[32:33] neg_lo:[0,0,1] neg_hi:[0,0,1]
	s_delay_alu instid0(VALU_DEP_2)
	v_mov_b32_e32 v23, v35
	ds_store_b64 v29, v[22:23] offset:32
.LBB73_55:
	s_or_b32 exec_lo, exec_lo, s2
	ds_load_b64 v[22:23], v29 offset:24
	v_cmp_lt_u32_e64 s1, 3, v28
	s_wait_dscnt 0x0
	ds_store_b64 v21, v[22:23]
	s_wait_dscnt 0x0
	s_barrier_signal -1
	s_barrier_wait -1
	s_and_saveexec_b32 s2, s1
	s_cbranch_execz .LBB73_65
; %bb.56:
	s_and_not1_b32 vcc_lo, exec_lo, s3
	s_cbranch_vccnz .LBB73_58
; %bb.57:
	ds_load_b64 v[22:23], v24
	ds_load_b64 v[26:27], v21
	s_wait_dscnt 0x0
	v_pk_mul_f32 v[32:33], v[26:27], v[22:23] op_sel:[1,1] op_sel_hi:[0,1]
	s_delay_alu instid0(VALU_DEP_1) | instskip(SKIP_1) | instid1(VALU_DEP_2)
	v_pk_fma_f32 v[34:35], v[26:27], v[22:23], v[32:33] op_sel_hi:[1,0,1]
	v_pk_fma_f32 v[22:23], v[26:27], v[22:23], v[32:33] neg_lo:[0,0,1] neg_hi:[0,0,1]
	v_mov_b32_e32 v23, v35
	s_cbranch_execz .LBB73_59
	s_branch .LBB73_60
.LBB73_58:
                                        ; implicit-def: $vgpr22_vgpr23
.LBB73_59:
	ds_load_b64 v[22:23], v21
.LBB73_60:
	s_and_saveexec_b32 s4, s0
	s_cbranch_execz .LBB73_64
; %bb.61:
	s_movk_i32 s0, 0x50
	v_add_nc_u32_e32 v26, -4, v28
	v_mad_u32 v25, v31, s0, 0xc0
	s_movk_i32 s5, 0x70
	s_mov_b32 s0, 0
.LBB73_62:                              ; =>This Inner Loop Header: Depth=1
	s_delay_alu instid0(VALU_DEP_2)
	v_dual_mov_b32 v27, s5 :: v_dual_add_nc_u32 v26, -1, v26
	s_add_co_i32 s5, s5, 8
	ds_load_b64 v[32:33], v25
	ds_load_b64 v[34:35], v27
	v_add_nc_u32_e32 v25, 8, v25
	v_cmp_eq_u32_e32 vcc_lo, 0, v26
	s_or_b32 s0, vcc_lo, s0
	s_wait_dscnt 0x0
	v_pk_mul_f32 v[36:37], v[34:35], v[32:33] op_sel:[1,1] op_sel_hi:[0,1]
	s_delay_alu instid0(VALU_DEP_1) | instskip(SKIP_1) | instid1(VALU_DEP_2)
	v_pk_fma_f32 v[38:39], v[34:35], v[32:33], v[36:37] op_sel_hi:[1,0,1]
	v_pk_fma_f32 v[32:33], v[34:35], v[32:33], v[36:37] neg_lo:[0,0,1] neg_hi:[0,0,1]
	v_mov_b32_e32 v33, v39
	s_delay_alu instid0(VALU_DEP_1)
	v_pk_add_f32 v[22:23], v[22:23], v[32:33]
	s_and_not1_b32 exec_lo, exec_lo, s0
	s_cbranch_execnz .LBB73_62
; %bb.63:
	s_or_b32 exec_lo, exec_lo, s0
.LBB73_64:
	s_delay_alu instid0(SALU_CYCLE_1) | instskip(SKIP_4) | instid1(VALU_DEP_1)
	s_or_b32 exec_lo, exec_lo, s4
	v_mov_b32_e32 v25, 0
	ds_load_b64 v[26:27], v25 offset:24
	s_wait_dscnt 0x0
	v_pk_mul_f32 v[32:33], v[22:23], v[26:27] op_sel:[1,1] op_sel_hi:[0,1]
	v_pk_fma_f32 v[34:35], v[22:23], v[26:27], v[32:33] op_sel_hi:[1,0,1]
	v_pk_fma_f32 v[22:23], v[22:23], v[26:27], v[32:33] neg_lo:[0,0,1] neg_hi:[0,0,1]
	s_delay_alu instid0(VALU_DEP_2)
	v_mov_b32_e32 v23, v35
	ds_store_b64 v29, v[22:23] offset:24
.LBB73_65:
	s_or_b32 exec_lo, exec_lo, s2
	ds_load_b64 v[22:23], v29 offset:16
	v_cmp_lt_u32_e64 s2, 2, v28
	s_wait_dscnt 0x0
	ds_store_b64 v21, v[22:23]
	s_wait_dscnt 0x0
	s_barrier_signal -1
	s_barrier_wait -1
	s_and_saveexec_b32 s0, s2
	s_cbranch_execz .LBB73_75
; %bb.66:
	s_and_not1_b32 vcc_lo, exec_lo, s3
	s_cbranch_vccnz .LBB73_68
; %bb.67:
	ds_load_b64 v[22:23], v24
	ds_load_b64 v[26:27], v21
	s_wait_dscnt 0x0
	v_pk_mul_f32 v[32:33], v[26:27], v[22:23] op_sel:[1,1] op_sel_hi:[0,1]
	s_delay_alu instid0(VALU_DEP_1) | instskip(SKIP_1) | instid1(VALU_DEP_2)
	v_pk_fma_f32 v[34:35], v[26:27], v[22:23], v[32:33] op_sel_hi:[1,0,1]
	v_pk_fma_f32 v[22:23], v[26:27], v[22:23], v[32:33] neg_lo:[0,0,1] neg_hi:[0,0,1]
	v_mov_b32_e32 v23, v35
	s_cbranch_execz .LBB73_69
	s_branch .LBB73_70
.LBB73_68:
                                        ; implicit-def: $vgpr22_vgpr23
.LBB73_69:
	ds_load_b64 v[22:23], v21
.LBB73_70:
	s_and_saveexec_b32 s4, s1
	s_cbranch_execz .LBB73_74
; %bb.71:
	s_movk_i32 s1, 0x50
	v_add_nc_u32_e32 v26, -3, v28
	v_mad_u32 v25, v31, s1, 0xb8
	s_movk_i32 s5, 0x68
	s_mov_b32 s1, 0
.LBB73_72:                              ; =>This Inner Loop Header: Depth=1
	s_delay_alu instid0(VALU_DEP_2)
	v_dual_mov_b32 v27, s5 :: v_dual_add_nc_u32 v26, -1, v26
	s_add_co_i32 s5, s5, 8
	ds_load_b64 v[32:33], v25
	ds_load_b64 v[34:35], v27
	v_add_nc_u32_e32 v25, 8, v25
	v_cmp_eq_u32_e32 vcc_lo, 0, v26
	s_or_b32 s1, vcc_lo, s1
	s_wait_dscnt 0x0
	v_pk_mul_f32 v[36:37], v[34:35], v[32:33] op_sel:[1,1] op_sel_hi:[0,1]
	s_delay_alu instid0(VALU_DEP_1) | instskip(SKIP_1) | instid1(VALU_DEP_2)
	v_pk_fma_f32 v[38:39], v[34:35], v[32:33], v[36:37] op_sel_hi:[1,0,1]
	v_pk_fma_f32 v[32:33], v[34:35], v[32:33], v[36:37] neg_lo:[0,0,1] neg_hi:[0,0,1]
	v_mov_b32_e32 v33, v39
	s_delay_alu instid0(VALU_DEP_1)
	v_pk_add_f32 v[22:23], v[22:23], v[32:33]
	s_and_not1_b32 exec_lo, exec_lo, s1
	s_cbranch_execnz .LBB73_72
; %bb.73:
	s_or_b32 exec_lo, exec_lo, s1
.LBB73_74:
	s_delay_alu instid0(SALU_CYCLE_1) | instskip(SKIP_4) | instid1(VALU_DEP_1)
	s_or_b32 exec_lo, exec_lo, s4
	v_mov_b32_e32 v25, 0
	ds_load_b64 v[26:27], v25 offset:16
	s_wait_dscnt 0x0
	v_pk_mul_f32 v[32:33], v[22:23], v[26:27] op_sel:[1,1] op_sel_hi:[0,1]
	v_pk_fma_f32 v[34:35], v[22:23], v[26:27], v[32:33] op_sel_hi:[1,0,1]
	v_pk_fma_f32 v[22:23], v[22:23], v[26:27], v[32:33] neg_lo:[0,0,1] neg_hi:[0,0,1]
	s_delay_alu instid0(VALU_DEP_2)
	v_mov_b32_e32 v23, v35
	ds_store_b64 v29, v[22:23] offset:16
.LBB73_75:
	s_or_b32 exec_lo, exec_lo, s0
	ds_load_b64 v[22:23], v29 offset:8
	v_cmp_lt_u32_e64 s0, 1, v28
	s_wait_dscnt 0x0
	ds_store_b64 v21, v[22:23]
	s_wait_dscnt 0x0
	s_barrier_signal -1
	s_barrier_wait -1
	s_and_saveexec_b32 s1, s0
	s_cbranch_execz .LBB73_85
; %bb.76:
	s_and_not1_b32 vcc_lo, exec_lo, s3
	s_cbranch_vccnz .LBB73_78
; %bb.77:
	ds_load_b64 v[22:23], v24
	ds_load_b64 v[26:27], v21
	s_wait_dscnt 0x0
	v_pk_mul_f32 v[32:33], v[26:27], v[22:23] op_sel:[1,1] op_sel_hi:[0,1]
	s_delay_alu instid0(VALU_DEP_1) | instskip(SKIP_1) | instid1(VALU_DEP_2)
	v_pk_fma_f32 v[34:35], v[26:27], v[22:23], v[32:33] op_sel_hi:[1,0,1]
	v_pk_fma_f32 v[22:23], v[26:27], v[22:23], v[32:33] neg_lo:[0,0,1] neg_hi:[0,0,1]
	v_mov_b32_e32 v23, v35
	s_cbranch_execz .LBB73_79
	s_branch .LBB73_80
.LBB73_78:
                                        ; implicit-def: $vgpr22_vgpr23
.LBB73_79:
	ds_load_b64 v[22:23], v21
.LBB73_80:
	s_and_saveexec_b32 s4, s2
	s_cbranch_execz .LBB73_84
; %bb.81:
	s_movk_i32 s2, 0x50
	v_add_nc_u32_e32 v26, -2, v28
	v_mad_u32 v25, v31, s2, 0xb0
	s_movk_i32 s5, 0x60
	s_mov_b32 s2, 0
.LBB73_82:                              ; =>This Inner Loop Header: Depth=1
	s_delay_alu instid0(VALU_DEP_2)
	v_dual_mov_b32 v27, s5 :: v_dual_add_nc_u32 v26, -1, v26
	s_add_co_i32 s5, s5, 8
	ds_load_b64 v[32:33], v25
	ds_load_b64 v[34:35], v27
	v_add_nc_u32_e32 v25, 8, v25
	v_cmp_eq_u32_e32 vcc_lo, 0, v26
	s_or_b32 s2, vcc_lo, s2
	s_wait_dscnt 0x0
	v_pk_mul_f32 v[36:37], v[34:35], v[32:33] op_sel:[1,1] op_sel_hi:[0,1]
	s_delay_alu instid0(VALU_DEP_1) | instskip(SKIP_1) | instid1(VALU_DEP_2)
	v_pk_fma_f32 v[38:39], v[34:35], v[32:33], v[36:37] op_sel_hi:[1,0,1]
	v_pk_fma_f32 v[32:33], v[34:35], v[32:33], v[36:37] neg_lo:[0,0,1] neg_hi:[0,0,1]
	v_mov_b32_e32 v33, v39
	s_delay_alu instid0(VALU_DEP_1)
	v_pk_add_f32 v[22:23], v[22:23], v[32:33]
	s_and_not1_b32 exec_lo, exec_lo, s2
	s_cbranch_execnz .LBB73_82
; %bb.83:
	s_or_b32 exec_lo, exec_lo, s2
.LBB73_84:
	s_delay_alu instid0(SALU_CYCLE_1) | instskip(SKIP_4) | instid1(VALU_DEP_1)
	s_or_b32 exec_lo, exec_lo, s4
	v_mov_b32_e32 v25, 0
	ds_load_b64 v[26:27], v25 offset:8
	s_wait_dscnt 0x0
	v_pk_mul_f32 v[32:33], v[22:23], v[26:27] op_sel:[1,1] op_sel_hi:[0,1]
	v_pk_fma_f32 v[34:35], v[22:23], v[26:27], v[32:33] op_sel_hi:[1,0,1]
	v_pk_fma_f32 v[22:23], v[22:23], v[26:27], v[32:33] neg_lo:[0,0,1] neg_hi:[0,0,1]
	s_delay_alu instid0(VALU_DEP_2)
	v_mov_b32_e32 v23, v35
	ds_store_b64 v29, v[22:23] offset:8
.LBB73_85:
	s_or_b32 exec_lo, exec_lo, s1
	ds_load_b64 v[22:23], v29
	s_mov_b32 s2, 0
	s_mov_b32 s1, 0
	s_mov_b32 s4, exec_lo
                                        ; implicit-def: $vgpr32
                                        ; implicit-def: $vgpr33
	s_wait_dscnt 0x0
	ds_store_b64 v21, v[22:23]
	s_wait_dscnt 0x0
	s_barrier_signal -1
	s_barrier_wait -1
	v_cmpx_ne_u32_e32 0, v28
	s_cbranch_execz .LBB73_95
; %bb.86:
	s_and_not1_b32 vcc_lo, exec_lo, s3
	s_cbranch_vccnz .LBB73_88
; %bb.87:
	ds_load_b64 v[26:27], v24
	ds_load_b64 v[32:33], v21
	s_wait_dscnt 0x0
	v_dual_mul_f32 v22, v33, v27 :: v_dual_mul_f32 v23, v32, v27
	s_delay_alu instid0(VALU_DEP_1)
	v_dual_fma_f32 v22, v32, v26, -v22 :: v_dual_fmac_f32 v23, v33, v26
	s_and_not1_b32 vcc_lo, exec_lo, s1
	s_cbranch_vccz .LBB73_89
	s_branch .LBB73_90
.LBB73_88:
                                        ; implicit-def: $vgpr22
.LBB73_89:
	ds_load_b64 v[22:23], v21
.LBB73_90:
	s_and_saveexec_b32 s1, s0
	s_cbranch_execz .LBB73_94
; %bb.91:
	s_movk_i32 s0, 0x50
	v_add_nc_u32_e32 v26, -1, v28
	v_mad_u32 v25, v31, s0, 0xa8
	s_movk_i32 s5, 0x58
	s_mov_b32 s0, 0
.LBB73_92:                              ; =>This Inner Loop Header: Depth=1
	v_mov_b32_e32 v27, s5
	s_add_co_i32 s5, s5, 8
	ds_load_b64 v[32:33], v25
	ds_load_b64 v[34:35], v27
	v_dual_add_nc_u32 v26, -1, v26 :: v_dual_add_nc_u32 v25, 8, v25
	s_delay_alu instid0(VALU_DEP_1) | instskip(SKIP_3) | instid1(VALU_DEP_1)
	v_cmp_eq_u32_e32 vcc_lo, 0, v26
	s_or_b32 s0, vcc_lo, s0
	s_wait_dscnt 0x0
	v_dual_mul_f32 v27, v35, v33 :: v_dual_mul_f32 v31, v34, v33
	v_fma_f32 v27, v34, v32, -v27
	s_delay_alu instid0(VALU_DEP_1) | instskip(NEXT) | instid1(VALU_DEP_1)
	v_dual_fmac_f32 v31, v35, v32 :: v_dual_add_f32 v22, v22, v27
	v_add_f32_e32 v23, v23, v31
	s_and_not1_b32 exec_lo, exec_lo, s0
	s_cbranch_execnz .LBB73_92
; %bb.93:
	s_or_b32 exec_lo, exec_lo, s0
.LBB73_94:
	s_delay_alu instid0(SALU_CYCLE_1)
	s_or_b32 exec_lo, exec_lo, s1
	v_mov_b32_e32 v25, 0
	s_mov_b32 s1, exec_lo
	v_add_nc_u32_e32 v33, 4, v29
	ds_load_b64 v[26:27], v25
	s_wait_dscnt 0x0
	v_dual_mul_f32 v25, v23, v27 :: v_dual_mul_f32 v32, v22, v27
	s_delay_alu instid0(VALU_DEP_1)
	v_dual_fma_f32 v22, v22, v26, -v25 :: v_dual_fmac_f32 v32, v23, v26
	ds_store_b32 v29, v22
.LBB73_95:
	s_or_b32 exec_lo, exec_lo, s4
	s_delay_alu instid0(SALU_CYCLE_1)
	s_and_b32 vcc_lo, exec_lo, s2
	s_cbranch_vccz .LBB73_181
.LBB73_96:
	ds_load_b64 v[22:23], v29 offset:8
	v_cmp_eq_u32_e64 s0, 0, v28
	s_wait_dscnt 0x0
	ds_store_b64 v21, v[22:23]
	s_wait_dscnt 0x0
	s_barrier_signal -1
	s_barrier_wait -1
	s_and_saveexec_b32 s2, s0
	s_cbranch_execz .LBB73_102
; %bb.97:
	s_and_b32 vcc_lo, exec_lo, s3
	s_cbranch_vccz .LBB73_99
; %bb.98:
	ds_load_b64 v[22:23], v24
	ds_load_b64 v[26:27], v21
	s_wait_dscnt 0x0
	v_pk_mul_f32 v[32:33], v[26:27], v[22:23] op_sel:[1,1] op_sel_hi:[0,1]
	v_pk_mul_f32 v[34:35], v[26:27], v[22:23] op_sel_hi:[1,0]
	s_delay_alu instid0(VALU_DEP_2) | instskip(NEXT) | instid1(VALU_DEP_2)
	v_pk_fma_f32 v[22:23], v[26:27], v[22:23], v[32:33] op_sel_hi:[1,0,1]
	v_sub_f32_e32 v22, v34, v32
	s_cbranch_execz .LBB73_100
	s_branch .LBB73_101
.LBB73_99:
                                        ; implicit-def: $vgpr23
.LBB73_100:
	ds_load_b64 v[22:23], v21
.LBB73_101:
	s_wait_dscnt 0x0
	v_dual_mov_b32 v25, 0 :: v_dual_mov_b32 v32, v23
	v_mov_b32_e32 v33, v22
	ds_load_b64 v[26:27], v25 offset:8
	s_wait_dscnt 0x0
	v_pk_mul_f32 v[32:33], v[32:33], v[26:27] op_sel:[0,1]
	s_delay_alu instid0(VALU_DEP_1) | instskip(SKIP_1) | instid1(VALU_DEP_2)
	v_pk_fma_f32 v[34:35], v[22:23], v[26:27], v[32:33] op_sel_hi:[1,0,1]
	v_pk_fma_f32 v[22:23], v[22:23], v[26:27], v[32:33] neg_lo:[0,0,1] neg_hi:[0,0,1]
	v_mov_b32_e32 v23, v35
	ds_store_b64 v29, v[22:23] offset:8
.LBB73_102:
	s_or_b32 exec_lo, exec_lo, s2
	ds_load_b64 v[22:23], v29 offset:16
	v_cndmask_b32_e64 v25, 0, 1, s3
	s_mov_b32 s2, exec_lo
	s_wait_dscnt 0x0
	ds_store_b64 v21, v[22:23]
	s_wait_dscnt 0x0
	s_barrier_signal -1
	s_barrier_wait -1
	v_cmpx_gt_u32_e32 2, v28
	s_cbranch_execz .LBB73_110
; %bb.103:
	s_and_not1_b32 vcc_lo, exec_lo, s3
	s_cbranch_vccnz .LBB73_105
; %bb.104:
	ds_load_b64 v[22:23], v24
	ds_load_b64 v[26:27], v21
	s_wait_dscnt 0x0
	v_pk_mul_f32 v[32:33], v[26:27], v[22:23] op_sel:[1,1] op_sel_hi:[0,1]
	s_delay_alu instid0(VALU_DEP_1) | instskip(SKIP_1) | instid1(VALU_DEP_2)
	v_pk_fma_f32 v[34:35], v[26:27], v[22:23], v[32:33] op_sel_hi:[1,0,1]
	v_pk_fma_f32 v[22:23], v[26:27], v[22:23], v[32:33] neg_lo:[0,0,1] neg_hi:[0,0,1]
	v_mov_b32_e32 v23, v35
	s_cbranch_execz .LBB73_106
	s_branch .LBB73_107
.LBB73_105:
                                        ; implicit-def: $vgpr22_vgpr23
.LBB73_106:
	ds_load_b64 v[22:23], v21
.LBB73_107:
	s_and_saveexec_b32 s3, s0
	s_cbranch_execz .LBB73_109
; %bb.108:
	v_mov_b32_e32 v31, 0
	ds_load_b64 v[26:27], v29 offset:8
	ds_load_b64 v[32:33], v31 offset:88
	s_wait_dscnt 0x0
	v_pk_mul_f32 v[34:35], v[32:33], v[26:27] op_sel:[1,1] op_sel_hi:[0,1]
	s_delay_alu instid0(VALU_DEP_1) | instskip(SKIP_1) | instid1(VALU_DEP_2)
	v_pk_fma_f32 v[36:37], v[32:33], v[26:27], v[34:35] op_sel_hi:[1,0,1]
	v_pk_fma_f32 v[26:27], v[32:33], v[26:27], v[34:35] neg_lo:[0,0,1] neg_hi:[0,0,1]
	v_mov_b32_e32 v27, v37
	s_delay_alu instid0(VALU_DEP_1)
	v_pk_add_f32 v[22:23], v[22:23], v[26:27]
.LBB73_109:
	s_or_b32 exec_lo, exec_lo, s3
	v_mov_b32_e32 v26, 0
	ds_load_b64 v[26:27], v26 offset:16
	s_wait_dscnt 0x0
	v_pk_mul_f32 v[32:33], v[22:23], v[26:27] op_sel:[1,1] op_sel_hi:[0,1]
	s_delay_alu instid0(VALU_DEP_1) | instskip(SKIP_1) | instid1(VALU_DEP_2)
	v_pk_fma_f32 v[34:35], v[22:23], v[26:27], v[32:33] op_sel_hi:[1,0,1]
	v_pk_fma_f32 v[22:23], v[22:23], v[26:27], v[32:33] neg_lo:[0,0,1] neg_hi:[0,0,1]
	v_mov_b32_e32 v23, v35
	ds_store_b64 v29, v[22:23] offset:16
.LBB73_110:
	s_or_b32 exec_lo, exec_lo, s2
	ds_load_b64 v[22:23], v29 offset:24
	s_mov_b32 s2, exec_lo
	s_wait_dscnt 0x0
	ds_store_b64 v21, v[22:23]
	s_wait_dscnt 0x0
	s_barrier_signal -1
	s_barrier_wait -1
	v_cmpx_gt_u32_e32 3, v28
	s_cbranch_execz .LBB73_120
; %bb.111:
	v_cmp_ne_u32_e32 vcc_lo, 1, v25
	s_cbranch_vccnz .LBB73_113
; %bb.112:
	ds_load_b64 v[22:23], v24
	ds_load_b64 v[26:27], v21
	s_wait_dscnt 0x0
	v_pk_mul_f32 v[32:33], v[26:27], v[22:23] op_sel:[1,1] op_sel_hi:[0,1]
	s_delay_alu instid0(VALU_DEP_1) | instskip(SKIP_1) | instid1(VALU_DEP_2)
	v_pk_fma_f32 v[34:35], v[26:27], v[22:23], v[32:33] op_sel_hi:[1,0,1]
	v_pk_fma_f32 v[22:23], v[26:27], v[22:23], v[32:33] neg_lo:[0,0,1] neg_hi:[0,0,1]
	v_mov_b32_e32 v23, v35
	s_cbranch_execz .LBB73_114
	s_branch .LBB73_115
.LBB73_113:
                                        ; implicit-def: $vgpr22_vgpr23
.LBB73_114:
	ds_load_b64 v[22:23], v21
.LBB73_115:
	s_mov_b32 s3, exec_lo
	v_cmpx_ne_u32_e32 2, v28
	s_cbranch_execz .LBB73_119
; %bb.116:
	ds_load_b64 v[26:27], v24 offset:8
	ds_load_b64 v[32:33], v21 offset:8
	s_wait_dscnt 0x0
	v_pk_mul_f32 v[34:35], v[32:33], v[26:27] op_sel:[1,1] op_sel_hi:[0,1]
	s_delay_alu instid0(VALU_DEP_1) | instskip(SKIP_1) | instid1(VALU_DEP_2)
	v_pk_fma_f32 v[36:37], v[32:33], v[26:27], v[34:35] op_sel_hi:[1,0,1]
	v_pk_fma_f32 v[26:27], v[32:33], v[26:27], v[34:35] neg_lo:[0,0,1] neg_hi:[0,0,1]
	v_mov_b32_e32 v27, v37
	s_delay_alu instid0(VALU_DEP_1)
	v_pk_add_f32 v[22:23], v[22:23], v[26:27]
	s_and_saveexec_b32 s4, s0
	s_cbranch_execz .LBB73_118
; %bb.117:
	v_mov_b32_e32 v26, 0
	ds_load_b64 v[26:27], v26 offset:96
	ds_load_b64 v[32:33], v29 offset:16
	s_wait_dscnt 0x0
	v_pk_mul_f32 v[34:35], v[26:27], v[32:33] op_sel:[1,1] op_sel_hi:[0,1]
	s_delay_alu instid0(VALU_DEP_1) | instskip(SKIP_1) | instid1(VALU_DEP_2)
	v_pk_fma_f32 v[36:37], v[26:27], v[32:33], v[34:35] op_sel_hi:[1,0,1]
	v_pk_fma_f32 v[26:27], v[26:27], v[32:33], v[34:35] neg_lo:[0,0,1] neg_hi:[0,0,1]
	v_mov_b32_e32 v27, v37
	s_delay_alu instid0(VALU_DEP_1)
	v_pk_add_f32 v[22:23], v[22:23], v[26:27]
.LBB73_118:
	s_or_b32 exec_lo, exec_lo, s4
.LBB73_119:
	s_delay_alu instid0(SALU_CYCLE_1) | instskip(SKIP_4) | instid1(VALU_DEP_1)
	s_or_b32 exec_lo, exec_lo, s3
	v_mov_b32_e32 v26, 0
	ds_load_b64 v[26:27], v26 offset:24
	s_wait_dscnt 0x0
	v_pk_mul_f32 v[32:33], v[22:23], v[26:27] op_sel:[1,1] op_sel_hi:[0,1]
	v_pk_fma_f32 v[34:35], v[22:23], v[26:27], v[32:33] op_sel_hi:[1,0,1]
	v_pk_fma_f32 v[22:23], v[22:23], v[26:27], v[32:33] neg_lo:[0,0,1] neg_hi:[0,0,1]
	s_delay_alu instid0(VALU_DEP_2)
	v_mov_b32_e32 v23, v35
	ds_store_b64 v29, v[22:23] offset:24
.LBB73_120:
	s_or_b32 exec_lo, exec_lo, s2
	ds_load_b64 v[22:23], v29 offset:32
	s_mov_b32 s0, exec_lo
	s_wait_dscnt 0x0
	ds_store_b64 v21, v[22:23]
	s_wait_dscnt 0x0
	s_barrier_signal -1
	s_barrier_wait -1
	v_cmpx_gt_u32_e32 4, v28
	s_cbranch_execz .LBB73_130
; %bb.121:
	v_cmp_ne_u32_e32 vcc_lo, 1, v25
	s_cbranch_vccnz .LBB73_123
; %bb.122:
	ds_load_b64 v[22:23], v24
	ds_load_b64 v[26:27], v21
	s_wait_dscnt 0x0
	v_pk_mul_f32 v[32:33], v[26:27], v[22:23] op_sel:[1,1] op_sel_hi:[0,1]
	s_delay_alu instid0(VALU_DEP_1) | instskip(SKIP_1) | instid1(VALU_DEP_2)
	v_pk_fma_f32 v[34:35], v[26:27], v[22:23], v[32:33] op_sel_hi:[1,0,1]
	v_pk_fma_f32 v[22:23], v[26:27], v[22:23], v[32:33] neg_lo:[0,0,1] neg_hi:[0,0,1]
	v_mov_b32_e32 v23, v35
	s_cbranch_execz .LBB73_124
	s_branch .LBB73_125
.LBB73_123:
                                        ; implicit-def: $vgpr22_vgpr23
.LBB73_124:
	ds_load_b64 v[22:23], v21
.LBB73_125:
	s_mov_b32 s2, exec_lo
	v_cmpx_ne_u32_e32 3, v28
	s_cbranch_execz .LBB73_129
; %bb.126:
	v_dual_mov_b32 v31, v28 :: v_dual_add_nc_u32 v26, 0x58, v20
	v_add3_u32 v27, v30, v20, 0xa8
	s_mov_b32 s3, 0
.LBB73_127:                             ; =>This Inner Loop Header: Depth=1
	ds_load_b64 v[32:33], v27
	ds_load_b64 v[34:35], v26
	v_dual_add_nc_u32 v26, 8, v26 :: v_dual_add_nc_u32 v27, 8, v27
	s_wait_dscnt 0x0
	v_pk_mul_f32 v[36:37], v[34:35], v[32:33] op_sel:[1,1] op_sel_hi:[0,1]
	s_delay_alu instid0(VALU_DEP_1) | instskip(SKIP_2) | instid1(VALU_DEP_3)
	v_pk_fma_f32 v[38:39], v[34:35], v[32:33], v[36:37] op_sel_hi:[1,0,1]
	v_add_nc_u32_e32 v31, 1, v31
	v_pk_fma_f32 v[32:33], v[34:35], v[32:33], v[36:37] neg_lo:[0,0,1] neg_hi:[0,0,1]
	v_mov_b32_e32 v33, v39
	s_delay_alu instid0(VALU_DEP_3) | instskip(NEXT) | instid1(VALU_DEP_2)
	v_cmp_lt_u32_e32 vcc_lo, 2, v31
	v_pk_add_f32 v[22:23], v[22:23], v[32:33]
	s_or_b32 s3, vcc_lo, s3
	s_delay_alu instid0(SALU_CYCLE_1)
	s_and_not1_b32 exec_lo, exec_lo, s3
	s_cbranch_execnz .LBB73_127
; %bb.128:
	s_or_b32 exec_lo, exec_lo, s3
.LBB73_129:
	s_delay_alu instid0(SALU_CYCLE_1) | instskip(SKIP_4) | instid1(VALU_DEP_1)
	s_or_b32 exec_lo, exec_lo, s2
	v_mov_b32_e32 v26, 0
	ds_load_b64 v[26:27], v26 offset:32
	s_wait_dscnt 0x0
	v_pk_mul_f32 v[32:33], v[22:23], v[26:27] op_sel:[1,1] op_sel_hi:[0,1]
	v_pk_fma_f32 v[34:35], v[22:23], v[26:27], v[32:33] op_sel_hi:[1,0,1]
	v_pk_fma_f32 v[22:23], v[22:23], v[26:27], v[32:33] neg_lo:[0,0,1] neg_hi:[0,0,1]
	s_delay_alu instid0(VALU_DEP_2)
	v_mov_b32_e32 v23, v35
	ds_store_b64 v29, v[22:23] offset:32
.LBB73_130:
	s_or_b32 exec_lo, exec_lo, s0
	ds_load_b64 v[22:23], v29 offset:40
	s_mov_b32 s0, exec_lo
	s_wait_dscnt 0x0
	ds_store_b64 v21, v[22:23]
	s_wait_dscnt 0x0
	s_barrier_signal -1
	s_barrier_wait -1
	v_cmpx_gt_u32_e32 5, v28
	s_cbranch_execz .LBB73_140
; %bb.131:
	v_cmp_ne_u32_e32 vcc_lo, 1, v25
	s_cbranch_vccnz .LBB73_133
; %bb.132:
	ds_load_b64 v[22:23], v24
	ds_load_b64 v[26:27], v21
	s_wait_dscnt 0x0
	v_pk_mul_f32 v[32:33], v[26:27], v[22:23] op_sel:[1,1] op_sel_hi:[0,1]
	s_delay_alu instid0(VALU_DEP_1) | instskip(SKIP_1) | instid1(VALU_DEP_2)
	v_pk_fma_f32 v[34:35], v[26:27], v[22:23], v[32:33] op_sel_hi:[1,0,1]
	v_pk_fma_f32 v[22:23], v[26:27], v[22:23], v[32:33] neg_lo:[0,0,1] neg_hi:[0,0,1]
	v_mov_b32_e32 v23, v35
	s_cbranch_execz .LBB73_134
	s_branch .LBB73_135
.LBB73_133:
                                        ; implicit-def: $vgpr22_vgpr23
.LBB73_134:
	ds_load_b64 v[22:23], v21
.LBB73_135:
	s_mov_b32 s2, exec_lo
	v_cmpx_ne_u32_e32 4, v28
	s_cbranch_execz .LBB73_139
; %bb.136:
	v_dual_mov_b32 v31, v28 :: v_dual_add_nc_u32 v26, 0x58, v20
	v_add3_u32 v27, v30, v20, 0xa8
	s_mov_b32 s3, 0
.LBB73_137:                             ; =>This Inner Loop Header: Depth=1
	ds_load_b64 v[32:33], v27
	ds_load_b64 v[34:35], v26
	v_dual_add_nc_u32 v26, 8, v26 :: v_dual_add_nc_u32 v27, 8, v27
	s_wait_dscnt 0x0
	v_pk_mul_f32 v[36:37], v[34:35], v[32:33] op_sel:[1,1] op_sel_hi:[0,1]
	s_delay_alu instid0(VALU_DEP_1) | instskip(SKIP_2) | instid1(VALU_DEP_3)
	v_pk_fma_f32 v[38:39], v[34:35], v[32:33], v[36:37] op_sel_hi:[1,0,1]
	v_add_nc_u32_e32 v31, 1, v31
	v_pk_fma_f32 v[32:33], v[34:35], v[32:33], v[36:37] neg_lo:[0,0,1] neg_hi:[0,0,1]
	v_mov_b32_e32 v33, v39
	s_delay_alu instid0(VALU_DEP_3) | instskip(NEXT) | instid1(VALU_DEP_2)
	v_cmp_lt_u32_e32 vcc_lo, 3, v31
	v_pk_add_f32 v[22:23], v[22:23], v[32:33]
	s_or_b32 s3, vcc_lo, s3
	s_delay_alu instid0(SALU_CYCLE_1)
	s_and_not1_b32 exec_lo, exec_lo, s3
	s_cbranch_execnz .LBB73_137
; %bb.138:
	s_or_b32 exec_lo, exec_lo, s3
.LBB73_139:
	s_delay_alu instid0(SALU_CYCLE_1) | instskip(SKIP_4) | instid1(VALU_DEP_1)
	s_or_b32 exec_lo, exec_lo, s2
	v_mov_b32_e32 v26, 0
	ds_load_b64 v[26:27], v26 offset:40
	s_wait_dscnt 0x0
	v_pk_mul_f32 v[32:33], v[22:23], v[26:27] op_sel:[1,1] op_sel_hi:[0,1]
	v_pk_fma_f32 v[34:35], v[22:23], v[26:27], v[32:33] op_sel_hi:[1,0,1]
	v_pk_fma_f32 v[22:23], v[22:23], v[26:27], v[32:33] neg_lo:[0,0,1] neg_hi:[0,0,1]
	s_delay_alu instid0(VALU_DEP_2)
	v_mov_b32_e32 v23, v35
	ds_store_b64 v29, v[22:23] offset:40
.LBB73_140:
	s_or_b32 exec_lo, exec_lo, s0
	ds_load_b64 v[22:23], v29 offset:48
	s_mov_b32 s0, exec_lo
	s_wait_dscnt 0x0
	ds_store_b64 v21, v[22:23]
	s_wait_dscnt 0x0
	s_barrier_signal -1
	s_barrier_wait -1
	v_cmpx_gt_u32_e32 6, v28
	s_cbranch_execz .LBB73_150
; %bb.141:
	v_cmp_ne_u32_e32 vcc_lo, 1, v25
	s_cbranch_vccnz .LBB73_143
; %bb.142:
	ds_load_b64 v[22:23], v24
	ds_load_b64 v[26:27], v21
	s_wait_dscnt 0x0
	v_pk_mul_f32 v[32:33], v[26:27], v[22:23] op_sel:[1,1] op_sel_hi:[0,1]
	s_delay_alu instid0(VALU_DEP_1) | instskip(SKIP_1) | instid1(VALU_DEP_2)
	v_pk_fma_f32 v[34:35], v[26:27], v[22:23], v[32:33] op_sel_hi:[1,0,1]
	v_pk_fma_f32 v[22:23], v[26:27], v[22:23], v[32:33] neg_lo:[0,0,1] neg_hi:[0,0,1]
	v_mov_b32_e32 v23, v35
	s_cbranch_execz .LBB73_144
	s_branch .LBB73_145
.LBB73_143:
                                        ; implicit-def: $vgpr22_vgpr23
.LBB73_144:
	ds_load_b64 v[22:23], v21
.LBB73_145:
	s_mov_b32 s2, exec_lo
	v_cmpx_ne_u32_e32 5, v28
	s_cbranch_execz .LBB73_149
; %bb.146:
	v_dual_mov_b32 v31, v28 :: v_dual_add_nc_u32 v26, 0x58, v20
	v_add3_u32 v27, v30, v20, 0xa8
	s_mov_b32 s3, 0
.LBB73_147:                             ; =>This Inner Loop Header: Depth=1
	ds_load_b64 v[32:33], v27
	ds_load_b64 v[34:35], v26
	v_dual_add_nc_u32 v26, 8, v26 :: v_dual_add_nc_u32 v27, 8, v27
	s_wait_dscnt 0x0
	v_pk_mul_f32 v[36:37], v[34:35], v[32:33] op_sel:[1,1] op_sel_hi:[0,1]
	s_delay_alu instid0(VALU_DEP_1) | instskip(SKIP_2) | instid1(VALU_DEP_3)
	v_pk_fma_f32 v[38:39], v[34:35], v[32:33], v[36:37] op_sel_hi:[1,0,1]
	v_add_nc_u32_e32 v31, 1, v31
	v_pk_fma_f32 v[32:33], v[34:35], v[32:33], v[36:37] neg_lo:[0,0,1] neg_hi:[0,0,1]
	v_mov_b32_e32 v33, v39
	s_delay_alu instid0(VALU_DEP_3) | instskip(NEXT) | instid1(VALU_DEP_2)
	v_cmp_lt_u32_e32 vcc_lo, 4, v31
	v_pk_add_f32 v[22:23], v[22:23], v[32:33]
	s_or_b32 s3, vcc_lo, s3
	s_delay_alu instid0(SALU_CYCLE_1)
	s_and_not1_b32 exec_lo, exec_lo, s3
	s_cbranch_execnz .LBB73_147
; %bb.148:
	s_or_b32 exec_lo, exec_lo, s3
.LBB73_149:
	s_delay_alu instid0(SALU_CYCLE_1) | instskip(SKIP_4) | instid1(VALU_DEP_1)
	s_or_b32 exec_lo, exec_lo, s2
	v_mov_b32_e32 v26, 0
	ds_load_b64 v[26:27], v26 offset:48
	s_wait_dscnt 0x0
	v_pk_mul_f32 v[32:33], v[22:23], v[26:27] op_sel:[1,1] op_sel_hi:[0,1]
	v_pk_fma_f32 v[34:35], v[22:23], v[26:27], v[32:33] op_sel_hi:[1,0,1]
	v_pk_fma_f32 v[22:23], v[22:23], v[26:27], v[32:33] neg_lo:[0,0,1] neg_hi:[0,0,1]
	s_delay_alu instid0(VALU_DEP_2)
	v_mov_b32_e32 v23, v35
	ds_store_b64 v29, v[22:23] offset:48
.LBB73_150:
	s_or_b32 exec_lo, exec_lo, s0
	ds_load_b64 v[22:23], v29 offset:56
	s_mov_b32 s0, exec_lo
	s_wait_dscnt 0x0
	ds_store_b64 v21, v[22:23]
	s_wait_dscnt 0x0
	s_barrier_signal -1
	s_barrier_wait -1
	v_cmpx_gt_u32_e32 7, v28
	s_cbranch_execz .LBB73_160
; %bb.151:
	v_cmp_ne_u32_e32 vcc_lo, 1, v25
	s_cbranch_vccnz .LBB73_153
; %bb.152:
	ds_load_b64 v[22:23], v24
	ds_load_b64 v[26:27], v21
	s_wait_dscnt 0x0
	v_pk_mul_f32 v[32:33], v[26:27], v[22:23] op_sel:[1,1] op_sel_hi:[0,1]
	s_delay_alu instid0(VALU_DEP_1) | instskip(SKIP_1) | instid1(VALU_DEP_2)
	v_pk_fma_f32 v[34:35], v[26:27], v[22:23], v[32:33] op_sel_hi:[1,0,1]
	v_pk_fma_f32 v[22:23], v[26:27], v[22:23], v[32:33] neg_lo:[0,0,1] neg_hi:[0,0,1]
	v_mov_b32_e32 v23, v35
	s_cbranch_execz .LBB73_154
	s_branch .LBB73_155
.LBB73_153:
                                        ; implicit-def: $vgpr22_vgpr23
.LBB73_154:
	ds_load_b64 v[22:23], v21
.LBB73_155:
	s_mov_b32 s2, exec_lo
	v_cmpx_ne_u32_e32 6, v28
	s_cbranch_execz .LBB73_159
; %bb.156:
	v_dual_mov_b32 v31, v28 :: v_dual_add_nc_u32 v26, 0x58, v20
	v_add3_u32 v27, v30, v20, 0xa8
	s_mov_b32 s3, 0
.LBB73_157:                             ; =>This Inner Loop Header: Depth=1
	ds_load_b64 v[32:33], v27
	ds_load_b64 v[34:35], v26
	v_dual_add_nc_u32 v26, 8, v26 :: v_dual_add_nc_u32 v27, 8, v27
	s_wait_dscnt 0x0
	v_pk_mul_f32 v[36:37], v[34:35], v[32:33] op_sel:[1,1] op_sel_hi:[0,1]
	s_delay_alu instid0(VALU_DEP_1) | instskip(SKIP_2) | instid1(VALU_DEP_3)
	v_pk_fma_f32 v[38:39], v[34:35], v[32:33], v[36:37] op_sel_hi:[1,0,1]
	v_add_nc_u32_e32 v31, 1, v31
	v_pk_fma_f32 v[32:33], v[34:35], v[32:33], v[36:37] neg_lo:[0,0,1] neg_hi:[0,0,1]
	v_mov_b32_e32 v33, v39
	s_delay_alu instid0(VALU_DEP_3) | instskip(NEXT) | instid1(VALU_DEP_2)
	v_cmp_lt_u32_e32 vcc_lo, 5, v31
	v_pk_add_f32 v[22:23], v[22:23], v[32:33]
	s_or_b32 s3, vcc_lo, s3
	s_delay_alu instid0(SALU_CYCLE_1)
	s_and_not1_b32 exec_lo, exec_lo, s3
	s_cbranch_execnz .LBB73_157
; %bb.158:
	s_or_b32 exec_lo, exec_lo, s3
.LBB73_159:
	s_delay_alu instid0(SALU_CYCLE_1) | instskip(SKIP_4) | instid1(VALU_DEP_1)
	s_or_b32 exec_lo, exec_lo, s2
	v_mov_b32_e32 v26, 0
	ds_load_b64 v[26:27], v26 offset:56
	s_wait_dscnt 0x0
	v_pk_mul_f32 v[32:33], v[22:23], v[26:27] op_sel:[1,1] op_sel_hi:[0,1]
	v_pk_fma_f32 v[34:35], v[22:23], v[26:27], v[32:33] op_sel_hi:[1,0,1]
	v_pk_fma_f32 v[22:23], v[22:23], v[26:27], v[32:33] neg_lo:[0,0,1] neg_hi:[0,0,1]
	s_delay_alu instid0(VALU_DEP_2)
	v_mov_b32_e32 v23, v35
	ds_store_b64 v29, v[22:23] offset:56
.LBB73_160:
	s_or_b32 exec_lo, exec_lo, s0
	ds_load_b64 v[22:23], v29 offset:64
	v_cmp_gt_u32_e64 s0, 8, v28
	s_wait_dscnt 0x0
	ds_store_b64 v21, v[22:23]
	s_wait_dscnt 0x0
	s_barrier_signal -1
	s_barrier_wait -1
	s_and_saveexec_b32 s2, s0
	s_cbranch_execz .LBB73_170
; %bb.161:
	v_cmp_ne_u32_e32 vcc_lo, 1, v25
	s_cbranch_vccnz .LBB73_163
; %bb.162:
	ds_load_b64 v[22:23], v24
	ds_load_b64 v[26:27], v21
	s_wait_dscnt 0x0
	v_pk_mul_f32 v[32:33], v[26:27], v[22:23] op_sel:[1,1] op_sel_hi:[0,1]
	s_delay_alu instid0(VALU_DEP_1) | instskip(SKIP_1) | instid1(VALU_DEP_2)
	v_pk_fma_f32 v[34:35], v[26:27], v[22:23], v[32:33] op_sel_hi:[1,0,1]
	v_pk_fma_f32 v[22:23], v[26:27], v[22:23], v[32:33] neg_lo:[0,0,1] neg_hi:[0,0,1]
	v_mov_b32_e32 v23, v35
	s_cbranch_execz .LBB73_164
	s_branch .LBB73_165
.LBB73_163:
                                        ; implicit-def: $vgpr22_vgpr23
.LBB73_164:
	ds_load_b64 v[22:23], v21
.LBB73_165:
	s_mov_b32 s3, exec_lo
	v_cmpx_ne_u32_e32 7, v28
	s_cbranch_execz .LBB73_169
; %bb.166:
	v_dual_mov_b32 v31, v28 :: v_dual_add_nc_u32 v26, 0x58, v20
	v_add3_u32 v27, v30, v20, 0xa8
	s_mov_b32 s4, 0
.LBB73_167:                             ; =>This Inner Loop Header: Depth=1
	ds_load_b64 v[32:33], v27
	ds_load_b64 v[34:35], v26
	v_dual_add_nc_u32 v26, 8, v26 :: v_dual_add_nc_u32 v27, 8, v27
	s_wait_dscnt 0x0
	v_pk_mul_f32 v[36:37], v[34:35], v[32:33] op_sel:[1,1] op_sel_hi:[0,1]
	s_delay_alu instid0(VALU_DEP_1) | instskip(SKIP_2) | instid1(VALU_DEP_3)
	v_pk_fma_f32 v[38:39], v[34:35], v[32:33], v[36:37] op_sel_hi:[1,0,1]
	v_add_nc_u32_e32 v31, 1, v31
	v_pk_fma_f32 v[32:33], v[34:35], v[32:33], v[36:37] neg_lo:[0,0,1] neg_hi:[0,0,1]
	v_mov_b32_e32 v33, v39
	s_delay_alu instid0(VALU_DEP_3) | instskip(NEXT) | instid1(VALU_DEP_2)
	v_cmp_lt_u32_e32 vcc_lo, 6, v31
	v_pk_add_f32 v[22:23], v[22:23], v[32:33]
	s_or_b32 s4, vcc_lo, s4
	s_delay_alu instid0(SALU_CYCLE_1)
	s_and_not1_b32 exec_lo, exec_lo, s4
	s_cbranch_execnz .LBB73_167
; %bb.168:
	s_or_b32 exec_lo, exec_lo, s4
.LBB73_169:
	s_delay_alu instid0(SALU_CYCLE_1) | instskip(SKIP_4) | instid1(VALU_DEP_1)
	s_or_b32 exec_lo, exec_lo, s3
	v_mov_b32_e32 v26, 0
	ds_load_b64 v[26:27], v26 offset:64
	s_wait_dscnt 0x0
	v_pk_mul_f32 v[32:33], v[22:23], v[26:27] op_sel:[1,1] op_sel_hi:[0,1]
	v_pk_fma_f32 v[34:35], v[22:23], v[26:27], v[32:33] op_sel_hi:[1,0,1]
	v_pk_fma_f32 v[22:23], v[22:23], v[26:27], v[32:33] neg_lo:[0,0,1] neg_hi:[0,0,1]
	s_delay_alu instid0(VALU_DEP_2)
	v_mov_b32_e32 v23, v35
	ds_store_b64 v29, v[22:23] offset:64
.LBB73_170:
	s_or_b32 exec_lo, exec_lo, s2
	ds_load_b64 v[22:23], v29 offset:72
	s_mov_b32 s2, exec_lo
                                        ; implicit-def: $vgpr32
                                        ; implicit-def: $vgpr33
	s_wait_dscnt 0x0
	ds_store_b64 v21, v[22:23]
	s_wait_dscnt 0x0
	s_barrier_signal -1
	s_barrier_wait -1
	v_cmpx_ne_u32_e32 9, v28
	s_cbranch_execz .LBB73_180
; %bb.171:
	v_cmp_ne_u32_e32 vcc_lo, 1, v25
	s_cbranch_vccnz .LBB73_173
; %bb.172:
	ds_load_b64 v[24:25], v24
	ds_load_b64 v[26:27], v21
	s_wait_dscnt 0x0
	v_dual_mul_f32 v22, v27, v25 :: v_dual_mul_f32 v23, v26, v25
	s_delay_alu instid0(VALU_DEP_1)
	v_dual_fma_f32 v22, v26, v24, -v22 :: v_dual_fmac_f32 v23, v27, v24
	s_cbranch_execz .LBB73_174
	s_branch .LBB73_175
.LBB73_173:
                                        ; implicit-def: $vgpr23
.LBB73_174:
	ds_load_b64 v[22:23], v21
.LBB73_175:
	s_and_saveexec_b32 s3, s0
	s_cbranch_execz .LBB73_179
; %bb.176:
	v_add_nc_u32_e32 v21, 0x58, v20
	v_add3_u32 v20, v30, v20, 0xa8
	s_mov_b32 s0, 0
.LBB73_177:                             ; =>This Inner Loop Header: Depth=1
	ds_load_b64 v[24:25], v20
	ds_load_b64 v[26:27], v21
	v_dual_add_nc_u32 v28, 1, v28 :: v_dual_add_nc_u32 v21, 8, v21
	s_delay_alu instid0(VALU_DEP_1) | instskip(SKIP_3) | instid1(VALU_DEP_1)
	v_cmp_lt_u32_e32 vcc_lo, 7, v28
	s_or_b32 s0, vcc_lo, s0
	s_wait_dscnt 0x0
	v_dual_mul_f32 v30, v27, v25 :: v_dual_mul_f32 v25, v26, v25
	v_dual_fma_f32 v26, v26, v24, -v30 :: v_dual_fmac_f32 v25, v27, v24
	s_delay_alu instid0(VALU_DEP_1) | instskip(NEXT) | instid1(VALU_DEP_2)
	v_dual_add_nc_u32 v20, 8, v20 :: v_dual_add_f32 v22, v22, v26
	v_add_f32_e32 v23, v23, v25
	s_and_not1_b32 exec_lo, exec_lo, s0
	s_cbranch_execnz .LBB73_177
; %bb.178:
	s_or_b32 exec_lo, exec_lo, s0
.LBB73_179:
	s_delay_alu instid0(SALU_CYCLE_1)
	s_or_b32 exec_lo, exec_lo, s3
	v_mov_b32_e32 v20, 0
	s_or_b32 s1, s1, exec_lo
	ds_load_b64 v[20:21], v20 offset:72
	s_wait_dscnt 0x0
	v_dual_mul_f32 v24, v23, v21 :: v_dual_mul_f32 v32, v22, v21
	s_delay_alu instid0(VALU_DEP_1) | instskip(NEXT) | instid1(VALU_DEP_2)
	v_fma_f32 v21, v22, v20, -v24
	v_dual_fmac_f32 v32, v23, v20 :: v_dual_add_nc_u32 v33, 0x4c, v29
	ds_store_b32 v29, v21 offset:72
.LBB73_180:
	s_or_b32 exec_lo, exec_lo, s2
.LBB73_181:
	v_lshl_add_u64 v[26:27], v[4:5], 3, s[6:7]
	v_lshl_add_u64 v[24:25], v[6:7], 3, s[6:7]
	;; [unrolled: 1-line block ×8, first 2 shown]
	s_and_saveexec_b32 s0, s1
; %bb.182:
	ds_store_b32 v33, v32
; %bb.183:
	s_or_b32 exec_lo, exec_lo, s0
	ds_load_b64 v[12:13], v29
	s_wait_dscnt 0x0
	flat_store_b64 v[0:1], v[12:13]
	s_wait_xcnt 0x0
	ds_load_b64 v[0:1], v29 offset:8
	s_wait_dscnt 0x0
	flat_store_b64 v[2:3], v[0:1]
	s_wait_xcnt 0x0
	ds_load_b64 v[0:1], v29 offset:16
	;; [unrolled: 4-line block ×9, first 2 shown]
	s_wait_dscnt 0x0
	flat_store_b64 v[4:5], v[0:1]
.LBB73_184:
	s_endpgm
	.section	.rodata,"a",@progbits
	.p2align	6, 0x0
	.amdhsa_kernel _ZN9rocsolver6v33100L18trti2_kernel_smallILi10E19rocblas_complex_numIfEPKPS3_EEv13rocblas_fill_17rocblas_diagonal_T1_iil
		.amdhsa_group_segment_fixed_size 5280
		.amdhsa_private_segment_fixed_size 0
		.amdhsa_kernarg_size 32
		.amdhsa_user_sgpr_count 4
		.amdhsa_user_sgpr_dispatch_ptr 1
		.amdhsa_user_sgpr_queue_ptr 0
		.amdhsa_user_sgpr_kernarg_segment_ptr 1
		.amdhsa_user_sgpr_dispatch_id 0
		.amdhsa_user_sgpr_kernarg_preload_length 0
		.amdhsa_user_sgpr_kernarg_preload_offset 0
		.amdhsa_user_sgpr_private_segment_size 0
		.amdhsa_wavefront_size32 1
		.amdhsa_uses_dynamic_stack 0
		.amdhsa_enable_private_segment 0
		.amdhsa_system_sgpr_workgroup_id_x 1
		.amdhsa_system_sgpr_workgroup_id_y 0
		.amdhsa_system_sgpr_workgroup_id_z 0
		.amdhsa_system_sgpr_workgroup_info 0
		.amdhsa_system_vgpr_workitem_id 2
		.amdhsa_next_free_vgpr 40
		.amdhsa_next_free_sgpr 12
		.amdhsa_named_barrier_count 0
		.amdhsa_reserve_vcc 1
		.amdhsa_float_round_mode_32 0
		.amdhsa_float_round_mode_16_64 0
		.amdhsa_float_denorm_mode_32 3
		.amdhsa_float_denorm_mode_16_64 3
		.amdhsa_fp16_overflow 0
		.amdhsa_memory_ordered 1
		.amdhsa_forward_progress 1
		.amdhsa_inst_pref_size 56
		.amdhsa_round_robin_scheduling 0
		.amdhsa_exception_fp_ieee_invalid_op 0
		.amdhsa_exception_fp_denorm_src 0
		.amdhsa_exception_fp_ieee_div_zero 0
		.amdhsa_exception_fp_ieee_overflow 0
		.amdhsa_exception_fp_ieee_underflow 0
		.amdhsa_exception_fp_ieee_inexact 0
		.amdhsa_exception_int_div_zero 0
	.end_amdhsa_kernel
	.section	.text._ZN9rocsolver6v33100L18trti2_kernel_smallILi10E19rocblas_complex_numIfEPKPS3_EEv13rocblas_fill_17rocblas_diagonal_T1_iil,"axG",@progbits,_ZN9rocsolver6v33100L18trti2_kernel_smallILi10E19rocblas_complex_numIfEPKPS3_EEv13rocblas_fill_17rocblas_diagonal_T1_iil,comdat
.Lfunc_end73:
	.size	_ZN9rocsolver6v33100L18trti2_kernel_smallILi10E19rocblas_complex_numIfEPKPS3_EEv13rocblas_fill_17rocblas_diagonal_T1_iil, .Lfunc_end73-_ZN9rocsolver6v33100L18trti2_kernel_smallILi10E19rocblas_complex_numIfEPKPS3_EEv13rocblas_fill_17rocblas_diagonal_T1_iil
                                        ; -- End function
	.set _ZN9rocsolver6v33100L18trti2_kernel_smallILi10E19rocblas_complex_numIfEPKPS3_EEv13rocblas_fill_17rocblas_diagonal_T1_iil.num_vgpr, 40
	.set _ZN9rocsolver6v33100L18trti2_kernel_smallILi10E19rocblas_complex_numIfEPKPS3_EEv13rocblas_fill_17rocblas_diagonal_T1_iil.num_agpr, 0
	.set _ZN9rocsolver6v33100L18trti2_kernel_smallILi10E19rocblas_complex_numIfEPKPS3_EEv13rocblas_fill_17rocblas_diagonal_T1_iil.numbered_sgpr, 12
	.set _ZN9rocsolver6v33100L18trti2_kernel_smallILi10E19rocblas_complex_numIfEPKPS3_EEv13rocblas_fill_17rocblas_diagonal_T1_iil.num_named_barrier, 0
	.set _ZN9rocsolver6v33100L18trti2_kernel_smallILi10E19rocblas_complex_numIfEPKPS3_EEv13rocblas_fill_17rocblas_diagonal_T1_iil.private_seg_size, 0
	.set _ZN9rocsolver6v33100L18trti2_kernel_smallILi10E19rocblas_complex_numIfEPKPS3_EEv13rocblas_fill_17rocblas_diagonal_T1_iil.uses_vcc, 1
	.set _ZN9rocsolver6v33100L18trti2_kernel_smallILi10E19rocblas_complex_numIfEPKPS3_EEv13rocblas_fill_17rocblas_diagonal_T1_iil.uses_flat_scratch, 0
	.set _ZN9rocsolver6v33100L18trti2_kernel_smallILi10E19rocblas_complex_numIfEPKPS3_EEv13rocblas_fill_17rocblas_diagonal_T1_iil.has_dyn_sized_stack, 0
	.set _ZN9rocsolver6v33100L18trti2_kernel_smallILi10E19rocblas_complex_numIfEPKPS3_EEv13rocblas_fill_17rocblas_diagonal_T1_iil.has_recursion, 0
	.set _ZN9rocsolver6v33100L18trti2_kernel_smallILi10E19rocblas_complex_numIfEPKPS3_EEv13rocblas_fill_17rocblas_diagonal_T1_iil.has_indirect_call, 0
	.section	.AMDGPU.csdata,"",@progbits
; Kernel info:
; codeLenInByte = 7108
; TotalNumSgprs: 14
; NumVgprs: 40
; ScratchSize: 0
; MemoryBound: 0
; FloatMode: 240
; IeeeMode: 1
; LDSByteSize: 5280 bytes/workgroup (compile time only)
; SGPRBlocks: 0
; VGPRBlocks: 2
; NumSGPRsForWavesPerEU: 14
; NumVGPRsForWavesPerEU: 40
; NamedBarCnt: 0
; Occupancy: 16
; WaveLimiterHint : 1
; COMPUTE_PGM_RSRC2:SCRATCH_EN: 0
; COMPUTE_PGM_RSRC2:USER_SGPR: 4
; COMPUTE_PGM_RSRC2:TRAP_HANDLER: 0
; COMPUTE_PGM_RSRC2:TGID_X_EN: 1
; COMPUTE_PGM_RSRC2:TGID_Y_EN: 0
; COMPUTE_PGM_RSRC2:TGID_Z_EN: 0
; COMPUTE_PGM_RSRC2:TIDIG_COMP_CNT: 2
	.section	.text._ZN9rocsolver6v33100L18trti2_kernel_smallILi11E19rocblas_complex_numIfEPKPS3_EEv13rocblas_fill_17rocblas_diagonal_T1_iil,"axG",@progbits,_ZN9rocsolver6v33100L18trti2_kernel_smallILi11E19rocblas_complex_numIfEPKPS3_EEv13rocblas_fill_17rocblas_diagonal_T1_iil,comdat
	.globl	_ZN9rocsolver6v33100L18trti2_kernel_smallILi11E19rocblas_complex_numIfEPKPS3_EEv13rocblas_fill_17rocblas_diagonal_T1_iil ; -- Begin function _ZN9rocsolver6v33100L18trti2_kernel_smallILi11E19rocblas_complex_numIfEPKPS3_EEv13rocblas_fill_17rocblas_diagonal_T1_iil
	.p2align	8
	.type	_ZN9rocsolver6v33100L18trti2_kernel_smallILi11E19rocblas_complex_numIfEPKPS3_EEv13rocblas_fill_17rocblas_diagonal_T1_iil,@function
_ZN9rocsolver6v33100L18trti2_kernel_smallILi11E19rocblas_complex_numIfEPKPS3_EEv13rocblas_fill_17rocblas_diagonal_T1_iil: ; @_ZN9rocsolver6v33100L18trti2_kernel_smallILi11E19rocblas_complex_numIfEPKPS3_EEv13rocblas_fill_17rocblas_diagonal_T1_iil
; %bb.0:
	v_and_b32_e32 v30, 0x3ff, v0
	s_mov_b32 s4, exec_lo
	s_delay_alu instid0(VALU_DEP_1)
	v_cmpx_gt_u32_e32 11, v30
	s_cbranch_execz .LBB74_204
; %bb.1:
	s_load_b64 s[8:9], s[0:1], 0x4
	s_clause 0x1
	s_load_b64 s[10:11], s[2:3], 0x10
	s_load_b128 s[4:7], s[2:3], 0x0
	s_wait_xcnt 0x0
	s_bfe_u32 s0, ttmp6, 0x4000c
	s_and_b32 s1, ttmp6, 15
	s_add_co_i32 s0, s0, 1
	s_getreg_b32 s2, hwreg(HW_REG_IB_STS2, 6, 4)
	s_mul_i32 s0, ttmp9, s0
	v_bfe_u32 v1, v0, 10, 10
	s_add_co_i32 s0, s1, s0
	v_bfe_u32 v0, v0, 20, 10
	v_dual_mov_b32 v23, 0 :: v_dual_lshlrev_b32 v22, 3, v30
	s_wait_kmcnt 0x0
	s_lshr_b32 s8, s8, 16
	s_ashr_i32 s1, s10, 31
	s_cmp_eq_u32 s2, 0
	s_mul_i32 s8, s8, s9
	s_cselect_b32 s2, ttmp9, s0
	s_mov_b32 s0, s10
	s_ashr_i32 s3, s2, 31
	s_lshl_b64 s[0:1], s[0:1], 3
	s_lshl_b64 s[2:3], s[2:3], 3
	v_mul_u32_u24_e32 v1, s9, v1
	s_add_nc_u64 s[2:3], s[6:7], s[2:3]
	v_mul_u32_u24_e32 v2, s8, v30
	s_load_b64 s[2:3], s[2:3], 0x0
	s_delay_alu instid0(VALU_DEP_1) | instskip(NEXT) | instid1(VALU_DEP_1)
	v_add3_u32 v33, v2, v1, v0
	v_mul_lo_u32 v32, 0x58, v33
	s_delay_alu instid0(VALU_DEP_1)
	v_add_nc_u32_e32 v31, 0xc0, v32
	s_wait_kmcnt 0x0
	s_add_nc_u64 s[2:3], s[2:3], s[0:1]
	s_mov_b32 s0, s11
	flat_load_b64 v[4:5], v30, s[2:3] scale_offset
	v_add_nc_u64_e32 v[0:1], s[2:3], v[22:23]
	s_ashr_i32 s1, s11, 31
	s_cmp_lg_u32 s5, 0x84
	s_cselect_b32 s5, -1, 0
	s_delay_alu instid0(SALU_CYCLE_1) | instskip(NEXT) | instid1(VALU_DEP_1)
	s_and_b32 vcc_lo, exec_lo, s5
	v_lshl_add_u64 v[2:3], s[0:1], 3, v[0:1]
	s_mov_b32 s0, -1
	s_wait_loadcnt_dscnt 0x0
	ds_store_b64 v32, v[4:5] offset:192
	flat_load_b64 v[6:7], v[2:3]
	v_add3_u32 v4, s11, s11, v30
	s_wait_loadcnt_dscnt 0x0
	ds_store_b64 v32, v[6:7] offset:200
	flat_load_b64 v[8:9], v4, s[2:3] scale_offset
	v_add_nc_u32_e32 v6, s11, v4
	s_wait_loadcnt_dscnt 0x0
	ds_store_b64 v32, v[8:9] offset:208
	flat_load_b64 v[10:11], v6, s[2:3] scale_offset
	v_add_nc_u32_e32 v8, s11, v6
	s_wait_loadcnt_dscnt 0x0
	ds_store_b64 v32, v[10:11] offset:216
	flat_load_b64 v[12:13], v8, s[2:3] scale_offset
	v_add_nc_u32_e32 v10, s11, v8
	s_wait_loadcnt_dscnt 0x0
	ds_store_b64 v32, v[12:13] offset:224
	flat_load_b64 v[14:15], v10, s[2:3] scale_offset
	v_add_nc_u32_e32 v12, s11, v10
	s_wait_loadcnt_dscnt 0x0
	ds_store_b64 v32, v[14:15] offset:232
	flat_load_b64 v[16:17], v12, s[2:3] scale_offset
	v_add_nc_u32_e32 v14, s11, v12
	s_wait_loadcnt_dscnt 0x0
	ds_store_b64 v32, v[16:17] offset:240
	flat_load_b64 v[18:19], v14, s[2:3] scale_offset
	v_add_nc_u32_e32 v16, s11, v14
	s_wait_loadcnt_dscnt 0x0
	ds_store_b64 v32, v[18:19] offset:248
	flat_load_b64 v[20:21], v16, s[2:3] scale_offset
	v_add_nc_u32_e32 v18, s11, v16
	s_wait_loadcnt_dscnt 0x0
	ds_store_b64 v32, v[20:21] offset:256
	flat_load_b64 v[24:25], v18, s[2:3] scale_offset
	v_add_nc_u32_e32 v20, s11, v18
	s_wait_loadcnt_dscnt 0x0
	ds_store_b64 v32, v[24:25] offset:264
	flat_load_b64 v[24:25], v20, s[2:3] scale_offset
	s_wait_loadcnt_dscnt 0x0
	ds_store_b64 v32, v[24:25] offset:272
	s_cbranch_vccz .LBB74_7
; %bb.2:
	v_lshl_add_u32 v5, v30, 3, v31
                                        ; implicit-def: $vgpr29
                                        ; implicit-def: $vgpr26
	ds_load_b64 v[24:25], v5
	s_wait_dscnt 0x0
	v_cmp_ngt_f32_e64 s0, |v24|, |v25|
	s_and_saveexec_b32 s1, s0
	s_delay_alu instid0(SALU_CYCLE_1)
	s_xor_b32 s0, exec_lo, s1
	s_cbranch_execz .LBB74_4
; %bb.3:
	v_div_scale_f32 v7, null, v25, v25, v24
	v_div_scale_f32 v13, vcc_lo, v24, v25, v24
	s_delay_alu instid0(VALU_DEP_2) | instskip(SKIP_1) | instid1(TRANS32_DEP_1)
	v_rcp_f32_e32 v9, v7
	v_nop
	v_fma_f32 v11, -v7, v9, 1.0
	s_delay_alu instid0(VALU_DEP_1) | instskip(NEXT) | instid1(VALU_DEP_1)
	v_fmac_f32_e32 v9, v11, v9
	v_mul_f32_e32 v11, v13, v9
	s_delay_alu instid0(VALU_DEP_1) | instskip(NEXT) | instid1(VALU_DEP_1)
	v_fma_f32 v15, -v7, v11, v13
	v_fmac_f32_e32 v11, v15, v9
	s_delay_alu instid0(VALU_DEP_1) | instskip(NEXT) | instid1(VALU_DEP_1)
	v_fma_f32 v7, -v7, v11, v13
	v_div_fmas_f32 v7, v7, v9, v11
	s_delay_alu instid0(VALU_DEP_1) | instskip(NEXT) | instid1(VALU_DEP_1)
	v_div_fixup_f32 v7, v7, v25, v24
	v_fmac_f32_e32 v25, v24, v7
	s_delay_alu instid0(VALU_DEP_1) | instskip(NEXT) | instid1(VALU_DEP_1)
	v_div_scale_f32 v9, null, v25, v25, -1.0
	v_rcp_f32_e32 v11, v9
	v_nop
	s_delay_alu instid0(TRANS32_DEP_1) | instskip(NEXT) | instid1(VALU_DEP_1)
	v_fma_f32 v13, -v9, v11, 1.0
	v_fmac_f32_e32 v11, v13, v11
	v_div_scale_f32 v13, vcc_lo, -1.0, v25, -1.0
	s_delay_alu instid0(VALU_DEP_1) | instskip(NEXT) | instid1(VALU_DEP_1)
	v_mul_f32_e32 v15, v13, v11
	v_fma_f32 v17, -v9, v15, v13
	s_delay_alu instid0(VALU_DEP_1) | instskip(NEXT) | instid1(VALU_DEP_1)
	v_fmac_f32_e32 v15, v17, v11
	v_fma_f32 v9, -v9, v15, v13
	s_delay_alu instid0(VALU_DEP_1) | instskip(NEXT) | instid1(VALU_DEP_1)
	v_div_fmas_f32 v9, v9, v11, v15
	v_div_fixup_f32 v29, v9, v25, -1.0
                                        ; implicit-def: $vgpr24_vgpr25
	s_delay_alu instid0(VALU_DEP_1) | instskip(NEXT) | instid1(VALU_DEP_1)
	v_mul_f32_e32 v26, v7, v29
	v_xor_b32_e32 v28, 0x80000000, v26
.LBB74_4:
	s_and_not1_saveexec_b32 s0, s0
	s_cbranch_execz .LBB74_6
; %bb.5:
	v_div_scale_f32 v7, null, v24, v24, v25
	v_div_scale_f32 v13, vcc_lo, v25, v24, v25
	s_delay_alu instid0(VALU_DEP_2) | instskip(SKIP_1) | instid1(TRANS32_DEP_1)
	v_rcp_f32_e32 v9, v7
	v_nop
	v_fma_f32 v11, -v7, v9, 1.0
	s_delay_alu instid0(VALU_DEP_1) | instskip(NEXT) | instid1(VALU_DEP_1)
	v_fmac_f32_e32 v9, v11, v9
	v_mul_f32_e32 v11, v13, v9
	s_delay_alu instid0(VALU_DEP_1) | instskip(NEXT) | instid1(VALU_DEP_1)
	v_fma_f32 v15, -v7, v11, v13
	v_fmac_f32_e32 v11, v15, v9
	s_delay_alu instid0(VALU_DEP_1) | instskip(NEXT) | instid1(VALU_DEP_1)
	v_fma_f32 v7, -v7, v11, v13
	v_div_fmas_f32 v7, v7, v9, v11
	s_delay_alu instid0(VALU_DEP_1) | instskip(NEXT) | instid1(VALU_DEP_1)
	v_div_fixup_f32 v7, v7, v24, v25
	v_fmac_f32_e32 v24, v25, v7
	s_delay_alu instid0(VALU_DEP_1) | instskip(SKIP_1) | instid1(VALU_DEP_2)
	v_div_scale_f32 v9, null, v24, v24, 1.0
	v_div_scale_f32 v15, vcc_lo, 1.0, v24, 1.0
	v_rcp_f32_e32 v11, v9
	v_nop
	s_delay_alu instid0(TRANS32_DEP_1) | instskip(NEXT) | instid1(VALU_DEP_1)
	v_fma_f32 v13, -v9, v11, 1.0
	v_fmac_f32_e32 v11, v13, v11
	s_delay_alu instid0(VALU_DEP_1) | instskip(NEXT) | instid1(VALU_DEP_1)
	v_mul_f32_e32 v13, v15, v11
	v_fma_f32 v17, -v9, v13, v15
	s_delay_alu instid0(VALU_DEP_1) | instskip(NEXT) | instid1(VALU_DEP_1)
	v_fmac_f32_e32 v13, v17, v11
	v_fma_f32 v9, -v9, v13, v15
	s_delay_alu instid0(VALU_DEP_1) | instskip(NEXT) | instid1(VALU_DEP_1)
	v_div_fmas_f32 v9, v9, v11, v13
	v_div_fixup_f32 v28, v9, v24, 1.0
	s_delay_alu instid0(VALU_DEP_1)
	v_xor_b32_e32 v26, 0x80000000, v28
	v_mul_f32_e64 v29, v7, -v28
.LBB74_6:
	s_or_b32 exec_lo, exec_lo, s0
	s_delay_alu instid0(VALU_DEP_1)
	v_xor_b32_e32 v27, 0x80000000, v29
	s_mov_b32 s0, 0
	ds_store_b64 v5, v[28:29]
	ds_store_b64 v22, v[26:27]
.LBB74_7:
	s_and_b32 vcc_lo, exec_lo, s0
	s_cbranch_vccz .LBB74_9
; %bb.8:
	s_mov_b64 s[0:1], 0xbf800000
	s_delay_alu instid0(SALU_CYCLE_1)
	v_mov_b64_e32 v[24:25], s[0:1]
	ds_store_b64 v22, v[24:25]
.LBB74_9:
	v_dual_ashrrev_i32 v5, 31, v4 :: v_dual_ashrrev_i32 v7, 31, v6
	v_dual_ashrrev_i32 v9, 31, v8 :: v_dual_ashrrev_i32 v11, 31, v10
	;; [unrolled: 1-line block ×4, first 2 shown]
	v_dual_ashrrev_i32 v21, 31, v20 :: v_dual_add_nc_u32 v26, v31, v22
	v_add_nc_u32_e32 v23, 0x60, v22
	s_cmp_eq_u32 s4, 0x79
	s_cbranch_scc1 .LBB74_13
; %bb.10:
	ds_load_b64 v[24:25], v31 offset:72
	v_cmp_eq_u32_e64 s0, 10, v30
	s_wait_dscnt 0x0
	ds_store_b64 v23, v[24:25]
	s_wait_dscnt 0x0
	s_barrier_signal -1
	s_barrier_wait -1
	s_and_saveexec_b32 s1, s0
	s_cbranch_execz .LBB74_17
; %bb.11:
	s_and_b32 vcc_lo, exec_lo, s5
	s_cbranch_vccz .LBB74_14
; %bb.12:
	ds_load_b64 v[24:25], v26
	ds_load_b64 v[28:29], v23
	s_wait_dscnt 0x0
	v_pk_mul_f32 v[34:35], v[28:29], v[24:25] op_sel:[1,1] op_sel_hi:[0,1]
	v_pk_mul_f32 v[36:37], v[28:29], v[24:25] op_sel_hi:[1,0]
	s_delay_alu instid0(VALU_DEP_2) | instskip(NEXT) | instid1(VALU_DEP_2)
	v_pk_fma_f32 v[24:25], v[28:29], v[24:25], v[34:35] op_sel_hi:[1,0,1]
	v_sub_f32_e32 v24, v36, v34
	s_cbranch_execz .LBB74_15
	s_branch .LBB74_16
.LBB74_13:
	s_mov_b32 s1, 0
                                        ; implicit-def: $vgpr34
                                        ; implicit-def: $vgpr35
	s_cbranch_execnz .LBB74_106
	s_branch .LBB74_201
.LBB74_14:
                                        ; implicit-def: $vgpr25
.LBB74_15:
	ds_load_b64 v[24:25], v23
.LBB74_16:
	s_wait_dscnt 0x0
	v_dual_mov_b32 v27, 0 :: v_dual_mov_b32 v34, v25
	v_mov_b32_e32 v35, v24
	ds_load_b64 v[28:29], v27 offset:72
	s_wait_dscnt 0x0
	v_pk_mul_f32 v[34:35], v[34:35], v[28:29] op_sel:[0,1]
	s_delay_alu instid0(VALU_DEP_1) | instskip(SKIP_1) | instid1(VALU_DEP_2)
	v_pk_fma_f32 v[36:37], v[24:25], v[28:29], v[34:35] op_sel_hi:[1,0,1]
	v_pk_fma_f32 v[24:25], v[24:25], v[28:29], v[34:35] neg_lo:[0,0,1] neg_hi:[0,0,1]
	v_mov_b32_e32 v25, v37
	ds_store_b64 v31, v[24:25] offset:72
.LBB74_17:
	s_or_b32 exec_lo, exec_lo, s1
	ds_load_b64 v[24:25], v31 offset:64
	v_cmp_lt_u32_e64 s1, 8, v30
	s_wait_dscnt 0x0
	ds_store_b64 v23, v[24:25]
	s_wait_dscnt 0x0
	s_barrier_signal -1
	s_barrier_wait -1
	s_and_saveexec_b32 s4, s1
	s_cbranch_execz .LBB74_25
; %bb.18:
	s_and_not1_b32 vcc_lo, exec_lo, s5
	s_cbranch_vccnz .LBB74_20
; %bb.19:
	ds_load_b64 v[24:25], v26
	ds_load_b64 v[28:29], v23
	s_wait_dscnt 0x0
	v_pk_mul_f32 v[34:35], v[28:29], v[24:25] op_sel:[1,1] op_sel_hi:[0,1]
	s_delay_alu instid0(VALU_DEP_1) | instskip(SKIP_1) | instid1(VALU_DEP_2)
	v_pk_fma_f32 v[36:37], v[28:29], v[24:25], v[34:35] op_sel_hi:[1,0,1]
	v_pk_fma_f32 v[24:25], v[28:29], v[24:25], v[34:35] neg_lo:[0,0,1] neg_hi:[0,0,1]
	v_mov_b32_e32 v25, v37
	s_cbranch_execz .LBB74_21
	s_branch .LBB74_22
.LBB74_20:
                                        ; implicit-def: $vgpr24_vgpr25
.LBB74_21:
	ds_load_b64 v[24:25], v23
.LBB74_22:
	s_and_saveexec_b32 s6, s0
	s_cbranch_execz .LBB74_24
; %bb.23:
	v_mov_b32_e32 v27, 0
	ds_load_b64 v[28:29], v31 offset:72
	ds_load_b64 v[34:35], v27 offset:168
	s_wait_dscnt 0x0
	v_pk_mul_f32 v[36:37], v[34:35], v[28:29] op_sel:[1,1] op_sel_hi:[0,1]
	s_delay_alu instid0(VALU_DEP_1) | instskip(SKIP_1) | instid1(VALU_DEP_2)
	v_pk_fma_f32 v[38:39], v[34:35], v[28:29], v[36:37] op_sel_hi:[1,0,1]
	v_pk_fma_f32 v[28:29], v[34:35], v[28:29], v[36:37] neg_lo:[0,0,1] neg_hi:[0,0,1]
	v_mov_b32_e32 v29, v39
	s_delay_alu instid0(VALU_DEP_1)
	v_pk_add_f32 v[24:25], v[24:25], v[28:29]
.LBB74_24:
	s_or_b32 exec_lo, exec_lo, s6
	v_mov_b32_e32 v27, 0
	ds_load_b64 v[28:29], v27 offset:64
	s_wait_dscnt 0x0
	v_pk_mul_f32 v[34:35], v[24:25], v[28:29] op_sel:[1,1] op_sel_hi:[0,1]
	s_delay_alu instid0(VALU_DEP_1) | instskip(SKIP_1) | instid1(VALU_DEP_2)
	v_pk_fma_f32 v[36:37], v[24:25], v[28:29], v[34:35] op_sel_hi:[1,0,1]
	v_pk_fma_f32 v[24:25], v[24:25], v[28:29], v[34:35] neg_lo:[0,0,1] neg_hi:[0,0,1]
	v_mov_b32_e32 v25, v37
	ds_store_b64 v31, v[24:25] offset:64
.LBB74_25:
	s_or_b32 exec_lo, exec_lo, s4
	ds_load_b64 v[24:25], v31 offset:56
	v_cmp_lt_u32_e64 s0, 7, v30
	s_wait_dscnt 0x0
	ds_store_b64 v23, v[24:25]
	s_wait_dscnt 0x0
	s_barrier_signal -1
	s_barrier_wait -1
	s_and_saveexec_b32 s4, s0
	s_cbranch_execz .LBB74_35
; %bb.26:
	s_and_not1_b32 vcc_lo, exec_lo, s5
	s_cbranch_vccnz .LBB74_28
; %bb.27:
	ds_load_b64 v[24:25], v26
	ds_load_b64 v[28:29], v23
	s_wait_dscnt 0x0
	v_pk_mul_f32 v[34:35], v[28:29], v[24:25] op_sel:[1,1] op_sel_hi:[0,1]
	s_delay_alu instid0(VALU_DEP_1) | instskip(SKIP_1) | instid1(VALU_DEP_2)
	v_pk_fma_f32 v[36:37], v[28:29], v[24:25], v[34:35] op_sel_hi:[1,0,1]
	v_pk_fma_f32 v[24:25], v[28:29], v[24:25], v[34:35] neg_lo:[0,0,1] neg_hi:[0,0,1]
	v_mov_b32_e32 v25, v37
	s_cbranch_execz .LBB74_29
	s_branch .LBB74_30
.LBB74_28:
                                        ; implicit-def: $vgpr24_vgpr25
.LBB74_29:
	ds_load_b64 v[24:25], v23
.LBB74_30:
	s_and_saveexec_b32 s6, s1
	s_cbranch_execz .LBB74_34
; %bb.31:
	s_movk_i32 s1, 0x58
	v_add_nc_u32_e32 v28, -8, v30
	v_mad_u32 v27, v33, s1, 0x100
	s_movk_i32 s7, 0xa0
	s_mov_b32 s1, 0
.LBB74_32:                              ; =>This Inner Loop Header: Depth=1
	s_delay_alu instid0(VALU_DEP_2)
	v_dual_mov_b32 v29, s7 :: v_dual_add_nc_u32 v28, -1, v28
	s_add_co_i32 s7, s7, 8
	ds_load_b64 v[34:35], v27
	ds_load_b64 v[36:37], v29
	v_add_nc_u32_e32 v27, 8, v27
	v_cmp_eq_u32_e32 vcc_lo, 0, v28
	s_or_b32 s1, vcc_lo, s1
	s_wait_dscnt 0x0
	v_pk_mul_f32 v[38:39], v[36:37], v[34:35] op_sel:[1,1] op_sel_hi:[0,1]
	s_delay_alu instid0(VALU_DEP_1) | instskip(SKIP_1) | instid1(VALU_DEP_2)
	v_pk_fma_f32 v[40:41], v[36:37], v[34:35], v[38:39] op_sel_hi:[1,0,1]
	v_pk_fma_f32 v[34:35], v[36:37], v[34:35], v[38:39] neg_lo:[0,0,1] neg_hi:[0,0,1]
	v_mov_b32_e32 v35, v41
	s_delay_alu instid0(VALU_DEP_1)
	v_pk_add_f32 v[24:25], v[24:25], v[34:35]
	s_and_not1_b32 exec_lo, exec_lo, s1
	s_cbranch_execnz .LBB74_32
; %bb.33:
	s_or_b32 exec_lo, exec_lo, s1
.LBB74_34:
	s_delay_alu instid0(SALU_CYCLE_1) | instskip(SKIP_4) | instid1(VALU_DEP_1)
	s_or_b32 exec_lo, exec_lo, s6
	v_mov_b32_e32 v27, 0
	ds_load_b64 v[28:29], v27 offset:56
	s_wait_dscnt 0x0
	v_pk_mul_f32 v[34:35], v[24:25], v[28:29] op_sel:[1,1] op_sel_hi:[0,1]
	v_pk_fma_f32 v[36:37], v[24:25], v[28:29], v[34:35] op_sel_hi:[1,0,1]
	v_pk_fma_f32 v[24:25], v[24:25], v[28:29], v[34:35] neg_lo:[0,0,1] neg_hi:[0,0,1]
	s_delay_alu instid0(VALU_DEP_2)
	v_mov_b32_e32 v25, v37
	ds_store_b64 v31, v[24:25] offset:56
.LBB74_35:
	s_or_b32 exec_lo, exec_lo, s4
	ds_load_b64 v[24:25], v31 offset:48
	v_cmp_lt_u32_e64 s1, 6, v30
	s_wait_dscnt 0x0
	ds_store_b64 v23, v[24:25]
	s_wait_dscnt 0x0
	s_barrier_signal -1
	s_barrier_wait -1
	s_and_saveexec_b32 s4, s1
	s_cbranch_execz .LBB74_45
; %bb.36:
	s_and_not1_b32 vcc_lo, exec_lo, s5
	s_cbranch_vccnz .LBB74_38
; %bb.37:
	ds_load_b64 v[24:25], v26
	ds_load_b64 v[28:29], v23
	s_wait_dscnt 0x0
	v_pk_mul_f32 v[34:35], v[28:29], v[24:25] op_sel:[1,1] op_sel_hi:[0,1]
	s_delay_alu instid0(VALU_DEP_1) | instskip(SKIP_1) | instid1(VALU_DEP_2)
	v_pk_fma_f32 v[36:37], v[28:29], v[24:25], v[34:35] op_sel_hi:[1,0,1]
	v_pk_fma_f32 v[24:25], v[28:29], v[24:25], v[34:35] neg_lo:[0,0,1] neg_hi:[0,0,1]
	v_mov_b32_e32 v25, v37
	s_cbranch_execz .LBB74_39
	s_branch .LBB74_40
.LBB74_38:
                                        ; implicit-def: $vgpr24_vgpr25
.LBB74_39:
	ds_load_b64 v[24:25], v23
.LBB74_40:
	s_and_saveexec_b32 s6, s0
	s_cbranch_execz .LBB74_44
; %bb.41:
	s_movk_i32 s0, 0x58
	v_add_nc_u32_e32 v28, -7, v30
	v_mad_u32 v27, v33, s0, 0xf8
	s_movk_i32 s7, 0x98
	s_mov_b32 s0, 0
.LBB74_42:                              ; =>This Inner Loop Header: Depth=1
	s_delay_alu instid0(VALU_DEP_2)
	v_dual_mov_b32 v29, s7 :: v_dual_add_nc_u32 v28, -1, v28
	s_add_co_i32 s7, s7, 8
	ds_load_b64 v[34:35], v27
	ds_load_b64 v[36:37], v29
	v_add_nc_u32_e32 v27, 8, v27
	v_cmp_eq_u32_e32 vcc_lo, 0, v28
	s_or_b32 s0, vcc_lo, s0
	s_wait_dscnt 0x0
	v_pk_mul_f32 v[38:39], v[36:37], v[34:35] op_sel:[1,1] op_sel_hi:[0,1]
	s_delay_alu instid0(VALU_DEP_1) | instskip(SKIP_1) | instid1(VALU_DEP_2)
	v_pk_fma_f32 v[40:41], v[36:37], v[34:35], v[38:39] op_sel_hi:[1,0,1]
	v_pk_fma_f32 v[34:35], v[36:37], v[34:35], v[38:39] neg_lo:[0,0,1] neg_hi:[0,0,1]
	v_mov_b32_e32 v35, v41
	s_delay_alu instid0(VALU_DEP_1)
	v_pk_add_f32 v[24:25], v[24:25], v[34:35]
	s_and_not1_b32 exec_lo, exec_lo, s0
	s_cbranch_execnz .LBB74_42
; %bb.43:
	s_or_b32 exec_lo, exec_lo, s0
.LBB74_44:
	s_delay_alu instid0(SALU_CYCLE_1) | instskip(SKIP_4) | instid1(VALU_DEP_1)
	s_or_b32 exec_lo, exec_lo, s6
	v_mov_b32_e32 v27, 0
	ds_load_b64 v[28:29], v27 offset:48
	s_wait_dscnt 0x0
	v_pk_mul_f32 v[34:35], v[24:25], v[28:29] op_sel:[1,1] op_sel_hi:[0,1]
	v_pk_fma_f32 v[36:37], v[24:25], v[28:29], v[34:35] op_sel_hi:[1,0,1]
	v_pk_fma_f32 v[24:25], v[24:25], v[28:29], v[34:35] neg_lo:[0,0,1] neg_hi:[0,0,1]
	s_delay_alu instid0(VALU_DEP_2)
	v_mov_b32_e32 v25, v37
	ds_store_b64 v31, v[24:25] offset:48
.LBB74_45:
	s_or_b32 exec_lo, exec_lo, s4
	ds_load_b64 v[24:25], v31 offset:40
	v_cmp_lt_u32_e64 s0, 5, v30
	s_wait_dscnt 0x0
	ds_store_b64 v23, v[24:25]
	s_wait_dscnt 0x0
	s_barrier_signal -1
	s_barrier_wait -1
	s_and_saveexec_b32 s4, s0
	s_cbranch_execz .LBB74_55
; %bb.46:
	s_and_not1_b32 vcc_lo, exec_lo, s5
	s_cbranch_vccnz .LBB74_48
; %bb.47:
	ds_load_b64 v[24:25], v26
	ds_load_b64 v[28:29], v23
	s_wait_dscnt 0x0
	v_pk_mul_f32 v[34:35], v[28:29], v[24:25] op_sel:[1,1] op_sel_hi:[0,1]
	s_delay_alu instid0(VALU_DEP_1) | instskip(SKIP_1) | instid1(VALU_DEP_2)
	v_pk_fma_f32 v[36:37], v[28:29], v[24:25], v[34:35] op_sel_hi:[1,0,1]
	v_pk_fma_f32 v[24:25], v[28:29], v[24:25], v[34:35] neg_lo:[0,0,1] neg_hi:[0,0,1]
	v_mov_b32_e32 v25, v37
	s_cbranch_execz .LBB74_49
	s_branch .LBB74_50
.LBB74_48:
                                        ; implicit-def: $vgpr24_vgpr25
.LBB74_49:
	ds_load_b64 v[24:25], v23
.LBB74_50:
	s_and_saveexec_b32 s6, s1
	s_cbranch_execz .LBB74_54
; %bb.51:
	s_movk_i32 s1, 0x58
	v_add_nc_u32_e32 v28, -6, v30
	v_mad_u32 v27, v33, s1, 0xf0
	s_movk_i32 s7, 0x90
	s_mov_b32 s1, 0
.LBB74_52:                              ; =>This Inner Loop Header: Depth=1
	s_delay_alu instid0(VALU_DEP_2)
	v_dual_mov_b32 v29, s7 :: v_dual_add_nc_u32 v28, -1, v28
	s_add_co_i32 s7, s7, 8
	ds_load_b64 v[34:35], v27
	ds_load_b64 v[36:37], v29
	v_add_nc_u32_e32 v27, 8, v27
	v_cmp_eq_u32_e32 vcc_lo, 0, v28
	s_or_b32 s1, vcc_lo, s1
	s_wait_dscnt 0x0
	v_pk_mul_f32 v[38:39], v[36:37], v[34:35] op_sel:[1,1] op_sel_hi:[0,1]
	s_delay_alu instid0(VALU_DEP_1) | instskip(SKIP_1) | instid1(VALU_DEP_2)
	v_pk_fma_f32 v[40:41], v[36:37], v[34:35], v[38:39] op_sel_hi:[1,0,1]
	v_pk_fma_f32 v[34:35], v[36:37], v[34:35], v[38:39] neg_lo:[0,0,1] neg_hi:[0,0,1]
	v_mov_b32_e32 v35, v41
	s_delay_alu instid0(VALU_DEP_1)
	v_pk_add_f32 v[24:25], v[24:25], v[34:35]
	s_and_not1_b32 exec_lo, exec_lo, s1
	s_cbranch_execnz .LBB74_52
; %bb.53:
	s_or_b32 exec_lo, exec_lo, s1
.LBB74_54:
	s_delay_alu instid0(SALU_CYCLE_1) | instskip(SKIP_4) | instid1(VALU_DEP_1)
	s_or_b32 exec_lo, exec_lo, s6
	v_mov_b32_e32 v27, 0
	ds_load_b64 v[28:29], v27 offset:40
	s_wait_dscnt 0x0
	v_pk_mul_f32 v[34:35], v[24:25], v[28:29] op_sel:[1,1] op_sel_hi:[0,1]
	v_pk_fma_f32 v[36:37], v[24:25], v[28:29], v[34:35] op_sel_hi:[1,0,1]
	v_pk_fma_f32 v[24:25], v[24:25], v[28:29], v[34:35] neg_lo:[0,0,1] neg_hi:[0,0,1]
	s_delay_alu instid0(VALU_DEP_2)
	v_mov_b32_e32 v25, v37
	ds_store_b64 v31, v[24:25] offset:40
.LBB74_55:
	s_or_b32 exec_lo, exec_lo, s4
	ds_load_b64 v[24:25], v31 offset:32
	v_cmp_lt_u32_e64 s1, 4, v30
	s_wait_dscnt 0x0
	ds_store_b64 v23, v[24:25]
	s_wait_dscnt 0x0
	s_barrier_signal -1
	s_barrier_wait -1
	s_and_saveexec_b32 s4, s1
	s_cbranch_execz .LBB74_65
; %bb.56:
	s_and_not1_b32 vcc_lo, exec_lo, s5
	s_cbranch_vccnz .LBB74_58
; %bb.57:
	ds_load_b64 v[24:25], v26
	ds_load_b64 v[28:29], v23
	s_wait_dscnt 0x0
	v_pk_mul_f32 v[34:35], v[28:29], v[24:25] op_sel:[1,1] op_sel_hi:[0,1]
	s_delay_alu instid0(VALU_DEP_1) | instskip(SKIP_1) | instid1(VALU_DEP_2)
	v_pk_fma_f32 v[36:37], v[28:29], v[24:25], v[34:35] op_sel_hi:[1,0,1]
	v_pk_fma_f32 v[24:25], v[28:29], v[24:25], v[34:35] neg_lo:[0,0,1] neg_hi:[0,0,1]
	v_mov_b32_e32 v25, v37
	s_cbranch_execz .LBB74_59
	s_branch .LBB74_60
.LBB74_58:
                                        ; implicit-def: $vgpr24_vgpr25
.LBB74_59:
	ds_load_b64 v[24:25], v23
.LBB74_60:
	s_and_saveexec_b32 s6, s0
	s_cbranch_execz .LBB74_64
; %bb.61:
	s_movk_i32 s0, 0x58
	v_add_nc_u32_e32 v28, -5, v30
	v_mad_u32 v27, v33, s0, 0xe8
	s_movk_i32 s7, 0x88
	s_mov_b32 s0, 0
.LBB74_62:                              ; =>This Inner Loop Header: Depth=1
	s_delay_alu instid0(VALU_DEP_2)
	v_dual_mov_b32 v29, s7 :: v_dual_add_nc_u32 v28, -1, v28
	s_add_co_i32 s7, s7, 8
	ds_load_b64 v[34:35], v27
	ds_load_b64 v[36:37], v29
	v_add_nc_u32_e32 v27, 8, v27
	v_cmp_eq_u32_e32 vcc_lo, 0, v28
	s_or_b32 s0, vcc_lo, s0
	s_wait_dscnt 0x0
	v_pk_mul_f32 v[38:39], v[36:37], v[34:35] op_sel:[1,1] op_sel_hi:[0,1]
	s_delay_alu instid0(VALU_DEP_1) | instskip(SKIP_1) | instid1(VALU_DEP_2)
	v_pk_fma_f32 v[40:41], v[36:37], v[34:35], v[38:39] op_sel_hi:[1,0,1]
	v_pk_fma_f32 v[34:35], v[36:37], v[34:35], v[38:39] neg_lo:[0,0,1] neg_hi:[0,0,1]
	v_mov_b32_e32 v35, v41
	s_delay_alu instid0(VALU_DEP_1)
	v_pk_add_f32 v[24:25], v[24:25], v[34:35]
	s_and_not1_b32 exec_lo, exec_lo, s0
	s_cbranch_execnz .LBB74_62
; %bb.63:
	s_or_b32 exec_lo, exec_lo, s0
.LBB74_64:
	s_delay_alu instid0(SALU_CYCLE_1) | instskip(SKIP_4) | instid1(VALU_DEP_1)
	s_or_b32 exec_lo, exec_lo, s6
	v_mov_b32_e32 v27, 0
	ds_load_b64 v[28:29], v27 offset:32
	s_wait_dscnt 0x0
	v_pk_mul_f32 v[34:35], v[24:25], v[28:29] op_sel:[1,1] op_sel_hi:[0,1]
	v_pk_fma_f32 v[36:37], v[24:25], v[28:29], v[34:35] op_sel_hi:[1,0,1]
	v_pk_fma_f32 v[24:25], v[24:25], v[28:29], v[34:35] neg_lo:[0,0,1] neg_hi:[0,0,1]
	s_delay_alu instid0(VALU_DEP_2)
	v_mov_b32_e32 v25, v37
	ds_store_b64 v31, v[24:25] offset:32
.LBB74_65:
	s_or_b32 exec_lo, exec_lo, s4
	ds_load_b64 v[24:25], v31 offset:24
	v_cmp_lt_u32_e64 s0, 3, v30
	s_wait_dscnt 0x0
	ds_store_b64 v23, v[24:25]
	s_wait_dscnt 0x0
	s_barrier_signal -1
	s_barrier_wait -1
	s_and_saveexec_b32 s4, s0
	s_cbranch_execz .LBB74_75
; %bb.66:
	s_and_not1_b32 vcc_lo, exec_lo, s5
	s_cbranch_vccnz .LBB74_68
; %bb.67:
	ds_load_b64 v[24:25], v26
	ds_load_b64 v[28:29], v23
	s_wait_dscnt 0x0
	v_pk_mul_f32 v[34:35], v[28:29], v[24:25] op_sel:[1,1] op_sel_hi:[0,1]
	s_delay_alu instid0(VALU_DEP_1) | instskip(SKIP_1) | instid1(VALU_DEP_2)
	v_pk_fma_f32 v[36:37], v[28:29], v[24:25], v[34:35] op_sel_hi:[1,0,1]
	v_pk_fma_f32 v[24:25], v[28:29], v[24:25], v[34:35] neg_lo:[0,0,1] neg_hi:[0,0,1]
	v_mov_b32_e32 v25, v37
	s_cbranch_execz .LBB74_69
	s_branch .LBB74_70
.LBB74_68:
                                        ; implicit-def: $vgpr24_vgpr25
.LBB74_69:
	ds_load_b64 v[24:25], v23
.LBB74_70:
	s_and_saveexec_b32 s6, s1
	s_cbranch_execz .LBB74_74
; %bb.71:
	s_movk_i32 s1, 0x58
	v_add_nc_u32_e32 v28, -4, v30
	v_mad_u32 v27, v33, s1, 0xe0
	s_movk_i32 s7, 0x80
	s_mov_b32 s1, 0
.LBB74_72:                              ; =>This Inner Loop Header: Depth=1
	s_delay_alu instid0(VALU_DEP_2)
	v_dual_mov_b32 v29, s7 :: v_dual_add_nc_u32 v28, -1, v28
	s_add_co_i32 s7, s7, 8
	ds_load_b64 v[34:35], v27
	ds_load_b64 v[36:37], v29
	v_add_nc_u32_e32 v27, 8, v27
	v_cmp_eq_u32_e32 vcc_lo, 0, v28
	s_or_b32 s1, vcc_lo, s1
	s_wait_dscnt 0x0
	v_pk_mul_f32 v[38:39], v[36:37], v[34:35] op_sel:[1,1] op_sel_hi:[0,1]
	s_delay_alu instid0(VALU_DEP_1) | instskip(SKIP_1) | instid1(VALU_DEP_2)
	v_pk_fma_f32 v[40:41], v[36:37], v[34:35], v[38:39] op_sel_hi:[1,0,1]
	v_pk_fma_f32 v[34:35], v[36:37], v[34:35], v[38:39] neg_lo:[0,0,1] neg_hi:[0,0,1]
	v_mov_b32_e32 v35, v41
	s_delay_alu instid0(VALU_DEP_1)
	v_pk_add_f32 v[24:25], v[24:25], v[34:35]
	s_and_not1_b32 exec_lo, exec_lo, s1
	s_cbranch_execnz .LBB74_72
; %bb.73:
	s_or_b32 exec_lo, exec_lo, s1
.LBB74_74:
	s_delay_alu instid0(SALU_CYCLE_1) | instskip(SKIP_4) | instid1(VALU_DEP_1)
	s_or_b32 exec_lo, exec_lo, s6
	v_mov_b32_e32 v27, 0
	ds_load_b64 v[28:29], v27 offset:24
	s_wait_dscnt 0x0
	v_pk_mul_f32 v[34:35], v[24:25], v[28:29] op_sel:[1,1] op_sel_hi:[0,1]
	v_pk_fma_f32 v[36:37], v[24:25], v[28:29], v[34:35] op_sel_hi:[1,0,1]
	v_pk_fma_f32 v[24:25], v[24:25], v[28:29], v[34:35] neg_lo:[0,0,1] neg_hi:[0,0,1]
	s_delay_alu instid0(VALU_DEP_2)
	v_mov_b32_e32 v25, v37
	ds_store_b64 v31, v[24:25] offset:24
.LBB74_75:
	s_or_b32 exec_lo, exec_lo, s4
	ds_load_b64 v[24:25], v31 offset:16
	v_cmp_lt_u32_e64 s1, 2, v30
	s_wait_dscnt 0x0
	ds_store_b64 v23, v[24:25]
	s_wait_dscnt 0x0
	s_barrier_signal -1
	s_barrier_wait -1
	s_and_saveexec_b32 s4, s1
	s_cbranch_execz .LBB74_85
; %bb.76:
	s_and_not1_b32 vcc_lo, exec_lo, s5
	s_cbranch_vccnz .LBB74_78
; %bb.77:
	ds_load_b64 v[24:25], v26
	ds_load_b64 v[28:29], v23
	s_wait_dscnt 0x0
	v_pk_mul_f32 v[34:35], v[28:29], v[24:25] op_sel:[1,1] op_sel_hi:[0,1]
	s_delay_alu instid0(VALU_DEP_1) | instskip(SKIP_1) | instid1(VALU_DEP_2)
	v_pk_fma_f32 v[36:37], v[28:29], v[24:25], v[34:35] op_sel_hi:[1,0,1]
	v_pk_fma_f32 v[24:25], v[28:29], v[24:25], v[34:35] neg_lo:[0,0,1] neg_hi:[0,0,1]
	v_mov_b32_e32 v25, v37
	s_cbranch_execz .LBB74_79
	s_branch .LBB74_80
.LBB74_78:
                                        ; implicit-def: $vgpr24_vgpr25
.LBB74_79:
	ds_load_b64 v[24:25], v23
.LBB74_80:
	s_and_saveexec_b32 s6, s0
	s_cbranch_execz .LBB74_84
; %bb.81:
	s_movk_i32 s0, 0x58
	v_add_nc_u32_e32 v28, -3, v30
	v_mad_u32 v27, v33, s0, 0xd8
	s_movk_i32 s7, 0x78
	s_mov_b32 s0, 0
.LBB74_82:                              ; =>This Inner Loop Header: Depth=1
	s_delay_alu instid0(VALU_DEP_2)
	v_dual_mov_b32 v29, s7 :: v_dual_add_nc_u32 v28, -1, v28
	s_add_co_i32 s7, s7, 8
	ds_load_b64 v[34:35], v27
	ds_load_b64 v[36:37], v29
	v_add_nc_u32_e32 v27, 8, v27
	v_cmp_eq_u32_e32 vcc_lo, 0, v28
	s_or_b32 s0, vcc_lo, s0
	s_wait_dscnt 0x0
	v_pk_mul_f32 v[38:39], v[36:37], v[34:35] op_sel:[1,1] op_sel_hi:[0,1]
	s_delay_alu instid0(VALU_DEP_1) | instskip(SKIP_1) | instid1(VALU_DEP_2)
	v_pk_fma_f32 v[40:41], v[36:37], v[34:35], v[38:39] op_sel_hi:[1,0,1]
	v_pk_fma_f32 v[34:35], v[36:37], v[34:35], v[38:39] neg_lo:[0,0,1] neg_hi:[0,0,1]
	v_mov_b32_e32 v35, v41
	s_delay_alu instid0(VALU_DEP_1)
	v_pk_add_f32 v[24:25], v[24:25], v[34:35]
	s_and_not1_b32 exec_lo, exec_lo, s0
	s_cbranch_execnz .LBB74_82
; %bb.83:
	s_or_b32 exec_lo, exec_lo, s0
.LBB74_84:
	s_delay_alu instid0(SALU_CYCLE_1) | instskip(SKIP_4) | instid1(VALU_DEP_1)
	s_or_b32 exec_lo, exec_lo, s6
	v_mov_b32_e32 v27, 0
	ds_load_b64 v[28:29], v27 offset:16
	s_wait_dscnt 0x0
	v_pk_mul_f32 v[34:35], v[24:25], v[28:29] op_sel:[1,1] op_sel_hi:[0,1]
	v_pk_fma_f32 v[36:37], v[24:25], v[28:29], v[34:35] op_sel_hi:[1,0,1]
	v_pk_fma_f32 v[24:25], v[24:25], v[28:29], v[34:35] neg_lo:[0,0,1] neg_hi:[0,0,1]
	s_delay_alu instid0(VALU_DEP_2)
	v_mov_b32_e32 v25, v37
	ds_store_b64 v31, v[24:25] offset:16
.LBB74_85:
	s_or_b32 exec_lo, exec_lo, s4
	ds_load_b64 v[24:25], v31 offset:8
	v_cmp_lt_u32_e64 s0, 1, v30
	s_wait_dscnt 0x0
	ds_store_b64 v23, v[24:25]
	s_wait_dscnt 0x0
	s_barrier_signal -1
	s_barrier_wait -1
	s_and_saveexec_b32 s4, s0
	s_cbranch_execz .LBB74_95
; %bb.86:
	s_and_not1_b32 vcc_lo, exec_lo, s5
	s_cbranch_vccnz .LBB74_88
; %bb.87:
	ds_load_b64 v[24:25], v26
	ds_load_b64 v[28:29], v23
	s_wait_dscnt 0x0
	v_pk_mul_f32 v[34:35], v[28:29], v[24:25] op_sel:[1,1] op_sel_hi:[0,1]
	s_delay_alu instid0(VALU_DEP_1) | instskip(SKIP_1) | instid1(VALU_DEP_2)
	v_pk_fma_f32 v[36:37], v[28:29], v[24:25], v[34:35] op_sel_hi:[1,0,1]
	v_pk_fma_f32 v[24:25], v[28:29], v[24:25], v[34:35] neg_lo:[0,0,1] neg_hi:[0,0,1]
	v_mov_b32_e32 v25, v37
	s_cbranch_execz .LBB74_89
	s_branch .LBB74_90
.LBB74_88:
                                        ; implicit-def: $vgpr24_vgpr25
.LBB74_89:
	ds_load_b64 v[24:25], v23
.LBB74_90:
	s_and_saveexec_b32 s6, s1
	s_cbranch_execz .LBB74_94
; %bb.91:
	s_movk_i32 s1, 0x58
	v_add_nc_u32_e32 v28, -2, v30
	v_mad_u32 v27, v33, s1, 0xd0
	s_movk_i32 s7, 0x70
	s_mov_b32 s1, 0
.LBB74_92:                              ; =>This Inner Loop Header: Depth=1
	s_delay_alu instid0(VALU_DEP_2)
	v_dual_mov_b32 v29, s7 :: v_dual_add_nc_u32 v28, -1, v28
	s_add_co_i32 s7, s7, 8
	ds_load_b64 v[34:35], v27
	ds_load_b64 v[36:37], v29
	v_add_nc_u32_e32 v27, 8, v27
	v_cmp_eq_u32_e32 vcc_lo, 0, v28
	s_or_b32 s1, vcc_lo, s1
	s_wait_dscnt 0x0
	v_pk_mul_f32 v[38:39], v[36:37], v[34:35] op_sel:[1,1] op_sel_hi:[0,1]
	s_delay_alu instid0(VALU_DEP_1) | instskip(SKIP_1) | instid1(VALU_DEP_2)
	v_pk_fma_f32 v[40:41], v[36:37], v[34:35], v[38:39] op_sel_hi:[1,0,1]
	v_pk_fma_f32 v[34:35], v[36:37], v[34:35], v[38:39] neg_lo:[0,0,1] neg_hi:[0,0,1]
	v_mov_b32_e32 v35, v41
	s_delay_alu instid0(VALU_DEP_1)
	v_pk_add_f32 v[24:25], v[24:25], v[34:35]
	s_and_not1_b32 exec_lo, exec_lo, s1
	s_cbranch_execnz .LBB74_92
; %bb.93:
	s_or_b32 exec_lo, exec_lo, s1
.LBB74_94:
	s_delay_alu instid0(SALU_CYCLE_1) | instskip(SKIP_4) | instid1(VALU_DEP_1)
	s_or_b32 exec_lo, exec_lo, s6
	v_mov_b32_e32 v27, 0
	ds_load_b64 v[28:29], v27 offset:8
	s_wait_dscnt 0x0
	v_pk_mul_f32 v[34:35], v[24:25], v[28:29] op_sel:[1,1] op_sel_hi:[0,1]
	v_pk_fma_f32 v[36:37], v[24:25], v[28:29], v[34:35] op_sel_hi:[1,0,1]
	v_pk_fma_f32 v[24:25], v[24:25], v[28:29], v[34:35] neg_lo:[0,0,1] neg_hi:[0,0,1]
	s_delay_alu instid0(VALU_DEP_2)
	v_mov_b32_e32 v25, v37
	ds_store_b64 v31, v[24:25] offset:8
.LBB74_95:
	s_or_b32 exec_lo, exec_lo, s4
	ds_load_b64 v[24:25], v31
	s_mov_b32 s4, 0
	s_mov_b32 s1, 0
	s_mov_b32 s6, exec_lo
                                        ; implicit-def: $vgpr34
                                        ; implicit-def: $vgpr35
	s_wait_dscnt 0x0
	ds_store_b64 v23, v[24:25]
	s_wait_dscnt 0x0
	s_barrier_signal -1
	s_barrier_wait -1
	v_cmpx_ne_u32_e32 0, v30
	s_cbranch_execz .LBB74_105
; %bb.96:
	s_and_not1_b32 vcc_lo, exec_lo, s5
	s_cbranch_vccnz .LBB74_98
; %bb.97:
	ds_load_b64 v[28:29], v26
	ds_load_b64 v[34:35], v23
	s_wait_dscnt 0x0
	v_dual_mul_f32 v24, v35, v29 :: v_dual_mul_f32 v25, v34, v29
	s_delay_alu instid0(VALU_DEP_1)
	v_dual_fma_f32 v24, v34, v28, -v24 :: v_dual_fmac_f32 v25, v35, v28
	s_and_not1_b32 vcc_lo, exec_lo, s1
	s_cbranch_vccz .LBB74_99
	s_branch .LBB74_100
.LBB74_98:
                                        ; implicit-def: $vgpr24
.LBB74_99:
	ds_load_b64 v[24:25], v23
.LBB74_100:
	s_and_saveexec_b32 s1, s0
	s_cbranch_execz .LBB74_104
; %bb.101:
	s_movk_i32 s0, 0x58
	v_add_nc_u32_e32 v28, -1, v30
	v_mad_u32 v27, v33, s0, 0xc8
	s_movk_i32 s7, 0x68
	s_mov_b32 s0, 0
.LBB74_102:                             ; =>This Inner Loop Header: Depth=1
	v_mov_b32_e32 v29, s7
	s_add_co_i32 s7, s7, 8
	ds_load_b64 v[34:35], v27
	ds_load_b64 v[36:37], v29
	v_dual_add_nc_u32 v28, -1, v28 :: v_dual_add_nc_u32 v27, 8, v27
	s_delay_alu instid0(VALU_DEP_1) | instskip(SKIP_3) | instid1(VALU_DEP_1)
	v_cmp_eq_u32_e32 vcc_lo, 0, v28
	s_or_b32 s0, vcc_lo, s0
	s_wait_dscnt 0x0
	v_dual_mul_f32 v29, v37, v35 :: v_dual_mul_f32 v33, v36, v35
	v_fma_f32 v29, v36, v34, -v29
	s_delay_alu instid0(VALU_DEP_1) | instskip(NEXT) | instid1(VALU_DEP_1)
	v_dual_fmac_f32 v33, v37, v34 :: v_dual_add_f32 v24, v24, v29
	v_add_f32_e32 v25, v25, v33
	s_and_not1_b32 exec_lo, exec_lo, s0
	s_cbranch_execnz .LBB74_102
; %bb.103:
	s_or_b32 exec_lo, exec_lo, s0
.LBB74_104:
	s_delay_alu instid0(SALU_CYCLE_1)
	s_or_b32 exec_lo, exec_lo, s1
	v_mov_b32_e32 v27, 0
	s_mov_b32 s1, exec_lo
	v_add_nc_u32_e32 v35, 4, v31
	ds_load_b64 v[28:29], v27
	s_wait_dscnt 0x0
	v_dual_mul_f32 v27, v25, v29 :: v_dual_mul_f32 v34, v24, v29
	s_delay_alu instid0(VALU_DEP_1)
	v_dual_fma_f32 v24, v24, v28, -v27 :: v_dual_fmac_f32 v34, v25, v28
	ds_store_b32 v31, v24
.LBB74_105:
	s_or_b32 exec_lo, exec_lo, s6
	s_delay_alu instid0(SALU_CYCLE_1)
	s_and_b32 vcc_lo, exec_lo, s4
	s_cbranch_vccz .LBB74_201
.LBB74_106:
	ds_load_b64 v[24:25], v31 offset:8
	v_cmp_eq_u32_e64 s0, 0, v30
	s_wait_dscnt 0x0
	ds_store_b64 v23, v[24:25]
	s_wait_dscnt 0x0
	s_barrier_signal -1
	s_barrier_wait -1
	s_and_saveexec_b32 s4, s0
	s_cbranch_execz .LBB74_112
; %bb.107:
	s_and_b32 vcc_lo, exec_lo, s5
	s_cbranch_vccz .LBB74_109
; %bb.108:
	ds_load_b64 v[24:25], v26
	ds_load_b64 v[28:29], v23
	s_wait_dscnt 0x0
	v_pk_mul_f32 v[34:35], v[28:29], v[24:25] op_sel:[1,1] op_sel_hi:[0,1]
	v_pk_mul_f32 v[36:37], v[28:29], v[24:25] op_sel_hi:[1,0]
	s_delay_alu instid0(VALU_DEP_2) | instskip(NEXT) | instid1(VALU_DEP_2)
	v_pk_fma_f32 v[24:25], v[28:29], v[24:25], v[34:35] op_sel_hi:[1,0,1]
	v_sub_f32_e32 v24, v36, v34
	s_cbranch_execz .LBB74_110
	s_branch .LBB74_111
.LBB74_109:
                                        ; implicit-def: $vgpr25
.LBB74_110:
	ds_load_b64 v[24:25], v23
.LBB74_111:
	s_wait_dscnt 0x0
	v_dual_mov_b32 v27, 0 :: v_dual_mov_b32 v34, v25
	v_mov_b32_e32 v35, v24
	ds_load_b64 v[28:29], v27 offset:8
	s_wait_dscnt 0x0
	v_pk_mul_f32 v[34:35], v[34:35], v[28:29] op_sel:[0,1]
	s_delay_alu instid0(VALU_DEP_1) | instskip(SKIP_1) | instid1(VALU_DEP_2)
	v_pk_fma_f32 v[36:37], v[24:25], v[28:29], v[34:35] op_sel_hi:[1,0,1]
	v_pk_fma_f32 v[24:25], v[24:25], v[28:29], v[34:35] neg_lo:[0,0,1] neg_hi:[0,0,1]
	v_mov_b32_e32 v25, v37
	ds_store_b64 v31, v[24:25] offset:8
.LBB74_112:
	s_or_b32 exec_lo, exec_lo, s4
	ds_load_b64 v[24:25], v31 offset:16
	v_cndmask_b32_e64 v27, 0, 1, s5
	s_mov_b32 s4, exec_lo
	s_wait_dscnt 0x0
	ds_store_b64 v23, v[24:25]
	s_wait_dscnt 0x0
	s_barrier_signal -1
	s_barrier_wait -1
	v_cmpx_gt_u32_e32 2, v30
	s_cbranch_execz .LBB74_120
; %bb.113:
	s_and_not1_b32 vcc_lo, exec_lo, s5
	s_cbranch_vccnz .LBB74_115
; %bb.114:
	ds_load_b64 v[24:25], v26
	ds_load_b64 v[28:29], v23
	s_wait_dscnt 0x0
	v_pk_mul_f32 v[34:35], v[28:29], v[24:25] op_sel:[1,1] op_sel_hi:[0,1]
	s_delay_alu instid0(VALU_DEP_1) | instskip(SKIP_1) | instid1(VALU_DEP_2)
	v_pk_fma_f32 v[36:37], v[28:29], v[24:25], v[34:35] op_sel_hi:[1,0,1]
	v_pk_fma_f32 v[24:25], v[28:29], v[24:25], v[34:35] neg_lo:[0,0,1] neg_hi:[0,0,1]
	v_mov_b32_e32 v25, v37
	s_cbranch_execz .LBB74_116
	s_branch .LBB74_117
.LBB74_115:
                                        ; implicit-def: $vgpr24_vgpr25
.LBB74_116:
	ds_load_b64 v[24:25], v23
.LBB74_117:
	s_and_saveexec_b32 s5, s0
	s_cbranch_execz .LBB74_119
; %bb.118:
	v_mov_b32_e32 v33, 0
	ds_load_b64 v[28:29], v31 offset:8
	ds_load_b64 v[34:35], v33 offset:104
	s_wait_dscnt 0x0
	v_pk_mul_f32 v[36:37], v[34:35], v[28:29] op_sel:[1,1] op_sel_hi:[0,1]
	s_delay_alu instid0(VALU_DEP_1) | instskip(SKIP_1) | instid1(VALU_DEP_2)
	v_pk_fma_f32 v[38:39], v[34:35], v[28:29], v[36:37] op_sel_hi:[1,0,1]
	v_pk_fma_f32 v[28:29], v[34:35], v[28:29], v[36:37] neg_lo:[0,0,1] neg_hi:[0,0,1]
	v_mov_b32_e32 v29, v39
	s_delay_alu instid0(VALU_DEP_1)
	v_pk_add_f32 v[24:25], v[24:25], v[28:29]
.LBB74_119:
	s_or_b32 exec_lo, exec_lo, s5
	v_mov_b32_e32 v28, 0
	ds_load_b64 v[28:29], v28 offset:16
	s_wait_dscnt 0x0
	v_pk_mul_f32 v[34:35], v[24:25], v[28:29] op_sel:[1,1] op_sel_hi:[0,1]
	s_delay_alu instid0(VALU_DEP_1) | instskip(SKIP_1) | instid1(VALU_DEP_2)
	v_pk_fma_f32 v[36:37], v[24:25], v[28:29], v[34:35] op_sel_hi:[1,0,1]
	v_pk_fma_f32 v[24:25], v[24:25], v[28:29], v[34:35] neg_lo:[0,0,1] neg_hi:[0,0,1]
	v_mov_b32_e32 v25, v37
	ds_store_b64 v31, v[24:25] offset:16
.LBB74_120:
	s_or_b32 exec_lo, exec_lo, s4
	ds_load_b64 v[24:25], v31 offset:24
	s_mov_b32 s4, exec_lo
	s_wait_dscnt 0x0
	ds_store_b64 v23, v[24:25]
	s_wait_dscnt 0x0
	s_barrier_signal -1
	s_barrier_wait -1
	v_cmpx_gt_u32_e32 3, v30
	s_cbranch_execz .LBB74_130
; %bb.121:
	v_cmp_ne_u32_e32 vcc_lo, 1, v27
	s_cbranch_vccnz .LBB74_123
; %bb.122:
	ds_load_b64 v[24:25], v26
	ds_load_b64 v[28:29], v23
	s_wait_dscnt 0x0
	v_pk_mul_f32 v[34:35], v[28:29], v[24:25] op_sel:[1,1] op_sel_hi:[0,1]
	s_delay_alu instid0(VALU_DEP_1) | instskip(SKIP_1) | instid1(VALU_DEP_2)
	v_pk_fma_f32 v[36:37], v[28:29], v[24:25], v[34:35] op_sel_hi:[1,0,1]
	v_pk_fma_f32 v[24:25], v[28:29], v[24:25], v[34:35] neg_lo:[0,0,1] neg_hi:[0,0,1]
	v_mov_b32_e32 v25, v37
	s_cbranch_execz .LBB74_124
	s_branch .LBB74_125
.LBB74_123:
                                        ; implicit-def: $vgpr24_vgpr25
.LBB74_124:
	ds_load_b64 v[24:25], v23
.LBB74_125:
	s_mov_b32 s5, exec_lo
	v_cmpx_ne_u32_e32 2, v30
	s_cbranch_execz .LBB74_129
; %bb.126:
	ds_load_b64 v[28:29], v26 offset:8
	ds_load_b64 v[34:35], v23 offset:8
	s_wait_dscnt 0x0
	v_pk_mul_f32 v[36:37], v[34:35], v[28:29] op_sel:[1,1] op_sel_hi:[0,1]
	s_delay_alu instid0(VALU_DEP_1) | instskip(SKIP_1) | instid1(VALU_DEP_2)
	v_pk_fma_f32 v[38:39], v[34:35], v[28:29], v[36:37] op_sel_hi:[1,0,1]
	v_pk_fma_f32 v[28:29], v[34:35], v[28:29], v[36:37] neg_lo:[0,0,1] neg_hi:[0,0,1]
	v_mov_b32_e32 v29, v39
	s_delay_alu instid0(VALU_DEP_1)
	v_pk_add_f32 v[24:25], v[24:25], v[28:29]
	s_and_saveexec_b32 s6, s0
	s_cbranch_execz .LBB74_128
; %bb.127:
	v_mov_b32_e32 v28, 0
	ds_load_b64 v[28:29], v28 offset:112
	ds_load_b64 v[34:35], v31 offset:16
	s_wait_dscnt 0x0
	v_pk_mul_f32 v[36:37], v[28:29], v[34:35] op_sel:[1,1] op_sel_hi:[0,1]
	s_delay_alu instid0(VALU_DEP_1) | instskip(SKIP_1) | instid1(VALU_DEP_2)
	v_pk_fma_f32 v[38:39], v[28:29], v[34:35], v[36:37] op_sel_hi:[1,0,1]
	v_pk_fma_f32 v[28:29], v[28:29], v[34:35], v[36:37] neg_lo:[0,0,1] neg_hi:[0,0,1]
	v_mov_b32_e32 v29, v39
	s_delay_alu instid0(VALU_DEP_1)
	v_pk_add_f32 v[24:25], v[24:25], v[28:29]
.LBB74_128:
	s_or_b32 exec_lo, exec_lo, s6
.LBB74_129:
	s_delay_alu instid0(SALU_CYCLE_1) | instskip(SKIP_4) | instid1(VALU_DEP_1)
	s_or_b32 exec_lo, exec_lo, s5
	v_mov_b32_e32 v28, 0
	ds_load_b64 v[28:29], v28 offset:24
	s_wait_dscnt 0x0
	v_pk_mul_f32 v[34:35], v[24:25], v[28:29] op_sel:[1,1] op_sel_hi:[0,1]
	v_pk_fma_f32 v[36:37], v[24:25], v[28:29], v[34:35] op_sel_hi:[1,0,1]
	v_pk_fma_f32 v[24:25], v[24:25], v[28:29], v[34:35] neg_lo:[0,0,1] neg_hi:[0,0,1]
	s_delay_alu instid0(VALU_DEP_2)
	v_mov_b32_e32 v25, v37
	ds_store_b64 v31, v[24:25] offset:24
.LBB74_130:
	s_or_b32 exec_lo, exec_lo, s4
	ds_load_b64 v[24:25], v31 offset:32
	s_mov_b32 s0, exec_lo
	s_wait_dscnt 0x0
	ds_store_b64 v23, v[24:25]
	s_wait_dscnt 0x0
	s_barrier_signal -1
	s_barrier_wait -1
	v_cmpx_gt_u32_e32 4, v30
	s_cbranch_execz .LBB74_140
; %bb.131:
	v_cmp_ne_u32_e32 vcc_lo, 1, v27
	s_cbranch_vccnz .LBB74_133
; %bb.132:
	ds_load_b64 v[24:25], v26
	ds_load_b64 v[28:29], v23
	s_wait_dscnt 0x0
	v_pk_mul_f32 v[34:35], v[28:29], v[24:25] op_sel:[1,1] op_sel_hi:[0,1]
	s_delay_alu instid0(VALU_DEP_1) | instskip(SKIP_1) | instid1(VALU_DEP_2)
	v_pk_fma_f32 v[36:37], v[28:29], v[24:25], v[34:35] op_sel_hi:[1,0,1]
	v_pk_fma_f32 v[24:25], v[28:29], v[24:25], v[34:35] neg_lo:[0,0,1] neg_hi:[0,0,1]
	v_mov_b32_e32 v25, v37
	s_cbranch_execz .LBB74_134
	s_branch .LBB74_135
.LBB74_133:
                                        ; implicit-def: $vgpr24_vgpr25
.LBB74_134:
	ds_load_b64 v[24:25], v23
.LBB74_135:
	s_mov_b32 s4, exec_lo
	v_cmpx_ne_u32_e32 3, v30
	s_cbranch_execz .LBB74_139
; %bb.136:
	v_dual_mov_b32 v33, v30 :: v_dual_add_nc_u32 v28, 0x68, v22
	v_add3_u32 v29, v32, v22, 0xc8
	s_mov_b32 s5, 0
.LBB74_137:                             ; =>This Inner Loop Header: Depth=1
	ds_load_b64 v[34:35], v29
	ds_load_b64 v[36:37], v28
	v_dual_add_nc_u32 v28, 8, v28 :: v_dual_add_nc_u32 v29, 8, v29
	s_wait_dscnt 0x0
	v_pk_mul_f32 v[38:39], v[36:37], v[34:35] op_sel:[1,1] op_sel_hi:[0,1]
	s_delay_alu instid0(VALU_DEP_1) | instskip(SKIP_2) | instid1(VALU_DEP_3)
	v_pk_fma_f32 v[40:41], v[36:37], v[34:35], v[38:39] op_sel_hi:[1,0,1]
	v_add_nc_u32_e32 v33, 1, v33
	v_pk_fma_f32 v[34:35], v[36:37], v[34:35], v[38:39] neg_lo:[0,0,1] neg_hi:[0,0,1]
	v_mov_b32_e32 v35, v41
	s_delay_alu instid0(VALU_DEP_3) | instskip(NEXT) | instid1(VALU_DEP_2)
	v_cmp_lt_u32_e32 vcc_lo, 2, v33
	v_pk_add_f32 v[24:25], v[24:25], v[34:35]
	s_or_b32 s5, vcc_lo, s5
	s_delay_alu instid0(SALU_CYCLE_1)
	s_and_not1_b32 exec_lo, exec_lo, s5
	s_cbranch_execnz .LBB74_137
; %bb.138:
	s_or_b32 exec_lo, exec_lo, s5
.LBB74_139:
	s_delay_alu instid0(SALU_CYCLE_1) | instskip(SKIP_4) | instid1(VALU_DEP_1)
	s_or_b32 exec_lo, exec_lo, s4
	v_mov_b32_e32 v28, 0
	ds_load_b64 v[28:29], v28 offset:32
	s_wait_dscnt 0x0
	v_pk_mul_f32 v[34:35], v[24:25], v[28:29] op_sel:[1,1] op_sel_hi:[0,1]
	v_pk_fma_f32 v[36:37], v[24:25], v[28:29], v[34:35] op_sel_hi:[1,0,1]
	v_pk_fma_f32 v[24:25], v[24:25], v[28:29], v[34:35] neg_lo:[0,0,1] neg_hi:[0,0,1]
	s_delay_alu instid0(VALU_DEP_2)
	v_mov_b32_e32 v25, v37
	ds_store_b64 v31, v[24:25] offset:32
.LBB74_140:
	s_or_b32 exec_lo, exec_lo, s0
	ds_load_b64 v[24:25], v31 offset:40
	s_mov_b32 s0, exec_lo
	s_wait_dscnt 0x0
	ds_store_b64 v23, v[24:25]
	s_wait_dscnt 0x0
	s_barrier_signal -1
	s_barrier_wait -1
	v_cmpx_gt_u32_e32 5, v30
	s_cbranch_execz .LBB74_150
; %bb.141:
	v_cmp_ne_u32_e32 vcc_lo, 1, v27
	s_cbranch_vccnz .LBB74_143
; %bb.142:
	ds_load_b64 v[24:25], v26
	ds_load_b64 v[28:29], v23
	s_wait_dscnt 0x0
	v_pk_mul_f32 v[34:35], v[28:29], v[24:25] op_sel:[1,1] op_sel_hi:[0,1]
	s_delay_alu instid0(VALU_DEP_1) | instskip(SKIP_1) | instid1(VALU_DEP_2)
	v_pk_fma_f32 v[36:37], v[28:29], v[24:25], v[34:35] op_sel_hi:[1,0,1]
	v_pk_fma_f32 v[24:25], v[28:29], v[24:25], v[34:35] neg_lo:[0,0,1] neg_hi:[0,0,1]
	v_mov_b32_e32 v25, v37
	s_cbranch_execz .LBB74_144
	s_branch .LBB74_145
.LBB74_143:
                                        ; implicit-def: $vgpr24_vgpr25
.LBB74_144:
	ds_load_b64 v[24:25], v23
.LBB74_145:
	s_mov_b32 s4, exec_lo
	v_cmpx_ne_u32_e32 4, v30
	s_cbranch_execz .LBB74_149
; %bb.146:
	v_dual_mov_b32 v33, v30 :: v_dual_add_nc_u32 v28, 0x68, v22
	v_add3_u32 v29, v32, v22, 0xc8
	s_mov_b32 s5, 0
.LBB74_147:                             ; =>This Inner Loop Header: Depth=1
	ds_load_b64 v[34:35], v29
	ds_load_b64 v[36:37], v28
	v_dual_add_nc_u32 v28, 8, v28 :: v_dual_add_nc_u32 v29, 8, v29
	s_wait_dscnt 0x0
	v_pk_mul_f32 v[38:39], v[36:37], v[34:35] op_sel:[1,1] op_sel_hi:[0,1]
	s_delay_alu instid0(VALU_DEP_1) | instskip(SKIP_2) | instid1(VALU_DEP_3)
	v_pk_fma_f32 v[40:41], v[36:37], v[34:35], v[38:39] op_sel_hi:[1,0,1]
	v_add_nc_u32_e32 v33, 1, v33
	v_pk_fma_f32 v[34:35], v[36:37], v[34:35], v[38:39] neg_lo:[0,0,1] neg_hi:[0,0,1]
	v_mov_b32_e32 v35, v41
	s_delay_alu instid0(VALU_DEP_3) | instskip(NEXT) | instid1(VALU_DEP_2)
	v_cmp_lt_u32_e32 vcc_lo, 3, v33
	v_pk_add_f32 v[24:25], v[24:25], v[34:35]
	s_or_b32 s5, vcc_lo, s5
	s_delay_alu instid0(SALU_CYCLE_1)
	s_and_not1_b32 exec_lo, exec_lo, s5
	s_cbranch_execnz .LBB74_147
; %bb.148:
	s_or_b32 exec_lo, exec_lo, s5
.LBB74_149:
	s_delay_alu instid0(SALU_CYCLE_1) | instskip(SKIP_4) | instid1(VALU_DEP_1)
	s_or_b32 exec_lo, exec_lo, s4
	v_mov_b32_e32 v28, 0
	ds_load_b64 v[28:29], v28 offset:40
	s_wait_dscnt 0x0
	v_pk_mul_f32 v[34:35], v[24:25], v[28:29] op_sel:[1,1] op_sel_hi:[0,1]
	v_pk_fma_f32 v[36:37], v[24:25], v[28:29], v[34:35] op_sel_hi:[1,0,1]
	v_pk_fma_f32 v[24:25], v[24:25], v[28:29], v[34:35] neg_lo:[0,0,1] neg_hi:[0,0,1]
	s_delay_alu instid0(VALU_DEP_2)
	v_mov_b32_e32 v25, v37
	ds_store_b64 v31, v[24:25] offset:40
.LBB74_150:
	s_or_b32 exec_lo, exec_lo, s0
	ds_load_b64 v[24:25], v31 offset:48
	s_mov_b32 s0, exec_lo
	s_wait_dscnt 0x0
	ds_store_b64 v23, v[24:25]
	s_wait_dscnt 0x0
	s_barrier_signal -1
	s_barrier_wait -1
	v_cmpx_gt_u32_e32 6, v30
	s_cbranch_execz .LBB74_160
; %bb.151:
	v_cmp_ne_u32_e32 vcc_lo, 1, v27
	s_cbranch_vccnz .LBB74_153
; %bb.152:
	ds_load_b64 v[24:25], v26
	ds_load_b64 v[28:29], v23
	s_wait_dscnt 0x0
	v_pk_mul_f32 v[34:35], v[28:29], v[24:25] op_sel:[1,1] op_sel_hi:[0,1]
	s_delay_alu instid0(VALU_DEP_1) | instskip(SKIP_1) | instid1(VALU_DEP_2)
	v_pk_fma_f32 v[36:37], v[28:29], v[24:25], v[34:35] op_sel_hi:[1,0,1]
	v_pk_fma_f32 v[24:25], v[28:29], v[24:25], v[34:35] neg_lo:[0,0,1] neg_hi:[0,0,1]
	v_mov_b32_e32 v25, v37
	s_cbranch_execz .LBB74_154
	s_branch .LBB74_155
.LBB74_153:
                                        ; implicit-def: $vgpr24_vgpr25
.LBB74_154:
	ds_load_b64 v[24:25], v23
.LBB74_155:
	s_mov_b32 s4, exec_lo
	v_cmpx_ne_u32_e32 5, v30
	s_cbranch_execz .LBB74_159
; %bb.156:
	v_dual_mov_b32 v33, v30 :: v_dual_add_nc_u32 v28, 0x68, v22
	v_add3_u32 v29, v32, v22, 0xc8
	s_mov_b32 s5, 0
.LBB74_157:                             ; =>This Inner Loop Header: Depth=1
	ds_load_b64 v[34:35], v29
	ds_load_b64 v[36:37], v28
	v_dual_add_nc_u32 v28, 8, v28 :: v_dual_add_nc_u32 v29, 8, v29
	s_wait_dscnt 0x0
	v_pk_mul_f32 v[38:39], v[36:37], v[34:35] op_sel:[1,1] op_sel_hi:[0,1]
	s_delay_alu instid0(VALU_DEP_1) | instskip(SKIP_2) | instid1(VALU_DEP_3)
	v_pk_fma_f32 v[40:41], v[36:37], v[34:35], v[38:39] op_sel_hi:[1,0,1]
	v_add_nc_u32_e32 v33, 1, v33
	v_pk_fma_f32 v[34:35], v[36:37], v[34:35], v[38:39] neg_lo:[0,0,1] neg_hi:[0,0,1]
	v_mov_b32_e32 v35, v41
	s_delay_alu instid0(VALU_DEP_3) | instskip(NEXT) | instid1(VALU_DEP_2)
	v_cmp_lt_u32_e32 vcc_lo, 4, v33
	v_pk_add_f32 v[24:25], v[24:25], v[34:35]
	s_or_b32 s5, vcc_lo, s5
	s_delay_alu instid0(SALU_CYCLE_1)
	s_and_not1_b32 exec_lo, exec_lo, s5
	s_cbranch_execnz .LBB74_157
; %bb.158:
	s_or_b32 exec_lo, exec_lo, s5
.LBB74_159:
	s_delay_alu instid0(SALU_CYCLE_1) | instskip(SKIP_4) | instid1(VALU_DEP_1)
	s_or_b32 exec_lo, exec_lo, s4
	v_mov_b32_e32 v28, 0
	ds_load_b64 v[28:29], v28 offset:48
	s_wait_dscnt 0x0
	v_pk_mul_f32 v[34:35], v[24:25], v[28:29] op_sel:[1,1] op_sel_hi:[0,1]
	v_pk_fma_f32 v[36:37], v[24:25], v[28:29], v[34:35] op_sel_hi:[1,0,1]
	v_pk_fma_f32 v[24:25], v[24:25], v[28:29], v[34:35] neg_lo:[0,0,1] neg_hi:[0,0,1]
	s_delay_alu instid0(VALU_DEP_2)
	v_mov_b32_e32 v25, v37
	ds_store_b64 v31, v[24:25] offset:48
.LBB74_160:
	s_or_b32 exec_lo, exec_lo, s0
	ds_load_b64 v[24:25], v31 offset:56
	s_mov_b32 s0, exec_lo
	s_wait_dscnt 0x0
	ds_store_b64 v23, v[24:25]
	s_wait_dscnt 0x0
	s_barrier_signal -1
	s_barrier_wait -1
	v_cmpx_gt_u32_e32 7, v30
	s_cbranch_execz .LBB74_170
; %bb.161:
	v_cmp_ne_u32_e32 vcc_lo, 1, v27
	s_cbranch_vccnz .LBB74_163
; %bb.162:
	ds_load_b64 v[24:25], v26
	ds_load_b64 v[28:29], v23
	s_wait_dscnt 0x0
	v_pk_mul_f32 v[34:35], v[28:29], v[24:25] op_sel:[1,1] op_sel_hi:[0,1]
	s_delay_alu instid0(VALU_DEP_1) | instskip(SKIP_1) | instid1(VALU_DEP_2)
	v_pk_fma_f32 v[36:37], v[28:29], v[24:25], v[34:35] op_sel_hi:[1,0,1]
	v_pk_fma_f32 v[24:25], v[28:29], v[24:25], v[34:35] neg_lo:[0,0,1] neg_hi:[0,0,1]
	v_mov_b32_e32 v25, v37
	s_cbranch_execz .LBB74_164
	s_branch .LBB74_165
.LBB74_163:
                                        ; implicit-def: $vgpr24_vgpr25
.LBB74_164:
	ds_load_b64 v[24:25], v23
.LBB74_165:
	s_mov_b32 s4, exec_lo
	v_cmpx_ne_u32_e32 6, v30
	s_cbranch_execz .LBB74_169
; %bb.166:
	v_dual_mov_b32 v33, v30 :: v_dual_add_nc_u32 v28, 0x68, v22
	v_add3_u32 v29, v32, v22, 0xc8
	s_mov_b32 s5, 0
.LBB74_167:                             ; =>This Inner Loop Header: Depth=1
	ds_load_b64 v[34:35], v29
	ds_load_b64 v[36:37], v28
	v_dual_add_nc_u32 v28, 8, v28 :: v_dual_add_nc_u32 v29, 8, v29
	s_wait_dscnt 0x0
	v_pk_mul_f32 v[38:39], v[36:37], v[34:35] op_sel:[1,1] op_sel_hi:[0,1]
	s_delay_alu instid0(VALU_DEP_1) | instskip(SKIP_2) | instid1(VALU_DEP_3)
	v_pk_fma_f32 v[40:41], v[36:37], v[34:35], v[38:39] op_sel_hi:[1,0,1]
	v_add_nc_u32_e32 v33, 1, v33
	v_pk_fma_f32 v[34:35], v[36:37], v[34:35], v[38:39] neg_lo:[0,0,1] neg_hi:[0,0,1]
	v_mov_b32_e32 v35, v41
	s_delay_alu instid0(VALU_DEP_3) | instskip(NEXT) | instid1(VALU_DEP_2)
	v_cmp_lt_u32_e32 vcc_lo, 5, v33
	v_pk_add_f32 v[24:25], v[24:25], v[34:35]
	s_or_b32 s5, vcc_lo, s5
	s_delay_alu instid0(SALU_CYCLE_1)
	s_and_not1_b32 exec_lo, exec_lo, s5
	s_cbranch_execnz .LBB74_167
; %bb.168:
	s_or_b32 exec_lo, exec_lo, s5
.LBB74_169:
	s_delay_alu instid0(SALU_CYCLE_1) | instskip(SKIP_4) | instid1(VALU_DEP_1)
	s_or_b32 exec_lo, exec_lo, s4
	v_mov_b32_e32 v28, 0
	ds_load_b64 v[28:29], v28 offset:56
	s_wait_dscnt 0x0
	v_pk_mul_f32 v[34:35], v[24:25], v[28:29] op_sel:[1,1] op_sel_hi:[0,1]
	v_pk_fma_f32 v[36:37], v[24:25], v[28:29], v[34:35] op_sel_hi:[1,0,1]
	v_pk_fma_f32 v[24:25], v[24:25], v[28:29], v[34:35] neg_lo:[0,0,1] neg_hi:[0,0,1]
	s_delay_alu instid0(VALU_DEP_2)
	v_mov_b32_e32 v25, v37
	ds_store_b64 v31, v[24:25] offset:56
.LBB74_170:
	s_or_b32 exec_lo, exec_lo, s0
	ds_load_b64 v[24:25], v31 offset:64
	s_mov_b32 s0, exec_lo
	s_wait_dscnt 0x0
	ds_store_b64 v23, v[24:25]
	s_wait_dscnt 0x0
	s_barrier_signal -1
	s_barrier_wait -1
	v_cmpx_gt_u32_e32 8, v30
	s_cbranch_execz .LBB74_180
; %bb.171:
	v_cmp_ne_u32_e32 vcc_lo, 1, v27
	s_cbranch_vccnz .LBB74_173
; %bb.172:
	ds_load_b64 v[24:25], v26
	ds_load_b64 v[28:29], v23
	s_wait_dscnt 0x0
	v_pk_mul_f32 v[34:35], v[28:29], v[24:25] op_sel:[1,1] op_sel_hi:[0,1]
	s_delay_alu instid0(VALU_DEP_1) | instskip(SKIP_1) | instid1(VALU_DEP_2)
	v_pk_fma_f32 v[36:37], v[28:29], v[24:25], v[34:35] op_sel_hi:[1,0,1]
	v_pk_fma_f32 v[24:25], v[28:29], v[24:25], v[34:35] neg_lo:[0,0,1] neg_hi:[0,0,1]
	v_mov_b32_e32 v25, v37
	s_cbranch_execz .LBB74_174
	s_branch .LBB74_175
.LBB74_173:
                                        ; implicit-def: $vgpr24_vgpr25
.LBB74_174:
	ds_load_b64 v[24:25], v23
.LBB74_175:
	s_mov_b32 s4, exec_lo
	v_cmpx_ne_u32_e32 7, v30
	s_cbranch_execz .LBB74_179
; %bb.176:
	v_dual_mov_b32 v33, v30 :: v_dual_add_nc_u32 v28, 0x68, v22
	v_add3_u32 v29, v32, v22, 0xc8
	s_mov_b32 s5, 0
.LBB74_177:                             ; =>This Inner Loop Header: Depth=1
	ds_load_b64 v[34:35], v29
	ds_load_b64 v[36:37], v28
	v_dual_add_nc_u32 v28, 8, v28 :: v_dual_add_nc_u32 v29, 8, v29
	s_wait_dscnt 0x0
	v_pk_mul_f32 v[38:39], v[36:37], v[34:35] op_sel:[1,1] op_sel_hi:[0,1]
	s_delay_alu instid0(VALU_DEP_1) | instskip(SKIP_2) | instid1(VALU_DEP_3)
	v_pk_fma_f32 v[40:41], v[36:37], v[34:35], v[38:39] op_sel_hi:[1,0,1]
	v_add_nc_u32_e32 v33, 1, v33
	v_pk_fma_f32 v[34:35], v[36:37], v[34:35], v[38:39] neg_lo:[0,0,1] neg_hi:[0,0,1]
	v_mov_b32_e32 v35, v41
	s_delay_alu instid0(VALU_DEP_3) | instskip(NEXT) | instid1(VALU_DEP_2)
	v_cmp_lt_u32_e32 vcc_lo, 6, v33
	v_pk_add_f32 v[24:25], v[24:25], v[34:35]
	s_or_b32 s5, vcc_lo, s5
	s_delay_alu instid0(SALU_CYCLE_1)
	s_and_not1_b32 exec_lo, exec_lo, s5
	s_cbranch_execnz .LBB74_177
; %bb.178:
	s_or_b32 exec_lo, exec_lo, s5
.LBB74_179:
	s_delay_alu instid0(SALU_CYCLE_1) | instskip(SKIP_4) | instid1(VALU_DEP_1)
	s_or_b32 exec_lo, exec_lo, s4
	v_mov_b32_e32 v28, 0
	ds_load_b64 v[28:29], v28 offset:64
	s_wait_dscnt 0x0
	v_pk_mul_f32 v[34:35], v[24:25], v[28:29] op_sel:[1,1] op_sel_hi:[0,1]
	v_pk_fma_f32 v[36:37], v[24:25], v[28:29], v[34:35] op_sel_hi:[1,0,1]
	v_pk_fma_f32 v[24:25], v[24:25], v[28:29], v[34:35] neg_lo:[0,0,1] neg_hi:[0,0,1]
	s_delay_alu instid0(VALU_DEP_2)
	v_mov_b32_e32 v25, v37
	ds_store_b64 v31, v[24:25] offset:64
.LBB74_180:
	s_or_b32 exec_lo, exec_lo, s0
	ds_load_b64 v[24:25], v31 offset:72
	v_cmp_gt_u32_e64 s0, 9, v30
	s_wait_dscnt 0x0
	ds_store_b64 v23, v[24:25]
	s_wait_dscnt 0x0
	s_barrier_signal -1
	s_barrier_wait -1
	s_and_saveexec_b32 s4, s0
	s_cbranch_execz .LBB74_190
; %bb.181:
	v_cmp_ne_u32_e32 vcc_lo, 1, v27
	s_cbranch_vccnz .LBB74_183
; %bb.182:
	ds_load_b64 v[24:25], v26
	ds_load_b64 v[28:29], v23
	s_wait_dscnt 0x0
	v_pk_mul_f32 v[34:35], v[28:29], v[24:25] op_sel:[1,1] op_sel_hi:[0,1]
	s_delay_alu instid0(VALU_DEP_1) | instskip(SKIP_1) | instid1(VALU_DEP_2)
	v_pk_fma_f32 v[36:37], v[28:29], v[24:25], v[34:35] op_sel_hi:[1,0,1]
	v_pk_fma_f32 v[24:25], v[28:29], v[24:25], v[34:35] neg_lo:[0,0,1] neg_hi:[0,0,1]
	v_mov_b32_e32 v25, v37
	s_cbranch_execz .LBB74_184
	s_branch .LBB74_185
.LBB74_183:
                                        ; implicit-def: $vgpr24_vgpr25
.LBB74_184:
	ds_load_b64 v[24:25], v23
.LBB74_185:
	s_mov_b32 s5, exec_lo
	v_cmpx_ne_u32_e32 8, v30
	s_cbranch_execz .LBB74_189
; %bb.186:
	v_dual_mov_b32 v33, v30 :: v_dual_add_nc_u32 v28, 0x68, v22
	v_add3_u32 v29, v32, v22, 0xc8
	s_mov_b32 s6, 0
.LBB74_187:                             ; =>This Inner Loop Header: Depth=1
	ds_load_b64 v[34:35], v29
	ds_load_b64 v[36:37], v28
	v_dual_add_nc_u32 v28, 8, v28 :: v_dual_add_nc_u32 v29, 8, v29
	s_wait_dscnt 0x0
	v_pk_mul_f32 v[38:39], v[36:37], v[34:35] op_sel:[1,1] op_sel_hi:[0,1]
	s_delay_alu instid0(VALU_DEP_1) | instskip(SKIP_2) | instid1(VALU_DEP_3)
	v_pk_fma_f32 v[40:41], v[36:37], v[34:35], v[38:39] op_sel_hi:[1,0,1]
	v_add_nc_u32_e32 v33, 1, v33
	v_pk_fma_f32 v[34:35], v[36:37], v[34:35], v[38:39] neg_lo:[0,0,1] neg_hi:[0,0,1]
	v_mov_b32_e32 v35, v41
	s_delay_alu instid0(VALU_DEP_3) | instskip(NEXT) | instid1(VALU_DEP_2)
	v_cmp_lt_u32_e32 vcc_lo, 7, v33
	v_pk_add_f32 v[24:25], v[24:25], v[34:35]
	s_or_b32 s6, vcc_lo, s6
	s_delay_alu instid0(SALU_CYCLE_1)
	s_and_not1_b32 exec_lo, exec_lo, s6
	s_cbranch_execnz .LBB74_187
; %bb.188:
	s_or_b32 exec_lo, exec_lo, s6
.LBB74_189:
	s_delay_alu instid0(SALU_CYCLE_1) | instskip(SKIP_4) | instid1(VALU_DEP_1)
	s_or_b32 exec_lo, exec_lo, s5
	v_mov_b32_e32 v28, 0
	ds_load_b64 v[28:29], v28 offset:72
	s_wait_dscnt 0x0
	v_pk_mul_f32 v[34:35], v[24:25], v[28:29] op_sel:[1,1] op_sel_hi:[0,1]
	v_pk_fma_f32 v[36:37], v[24:25], v[28:29], v[34:35] op_sel_hi:[1,0,1]
	v_pk_fma_f32 v[24:25], v[24:25], v[28:29], v[34:35] neg_lo:[0,0,1] neg_hi:[0,0,1]
	s_delay_alu instid0(VALU_DEP_2)
	v_mov_b32_e32 v25, v37
	ds_store_b64 v31, v[24:25] offset:72
.LBB74_190:
	s_or_b32 exec_lo, exec_lo, s4
	ds_load_b64 v[24:25], v31 offset:80
	s_mov_b32 s4, exec_lo
                                        ; implicit-def: $vgpr34
                                        ; implicit-def: $vgpr35
	s_wait_dscnt 0x0
	ds_store_b64 v23, v[24:25]
	s_wait_dscnt 0x0
	s_barrier_signal -1
	s_barrier_wait -1
	v_cmpx_ne_u32_e32 10, v30
	s_cbranch_execz .LBB74_200
; %bb.191:
	v_cmp_ne_u32_e32 vcc_lo, 1, v27
	s_cbranch_vccnz .LBB74_193
; %bb.192:
	ds_load_b64 v[26:27], v26
	ds_load_b64 v[28:29], v23
	s_wait_dscnt 0x0
	v_dual_mul_f32 v24, v29, v27 :: v_dual_mul_f32 v25, v28, v27
	s_delay_alu instid0(VALU_DEP_1)
	v_dual_fma_f32 v24, v28, v26, -v24 :: v_dual_fmac_f32 v25, v29, v26
	s_cbranch_execz .LBB74_194
	s_branch .LBB74_195
.LBB74_193:
                                        ; implicit-def: $vgpr25
.LBB74_194:
	ds_load_b64 v[24:25], v23
.LBB74_195:
	s_and_saveexec_b32 s5, s0
	s_cbranch_execz .LBB74_199
; %bb.196:
	v_add_nc_u32_e32 v23, 0x68, v22
	v_add3_u32 v22, v32, v22, 0xc8
	s_mov_b32 s0, 0
.LBB74_197:                             ; =>This Inner Loop Header: Depth=1
	ds_load_b64 v[26:27], v22
	ds_load_b64 v[28:29], v23
	v_dual_add_nc_u32 v30, 1, v30 :: v_dual_add_nc_u32 v23, 8, v23
	s_delay_alu instid0(VALU_DEP_1) | instskip(SKIP_3) | instid1(VALU_DEP_1)
	v_cmp_lt_u32_e32 vcc_lo, 8, v30
	s_or_b32 s0, vcc_lo, s0
	s_wait_dscnt 0x0
	v_dual_mul_f32 v32, v29, v27 :: v_dual_mul_f32 v27, v28, v27
	v_dual_fma_f32 v28, v28, v26, -v32 :: v_dual_fmac_f32 v27, v29, v26
	s_delay_alu instid0(VALU_DEP_1) | instskip(NEXT) | instid1(VALU_DEP_2)
	v_dual_add_nc_u32 v22, 8, v22 :: v_dual_add_f32 v24, v24, v28
	v_add_f32_e32 v25, v25, v27
	s_and_not1_b32 exec_lo, exec_lo, s0
	s_cbranch_execnz .LBB74_197
; %bb.198:
	s_or_b32 exec_lo, exec_lo, s0
.LBB74_199:
	s_delay_alu instid0(SALU_CYCLE_1)
	s_or_b32 exec_lo, exec_lo, s5
	v_mov_b32_e32 v22, 0
	s_or_b32 s1, s1, exec_lo
	ds_load_b64 v[22:23], v22 offset:80
	s_wait_dscnt 0x0
	v_dual_mul_f32 v26, v25, v23 :: v_dual_mul_f32 v34, v24, v23
	s_delay_alu instid0(VALU_DEP_1) | instskip(NEXT) | instid1(VALU_DEP_2)
	v_fma_f32 v23, v24, v22, -v26
	v_dual_fmac_f32 v34, v25, v22 :: v_dual_add_nc_u32 v35, 0x54, v31
	ds_store_b32 v31, v23 offset:80
.LBB74_200:
	s_or_b32 exec_lo, exec_lo, s4
.LBB74_201:
	v_lshl_add_u64 v[28:29], v[4:5], 3, s[2:3]
	v_lshl_add_u64 v[26:27], v[6:7], 3, s[2:3]
	;; [unrolled: 1-line block ×9, first 2 shown]
	s_and_saveexec_b32 s0, s1
; %bb.202:
	ds_store_b32 v35, v34
; %bb.203:
	s_or_b32 exec_lo, exec_lo, s0
	ds_load_b64 v[14:15], v31
	s_wait_dscnt 0x0
	flat_store_b64 v[0:1], v[14:15]
	s_wait_xcnt 0x0
	ds_load_b64 v[0:1], v31 offset:8
	s_wait_dscnt 0x0
	flat_store_b64 v[2:3], v[0:1]
	s_wait_xcnt 0x0
	ds_load_b64 v[0:1], v31 offset:16
	;; [unrolled: 4-line block ×10, first 2 shown]
	s_wait_dscnt 0x0
	flat_store_b64 v[4:5], v[0:1]
.LBB74_204:
	s_endpgm
	.section	.rodata,"a",@progbits
	.p2align	6, 0x0
	.amdhsa_kernel _ZN9rocsolver6v33100L18trti2_kernel_smallILi11E19rocblas_complex_numIfEPKPS3_EEv13rocblas_fill_17rocblas_diagonal_T1_iil
		.amdhsa_group_segment_fixed_size 5824
		.amdhsa_private_segment_fixed_size 0
		.amdhsa_kernarg_size 32
		.amdhsa_user_sgpr_count 4
		.amdhsa_user_sgpr_dispatch_ptr 1
		.amdhsa_user_sgpr_queue_ptr 0
		.amdhsa_user_sgpr_kernarg_segment_ptr 1
		.amdhsa_user_sgpr_dispatch_id 0
		.amdhsa_user_sgpr_kernarg_preload_length 0
		.amdhsa_user_sgpr_kernarg_preload_offset 0
		.amdhsa_user_sgpr_private_segment_size 0
		.amdhsa_wavefront_size32 1
		.amdhsa_uses_dynamic_stack 0
		.amdhsa_enable_private_segment 0
		.amdhsa_system_sgpr_workgroup_id_x 1
		.amdhsa_system_sgpr_workgroup_id_y 0
		.amdhsa_system_sgpr_workgroup_id_z 0
		.amdhsa_system_sgpr_workgroup_info 0
		.amdhsa_system_vgpr_workitem_id 2
		.amdhsa_next_free_vgpr 42
		.amdhsa_next_free_sgpr 12
		.amdhsa_named_barrier_count 0
		.amdhsa_reserve_vcc 1
		.amdhsa_float_round_mode_32 0
		.amdhsa_float_round_mode_16_64 0
		.amdhsa_float_denorm_mode_32 3
		.amdhsa_float_denorm_mode_16_64 3
		.amdhsa_fp16_overflow 0
		.amdhsa_memory_ordered 1
		.amdhsa_forward_progress 1
		.amdhsa_inst_pref_size 62
		.amdhsa_round_robin_scheduling 0
		.amdhsa_exception_fp_ieee_invalid_op 0
		.amdhsa_exception_fp_denorm_src 0
		.amdhsa_exception_fp_ieee_div_zero 0
		.amdhsa_exception_fp_ieee_overflow 0
		.amdhsa_exception_fp_ieee_underflow 0
		.amdhsa_exception_fp_ieee_inexact 0
		.amdhsa_exception_int_div_zero 0
	.end_amdhsa_kernel
	.section	.text._ZN9rocsolver6v33100L18trti2_kernel_smallILi11E19rocblas_complex_numIfEPKPS3_EEv13rocblas_fill_17rocblas_diagonal_T1_iil,"axG",@progbits,_ZN9rocsolver6v33100L18trti2_kernel_smallILi11E19rocblas_complex_numIfEPKPS3_EEv13rocblas_fill_17rocblas_diagonal_T1_iil,comdat
.Lfunc_end74:
	.size	_ZN9rocsolver6v33100L18trti2_kernel_smallILi11E19rocblas_complex_numIfEPKPS3_EEv13rocblas_fill_17rocblas_diagonal_T1_iil, .Lfunc_end74-_ZN9rocsolver6v33100L18trti2_kernel_smallILi11E19rocblas_complex_numIfEPKPS3_EEv13rocblas_fill_17rocblas_diagonal_T1_iil
                                        ; -- End function
	.set _ZN9rocsolver6v33100L18trti2_kernel_smallILi11E19rocblas_complex_numIfEPKPS3_EEv13rocblas_fill_17rocblas_diagonal_T1_iil.num_vgpr, 42
	.set _ZN9rocsolver6v33100L18trti2_kernel_smallILi11E19rocblas_complex_numIfEPKPS3_EEv13rocblas_fill_17rocblas_diagonal_T1_iil.num_agpr, 0
	.set _ZN9rocsolver6v33100L18trti2_kernel_smallILi11E19rocblas_complex_numIfEPKPS3_EEv13rocblas_fill_17rocblas_diagonal_T1_iil.numbered_sgpr, 12
	.set _ZN9rocsolver6v33100L18trti2_kernel_smallILi11E19rocblas_complex_numIfEPKPS3_EEv13rocblas_fill_17rocblas_diagonal_T1_iil.num_named_barrier, 0
	.set _ZN9rocsolver6v33100L18trti2_kernel_smallILi11E19rocblas_complex_numIfEPKPS3_EEv13rocblas_fill_17rocblas_diagonal_T1_iil.private_seg_size, 0
	.set _ZN9rocsolver6v33100L18trti2_kernel_smallILi11E19rocblas_complex_numIfEPKPS3_EEv13rocblas_fill_17rocblas_diagonal_T1_iil.uses_vcc, 1
	.set _ZN9rocsolver6v33100L18trti2_kernel_smallILi11E19rocblas_complex_numIfEPKPS3_EEv13rocblas_fill_17rocblas_diagonal_T1_iil.uses_flat_scratch, 0
	.set _ZN9rocsolver6v33100L18trti2_kernel_smallILi11E19rocblas_complex_numIfEPKPS3_EEv13rocblas_fill_17rocblas_diagonal_T1_iil.has_dyn_sized_stack, 0
	.set _ZN9rocsolver6v33100L18trti2_kernel_smallILi11E19rocblas_complex_numIfEPKPS3_EEv13rocblas_fill_17rocblas_diagonal_T1_iil.has_recursion, 0
	.set _ZN9rocsolver6v33100L18trti2_kernel_smallILi11E19rocblas_complex_numIfEPKPS3_EEv13rocblas_fill_17rocblas_diagonal_T1_iil.has_indirect_call, 0
	.section	.AMDGPU.csdata,"",@progbits
; Kernel info:
; codeLenInByte = 7844
; TotalNumSgprs: 14
; NumVgprs: 42
; ScratchSize: 0
; MemoryBound: 0
; FloatMode: 240
; IeeeMode: 1
; LDSByteSize: 5824 bytes/workgroup (compile time only)
; SGPRBlocks: 0
; VGPRBlocks: 2
; NumSGPRsForWavesPerEU: 14
; NumVGPRsForWavesPerEU: 42
; NamedBarCnt: 0
; Occupancy: 14
; WaveLimiterHint : 1
; COMPUTE_PGM_RSRC2:SCRATCH_EN: 0
; COMPUTE_PGM_RSRC2:USER_SGPR: 4
; COMPUTE_PGM_RSRC2:TRAP_HANDLER: 0
; COMPUTE_PGM_RSRC2:TGID_X_EN: 1
; COMPUTE_PGM_RSRC2:TGID_Y_EN: 0
; COMPUTE_PGM_RSRC2:TGID_Z_EN: 0
; COMPUTE_PGM_RSRC2:TIDIG_COMP_CNT: 2
	.section	.text._ZN9rocsolver6v33100L18trti2_kernel_smallILi12E19rocblas_complex_numIfEPKPS3_EEv13rocblas_fill_17rocblas_diagonal_T1_iil,"axG",@progbits,_ZN9rocsolver6v33100L18trti2_kernel_smallILi12E19rocblas_complex_numIfEPKPS3_EEv13rocblas_fill_17rocblas_diagonal_T1_iil,comdat
	.globl	_ZN9rocsolver6v33100L18trti2_kernel_smallILi12E19rocblas_complex_numIfEPKPS3_EEv13rocblas_fill_17rocblas_diagonal_T1_iil ; -- Begin function _ZN9rocsolver6v33100L18trti2_kernel_smallILi12E19rocblas_complex_numIfEPKPS3_EEv13rocblas_fill_17rocblas_diagonal_T1_iil
	.p2align	8
	.type	_ZN9rocsolver6v33100L18trti2_kernel_smallILi12E19rocblas_complex_numIfEPKPS3_EEv13rocblas_fill_17rocblas_diagonal_T1_iil,@function
_ZN9rocsolver6v33100L18trti2_kernel_smallILi12E19rocblas_complex_numIfEPKPS3_EEv13rocblas_fill_17rocblas_diagonal_T1_iil: ; @_ZN9rocsolver6v33100L18trti2_kernel_smallILi12E19rocblas_complex_numIfEPKPS3_EEv13rocblas_fill_17rocblas_diagonal_T1_iil
; %bb.0:
	v_and_b32_e32 v32, 0x3ff, v0
	s_mov_b32 s4, exec_lo
	s_delay_alu instid0(VALU_DEP_1)
	v_cmpx_gt_u32_e32 12, v32
	s_cbranch_execz .LBB75_224
; %bb.1:
	s_load_b64 s[8:9], s[0:1], 0x4
	s_clause 0x1
	s_load_b64 s[10:11], s[2:3], 0x10
	s_load_b128 s[4:7], s[2:3], 0x0
	s_wait_xcnt 0x0
	s_bfe_u32 s0, ttmp6, 0x4000c
	s_and_b32 s1, ttmp6, 15
	s_add_co_i32 s0, s0, 1
	s_getreg_b32 s2, hwreg(HW_REG_IB_STS2, 6, 4)
	s_mul_i32 s0, ttmp9, s0
	v_bfe_u32 v1, v0, 10, 10
	s_add_co_i32 s0, s1, s0
	v_bfe_u32 v0, v0, 20, 10
	v_dual_mov_b32 v25, 0 :: v_dual_lshlrev_b32 v24, 3, v32
	s_wait_kmcnt 0x0
	s_lshr_b32 s8, s8, 16
	s_ashr_i32 s1, s10, 31
	s_cmp_eq_u32 s2, 0
	s_mul_i32 s8, s8, s9
	s_cselect_b32 s2, ttmp9, s0
	s_mov_b32 s0, s10
	s_ashr_i32 s3, s2, 31
	s_lshl_b64 s[0:1], s[0:1], 3
	s_lshl_b64 s[2:3], s[2:3], 3
	v_mul_u32_u24_e32 v1, s9, v1
	s_add_nc_u64 s[2:3], s[6:7], s[2:3]
	v_mul_u32_u24_e32 v2, s8, v32
	s_load_b64 s[2:3], s[2:3], 0x0
	s_delay_alu instid0(VALU_DEP_1) | instskip(NEXT) | instid1(VALU_DEP_1)
	v_add3_u32 v35, v2, v1, v0
	v_mul_lo_u32 v33, 0x60, v35
	s_delay_alu instid0(VALU_DEP_1)
	v_add_nc_u32_e32 v34, 0xc0, v33
	s_wait_kmcnt 0x0
	s_add_nc_u64 s[6:7], s[2:3], s[0:1]
	s_mov_b32 s0, s11
	flat_load_b64 v[4:5], v32, s[6:7] scale_offset
	v_add_nc_u64_e32 v[0:1], s[6:7], v[24:25]
	s_ashr_i32 s1, s11, 31
	s_cmp_lg_u32 s5, 0x84
	s_cselect_b32 s3, -1, 0
	s_delay_alu instid0(SALU_CYCLE_1) | instskip(NEXT) | instid1(VALU_DEP_1)
	s_and_b32 vcc_lo, exec_lo, s3
	v_lshl_add_u64 v[2:3], s[0:1], 3, v[0:1]
	s_mov_b32 s0, -1
	s_wait_loadcnt_dscnt 0x0
	ds_store_b64 v33, v[4:5] offset:192
	flat_load_b64 v[6:7], v[2:3]
	v_add3_u32 v4, s11, s11, v32
	s_wait_loadcnt_dscnt 0x0
	ds_store_b64 v33, v[6:7] offset:200
	flat_load_b64 v[8:9], v4, s[6:7] scale_offset
	v_add_nc_u32_e32 v6, s11, v4
	s_wait_loadcnt_dscnt 0x0
	ds_store_b64 v33, v[8:9] offset:208
	flat_load_b64 v[10:11], v6, s[6:7] scale_offset
	v_add_nc_u32_e32 v8, s11, v6
	;; [unrolled: 4-line block ×9, first 2 shown]
	s_wait_loadcnt_dscnt 0x0
	ds_store_b64 v33, v[26:27] offset:272
	flat_load_b64 v[26:27], v22, s[6:7] scale_offset
	s_wait_loadcnt_dscnt 0x0
	ds_store_b64 v33, v[26:27] offset:280
	s_cbranch_vccz .LBB75_7
; %bb.2:
	v_lshl_add_u32 v5, v32, 3, v34
                                        ; implicit-def: $vgpr31
                                        ; implicit-def: $vgpr28
	ds_load_b64 v[26:27], v5
	s_wait_dscnt 0x0
	v_cmp_ngt_f32_e64 s0, |v26|, |v27|
	s_and_saveexec_b32 s1, s0
	s_delay_alu instid0(SALU_CYCLE_1)
	s_xor_b32 s0, exec_lo, s1
	s_cbranch_execz .LBB75_4
; %bb.3:
	v_div_scale_f32 v7, null, v27, v27, v26
	v_div_scale_f32 v13, vcc_lo, v26, v27, v26
	s_delay_alu instid0(VALU_DEP_2) | instskip(SKIP_1) | instid1(TRANS32_DEP_1)
	v_rcp_f32_e32 v9, v7
	v_nop
	v_fma_f32 v11, -v7, v9, 1.0
	s_delay_alu instid0(VALU_DEP_1) | instskip(NEXT) | instid1(VALU_DEP_1)
	v_fmac_f32_e32 v9, v11, v9
	v_mul_f32_e32 v11, v13, v9
	s_delay_alu instid0(VALU_DEP_1) | instskip(NEXT) | instid1(VALU_DEP_1)
	v_fma_f32 v15, -v7, v11, v13
	v_fmac_f32_e32 v11, v15, v9
	s_delay_alu instid0(VALU_DEP_1) | instskip(NEXT) | instid1(VALU_DEP_1)
	v_fma_f32 v7, -v7, v11, v13
	v_div_fmas_f32 v7, v7, v9, v11
	s_delay_alu instid0(VALU_DEP_1) | instskip(NEXT) | instid1(VALU_DEP_1)
	v_div_fixup_f32 v7, v7, v27, v26
	v_fmac_f32_e32 v27, v26, v7
	s_delay_alu instid0(VALU_DEP_1) | instskip(NEXT) | instid1(VALU_DEP_1)
	v_div_scale_f32 v9, null, v27, v27, -1.0
	v_rcp_f32_e32 v11, v9
	v_nop
	s_delay_alu instid0(TRANS32_DEP_1) | instskip(NEXT) | instid1(VALU_DEP_1)
	v_fma_f32 v13, -v9, v11, 1.0
	v_fmac_f32_e32 v11, v13, v11
	v_div_scale_f32 v13, vcc_lo, -1.0, v27, -1.0
	s_delay_alu instid0(VALU_DEP_1) | instskip(NEXT) | instid1(VALU_DEP_1)
	v_mul_f32_e32 v15, v13, v11
	v_fma_f32 v17, -v9, v15, v13
	s_delay_alu instid0(VALU_DEP_1) | instskip(NEXT) | instid1(VALU_DEP_1)
	v_fmac_f32_e32 v15, v17, v11
	v_fma_f32 v9, -v9, v15, v13
	s_delay_alu instid0(VALU_DEP_1) | instskip(NEXT) | instid1(VALU_DEP_1)
	v_div_fmas_f32 v9, v9, v11, v15
	v_div_fixup_f32 v31, v9, v27, -1.0
                                        ; implicit-def: $vgpr26_vgpr27
	s_delay_alu instid0(VALU_DEP_1) | instskip(NEXT) | instid1(VALU_DEP_1)
	v_mul_f32_e32 v28, v7, v31
	v_xor_b32_e32 v30, 0x80000000, v28
.LBB75_4:
	s_and_not1_saveexec_b32 s0, s0
	s_cbranch_execz .LBB75_6
; %bb.5:
	v_div_scale_f32 v7, null, v26, v26, v27
	v_div_scale_f32 v13, vcc_lo, v27, v26, v27
	s_delay_alu instid0(VALU_DEP_2) | instskip(SKIP_1) | instid1(TRANS32_DEP_1)
	v_rcp_f32_e32 v9, v7
	v_nop
	v_fma_f32 v11, -v7, v9, 1.0
	s_delay_alu instid0(VALU_DEP_1) | instskip(NEXT) | instid1(VALU_DEP_1)
	v_fmac_f32_e32 v9, v11, v9
	v_mul_f32_e32 v11, v13, v9
	s_delay_alu instid0(VALU_DEP_1) | instskip(NEXT) | instid1(VALU_DEP_1)
	v_fma_f32 v15, -v7, v11, v13
	v_fmac_f32_e32 v11, v15, v9
	s_delay_alu instid0(VALU_DEP_1) | instskip(NEXT) | instid1(VALU_DEP_1)
	v_fma_f32 v7, -v7, v11, v13
	v_div_fmas_f32 v7, v7, v9, v11
	s_delay_alu instid0(VALU_DEP_1) | instskip(NEXT) | instid1(VALU_DEP_1)
	v_div_fixup_f32 v7, v7, v26, v27
	v_fmac_f32_e32 v26, v27, v7
	s_delay_alu instid0(VALU_DEP_1) | instskip(SKIP_1) | instid1(VALU_DEP_2)
	v_div_scale_f32 v9, null, v26, v26, 1.0
	v_div_scale_f32 v15, vcc_lo, 1.0, v26, 1.0
	v_rcp_f32_e32 v11, v9
	v_nop
	s_delay_alu instid0(TRANS32_DEP_1) | instskip(NEXT) | instid1(VALU_DEP_1)
	v_fma_f32 v13, -v9, v11, 1.0
	v_fmac_f32_e32 v11, v13, v11
	s_delay_alu instid0(VALU_DEP_1) | instskip(NEXT) | instid1(VALU_DEP_1)
	v_mul_f32_e32 v13, v15, v11
	v_fma_f32 v17, -v9, v13, v15
	s_delay_alu instid0(VALU_DEP_1) | instskip(NEXT) | instid1(VALU_DEP_1)
	v_fmac_f32_e32 v13, v17, v11
	v_fma_f32 v9, -v9, v13, v15
	s_delay_alu instid0(VALU_DEP_1) | instskip(NEXT) | instid1(VALU_DEP_1)
	v_div_fmas_f32 v9, v9, v11, v13
	v_div_fixup_f32 v30, v9, v26, 1.0
	s_delay_alu instid0(VALU_DEP_1)
	v_xor_b32_e32 v28, 0x80000000, v30
	v_mul_f32_e64 v31, v7, -v30
.LBB75_6:
	s_or_b32 exec_lo, exec_lo, s0
	s_delay_alu instid0(VALU_DEP_1)
	v_xor_b32_e32 v29, 0x80000000, v31
	s_mov_b32 s0, 0
	ds_store_b64 v5, v[30:31]
	ds_store_b64 v24, v[28:29]
.LBB75_7:
	s_and_b32 vcc_lo, exec_lo, s0
	s_cbranch_vccz .LBB75_9
; %bb.8:
	s_mov_b64 s[0:1], 0xbf800000
	s_delay_alu instid0(SALU_CYCLE_1)
	v_mov_b64_e32 v[26:27], s[0:1]
	ds_store_b64 v24, v[26:27]
.LBB75_9:
	v_dual_ashrrev_i32 v5, 31, v4 :: v_dual_ashrrev_i32 v7, 31, v6
	v_dual_ashrrev_i32 v9, 31, v8 :: v_dual_ashrrev_i32 v11, 31, v10
	;; [unrolled: 1-line block ×5, first 2 shown]
	v_add_nc_u32_e32 v25, 0x60, v24
	v_add_nc_u32_e32 v28, v34, v24
	s_cmp_eq_u32 s4, 0x79
	s_cbranch_scc1 .LBB75_13
; %bb.10:
	ds_load_b64 v[26:27], v34 offset:80
	v_cmp_eq_u32_e64 s0, 11, v32
	s_wait_dscnt 0x0
	ds_store_b64 v25, v[26:27]
	s_wait_dscnt 0x0
	s_barrier_signal -1
	s_barrier_wait -1
	s_and_saveexec_b32 s1, s0
	s_cbranch_execz .LBB75_17
; %bb.11:
	s_and_b32 vcc_lo, exec_lo, s3
	s_cbranch_vccz .LBB75_14
; %bb.12:
	ds_load_b64 v[26:27], v28
	ds_load_b64 v[30:31], v25
	s_wait_dscnt 0x0
	v_pk_mul_f32 v[36:37], v[30:31], v[26:27] op_sel:[1,1] op_sel_hi:[0,1]
	v_pk_mul_f32 v[38:39], v[30:31], v[26:27] op_sel_hi:[1,0]
	s_delay_alu instid0(VALU_DEP_2) | instskip(NEXT) | instid1(VALU_DEP_2)
	v_pk_fma_f32 v[26:27], v[30:31], v[26:27], v[36:37] op_sel_hi:[1,0,1]
	v_sub_f32_e32 v26, v38, v36
	s_cbranch_execz .LBB75_15
	s_branch .LBB75_16
.LBB75_13:
	s_mov_b32 s1, 0
                                        ; implicit-def: $vgpr36
                                        ; implicit-def: $vgpr37
	s_cbranch_execnz .LBB75_116
	s_branch .LBB75_221
.LBB75_14:
                                        ; implicit-def: $vgpr27
.LBB75_15:
	ds_load_b64 v[26:27], v25
.LBB75_16:
	s_wait_dscnt 0x0
	v_dual_mov_b32 v29, 0 :: v_dual_mov_b32 v36, v27
	v_mov_b32_e32 v37, v26
	ds_load_b64 v[30:31], v29 offset:80
	s_wait_dscnt 0x0
	v_pk_mul_f32 v[36:37], v[36:37], v[30:31] op_sel:[0,1]
	s_delay_alu instid0(VALU_DEP_1) | instskip(SKIP_1) | instid1(VALU_DEP_2)
	v_pk_fma_f32 v[38:39], v[26:27], v[30:31], v[36:37] op_sel_hi:[1,0,1]
	v_pk_fma_f32 v[26:27], v[26:27], v[30:31], v[36:37] neg_lo:[0,0,1] neg_hi:[0,0,1]
	v_mov_b32_e32 v27, v39
	ds_store_b64 v34, v[26:27] offset:80
.LBB75_17:
	s_or_b32 exec_lo, exec_lo, s1
	ds_load_b64 v[26:27], v34 offset:72
	v_cmp_lt_u32_e64 s1, 9, v32
	s_wait_dscnt 0x0
	ds_store_b64 v25, v[26:27]
	s_wait_dscnt 0x0
	s_barrier_signal -1
	s_barrier_wait -1
	s_and_saveexec_b32 s2, s1
	s_cbranch_execz .LBB75_25
; %bb.18:
	s_and_not1_b32 vcc_lo, exec_lo, s3
	s_cbranch_vccnz .LBB75_20
; %bb.19:
	ds_load_b64 v[26:27], v28
	ds_load_b64 v[30:31], v25
	s_wait_dscnt 0x0
	v_pk_mul_f32 v[36:37], v[30:31], v[26:27] op_sel:[1,1] op_sel_hi:[0,1]
	s_delay_alu instid0(VALU_DEP_1) | instskip(SKIP_1) | instid1(VALU_DEP_2)
	v_pk_fma_f32 v[38:39], v[30:31], v[26:27], v[36:37] op_sel_hi:[1,0,1]
	v_pk_fma_f32 v[26:27], v[30:31], v[26:27], v[36:37] neg_lo:[0,0,1] neg_hi:[0,0,1]
	v_mov_b32_e32 v27, v39
	s_cbranch_execz .LBB75_21
	s_branch .LBB75_22
.LBB75_20:
                                        ; implicit-def: $vgpr26_vgpr27
.LBB75_21:
	ds_load_b64 v[26:27], v25
.LBB75_22:
	s_and_saveexec_b32 s4, s0
	s_cbranch_execz .LBB75_24
; %bb.23:
	v_mov_b32_e32 v29, 0
	ds_load_b64 v[30:31], v34 offset:80
	ds_load_b64 v[36:37], v29 offset:176
	s_wait_dscnt 0x0
	v_pk_mul_f32 v[38:39], v[36:37], v[30:31] op_sel:[1,1] op_sel_hi:[0,1]
	s_delay_alu instid0(VALU_DEP_1) | instskip(SKIP_1) | instid1(VALU_DEP_2)
	v_pk_fma_f32 v[40:41], v[36:37], v[30:31], v[38:39] op_sel_hi:[1,0,1]
	v_pk_fma_f32 v[30:31], v[36:37], v[30:31], v[38:39] neg_lo:[0,0,1] neg_hi:[0,0,1]
	v_mov_b32_e32 v31, v41
	s_delay_alu instid0(VALU_DEP_1)
	v_pk_add_f32 v[26:27], v[26:27], v[30:31]
.LBB75_24:
	s_or_b32 exec_lo, exec_lo, s4
	v_mov_b32_e32 v29, 0
	ds_load_b64 v[30:31], v29 offset:72
	s_wait_dscnt 0x0
	v_pk_mul_f32 v[36:37], v[26:27], v[30:31] op_sel:[1,1] op_sel_hi:[0,1]
	s_delay_alu instid0(VALU_DEP_1) | instskip(SKIP_1) | instid1(VALU_DEP_2)
	v_pk_fma_f32 v[38:39], v[26:27], v[30:31], v[36:37] op_sel_hi:[1,0,1]
	v_pk_fma_f32 v[26:27], v[26:27], v[30:31], v[36:37] neg_lo:[0,0,1] neg_hi:[0,0,1]
	v_mov_b32_e32 v27, v39
	ds_store_b64 v34, v[26:27] offset:72
.LBB75_25:
	s_or_b32 exec_lo, exec_lo, s2
	ds_load_b64 v[26:27], v34 offset:64
	v_cmp_lt_u32_e64 s0, 8, v32
	s_wait_dscnt 0x0
	ds_store_b64 v25, v[26:27]
	s_wait_dscnt 0x0
	s_barrier_signal -1
	s_barrier_wait -1
	s_and_saveexec_b32 s2, s0
	s_cbranch_execz .LBB75_35
; %bb.26:
	s_and_not1_b32 vcc_lo, exec_lo, s3
	s_cbranch_vccnz .LBB75_28
; %bb.27:
	ds_load_b64 v[26:27], v28
	ds_load_b64 v[30:31], v25
	s_wait_dscnt 0x0
	v_pk_mul_f32 v[36:37], v[30:31], v[26:27] op_sel:[1,1] op_sel_hi:[0,1]
	s_delay_alu instid0(VALU_DEP_1) | instskip(SKIP_1) | instid1(VALU_DEP_2)
	v_pk_fma_f32 v[38:39], v[30:31], v[26:27], v[36:37] op_sel_hi:[1,0,1]
	v_pk_fma_f32 v[26:27], v[30:31], v[26:27], v[36:37] neg_lo:[0,0,1] neg_hi:[0,0,1]
	v_mov_b32_e32 v27, v39
	s_cbranch_execz .LBB75_29
	s_branch .LBB75_30
.LBB75_28:
                                        ; implicit-def: $vgpr26_vgpr27
.LBB75_29:
	ds_load_b64 v[26:27], v25
.LBB75_30:
	s_and_saveexec_b32 s4, s1
	s_cbranch_execz .LBB75_34
; %bb.31:
	s_movk_i32 s1, 0x60
	v_add_nc_u32_e32 v30, -9, v32
	v_mad_u32 v29, v35, s1, 0x108
	s_movk_i32 s5, 0xa8
	s_mov_b32 s1, 0
.LBB75_32:                              ; =>This Inner Loop Header: Depth=1
	s_delay_alu instid0(VALU_DEP_2)
	v_dual_mov_b32 v31, s5 :: v_dual_add_nc_u32 v30, -1, v30
	s_add_co_i32 s5, s5, 8
	ds_load_b64 v[36:37], v29
	ds_load_b64 v[38:39], v31
	v_add_nc_u32_e32 v29, 8, v29
	v_cmp_eq_u32_e32 vcc_lo, 0, v30
	s_or_b32 s1, vcc_lo, s1
	s_wait_dscnt 0x0
	v_pk_mul_f32 v[40:41], v[38:39], v[36:37] op_sel:[1,1] op_sel_hi:[0,1]
	s_delay_alu instid0(VALU_DEP_1) | instskip(SKIP_1) | instid1(VALU_DEP_2)
	v_pk_fma_f32 v[42:43], v[38:39], v[36:37], v[40:41] op_sel_hi:[1,0,1]
	v_pk_fma_f32 v[36:37], v[38:39], v[36:37], v[40:41] neg_lo:[0,0,1] neg_hi:[0,0,1]
	v_mov_b32_e32 v37, v43
	s_delay_alu instid0(VALU_DEP_1)
	v_pk_add_f32 v[26:27], v[26:27], v[36:37]
	s_and_not1_b32 exec_lo, exec_lo, s1
	s_cbranch_execnz .LBB75_32
; %bb.33:
	s_or_b32 exec_lo, exec_lo, s1
.LBB75_34:
	s_delay_alu instid0(SALU_CYCLE_1) | instskip(SKIP_4) | instid1(VALU_DEP_1)
	s_or_b32 exec_lo, exec_lo, s4
	v_mov_b32_e32 v29, 0
	ds_load_b64 v[30:31], v29 offset:64
	s_wait_dscnt 0x0
	v_pk_mul_f32 v[36:37], v[26:27], v[30:31] op_sel:[1,1] op_sel_hi:[0,1]
	v_pk_fma_f32 v[38:39], v[26:27], v[30:31], v[36:37] op_sel_hi:[1,0,1]
	v_pk_fma_f32 v[26:27], v[26:27], v[30:31], v[36:37] neg_lo:[0,0,1] neg_hi:[0,0,1]
	s_delay_alu instid0(VALU_DEP_2)
	v_mov_b32_e32 v27, v39
	ds_store_b64 v34, v[26:27] offset:64
.LBB75_35:
	s_or_b32 exec_lo, exec_lo, s2
	ds_load_b64 v[26:27], v34 offset:56
	v_cmp_lt_u32_e64 s1, 7, v32
	s_wait_dscnt 0x0
	ds_store_b64 v25, v[26:27]
	s_wait_dscnt 0x0
	s_barrier_signal -1
	s_barrier_wait -1
	s_and_saveexec_b32 s2, s1
	s_cbranch_execz .LBB75_45
; %bb.36:
	s_and_not1_b32 vcc_lo, exec_lo, s3
	s_cbranch_vccnz .LBB75_38
; %bb.37:
	ds_load_b64 v[26:27], v28
	ds_load_b64 v[30:31], v25
	s_wait_dscnt 0x0
	v_pk_mul_f32 v[36:37], v[30:31], v[26:27] op_sel:[1,1] op_sel_hi:[0,1]
	s_delay_alu instid0(VALU_DEP_1) | instskip(SKIP_1) | instid1(VALU_DEP_2)
	v_pk_fma_f32 v[38:39], v[30:31], v[26:27], v[36:37] op_sel_hi:[1,0,1]
	v_pk_fma_f32 v[26:27], v[30:31], v[26:27], v[36:37] neg_lo:[0,0,1] neg_hi:[0,0,1]
	v_mov_b32_e32 v27, v39
	s_cbranch_execz .LBB75_39
	s_branch .LBB75_40
.LBB75_38:
                                        ; implicit-def: $vgpr26_vgpr27
.LBB75_39:
	ds_load_b64 v[26:27], v25
.LBB75_40:
	s_and_saveexec_b32 s4, s0
	s_cbranch_execz .LBB75_44
; %bb.41:
	s_movk_i32 s0, 0x60
	v_add_nc_u32_e32 v30, -8, v32
	v_mad_u32 v29, v35, s0, 0x100
	s_movk_i32 s5, 0xa0
	s_mov_b32 s0, 0
.LBB75_42:                              ; =>This Inner Loop Header: Depth=1
	s_delay_alu instid0(VALU_DEP_2)
	v_dual_mov_b32 v31, s5 :: v_dual_add_nc_u32 v30, -1, v30
	s_add_co_i32 s5, s5, 8
	ds_load_b64 v[36:37], v29
	ds_load_b64 v[38:39], v31
	v_add_nc_u32_e32 v29, 8, v29
	v_cmp_eq_u32_e32 vcc_lo, 0, v30
	s_or_b32 s0, vcc_lo, s0
	s_wait_dscnt 0x0
	v_pk_mul_f32 v[40:41], v[38:39], v[36:37] op_sel:[1,1] op_sel_hi:[0,1]
	s_delay_alu instid0(VALU_DEP_1) | instskip(SKIP_1) | instid1(VALU_DEP_2)
	v_pk_fma_f32 v[42:43], v[38:39], v[36:37], v[40:41] op_sel_hi:[1,0,1]
	v_pk_fma_f32 v[36:37], v[38:39], v[36:37], v[40:41] neg_lo:[0,0,1] neg_hi:[0,0,1]
	v_mov_b32_e32 v37, v43
	s_delay_alu instid0(VALU_DEP_1)
	v_pk_add_f32 v[26:27], v[26:27], v[36:37]
	s_and_not1_b32 exec_lo, exec_lo, s0
	s_cbranch_execnz .LBB75_42
; %bb.43:
	s_or_b32 exec_lo, exec_lo, s0
.LBB75_44:
	s_delay_alu instid0(SALU_CYCLE_1) | instskip(SKIP_4) | instid1(VALU_DEP_1)
	s_or_b32 exec_lo, exec_lo, s4
	v_mov_b32_e32 v29, 0
	ds_load_b64 v[30:31], v29 offset:56
	s_wait_dscnt 0x0
	v_pk_mul_f32 v[36:37], v[26:27], v[30:31] op_sel:[1,1] op_sel_hi:[0,1]
	v_pk_fma_f32 v[38:39], v[26:27], v[30:31], v[36:37] op_sel_hi:[1,0,1]
	v_pk_fma_f32 v[26:27], v[26:27], v[30:31], v[36:37] neg_lo:[0,0,1] neg_hi:[0,0,1]
	s_delay_alu instid0(VALU_DEP_2)
	v_mov_b32_e32 v27, v39
	ds_store_b64 v34, v[26:27] offset:56
.LBB75_45:
	s_or_b32 exec_lo, exec_lo, s2
	ds_load_b64 v[26:27], v34 offset:48
	v_cmp_lt_u32_e64 s0, 6, v32
	s_wait_dscnt 0x0
	ds_store_b64 v25, v[26:27]
	s_wait_dscnt 0x0
	s_barrier_signal -1
	s_barrier_wait -1
	s_and_saveexec_b32 s2, s0
	s_cbranch_execz .LBB75_55
; %bb.46:
	s_and_not1_b32 vcc_lo, exec_lo, s3
	s_cbranch_vccnz .LBB75_48
; %bb.47:
	ds_load_b64 v[26:27], v28
	ds_load_b64 v[30:31], v25
	s_wait_dscnt 0x0
	v_pk_mul_f32 v[36:37], v[30:31], v[26:27] op_sel:[1,1] op_sel_hi:[0,1]
	s_delay_alu instid0(VALU_DEP_1) | instskip(SKIP_1) | instid1(VALU_DEP_2)
	v_pk_fma_f32 v[38:39], v[30:31], v[26:27], v[36:37] op_sel_hi:[1,0,1]
	v_pk_fma_f32 v[26:27], v[30:31], v[26:27], v[36:37] neg_lo:[0,0,1] neg_hi:[0,0,1]
	v_mov_b32_e32 v27, v39
	s_cbranch_execz .LBB75_49
	s_branch .LBB75_50
.LBB75_48:
                                        ; implicit-def: $vgpr26_vgpr27
.LBB75_49:
	ds_load_b64 v[26:27], v25
.LBB75_50:
	s_and_saveexec_b32 s4, s1
	s_cbranch_execz .LBB75_54
; %bb.51:
	s_movk_i32 s1, 0x60
	v_add_nc_u32_e32 v30, -7, v32
	v_mad_u32 v29, v35, s1, 0xf8
	s_movk_i32 s5, 0x98
	s_mov_b32 s1, 0
.LBB75_52:                              ; =>This Inner Loop Header: Depth=1
	s_delay_alu instid0(VALU_DEP_2)
	v_dual_mov_b32 v31, s5 :: v_dual_add_nc_u32 v30, -1, v30
	s_add_co_i32 s5, s5, 8
	ds_load_b64 v[36:37], v29
	ds_load_b64 v[38:39], v31
	v_add_nc_u32_e32 v29, 8, v29
	v_cmp_eq_u32_e32 vcc_lo, 0, v30
	s_or_b32 s1, vcc_lo, s1
	s_wait_dscnt 0x0
	v_pk_mul_f32 v[40:41], v[38:39], v[36:37] op_sel:[1,1] op_sel_hi:[0,1]
	s_delay_alu instid0(VALU_DEP_1) | instskip(SKIP_1) | instid1(VALU_DEP_2)
	v_pk_fma_f32 v[42:43], v[38:39], v[36:37], v[40:41] op_sel_hi:[1,0,1]
	v_pk_fma_f32 v[36:37], v[38:39], v[36:37], v[40:41] neg_lo:[0,0,1] neg_hi:[0,0,1]
	v_mov_b32_e32 v37, v43
	s_delay_alu instid0(VALU_DEP_1)
	v_pk_add_f32 v[26:27], v[26:27], v[36:37]
	s_and_not1_b32 exec_lo, exec_lo, s1
	s_cbranch_execnz .LBB75_52
; %bb.53:
	s_or_b32 exec_lo, exec_lo, s1
.LBB75_54:
	s_delay_alu instid0(SALU_CYCLE_1) | instskip(SKIP_4) | instid1(VALU_DEP_1)
	s_or_b32 exec_lo, exec_lo, s4
	v_mov_b32_e32 v29, 0
	ds_load_b64 v[30:31], v29 offset:48
	s_wait_dscnt 0x0
	v_pk_mul_f32 v[36:37], v[26:27], v[30:31] op_sel:[1,1] op_sel_hi:[0,1]
	v_pk_fma_f32 v[38:39], v[26:27], v[30:31], v[36:37] op_sel_hi:[1,0,1]
	v_pk_fma_f32 v[26:27], v[26:27], v[30:31], v[36:37] neg_lo:[0,0,1] neg_hi:[0,0,1]
	s_delay_alu instid0(VALU_DEP_2)
	v_mov_b32_e32 v27, v39
	ds_store_b64 v34, v[26:27] offset:48
.LBB75_55:
	s_or_b32 exec_lo, exec_lo, s2
	ds_load_b64 v[26:27], v34 offset:40
	v_cmp_lt_u32_e64 s1, 5, v32
	s_wait_dscnt 0x0
	ds_store_b64 v25, v[26:27]
	s_wait_dscnt 0x0
	s_barrier_signal -1
	s_barrier_wait -1
	s_and_saveexec_b32 s2, s1
	s_cbranch_execz .LBB75_65
; %bb.56:
	s_and_not1_b32 vcc_lo, exec_lo, s3
	s_cbranch_vccnz .LBB75_58
; %bb.57:
	ds_load_b64 v[26:27], v28
	ds_load_b64 v[30:31], v25
	s_wait_dscnt 0x0
	v_pk_mul_f32 v[36:37], v[30:31], v[26:27] op_sel:[1,1] op_sel_hi:[0,1]
	s_delay_alu instid0(VALU_DEP_1) | instskip(SKIP_1) | instid1(VALU_DEP_2)
	v_pk_fma_f32 v[38:39], v[30:31], v[26:27], v[36:37] op_sel_hi:[1,0,1]
	v_pk_fma_f32 v[26:27], v[30:31], v[26:27], v[36:37] neg_lo:[0,0,1] neg_hi:[0,0,1]
	v_mov_b32_e32 v27, v39
	s_cbranch_execz .LBB75_59
	s_branch .LBB75_60
.LBB75_58:
                                        ; implicit-def: $vgpr26_vgpr27
.LBB75_59:
	ds_load_b64 v[26:27], v25
.LBB75_60:
	s_and_saveexec_b32 s4, s0
	s_cbranch_execz .LBB75_64
; %bb.61:
	s_movk_i32 s0, 0x60
	v_add_nc_u32_e32 v30, -6, v32
	v_mad_u32 v29, v35, s0, 0xf0
	s_movk_i32 s5, 0x90
	s_mov_b32 s0, 0
.LBB75_62:                              ; =>This Inner Loop Header: Depth=1
	s_delay_alu instid0(VALU_DEP_2)
	v_dual_mov_b32 v31, s5 :: v_dual_add_nc_u32 v30, -1, v30
	s_add_co_i32 s5, s5, 8
	ds_load_b64 v[36:37], v29
	ds_load_b64 v[38:39], v31
	v_add_nc_u32_e32 v29, 8, v29
	v_cmp_eq_u32_e32 vcc_lo, 0, v30
	s_or_b32 s0, vcc_lo, s0
	s_wait_dscnt 0x0
	v_pk_mul_f32 v[40:41], v[38:39], v[36:37] op_sel:[1,1] op_sel_hi:[0,1]
	s_delay_alu instid0(VALU_DEP_1) | instskip(SKIP_1) | instid1(VALU_DEP_2)
	v_pk_fma_f32 v[42:43], v[38:39], v[36:37], v[40:41] op_sel_hi:[1,0,1]
	v_pk_fma_f32 v[36:37], v[38:39], v[36:37], v[40:41] neg_lo:[0,0,1] neg_hi:[0,0,1]
	v_mov_b32_e32 v37, v43
	s_delay_alu instid0(VALU_DEP_1)
	v_pk_add_f32 v[26:27], v[26:27], v[36:37]
	s_and_not1_b32 exec_lo, exec_lo, s0
	s_cbranch_execnz .LBB75_62
; %bb.63:
	s_or_b32 exec_lo, exec_lo, s0
.LBB75_64:
	s_delay_alu instid0(SALU_CYCLE_1) | instskip(SKIP_4) | instid1(VALU_DEP_1)
	s_or_b32 exec_lo, exec_lo, s4
	v_mov_b32_e32 v29, 0
	ds_load_b64 v[30:31], v29 offset:40
	s_wait_dscnt 0x0
	v_pk_mul_f32 v[36:37], v[26:27], v[30:31] op_sel:[1,1] op_sel_hi:[0,1]
	v_pk_fma_f32 v[38:39], v[26:27], v[30:31], v[36:37] op_sel_hi:[1,0,1]
	v_pk_fma_f32 v[26:27], v[26:27], v[30:31], v[36:37] neg_lo:[0,0,1] neg_hi:[0,0,1]
	s_delay_alu instid0(VALU_DEP_2)
	v_mov_b32_e32 v27, v39
	ds_store_b64 v34, v[26:27] offset:40
.LBB75_65:
	s_or_b32 exec_lo, exec_lo, s2
	ds_load_b64 v[26:27], v34 offset:32
	v_cmp_lt_u32_e64 s0, 4, v32
	s_wait_dscnt 0x0
	ds_store_b64 v25, v[26:27]
	s_wait_dscnt 0x0
	s_barrier_signal -1
	s_barrier_wait -1
	s_and_saveexec_b32 s2, s0
	s_cbranch_execz .LBB75_75
; %bb.66:
	s_and_not1_b32 vcc_lo, exec_lo, s3
	s_cbranch_vccnz .LBB75_68
; %bb.67:
	ds_load_b64 v[26:27], v28
	ds_load_b64 v[30:31], v25
	s_wait_dscnt 0x0
	v_pk_mul_f32 v[36:37], v[30:31], v[26:27] op_sel:[1,1] op_sel_hi:[0,1]
	s_delay_alu instid0(VALU_DEP_1) | instskip(SKIP_1) | instid1(VALU_DEP_2)
	v_pk_fma_f32 v[38:39], v[30:31], v[26:27], v[36:37] op_sel_hi:[1,0,1]
	v_pk_fma_f32 v[26:27], v[30:31], v[26:27], v[36:37] neg_lo:[0,0,1] neg_hi:[0,0,1]
	v_mov_b32_e32 v27, v39
	s_cbranch_execz .LBB75_69
	s_branch .LBB75_70
.LBB75_68:
                                        ; implicit-def: $vgpr26_vgpr27
.LBB75_69:
	ds_load_b64 v[26:27], v25
.LBB75_70:
	s_and_saveexec_b32 s4, s1
	s_cbranch_execz .LBB75_74
; %bb.71:
	s_movk_i32 s1, 0x60
	v_add_nc_u32_e32 v30, -5, v32
	v_mad_u32 v29, v35, s1, 0xe8
	s_movk_i32 s5, 0x88
	s_mov_b32 s1, 0
.LBB75_72:                              ; =>This Inner Loop Header: Depth=1
	s_delay_alu instid0(VALU_DEP_2)
	v_dual_mov_b32 v31, s5 :: v_dual_add_nc_u32 v30, -1, v30
	s_add_co_i32 s5, s5, 8
	ds_load_b64 v[36:37], v29
	ds_load_b64 v[38:39], v31
	v_add_nc_u32_e32 v29, 8, v29
	v_cmp_eq_u32_e32 vcc_lo, 0, v30
	s_or_b32 s1, vcc_lo, s1
	s_wait_dscnt 0x0
	v_pk_mul_f32 v[40:41], v[38:39], v[36:37] op_sel:[1,1] op_sel_hi:[0,1]
	s_delay_alu instid0(VALU_DEP_1) | instskip(SKIP_1) | instid1(VALU_DEP_2)
	v_pk_fma_f32 v[42:43], v[38:39], v[36:37], v[40:41] op_sel_hi:[1,0,1]
	v_pk_fma_f32 v[36:37], v[38:39], v[36:37], v[40:41] neg_lo:[0,0,1] neg_hi:[0,0,1]
	v_mov_b32_e32 v37, v43
	s_delay_alu instid0(VALU_DEP_1)
	v_pk_add_f32 v[26:27], v[26:27], v[36:37]
	s_and_not1_b32 exec_lo, exec_lo, s1
	s_cbranch_execnz .LBB75_72
; %bb.73:
	s_or_b32 exec_lo, exec_lo, s1
.LBB75_74:
	s_delay_alu instid0(SALU_CYCLE_1) | instskip(SKIP_4) | instid1(VALU_DEP_1)
	s_or_b32 exec_lo, exec_lo, s4
	v_mov_b32_e32 v29, 0
	ds_load_b64 v[30:31], v29 offset:32
	s_wait_dscnt 0x0
	v_pk_mul_f32 v[36:37], v[26:27], v[30:31] op_sel:[1,1] op_sel_hi:[0,1]
	v_pk_fma_f32 v[38:39], v[26:27], v[30:31], v[36:37] op_sel_hi:[1,0,1]
	v_pk_fma_f32 v[26:27], v[26:27], v[30:31], v[36:37] neg_lo:[0,0,1] neg_hi:[0,0,1]
	s_delay_alu instid0(VALU_DEP_2)
	v_mov_b32_e32 v27, v39
	ds_store_b64 v34, v[26:27] offset:32
.LBB75_75:
	s_or_b32 exec_lo, exec_lo, s2
	ds_load_b64 v[26:27], v34 offset:24
	v_cmp_lt_u32_e64 s1, 3, v32
	s_wait_dscnt 0x0
	ds_store_b64 v25, v[26:27]
	s_wait_dscnt 0x0
	s_barrier_signal -1
	s_barrier_wait -1
	s_and_saveexec_b32 s2, s1
	s_cbranch_execz .LBB75_85
; %bb.76:
	s_and_not1_b32 vcc_lo, exec_lo, s3
	s_cbranch_vccnz .LBB75_78
; %bb.77:
	ds_load_b64 v[26:27], v28
	ds_load_b64 v[30:31], v25
	s_wait_dscnt 0x0
	v_pk_mul_f32 v[36:37], v[30:31], v[26:27] op_sel:[1,1] op_sel_hi:[0,1]
	s_delay_alu instid0(VALU_DEP_1) | instskip(SKIP_1) | instid1(VALU_DEP_2)
	v_pk_fma_f32 v[38:39], v[30:31], v[26:27], v[36:37] op_sel_hi:[1,0,1]
	v_pk_fma_f32 v[26:27], v[30:31], v[26:27], v[36:37] neg_lo:[0,0,1] neg_hi:[0,0,1]
	v_mov_b32_e32 v27, v39
	s_cbranch_execz .LBB75_79
	s_branch .LBB75_80
.LBB75_78:
                                        ; implicit-def: $vgpr26_vgpr27
.LBB75_79:
	ds_load_b64 v[26:27], v25
.LBB75_80:
	s_and_saveexec_b32 s4, s0
	s_cbranch_execz .LBB75_84
; %bb.81:
	s_movk_i32 s0, 0x60
	v_add_nc_u32_e32 v30, -4, v32
	v_mad_u32 v29, v35, s0, 0xe0
	s_movk_i32 s5, 0x80
	s_mov_b32 s0, 0
.LBB75_82:                              ; =>This Inner Loop Header: Depth=1
	s_delay_alu instid0(VALU_DEP_2)
	v_dual_mov_b32 v31, s5 :: v_dual_add_nc_u32 v30, -1, v30
	s_add_co_i32 s5, s5, 8
	ds_load_b64 v[36:37], v29
	ds_load_b64 v[38:39], v31
	v_add_nc_u32_e32 v29, 8, v29
	v_cmp_eq_u32_e32 vcc_lo, 0, v30
	s_or_b32 s0, vcc_lo, s0
	s_wait_dscnt 0x0
	v_pk_mul_f32 v[40:41], v[38:39], v[36:37] op_sel:[1,1] op_sel_hi:[0,1]
	s_delay_alu instid0(VALU_DEP_1) | instskip(SKIP_1) | instid1(VALU_DEP_2)
	v_pk_fma_f32 v[42:43], v[38:39], v[36:37], v[40:41] op_sel_hi:[1,0,1]
	v_pk_fma_f32 v[36:37], v[38:39], v[36:37], v[40:41] neg_lo:[0,0,1] neg_hi:[0,0,1]
	v_mov_b32_e32 v37, v43
	s_delay_alu instid0(VALU_DEP_1)
	v_pk_add_f32 v[26:27], v[26:27], v[36:37]
	s_and_not1_b32 exec_lo, exec_lo, s0
	s_cbranch_execnz .LBB75_82
; %bb.83:
	s_or_b32 exec_lo, exec_lo, s0
.LBB75_84:
	s_delay_alu instid0(SALU_CYCLE_1) | instskip(SKIP_4) | instid1(VALU_DEP_1)
	s_or_b32 exec_lo, exec_lo, s4
	v_mov_b32_e32 v29, 0
	ds_load_b64 v[30:31], v29 offset:24
	s_wait_dscnt 0x0
	v_pk_mul_f32 v[36:37], v[26:27], v[30:31] op_sel:[1,1] op_sel_hi:[0,1]
	v_pk_fma_f32 v[38:39], v[26:27], v[30:31], v[36:37] op_sel_hi:[1,0,1]
	v_pk_fma_f32 v[26:27], v[26:27], v[30:31], v[36:37] neg_lo:[0,0,1] neg_hi:[0,0,1]
	s_delay_alu instid0(VALU_DEP_2)
	v_mov_b32_e32 v27, v39
	ds_store_b64 v34, v[26:27] offset:24
.LBB75_85:
	s_or_b32 exec_lo, exec_lo, s2
	ds_load_b64 v[26:27], v34 offset:16
	v_cmp_lt_u32_e64 s2, 2, v32
	s_wait_dscnt 0x0
	ds_store_b64 v25, v[26:27]
	s_wait_dscnt 0x0
	s_barrier_signal -1
	s_barrier_wait -1
	s_and_saveexec_b32 s0, s2
	s_cbranch_execz .LBB75_95
; %bb.86:
	s_and_not1_b32 vcc_lo, exec_lo, s3
	s_cbranch_vccnz .LBB75_88
; %bb.87:
	ds_load_b64 v[26:27], v28
	ds_load_b64 v[30:31], v25
	s_wait_dscnt 0x0
	v_pk_mul_f32 v[36:37], v[30:31], v[26:27] op_sel:[1,1] op_sel_hi:[0,1]
	s_delay_alu instid0(VALU_DEP_1) | instskip(SKIP_1) | instid1(VALU_DEP_2)
	v_pk_fma_f32 v[38:39], v[30:31], v[26:27], v[36:37] op_sel_hi:[1,0,1]
	v_pk_fma_f32 v[26:27], v[30:31], v[26:27], v[36:37] neg_lo:[0,0,1] neg_hi:[0,0,1]
	v_mov_b32_e32 v27, v39
	s_cbranch_execz .LBB75_89
	s_branch .LBB75_90
.LBB75_88:
                                        ; implicit-def: $vgpr26_vgpr27
.LBB75_89:
	ds_load_b64 v[26:27], v25
.LBB75_90:
	s_and_saveexec_b32 s4, s1
	s_cbranch_execz .LBB75_94
; %bb.91:
	s_movk_i32 s1, 0x60
	v_add_nc_u32_e32 v30, -3, v32
	v_mad_u32 v29, v35, s1, 0xd8
	s_movk_i32 s5, 0x78
	s_mov_b32 s1, 0
.LBB75_92:                              ; =>This Inner Loop Header: Depth=1
	s_delay_alu instid0(VALU_DEP_2)
	v_dual_mov_b32 v31, s5 :: v_dual_add_nc_u32 v30, -1, v30
	s_add_co_i32 s5, s5, 8
	ds_load_b64 v[36:37], v29
	ds_load_b64 v[38:39], v31
	v_add_nc_u32_e32 v29, 8, v29
	v_cmp_eq_u32_e32 vcc_lo, 0, v30
	s_or_b32 s1, vcc_lo, s1
	s_wait_dscnt 0x0
	v_pk_mul_f32 v[40:41], v[38:39], v[36:37] op_sel:[1,1] op_sel_hi:[0,1]
	s_delay_alu instid0(VALU_DEP_1) | instskip(SKIP_1) | instid1(VALU_DEP_2)
	v_pk_fma_f32 v[42:43], v[38:39], v[36:37], v[40:41] op_sel_hi:[1,0,1]
	v_pk_fma_f32 v[36:37], v[38:39], v[36:37], v[40:41] neg_lo:[0,0,1] neg_hi:[0,0,1]
	v_mov_b32_e32 v37, v43
	s_delay_alu instid0(VALU_DEP_1)
	v_pk_add_f32 v[26:27], v[26:27], v[36:37]
	s_and_not1_b32 exec_lo, exec_lo, s1
	s_cbranch_execnz .LBB75_92
; %bb.93:
	s_or_b32 exec_lo, exec_lo, s1
.LBB75_94:
	s_delay_alu instid0(SALU_CYCLE_1) | instskip(SKIP_4) | instid1(VALU_DEP_1)
	s_or_b32 exec_lo, exec_lo, s4
	v_mov_b32_e32 v29, 0
	ds_load_b64 v[30:31], v29 offset:16
	s_wait_dscnt 0x0
	v_pk_mul_f32 v[36:37], v[26:27], v[30:31] op_sel:[1,1] op_sel_hi:[0,1]
	v_pk_fma_f32 v[38:39], v[26:27], v[30:31], v[36:37] op_sel_hi:[1,0,1]
	v_pk_fma_f32 v[26:27], v[26:27], v[30:31], v[36:37] neg_lo:[0,0,1] neg_hi:[0,0,1]
	s_delay_alu instid0(VALU_DEP_2)
	v_mov_b32_e32 v27, v39
	ds_store_b64 v34, v[26:27] offset:16
.LBB75_95:
	s_or_b32 exec_lo, exec_lo, s0
	ds_load_b64 v[26:27], v34 offset:8
	v_cmp_lt_u32_e64 s0, 1, v32
	s_wait_dscnt 0x0
	ds_store_b64 v25, v[26:27]
	s_wait_dscnt 0x0
	s_barrier_signal -1
	s_barrier_wait -1
	s_and_saveexec_b32 s1, s0
	s_cbranch_execz .LBB75_105
; %bb.96:
	s_and_not1_b32 vcc_lo, exec_lo, s3
	s_cbranch_vccnz .LBB75_98
; %bb.97:
	ds_load_b64 v[26:27], v28
	ds_load_b64 v[30:31], v25
	s_wait_dscnt 0x0
	v_pk_mul_f32 v[36:37], v[30:31], v[26:27] op_sel:[1,1] op_sel_hi:[0,1]
	s_delay_alu instid0(VALU_DEP_1) | instskip(SKIP_1) | instid1(VALU_DEP_2)
	v_pk_fma_f32 v[38:39], v[30:31], v[26:27], v[36:37] op_sel_hi:[1,0,1]
	v_pk_fma_f32 v[26:27], v[30:31], v[26:27], v[36:37] neg_lo:[0,0,1] neg_hi:[0,0,1]
	v_mov_b32_e32 v27, v39
	s_cbranch_execz .LBB75_99
	s_branch .LBB75_100
.LBB75_98:
                                        ; implicit-def: $vgpr26_vgpr27
.LBB75_99:
	ds_load_b64 v[26:27], v25
.LBB75_100:
	s_and_saveexec_b32 s4, s2
	s_cbranch_execz .LBB75_104
; %bb.101:
	s_movk_i32 s2, 0x60
	v_add_nc_u32_e32 v30, -2, v32
	v_mad_u32 v29, v35, s2, 0xd0
	s_movk_i32 s5, 0x70
	s_mov_b32 s2, 0
.LBB75_102:                             ; =>This Inner Loop Header: Depth=1
	s_delay_alu instid0(VALU_DEP_2)
	v_dual_mov_b32 v31, s5 :: v_dual_add_nc_u32 v30, -1, v30
	s_add_co_i32 s5, s5, 8
	ds_load_b64 v[36:37], v29
	ds_load_b64 v[38:39], v31
	v_add_nc_u32_e32 v29, 8, v29
	v_cmp_eq_u32_e32 vcc_lo, 0, v30
	s_or_b32 s2, vcc_lo, s2
	s_wait_dscnt 0x0
	v_pk_mul_f32 v[40:41], v[38:39], v[36:37] op_sel:[1,1] op_sel_hi:[0,1]
	s_delay_alu instid0(VALU_DEP_1) | instskip(SKIP_1) | instid1(VALU_DEP_2)
	v_pk_fma_f32 v[42:43], v[38:39], v[36:37], v[40:41] op_sel_hi:[1,0,1]
	v_pk_fma_f32 v[36:37], v[38:39], v[36:37], v[40:41] neg_lo:[0,0,1] neg_hi:[0,0,1]
	v_mov_b32_e32 v37, v43
	s_delay_alu instid0(VALU_DEP_1)
	v_pk_add_f32 v[26:27], v[26:27], v[36:37]
	s_and_not1_b32 exec_lo, exec_lo, s2
	s_cbranch_execnz .LBB75_102
; %bb.103:
	s_or_b32 exec_lo, exec_lo, s2
.LBB75_104:
	s_delay_alu instid0(SALU_CYCLE_1) | instskip(SKIP_4) | instid1(VALU_DEP_1)
	s_or_b32 exec_lo, exec_lo, s4
	v_mov_b32_e32 v29, 0
	ds_load_b64 v[30:31], v29 offset:8
	s_wait_dscnt 0x0
	v_pk_mul_f32 v[36:37], v[26:27], v[30:31] op_sel:[1,1] op_sel_hi:[0,1]
	v_pk_fma_f32 v[38:39], v[26:27], v[30:31], v[36:37] op_sel_hi:[1,0,1]
	v_pk_fma_f32 v[26:27], v[26:27], v[30:31], v[36:37] neg_lo:[0,0,1] neg_hi:[0,0,1]
	s_delay_alu instid0(VALU_DEP_2)
	v_mov_b32_e32 v27, v39
	ds_store_b64 v34, v[26:27] offset:8
.LBB75_105:
	s_or_b32 exec_lo, exec_lo, s1
	ds_load_b64 v[26:27], v34
	s_mov_b32 s2, 0
	s_mov_b32 s1, 0
	s_mov_b32 s4, exec_lo
                                        ; implicit-def: $vgpr36
                                        ; implicit-def: $vgpr37
	s_wait_dscnt 0x0
	ds_store_b64 v25, v[26:27]
	s_wait_dscnt 0x0
	s_barrier_signal -1
	s_barrier_wait -1
	v_cmpx_ne_u32_e32 0, v32
	s_cbranch_execz .LBB75_115
; %bb.106:
	s_and_not1_b32 vcc_lo, exec_lo, s3
	s_cbranch_vccnz .LBB75_108
; %bb.107:
	ds_load_b64 v[30:31], v28
	ds_load_b64 v[36:37], v25
	s_wait_dscnt 0x0
	v_dual_mul_f32 v26, v37, v31 :: v_dual_mul_f32 v27, v36, v31
	s_delay_alu instid0(VALU_DEP_1)
	v_dual_fma_f32 v26, v36, v30, -v26 :: v_dual_fmac_f32 v27, v37, v30
	s_and_not1_b32 vcc_lo, exec_lo, s1
	s_cbranch_vccz .LBB75_109
	s_branch .LBB75_110
.LBB75_108:
                                        ; implicit-def: $vgpr26
.LBB75_109:
	ds_load_b64 v[26:27], v25
.LBB75_110:
	s_and_saveexec_b32 s1, s0
	s_cbranch_execz .LBB75_114
; %bb.111:
	s_movk_i32 s0, 0x60
	v_add_nc_u32_e32 v30, -1, v32
	v_mad_u32 v29, v35, s0, 0xc8
	s_movk_i32 s5, 0x68
	s_mov_b32 s0, 0
.LBB75_112:                             ; =>This Inner Loop Header: Depth=1
	v_mov_b32_e32 v31, s5
	s_add_co_i32 s5, s5, 8
	ds_load_b64 v[36:37], v29
	ds_load_b64 v[38:39], v31
	v_dual_add_nc_u32 v30, -1, v30 :: v_dual_add_nc_u32 v29, 8, v29
	s_delay_alu instid0(VALU_DEP_1) | instskip(SKIP_3) | instid1(VALU_DEP_1)
	v_cmp_eq_u32_e32 vcc_lo, 0, v30
	s_or_b32 s0, vcc_lo, s0
	s_wait_dscnt 0x0
	v_dual_mul_f32 v31, v39, v37 :: v_dual_mul_f32 v35, v38, v37
	v_fma_f32 v31, v38, v36, -v31
	s_delay_alu instid0(VALU_DEP_1) | instskip(NEXT) | instid1(VALU_DEP_1)
	v_dual_fmac_f32 v35, v39, v36 :: v_dual_add_f32 v26, v26, v31
	v_add_f32_e32 v27, v27, v35
	s_and_not1_b32 exec_lo, exec_lo, s0
	s_cbranch_execnz .LBB75_112
; %bb.113:
	s_or_b32 exec_lo, exec_lo, s0
.LBB75_114:
	s_delay_alu instid0(SALU_CYCLE_1)
	s_or_b32 exec_lo, exec_lo, s1
	v_mov_b32_e32 v29, 0
	s_mov_b32 s1, exec_lo
	v_add_nc_u32_e32 v37, 4, v34
	ds_load_b64 v[30:31], v29
	s_wait_dscnt 0x0
	v_dual_mul_f32 v29, v27, v31 :: v_dual_mul_f32 v36, v26, v31
	s_delay_alu instid0(VALU_DEP_1)
	v_dual_fma_f32 v26, v26, v30, -v29 :: v_dual_fmac_f32 v36, v27, v30
	ds_store_b32 v34, v26
.LBB75_115:
	s_or_b32 exec_lo, exec_lo, s4
	s_delay_alu instid0(SALU_CYCLE_1)
	s_and_b32 vcc_lo, exec_lo, s2
	s_cbranch_vccz .LBB75_221
.LBB75_116:
	ds_load_b64 v[26:27], v34 offset:8
	v_cmp_eq_u32_e64 s0, 0, v32
	s_wait_dscnt 0x0
	ds_store_b64 v25, v[26:27]
	s_wait_dscnt 0x0
	s_barrier_signal -1
	s_barrier_wait -1
	s_and_saveexec_b32 s2, s0
	s_cbranch_execz .LBB75_122
; %bb.117:
	s_and_b32 vcc_lo, exec_lo, s3
	s_cbranch_vccz .LBB75_119
; %bb.118:
	ds_load_b64 v[26:27], v28
	ds_load_b64 v[30:31], v25
	s_wait_dscnt 0x0
	v_pk_mul_f32 v[36:37], v[30:31], v[26:27] op_sel:[1,1] op_sel_hi:[0,1]
	v_pk_mul_f32 v[38:39], v[30:31], v[26:27] op_sel_hi:[1,0]
	s_delay_alu instid0(VALU_DEP_2) | instskip(NEXT) | instid1(VALU_DEP_2)
	v_pk_fma_f32 v[26:27], v[30:31], v[26:27], v[36:37] op_sel_hi:[1,0,1]
	v_sub_f32_e32 v26, v38, v36
	s_cbranch_execz .LBB75_120
	s_branch .LBB75_121
.LBB75_119:
                                        ; implicit-def: $vgpr27
.LBB75_120:
	ds_load_b64 v[26:27], v25
.LBB75_121:
	s_wait_dscnt 0x0
	v_dual_mov_b32 v29, 0 :: v_dual_mov_b32 v36, v27
	v_mov_b32_e32 v37, v26
	ds_load_b64 v[30:31], v29 offset:8
	s_wait_dscnt 0x0
	v_pk_mul_f32 v[36:37], v[36:37], v[30:31] op_sel:[0,1]
	s_delay_alu instid0(VALU_DEP_1) | instskip(SKIP_1) | instid1(VALU_DEP_2)
	v_pk_fma_f32 v[38:39], v[26:27], v[30:31], v[36:37] op_sel_hi:[1,0,1]
	v_pk_fma_f32 v[26:27], v[26:27], v[30:31], v[36:37] neg_lo:[0,0,1] neg_hi:[0,0,1]
	v_mov_b32_e32 v27, v39
	ds_store_b64 v34, v[26:27] offset:8
.LBB75_122:
	s_or_b32 exec_lo, exec_lo, s2
	ds_load_b64 v[26:27], v34 offset:16
	v_cndmask_b32_e64 v29, 0, 1, s3
	s_mov_b32 s2, exec_lo
	s_wait_dscnt 0x0
	ds_store_b64 v25, v[26:27]
	s_wait_dscnt 0x0
	s_barrier_signal -1
	s_barrier_wait -1
	v_cmpx_gt_u32_e32 2, v32
	s_cbranch_execz .LBB75_130
; %bb.123:
	s_and_not1_b32 vcc_lo, exec_lo, s3
	s_cbranch_vccnz .LBB75_125
; %bb.124:
	ds_load_b64 v[26:27], v28
	ds_load_b64 v[30:31], v25
	s_wait_dscnt 0x0
	v_pk_mul_f32 v[36:37], v[30:31], v[26:27] op_sel:[1,1] op_sel_hi:[0,1]
	s_delay_alu instid0(VALU_DEP_1) | instskip(SKIP_1) | instid1(VALU_DEP_2)
	v_pk_fma_f32 v[38:39], v[30:31], v[26:27], v[36:37] op_sel_hi:[1,0,1]
	v_pk_fma_f32 v[26:27], v[30:31], v[26:27], v[36:37] neg_lo:[0,0,1] neg_hi:[0,0,1]
	v_mov_b32_e32 v27, v39
	s_cbranch_execz .LBB75_126
	s_branch .LBB75_127
.LBB75_125:
                                        ; implicit-def: $vgpr26_vgpr27
.LBB75_126:
	ds_load_b64 v[26:27], v25
.LBB75_127:
	s_and_saveexec_b32 s3, s0
	s_cbranch_execz .LBB75_129
; %bb.128:
	v_mov_b32_e32 v35, 0
	ds_load_b64 v[30:31], v34 offset:8
	ds_load_b64 v[36:37], v35 offset:104
	s_wait_dscnt 0x0
	v_pk_mul_f32 v[38:39], v[36:37], v[30:31] op_sel:[1,1] op_sel_hi:[0,1]
	s_delay_alu instid0(VALU_DEP_1) | instskip(SKIP_1) | instid1(VALU_DEP_2)
	v_pk_fma_f32 v[40:41], v[36:37], v[30:31], v[38:39] op_sel_hi:[1,0,1]
	v_pk_fma_f32 v[30:31], v[36:37], v[30:31], v[38:39] neg_lo:[0,0,1] neg_hi:[0,0,1]
	v_mov_b32_e32 v31, v41
	s_delay_alu instid0(VALU_DEP_1)
	v_pk_add_f32 v[26:27], v[26:27], v[30:31]
.LBB75_129:
	s_or_b32 exec_lo, exec_lo, s3
	v_mov_b32_e32 v30, 0
	ds_load_b64 v[30:31], v30 offset:16
	s_wait_dscnt 0x0
	v_pk_mul_f32 v[36:37], v[26:27], v[30:31] op_sel:[1,1] op_sel_hi:[0,1]
	s_delay_alu instid0(VALU_DEP_1) | instskip(SKIP_1) | instid1(VALU_DEP_2)
	v_pk_fma_f32 v[38:39], v[26:27], v[30:31], v[36:37] op_sel_hi:[1,0,1]
	v_pk_fma_f32 v[26:27], v[26:27], v[30:31], v[36:37] neg_lo:[0,0,1] neg_hi:[0,0,1]
	v_mov_b32_e32 v27, v39
	ds_store_b64 v34, v[26:27] offset:16
.LBB75_130:
	s_or_b32 exec_lo, exec_lo, s2
	ds_load_b64 v[26:27], v34 offset:24
	s_mov_b32 s2, exec_lo
	s_wait_dscnt 0x0
	ds_store_b64 v25, v[26:27]
	s_wait_dscnt 0x0
	s_barrier_signal -1
	s_barrier_wait -1
	v_cmpx_gt_u32_e32 3, v32
	s_cbranch_execz .LBB75_140
; %bb.131:
	v_cmp_ne_u32_e32 vcc_lo, 1, v29
	s_cbranch_vccnz .LBB75_133
; %bb.132:
	ds_load_b64 v[26:27], v28
	ds_load_b64 v[30:31], v25
	s_wait_dscnt 0x0
	v_pk_mul_f32 v[36:37], v[30:31], v[26:27] op_sel:[1,1] op_sel_hi:[0,1]
	s_delay_alu instid0(VALU_DEP_1) | instskip(SKIP_1) | instid1(VALU_DEP_2)
	v_pk_fma_f32 v[38:39], v[30:31], v[26:27], v[36:37] op_sel_hi:[1,0,1]
	v_pk_fma_f32 v[26:27], v[30:31], v[26:27], v[36:37] neg_lo:[0,0,1] neg_hi:[0,0,1]
	v_mov_b32_e32 v27, v39
	s_cbranch_execz .LBB75_134
	s_branch .LBB75_135
.LBB75_133:
                                        ; implicit-def: $vgpr26_vgpr27
.LBB75_134:
	ds_load_b64 v[26:27], v25
.LBB75_135:
	s_mov_b32 s3, exec_lo
	v_cmpx_ne_u32_e32 2, v32
	s_cbranch_execz .LBB75_139
; %bb.136:
	ds_load_b64 v[30:31], v28 offset:8
	ds_load_b64 v[36:37], v25 offset:8
	s_wait_dscnt 0x0
	v_pk_mul_f32 v[38:39], v[36:37], v[30:31] op_sel:[1,1] op_sel_hi:[0,1]
	s_delay_alu instid0(VALU_DEP_1) | instskip(SKIP_1) | instid1(VALU_DEP_2)
	v_pk_fma_f32 v[40:41], v[36:37], v[30:31], v[38:39] op_sel_hi:[1,0,1]
	v_pk_fma_f32 v[30:31], v[36:37], v[30:31], v[38:39] neg_lo:[0,0,1] neg_hi:[0,0,1]
	v_mov_b32_e32 v31, v41
	s_delay_alu instid0(VALU_DEP_1)
	v_pk_add_f32 v[26:27], v[26:27], v[30:31]
	s_and_saveexec_b32 s4, s0
	s_cbranch_execz .LBB75_138
; %bb.137:
	v_mov_b32_e32 v30, 0
	ds_load_b64 v[30:31], v30 offset:112
	ds_load_b64 v[36:37], v34 offset:16
	s_wait_dscnt 0x0
	v_pk_mul_f32 v[38:39], v[30:31], v[36:37] op_sel:[1,1] op_sel_hi:[0,1]
	s_delay_alu instid0(VALU_DEP_1) | instskip(SKIP_1) | instid1(VALU_DEP_2)
	v_pk_fma_f32 v[40:41], v[30:31], v[36:37], v[38:39] op_sel_hi:[1,0,1]
	v_pk_fma_f32 v[30:31], v[30:31], v[36:37], v[38:39] neg_lo:[0,0,1] neg_hi:[0,0,1]
	v_mov_b32_e32 v31, v41
	s_delay_alu instid0(VALU_DEP_1)
	v_pk_add_f32 v[26:27], v[26:27], v[30:31]
.LBB75_138:
	s_or_b32 exec_lo, exec_lo, s4
.LBB75_139:
	s_delay_alu instid0(SALU_CYCLE_1) | instskip(SKIP_4) | instid1(VALU_DEP_1)
	s_or_b32 exec_lo, exec_lo, s3
	v_mov_b32_e32 v30, 0
	ds_load_b64 v[30:31], v30 offset:24
	s_wait_dscnt 0x0
	v_pk_mul_f32 v[36:37], v[26:27], v[30:31] op_sel:[1,1] op_sel_hi:[0,1]
	v_pk_fma_f32 v[38:39], v[26:27], v[30:31], v[36:37] op_sel_hi:[1,0,1]
	v_pk_fma_f32 v[26:27], v[26:27], v[30:31], v[36:37] neg_lo:[0,0,1] neg_hi:[0,0,1]
	s_delay_alu instid0(VALU_DEP_2)
	v_mov_b32_e32 v27, v39
	ds_store_b64 v34, v[26:27] offset:24
.LBB75_140:
	s_or_b32 exec_lo, exec_lo, s2
	ds_load_b64 v[26:27], v34 offset:32
	s_mov_b32 s0, exec_lo
	s_wait_dscnt 0x0
	ds_store_b64 v25, v[26:27]
	s_wait_dscnt 0x0
	s_barrier_signal -1
	s_barrier_wait -1
	v_cmpx_gt_u32_e32 4, v32
	s_cbranch_execz .LBB75_150
; %bb.141:
	v_cmp_ne_u32_e32 vcc_lo, 1, v29
	s_cbranch_vccnz .LBB75_143
; %bb.142:
	ds_load_b64 v[26:27], v28
	ds_load_b64 v[30:31], v25
	s_wait_dscnt 0x0
	v_pk_mul_f32 v[36:37], v[30:31], v[26:27] op_sel:[1,1] op_sel_hi:[0,1]
	s_delay_alu instid0(VALU_DEP_1) | instskip(SKIP_1) | instid1(VALU_DEP_2)
	v_pk_fma_f32 v[38:39], v[30:31], v[26:27], v[36:37] op_sel_hi:[1,0,1]
	v_pk_fma_f32 v[26:27], v[30:31], v[26:27], v[36:37] neg_lo:[0,0,1] neg_hi:[0,0,1]
	v_mov_b32_e32 v27, v39
	s_cbranch_execz .LBB75_144
	s_branch .LBB75_145
.LBB75_143:
                                        ; implicit-def: $vgpr26_vgpr27
.LBB75_144:
	ds_load_b64 v[26:27], v25
.LBB75_145:
	s_mov_b32 s2, exec_lo
	v_cmpx_ne_u32_e32 3, v32
	s_cbranch_execz .LBB75_149
; %bb.146:
	v_dual_mov_b32 v35, v32 :: v_dual_add_nc_u32 v30, 0x68, v24
	v_add3_u32 v31, v33, v24, 0xc8
	s_mov_b32 s3, 0
.LBB75_147:                             ; =>This Inner Loop Header: Depth=1
	ds_load_b64 v[36:37], v31
	ds_load_b64 v[38:39], v30
	v_dual_add_nc_u32 v30, 8, v30 :: v_dual_add_nc_u32 v31, 8, v31
	s_wait_dscnt 0x0
	v_pk_mul_f32 v[40:41], v[38:39], v[36:37] op_sel:[1,1] op_sel_hi:[0,1]
	s_delay_alu instid0(VALU_DEP_1) | instskip(SKIP_2) | instid1(VALU_DEP_3)
	v_pk_fma_f32 v[42:43], v[38:39], v[36:37], v[40:41] op_sel_hi:[1,0,1]
	v_add_nc_u32_e32 v35, 1, v35
	v_pk_fma_f32 v[36:37], v[38:39], v[36:37], v[40:41] neg_lo:[0,0,1] neg_hi:[0,0,1]
	v_mov_b32_e32 v37, v43
	s_delay_alu instid0(VALU_DEP_3) | instskip(NEXT) | instid1(VALU_DEP_2)
	v_cmp_lt_u32_e32 vcc_lo, 2, v35
	v_pk_add_f32 v[26:27], v[26:27], v[36:37]
	s_or_b32 s3, vcc_lo, s3
	s_delay_alu instid0(SALU_CYCLE_1)
	s_and_not1_b32 exec_lo, exec_lo, s3
	s_cbranch_execnz .LBB75_147
; %bb.148:
	s_or_b32 exec_lo, exec_lo, s3
.LBB75_149:
	s_delay_alu instid0(SALU_CYCLE_1) | instskip(SKIP_4) | instid1(VALU_DEP_1)
	s_or_b32 exec_lo, exec_lo, s2
	v_mov_b32_e32 v30, 0
	ds_load_b64 v[30:31], v30 offset:32
	s_wait_dscnt 0x0
	v_pk_mul_f32 v[36:37], v[26:27], v[30:31] op_sel:[1,1] op_sel_hi:[0,1]
	v_pk_fma_f32 v[38:39], v[26:27], v[30:31], v[36:37] op_sel_hi:[1,0,1]
	v_pk_fma_f32 v[26:27], v[26:27], v[30:31], v[36:37] neg_lo:[0,0,1] neg_hi:[0,0,1]
	s_delay_alu instid0(VALU_DEP_2)
	v_mov_b32_e32 v27, v39
	ds_store_b64 v34, v[26:27] offset:32
.LBB75_150:
	s_or_b32 exec_lo, exec_lo, s0
	ds_load_b64 v[26:27], v34 offset:40
	s_mov_b32 s0, exec_lo
	s_wait_dscnt 0x0
	ds_store_b64 v25, v[26:27]
	s_wait_dscnt 0x0
	s_barrier_signal -1
	s_barrier_wait -1
	v_cmpx_gt_u32_e32 5, v32
	s_cbranch_execz .LBB75_160
; %bb.151:
	v_cmp_ne_u32_e32 vcc_lo, 1, v29
	s_cbranch_vccnz .LBB75_153
; %bb.152:
	ds_load_b64 v[26:27], v28
	ds_load_b64 v[30:31], v25
	s_wait_dscnt 0x0
	v_pk_mul_f32 v[36:37], v[30:31], v[26:27] op_sel:[1,1] op_sel_hi:[0,1]
	s_delay_alu instid0(VALU_DEP_1) | instskip(SKIP_1) | instid1(VALU_DEP_2)
	v_pk_fma_f32 v[38:39], v[30:31], v[26:27], v[36:37] op_sel_hi:[1,0,1]
	v_pk_fma_f32 v[26:27], v[30:31], v[26:27], v[36:37] neg_lo:[0,0,1] neg_hi:[0,0,1]
	v_mov_b32_e32 v27, v39
	s_cbranch_execz .LBB75_154
	s_branch .LBB75_155
.LBB75_153:
                                        ; implicit-def: $vgpr26_vgpr27
.LBB75_154:
	ds_load_b64 v[26:27], v25
.LBB75_155:
	s_mov_b32 s2, exec_lo
	v_cmpx_ne_u32_e32 4, v32
	s_cbranch_execz .LBB75_159
; %bb.156:
	v_dual_mov_b32 v35, v32 :: v_dual_add_nc_u32 v30, 0x68, v24
	v_add3_u32 v31, v33, v24, 0xc8
	s_mov_b32 s3, 0
.LBB75_157:                             ; =>This Inner Loop Header: Depth=1
	ds_load_b64 v[36:37], v31
	ds_load_b64 v[38:39], v30
	v_dual_add_nc_u32 v30, 8, v30 :: v_dual_add_nc_u32 v31, 8, v31
	s_wait_dscnt 0x0
	v_pk_mul_f32 v[40:41], v[38:39], v[36:37] op_sel:[1,1] op_sel_hi:[0,1]
	s_delay_alu instid0(VALU_DEP_1) | instskip(SKIP_2) | instid1(VALU_DEP_3)
	v_pk_fma_f32 v[42:43], v[38:39], v[36:37], v[40:41] op_sel_hi:[1,0,1]
	v_add_nc_u32_e32 v35, 1, v35
	v_pk_fma_f32 v[36:37], v[38:39], v[36:37], v[40:41] neg_lo:[0,0,1] neg_hi:[0,0,1]
	v_mov_b32_e32 v37, v43
	s_delay_alu instid0(VALU_DEP_3) | instskip(NEXT) | instid1(VALU_DEP_2)
	v_cmp_lt_u32_e32 vcc_lo, 3, v35
	v_pk_add_f32 v[26:27], v[26:27], v[36:37]
	s_or_b32 s3, vcc_lo, s3
	s_delay_alu instid0(SALU_CYCLE_1)
	s_and_not1_b32 exec_lo, exec_lo, s3
	s_cbranch_execnz .LBB75_157
; %bb.158:
	s_or_b32 exec_lo, exec_lo, s3
.LBB75_159:
	s_delay_alu instid0(SALU_CYCLE_1) | instskip(SKIP_4) | instid1(VALU_DEP_1)
	s_or_b32 exec_lo, exec_lo, s2
	v_mov_b32_e32 v30, 0
	ds_load_b64 v[30:31], v30 offset:40
	s_wait_dscnt 0x0
	v_pk_mul_f32 v[36:37], v[26:27], v[30:31] op_sel:[1,1] op_sel_hi:[0,1]
	v_pk_fma_f32 v[38:39], v[26:27], v[30:31], v[36:37] op_sel_hi:[1,0,1]
	v_pk_fma_f32 v[26:27], v[26:27], v[30:31], v[36:37] neg_lo:[0,0,1] neg_hi:[0,0,1]
	s_delay_alu instid0(VALU_DEP_2)
	v_mov_b32_e32 v27, v39
	ds_store_b64 v34, v[26:27] offset:40
.LBB75_160:
	s_or_b32 exec_lo, exec_lo, s0
	ds_load_b64 v[26:27], v34 offset:48
	s_mov_b32 s0, exec_lo
	s_wait_dscnt 0x0
	ds_store_b64 v25, v[26:27]
	s_wait_dscnt 0x0
	s_barrier_signal -1
	s_barrier_wait -1
	v_cmpx_gt_u32_e32 6, v32
	s_cbranch_execz .LBB75_170
; %bb.161:
	v_cmp_ne_u32_e32 vcc_lo, 1, v29
	s_cbranch_vccnz .LBB75_163
; %bb.162:
	ds_load_b64 v[26:27], v28
	ds_load_b64 v[30:31], v25
	s_wait_dscnt 0x0
	v_pk_mul_f32 v[36:37], v[30:31], v[26:27] op_sel:[1,1] op_sel_hi:[0,1]
	s_delay_alu instid0(VALU_DEP_1) | instskip(SKIP_1) | instid1(VALU_DEP_2)
	v_pk_fma_f32 v[38:39], v[30:31], v[26:27], v[36:37] op_sel_hi:[1,0,1]
	v_pk_fma_f32 v[26:27], v[30:31], v[26:27], v[36:37] neg_lo:[0,0,1] neg_hi:[0,0,1]
	v_mov_b32_e32 v27, v39
	s_cbranch_execz .LBB75_164
	s_branch .LBB75_165
.LBB75_163:
                                        ; implicit-def: $vgpr26_vgpr27
.LBB75_164:
	ds_load_b64 v[26:27], v25
.LBB75_165:
	s_mov_b32 s2, exec_lo
	v_cmpx_ne_u32_e32 5, v32
	s_cbranch_execz .LBB75_169
; %bb.166:
	v_dual_mov_b32 v35, v32 :: v_dual_add_nc_u32 v30, 0x68, v24
	v_add3_u32 v31, v33, v24, 0xc8
	s_mov_b32 s3, 0
.LBB75_167:                             ; =>This Inner Loop Header: Depth=1
	ds_load_b64 v[36:37], v31
	ds_load_b64 v[38:39], v30
	v_dual_add_nc_u32 v30, 8, v30 :: v_dual_add_nc_u32 v31, 8, v31
	s_wait_dscnt 0x0
	v_pk_mul_f32 v[40:41], v[38:39], v[36:37] op_sel:[1,1] op_sel_hi:[0,1]
	s_delay_alu instid0(VALU_DEP_1) | instskip(SKIP_2) | instid1(VALU_DEP_3)
	v_pk_fma_f32 v[42:43], v[38:39], v[36:37], v[40:41] op_sel_hi:[1,0,1]
	v_add_nc_u32_e32 v35, 1, v35
	v_pk_fma_f32 v[36:37], v[38:39], v[36:37], v[40:41] neg_lo:[0,0,1] neg_hi:[0,0,1]
	v_mov_b32_e32 v37, v43
	s_delay_alu instid0(VALU_DEP_3) | instskip(NEXT) | instid1(VALU_DEP_2)
	v_cmp_lt_u32_e32 vcc_lo, 4, v35
	v_pk_add_f32 v[26:27], v[26:27], v[36:37]
	s_or_b32 s3, vcc_lo, s3
	s_delay_alu instid0(SALU_CYCLE_1)
	s_and_not1_b32 exec_lo, exec_lo, s3
	s_cbranch_execnz .LBB75_167
; %bb.168:
	s_or_b32 exec_lo, exec_lo, s3
.LBB75_169:
	s_delay_alu instid0(SALU_CYCLE_1) | instskip(SKIP_4) | instid1(VALU_DEP_1)
	s_or_b32 exec_lo, exec_lo, s2
	v_mov_b32_e32 v30, 0
	ds_load_b64 v[30:31], v30 offset:48
	s_wait_dscnt 0x0
	v_pk_mul_f32 v[36:37], v[26:27], v[30:31] op_sel:[1,1] op_sel_hi:[0,1]
	v_pk_fma_f32 v[38:39], v[26:27], v[30:31], v[36:37] op_sel_hi:[1,0,1]
	v_pk_fma_f32 v[26:27], v[26:27], v[30:31], v[36:37] neg_lo:[0,0,1] neg_hi:[0,0,1]
	s_delay_alu instid0(VALU_DEP_2)
	v_mov_b32_e32 v27, v39
	ds_store_b64 v34, v[26:27] offset:48
.LBB75_170:
	s_or_b32 exec_lo, exec_lo, s0
	ds_load_b64 v[26:27], v34 offset:56
	s_mov_b32 s0, exec_lo
	s_wait_dscnt 0x0
	ds_store_b64 v25, v[26:27]
	s_wait_dscnt 0x0
	s_barrier_signal -1
	s_barrier_wait -1
	v_cmpx_gt_u32_e32 7, v32
	s_cbranch_execz .LBB75_180
; %bb.171:
	v_cmp_ne_u32_e32 vcc_lo, 1, v29
	s_cbranch_vccnz .LBB75_173
; %bb.172:
	ds_load_b64 v[26:27], v28
	ds_load_b64 v[30:31], v25
	s_wait_dscnt 0x0
	v_pk_mul_f32 v[36:37], v[30:31], v[26:27] op_sel:[1,1] op_sel_hi:[0,1]
	s_delay_alu instid0(VALU_DEP_1) | instskip(SKIP_1) | instid1(VALU_DEP_2)
	v_pk_fma_f32 v[38:39], v[30:31], v[26:27], v[36:37] op_sel_hi:[1,0,1]
	v_pk_fma_f32 v[26:27], v[30:31], v[26:27], v[36:37] neg_lo:[0,0,1] neg_hi:[0,0,1]
	v_mov_b32_e32 v27, v39
	s_cbranch_execz .LBB75_174
	s_branch .LBB75_175
.LBB75_173:
                                        ; implicit-def: $vgpr26_vgpr27
.LBB75_174:
	ds_load_b64 v[26:27], v25
.LBB75_175:
	s_mov_b32 s2, exec_lo
	v_cmpx_ne_u32_e32 6, v32
	s_cbranch_execz .LBB75_179
; %bb.176:
	v_dual_mov_b32 v35, v32 :: v_dual_add_nc_u32 v30, 0x68, v24
	v_add3_u32 v31, v33, v24, 0xc8
	s_mov_b32 s3, 0
.LBB75_177:                             ; =>This Inner Loop Header: Depth=1
	ds_load_b64 v[36:37], v31
	ds_load_b64 v[38:39], v30
	v_dual_add_nc_u32 v30, 8, v30 :: v_dual_add_nc_u32 v31, 8, v31
	s_wait_dscnt 0x0
	v_pk_mul_f32 v[40:41], v[38:39], v[36:37] op_sel:[1,1] op_sel_hi:[0,1]
	s_delay_alu instid0(VALU_DEP_1) | instskip(SKIP_2) | instid1(VALU_DEP_3)
	v_pk_fma_f32 v[42:43], v[38:39], v[36:37], v[40:41] op_sel_hi:[1,0,1]
	v_add_nc_u32_e32 v35, 1, v35
	v_pk_fma_f32 v[36:37], v[38:39], v[36:37], v[40:41] neg_lo:[0,0,1] neg_hi:[0,0,1]
	v_mov_b32_e32 v37, v43
	s_delay_alu instid0(VALU_DEP_3) | instskip(NEXT) | instid1(VALU_DEP_2)
	v_cmp_lt_u32_e32 vcc_lo, 5, v35
	v_pk_add_f32 v[26:27], v[26:27], v[36:37]
	s_or_b32 s3, vcc_lo, s3
	s_delay_alu instid0(SALU_CYCLE_1)
	s_and_not1_b32 exec_lo, exec_lo, s3
	s_cbranch_execnz .LBB75_177
; %bb.178:
	s_or_b32 exec_lo, exec_lo, s3
.LBB75_179:
	s_delay_alu instid0(SALU_CYCLE_1) | instskip(SKIP_4) | instid1(VALU_DEP_1)
	s_or_b32 exec_lo, exec_lo, s2
	v_mov_b32_e32 v30, 0
	ds_load_b64 v[30:31], v30 offset:56
	s_wait_dscnt 0x0
	v_pk_mul_f32 v[36:37], v[26:27], v[30:31] op_sel:[1,1] op_sel_hi:[0,1]
	v_pk_fma_f32 v[38:39], v[26:27], v[30:31], v[36:37] op_sel_hi:[1,0,1]
	v_pk_fma_f32 v[26:27], v[26:27], v[30:31], v[36:37] neg_lo:[0,0,1] neg_hi:[0,0,1]
	s_delay_alu instid0(VALU_DEP_2)
	v_mov_b32_e32 v27, v39
	ds_store_b64 v34, v[26:27] offset:56
.LBB75_180:
	s_or_b32 exec_lo, exec_lo, s0
	ds_load_b64 v[26:27], v34 offset:64
	s_mov_b32 s0, exec_lo
	s_wait_dscnt 0x0
	ds_store_b64 v25, v[26:27]
	s_wait_dscnt 0x0
	s_barrier_signal -1
	s_barrier_wait -1
	v_cmpx_gt_u32_e32 8, v32
	s_cbranch_execz .LBB75_190
; %bb.181:
	v_cmp_ne_u32_e32 vcc_lo, 1, v29
	s_cbranch_vccnz .LBB75_183
; %bb.182:
	ds_load_b64 v[26:27], v28
	ds_load_b64 v[30:31], v25
	s_wait_dscnt 0x0
	v_pk_mul_f32 v[36:37], v[30:31], v[26:27] op_sel:[1,1] op_sel_hi:[0,1]
	s_delay_alu instid0(VALU_DEP_1) | instskip(SKIP_1) | instid1(VALU_DEP_2)
	v_pk_fma_f32 v[38:39], v[30:31], v[26:27], v[36:37] op_sel_hi:[1,0,1]
	v_pk_fma_f32 v[26:27], v[30:31], v[26:27], v[36:37] neg_lo:[0,0,1] neg_hi:[0,0,1]
	v_mov_b32_e32 v27, v39
	s_cbranch_execz .LBB75_184
	s_branch .LBB75_185
.LBB75_183:
                                        ; implicit-def: $vgpr26_vgpr27
.LBB75_184:
	ds_load_b64 v[26:27], v25
.LBB75_185:
	s_mov_b32 s2, exec_lo
	v_cmpx_ne_u32_e32 7, v32
	s_cbranch_execz .LBB75_189
; %bb.186:
	v_dual_mov_b32 v35, v32 :: v_dual_add_nc_u32 v30, 0x68, v24
	v_add3_u32 v31, v33, v24, 0xc8
	s_mov_b32 s3, 0
.LBB75_187:                             ; =>This Inner Loop Header: Depth=1
	ds_load_b64 v[36:37], v31
	ds_load_b64 v[38:39], v30
	v_dual_add_nc_u32 v30, 8, v30 :: v_dual_add_nc_u32 v31, 8, v31
	s_wait_dscnt 0x0
	v_pk_mul_f32 v[40:41], v[38:39], v[36:37] op_sel:[1,1] op_sel_hi:[0,1]
	s_delay_alu instid0(VALU_DEP_1) | instskip(SKIP_2) | instid1(VALU_DEP_3)
	v_pk_fma_f32 v[42:43], v[38:39], v[36:37], v[40:41] op_sel_hi:[1,0,1]
	v_add_nc_u32_e32 v35, 1, v35
	v_pk_fma_f32 v[36:37], v[38:39], v[36:37], v[40:41] neg_lo:[0,0,1] neg_hi:[0,0,1]
	v_mov_b32_e32 v37, v43
	s_delay_alu instid0(VALU_DEP_3) | instskip(NEXT) | instid1(VALU_DEP_2)
	v_cmp_lt_u32_e32 vcc_lo, 6, v35
	v_pk_add_f32 v[26:27], v[26:27], v[36:37]
	s_or_b32 s3, vcc_lo, s3
	s_delay_alu instid0(SALU_CYCLE_1)
	s_and_not1_b32 exec_lo, exec_lo, s3
	s_cbranch_execnz .LBB75_187
; %bb.188:
	s_or_b32 exec_lo, exec_lo, s3
.LBB75_189:
	s_delay_alu instid0(SALU_CYCLE_1) | instskip(SKIP_4) | instid1(VALU_DEP_1)
	s_or_b32 exec_lo, exec_lo, s2
	v_mov_b32_e32 v30, 0
	ds_load_b64 v[30:31], v30 offset:64
	s_wait_dscnt 0x0
	v_pk_mul_f32 v[36:37], v[26:27], v[30:31] op_sel:[1,1] op_sel_hi:[0,1]
	v_pk_fma_f32 v[38:39], v[26:27], v[30:31], v[36:37] op_sel_hi:[1,0,1]
	v_pk_fma_f32 v[26:27], v[26:27], v[30:31], v[36:37] neg_lo:[0,0,1] neg_hi:[0,0,1]
	s_delay_alu instid0(VALU_DEP_2)
	v_mov_b32_e32 v27, v39
	ds_store_b64 v34, v[26:27] offset:64
.LBB75_190:
	s_or_b32 exec_lo, exec_lo, s0
	ds_load_b64 v[26:27], v34 offset:72
	s_mov_b32 s0, exec_lo
	s_wait_dscnt 0x0
	ds_store_b64 v25, v[26:27]
	s_wait_dscnt 0x0
	s_barrier_signal -1
	s_barrier_wait -1
	v_cmpx_gt_u32_e32 9, v32
	s_cbranch_execz .LBB75_200
; %bb.191:
	v_cmp_ne_u32_e32 vcc_lo, 1, v29
	s_cbranch_vccnz .LBB75_193
; %bb.192:
	ds_load_b64 v[26:27], v28
	ds_load_b64 v[30:31], v25
	s_wait_dscnt 0x0
	v_pk_mul_f32 v[36:37], v[30:31], v[26:27] op_sel:[1,1] op_sel_hi:[0,1]
	s_delay_alu instid0(VALU_DEP_1) | instskip(SKIP_1) | instid1(VALU_DEP_2)
	v_pk_fma_f32 v[38:39], v[30:31], v[26:27], v[36:37] op_sel_hi:[1,0,1]
	v_pk_fma_f32 v[26:27], v[30:31], v[26:27], v[36:37] neg_lo:[0,0,1] neg_hi:[0,0,1]
	v_mov_b32_e32 v27, v39
	s_cbranch_execz .LBB75_194
	s_branch .LBB75_195
.LBB75_193:
                                        ; implicit-def: $vgpr26_vgpr27
.LBB75_194:
	ds_load_b64 v[26:27], v25
.LBB75_195:
	s_mov_b32 s2, exec_lo
	v_cmpx_ne_u32_e32 8, v32
	s_cbranch_execz .LBB75_199
; %bb.196:
	v_dual_mov_b32 v35, v32 :: v_dual_add_nc_u32 v30, 0x68, v24
	v_add3_u32 v31, v33, v24, 0xc8
	s_mov_b32 s3, 0
.LBB75_197:                             ; =>This Inner Loop Header: Depth=1
	ds_load_b64 v[36:37], v31
	ds_load_b64 v[38:39], v30
	v_dual_add_nc_u32 v30, 8, v30 :: v_dual_add_nc_u32 v31, 8, v31
	s_wait_dscnt 0x0
	v_pk_mul_f32 v[40:41], v[38:39], v[36:37] op_sel:[1,1] op_sel_hi:[0,1]
	s_delay_alu instid0(VALU_DEP_1) | instskip(SKIP_2) | instid1(VALU_DEP_3)
	v_pk_fma_f32 v[42:43], v[38:39], v[36:37], v[40:41] op_sel_hi:[1,0,1]
	v_add_nc_u32_e32 v35, 1, v35
	v_pk_fma_f32 v[36:37], v[38:39], v[36:37], v[40:41] neg_lo:[0,0,1] neg_hi:[0,0,1]
	v_mov_b32_e32 v37, v43
	s_delay_alu instid0(VALU_DEP_3) | instskip(NEXT) | instid1(VALU_DEP_2)
	v_cmp_lt_u32_e32 vcc_lo, 7, v35
	v_pk_add_f32 v[26:27], v[26:27], v[36:37]
	s_or_b32 s3, vcc_lo, s3
	s_delay_alu instid0(SALU_CYCLE_1)
	s_and_not1_b32 exec_lo, exec_lo, s3
	s_cbranch_execnz .LBB75_197
; %bb.198:
	s_or_b32 exec_lo, exec_lo, s3
.LBB75_199:
	s_delay_alu instid0(SALU_CYCLE_1) | instskip(SKIP_4) | instid1(VALU_DEP_1)
	s_or_b32 exec_lo, exec_lo, s2
	v_mov_b32_e32 v30, 0
	ds_load_b64 v[30:31], v30 offset:72
	s_wait_dscnt 0x0
	v_pk_mul_f32 v[36:37], v[26:27], v[30:31] op_sel:[1,1] op_sel_hi:[0,1]
	v_pk_fma_f32 v[38:39], v[26:27], v[30:31], v[36:37] op_sel_hi:[1,0,1]
	v_pk_fma_f32 v[26:27], v[26:27], v[30:31], v[36:37] neg_lo:[0,0,1] neg_hi:[0,0,1]
	s_delay_alu instid0(VALU_DEP_2)
	v_mov_b32_e32 v27, v39
	ds_store_b64 v34, v[26:27] offset:72
.LBB75_200:
	s_or_b32 exec_lo, exec_lo, s0
	ds_load_b64 v[26:27], v34 offset:80
	v_cmp_gt_u32_e64 s0, 10, v32
	s_wait_dscnt 0x0
	ds_store_b64 v25, v[26:27]
	s_wait_dscnt 0x0
	s_barrier_signal -1
	s_barrier_wait -1
	s_and_saveexec_b32 s2, s0
	s_cbranch_execz .LBB75_210
; %bb.201:
	v_cmp_ne_u32_e32 vcc_lo, 1, v29
	s_cbranch_vccnz .LBB75_203
; %bb.202:
	ds_load_b64 v[26:27], v28
	ds_load_b64 v[30:31], v25
	s_wait_dscnt 0x0
	v_pk_mul_f32 v[36:37], v[30:31], v[26:27] op_sel:[1,1] op_sel_hi:[0,1]
	s_delay_alu instid0(VALU_DEP_1) | instskip(SKIP_1) | instid1(VALU_DEP_2)
	v_pk_fma_f32 v[38:39], v[30:31], v[26:27], v[36:37] op_sel_hi:[1,0,1]
	v_pk_fma_f32 v[26:27], v[30:31], v[26:27], v[36:37] neg_lo:[0,0,1] neg_hi:[0,0,1]
	v_mov_b32_e32 v27, v39
	s_cbranch_execz .LBB75_204
	s_branch .LBB75_205
.LBB75_203:
                                        ; implicit-def: $vgpr26_vgpr27
.LBB75_204:
	ds_load_b64 v[26:27], v25
.LBB75_205:
	s_mov_b32 s3, exec_lo
	v_cmpx_ne_u32_e32 9, v32
	s_cbranch_execz .LBB75_209
; %bb.206:
	v_dual_mov_b32 v35, v32 :: v_dual_add_nc_u32 v30, 0x68, v24
	v_add3_u32 v31, v33, v24, 0xc8
	s_mov_b32 s4, 0
.LBB75_207:                             ; =>This Inner Loop Header: Depth=1
	ds_load_b64 v[36:37], v31
	ds_load_b64 v[38:39], v30
	v_dual_add_nc_u32 v30, 8, v30 :: v_dual_add_nc_u32 v31, 8, v31
	s_wait_dscnt 0x0
	v_pk_mul_f32 v[40:41], v[38:39], v[36:37] op_sel:[1,1] op_sel_hi:[0,1]
	s_delay_alu instid0(VALU_DEP_1) | instskip(SKIP_2) | instid1(VALU_DEP_3)
	v_pk_fma_f32 v[42:43], v[38:39], v[36:37], v[40:41] op_sel_hi:[1,0,1]
	v_add_nc_u32_e32 v35, 1, v35
	v_pk_fma_f32 v[36:37], v[38:39], v[36:37], v[40:41] neg_lo:[0,0,1] neg_hi:[0,0,1]
	v_mov_b32_e32 v37, v43
	s_delay_alu instid0(VALU_DEP_3) | instskip(NEXT) | instid1(VALU_DEP_2)
	v_cmp_lt_u32_e32 vcc_lo, 8, v35
	v_pk_add_f32 v[26:27], v[26:27], v[36:37]
	s_or_b32 s4, vcc_lo, s4
	s_delay_alu instid0(SALU_CYCLE_1)
	s_and_not1_b32 exec_lo, exec_lo, s4
	s_cbranch_execnz .LBB75_207
; %bb.208:
	s_or_b32 exec_lo, exec_lo, s4
.LBB75_209:
	s_delay_alu instid0(SALU_CYCLE_1) | instskip(SKIP_4) | instid1(VALU_DEP_1)
	s_or_b32 exec_lo, exec_lo, s3
	v_mov_b32_e32 v30, 0
	ds_load_b64 v[30:31], v30 offset:80
	s_wait_dscnt 0x0
	v_pk_mul_f32 v[36:37], v[26:27], v[30:31] op_sel:[1,1] op_sel_hi:[0,1]
	v_pk_fma_f32 v[38:39], v[26:27], v[30:31], v[36:37] op_sel_hi:[1,0,1]
	v_pk_fma_f32 v[26:27], v[26:27], v[30:31], v[36:37] neg_lo:[0,0,1] neg_hi:[0,0,1]
	s_delay_alu instid0(VALU_DEP_2)
	v_mov_b32_e32 v27, v39
	ds_store_b64 v34, v[26:27] offset:80
.LBB75_210:
	s_or_b32 exec_lo, exec_lo, s2
	ds_load_b64 v[26:27], v34 offset:88
	s_mov_b32 s2, exec_lo
                                        ; implicit-def: $vgpr36
                                        ; implicit-def: $vgpr37
	s_wait_dscnt 0x0
	ds_store_b64 v25, v[26:27]
	s_wait_dscnt 0x0
	s_barrier_signal -1
	s_barrier_wait -1
	v_cmpx_ne_u32_e32 11, v32
	s_cbranch_execz .LBB75_220
; %bb.211:
	v_cmp_ne_u32_e32 vcc_lo, 1, v29
	s_cbranch_vccnz .LBB75_213
; %bb.212:
	ds_load_b64 v[28:29], v28
	ds_load_b64 v[30:31], v25
	s_wait_dscnt 0x0
	v_dual_mul_f32 v26, v31, v29 :: v_dual_mul_f32 v27, v30, v29
	s_delay_alu instid0(VALU_DEP_1)
	v_dual_fma_f32 v26, v30, v28, -v26 :: v_dual_fmac_f32 v27, v31, v28
	s_cbranch_execz .LBB75_214
	s_branch .LBB75_215
.LBB75_213:
                                        ; implicit-def: $vgpr27
.LBB75_214:
	ds_load_b64 v[26:27], v25
.LBB75_215:
	s_and_saveexec_b32 s3, s0
	s_cbranch_execz .LBB75_219
; %bb.216:
	v_add_nc_u32_e32 v25, 0x68, v24
	v_add3_u32 v24, v33, v24, 0xc8
	s_mov_b32 s0, 0
.LBB75_217:                             ; =>This Inner Loop Header: Depth=1
	ds_load_b64 v[28:29], v24
	ds_load_b64 v[30:31], v25
	v_dual_add_nc_u32 v32, 1, v32 :: v_dual_add_nc_u32 v25, 8, v25
	v_add_nc_u32_e32 v24, 8, v24
	s_delay_alu instid0(VALU_DEP_2) | instskip(SKIP_3) | instid1(VALU_DEP_1)
	v_cmp_lt_u32_e32 vcc_lo, 9, v32
	s_or_b32 s0, vcc_lo, s0
	s_wait_dscnt 0x0
	v_dual_mul_f32 v33, v31, v29 :: v_dual_mul_f32 v29, v30, v29
	v_fmac_f32_e32 v29, v31, v28
	s_delay_alu instid0(VALU_DEP_1) | instskip(NEXT) | instid1(VALU_DEP_1)
	v_dual_fma_f32 v30, v30, v28, -v33 :: v_dual_add_f32 v27, v27, v29
	v_add_f32_e32 v26, v26, v30
	s_and_not1_b32 exec_lo, exec_lo, s0
	s_cbranch_execnz .LBB75_217
; %bb.218:
	s_or_b32 exec_lo, exec_lo, s0
.LBB75_219:
	s_delay_alu instid0(SALU_CYCLE_1)
	s_or_b32 exec_lo, exec_lo, s3
	v_mov_b32_e32 v24, 0
	s_or_b32 s1, s1, exec_lo
	v_add_nc_u32_e32 v37, 0x5c, v34
	ds_load_b64 v[24:25], v24 offset:88
	s_wait_dscnt 0x0
	v_dual_mul_f32 v28, v27, v25 :: v_dual_mul_f32 v36, v26, v25
	s_delay_alu instid0(VALU_DEP_1) | instskip(NEXT) | instid1(VALU_DEP_2)
	v_fma_f32 v25, v26, v24, -v28
	v_fmac_f32_e32 v36, v27, v24
	ds_store_b32 v34, v25 offset:88
.LBB75_220:
	s_or_b32 exec_lo, exec_lo, s2
.LBB75_221:
	v_lshl_add_u64 v[32:33], v[4:5], 3, s[6:7]
	v_lshl_add_u64 v[30:31], v[6:7], 3, s[6:7]
	;; [unrolled: 1-line block ×10, first 2 shown]
	s_and_saveexec_b32 s0, s1
; %bb.222:
	ds_store_b32 v37, v36
; %bb.223:
	s_or_b32 exec_lo, exec_lo, s0
	ds_load_b64 v[14:15], v34
	s_wait_dscnt 0x0
	flat_store_b64 v[0:1], v[14:15]
	s_wait_xcnt 0x0
	ds_load_b64 v[0:1], v34 offset:8
	s_wait_dscnt 0x0
	flat_store_b64 v[2:3], v[0:1]
	s_wait_xcnt 0x0
	ds_load_b64 v[0:1], v34 offset:16
	;; [unrolled: 4-line block ×11, first 2 shown]
	s_wait_dscnt 0x0
	flat_store_b64 v[4:5], v[0:1]
.LBB75_224:
	s_endpgm
	.section	.rodata,"a",@progbits
	.p2align	6, 0x0
	.amdhsa_kernel _ZN9rocsolver6v33100L18trti2_kernel_smallILi12E19rocblas_complex_numIfEPKPS3_EEv13rocblas_fill_17rocblas_diagonal_T1_iil
		.amdhsa_group_segment_fixed_size 6336
		.amdhsa_private_segment_fixed_size 0
		.amdhsa_kernarg_size 32
		.amdhsa_user_sgpr_count 4
		.amdhsa_user_sgpr_dispatch_ptr 1
		.amdhsa_user_sgpr_queue_ptr 0
		.amdhsa_user_sgpr_kernarg_segment_ptr 1
		.amdhsa_user_sgpr_dispatch_id 0
		.amdhsa_user_sgpr_kernarg_preload_length 0
		.amdhsa_user_sgpr_kernarg_preload_offset 0
		.amdhsa_user_sgpr_private_segment_size 0
		.amdhsa_wavefront_size32 1
		.amdhsa_uses_dynamic_stack 0
		.amdhsa_enable_private_segment 0
		.amdhsa_system_sgpr_workgroup_id_x 1
		.amdhsa_system_sgpr_workgroup_id_y 0
		.amdhsa_system_sgpr_workgroup_id_z 0
		.amdhsa_system_sgpr_workgroup_info 0
		.amdhsa_system_vgpr_workitem_id 2
		.amdhsa_next_free_vgpr 44
		.amdhsa_next_free_sgpr 12
		.amdhsa_named_barrier_count 0
		.amdhsa_reserve_vcc 1
		.amdhsa_float_round_mode_32 0
		.amdhsa_float_round_mode_16_64 0
		.amdhsa_float_denorm_mode_32 3
		.amdhsa_float_denorm_mode_16_64 3
		.amdhsa_fp16_overflow 0
		.amdhsa_memory_ordered 1
		.amdhsa_forward_progress 1
		.amdhsa_inst_pref_size 67
		.amdhsa_round_robin_scheduling 0
		.amdhsa_exception_fp_ieee_invalid_op 0
		.amdhsa_exception_fp_denorm_src 0
		.amdhsa_exception_fp_ieee_div_zero 0
		.amdhsa_exception_fp_ieee_overflow 0
		.amdhsa_exception_fp_ieee_underflow 0
		.amdhsa_exception_fp_ieee_inexact 0
		.amdhsa_exception_int_div_zero 0
	.end_amdhsa_kernel
	.section	.text._ZN9rocsolver6v33100L18trti2_kernel_smallILi12E19rocblas_complex_numIfEPKPS3_EEv13rocblas_fill_17rocblas_diagonal_T1_iil,"axG",@progbits,_ZN9rocsolver6v33100L18trti2_kernel_smallILi12E19rocblas_complex_numIfEPKPS3_EEv13rocblas_fill_17rocblas_diagonal_T1_iil,comdat
.Lfunc_end75:
	.size	_ZN9rocsolver6v33100L18trti2_kernel_smallILi12E19rocblas_complex_numIfEPKPS3_EEv13rocblas_fill_17rocblas_diagonal_T1_iil, .Lfunc_end75-_ZN9rocsolver6v33100L18trti2_kernel_smallILi12E19rocblas_complex_numIfEPKPS3_EEv13rocblas_fill_17rocblas_diagonal_T1_iil
                                        ; -- End function
	.set _ZN9rocsolver6v33100L18trti2_kernel_smallILi12E19rocblas_complex_numIfEPKPS3_EEv13rocblas_fill_17rocblas_diagonal_T1_iil.num_vgpr, 44
	.set _ZN9rocsolver6v33100L18trti2_kernel_smallILi12E19rocblas_complex_numIfEPKPS3_EEv13rocblas_fill_17rocblas_diagonal_T1_iil.num_agpr, 0
	.set _ZN9rocsolver6v33100L18trti2_kernel_smallILi12E19rocblas_complex_numIfEPKPS3_EEv13rocblas_fill_17rocblas_diagonal_T1_iil.numbered_sgpr, 12
	.set _ZN9rocsolver6v33100L18trti2_kernel_smallILi12E19rocblas_complex_numIfEPKPS3_EEv13rocblas_fill_17rocblas_diagonal_T1_iil.num_named_barrier, 0
	.set _ZN9rocsolver6v33100L18trti2_kernel_smallILi12E19rocblas_complex_numIfEPKPS3_EEv13rocblas_fill_17rocblas_diagonal_T1_iil.private_seg_size, 0
	.set _ZN9rocsolver6v33100L18trti2_kernel_smallILi12E19rocblas_complex_numIfEPKPS3_EEv13rocblas_fill_17rocblas_diagonal_T1_iil.uses_vcc, 1
	.set _ZN9rocsolver6v33100L18trti2_kernel_smallILi12E19rocblas_complex_numIfEPKPS3_EEv13rocblas_fill_17rocblas_diagonal_T1_iil.uses_flat_scratch, 0
	.set _ZN9rocsolver6v33100L18trti2_kernel_smallILi12E19rocblas_complex_numIfEPKPS3_EEv13rocblas_fill_17rocblas_diagonal_T1_iil.has_dyn_sized_stack, 0
	.set _ZN9rocsolver6v33100L18trti2_kernel_smallILi12E19rocblas_complex_numIfEPKPS3_EEv13rocblas_fill_17rocblas_diagonal_T1_iil.has_recursion, 0
	.set _ZN9rocsolver6v33100L18trti2_kernel_smallILi12E19rocblas_complex_numIfEPKPS3_EEv13rocblas_fill_17rocblas_diagonal_T1_iil.has_indirect_call, 0
	.section	.AMDGPU.csdata,"",@progbits
; Kernel info:
; codeLenInByte = 8576
; TotalNumSgprs: 14
; NumVgprs: 44
; ScratchSize: 0
; MemoryBound: 0
; FloatMode: 240
; IeeeMode: 1
; LDSByteSize: 6336 bytes/workgroup (compile time only)
; SGPRBlocks: 0
; VGPRBlocks: 2
; NumSGPRsForWavesPerEU: 14
; NumVGPRsForWavesPerEU: 44
; NamedBarCnt: 0
; Occupancy: 13
; WaveLimiterHint : 1
; COMPUTE_PGM_RSRC2:SCRATCH_EN: 0
; COMPUTE_PGM_RSRC2:USER_SGPR: 4
; COMPUTE_PGM_RSRC2:TRAP_HANDLER: 0
; COMPUTE_PGM_RSRC2:TGID_X_EN: 1
; COMPUTE_PGM_RSRC2:TGID_Y_EN: 0
; COMPUTE_PGM_RSRC2:TGID_Z_EN: 0
; COMPUTE_PGM_RSRC2:TIDIG_COMP_CNT: 2
	.section	.text._ZN9rocsolver6v33100L18trti2_kernel_smallILi13E19rocblas_complex_numIfEPKPS3_EEv13rocblas_fill_17rocblas_diagonal_T1_iil,"axG",@progbits,_ZN9rocsolver6v33100L18trti2_kernel_smallILi13E19rocblas_complex_numIfEPKPS3_EEv13rocblas_fill_17rocblas_diagonal_T1_iil,comdat
	.globl	_ZN9rocsolver6v33100L18trti2_kernel_smallILi13E19rocblas_complex_numIfEPKPS3_EEv13rocblas_fill_17rocblas_diagonal_T1_iil ; -- Begin function _ZN9rocsolver6v33100L18trti2_kernel_smallILi13E19rocblas_complex_numIfEPKPS3_EEv13rocblas_fill_17rocblas_diagonal_T1_iil
	.p2align	8
	.type	_ZN9rocsolver6v33100L18trti2_kernel_smallILi13E19rocblas_complex_numIfEPKPS3_EEv13rocblas_fill_17rocblas_diagonal_T1_iil,@function
_ZN9rocsolver6v33100L18trti2_kernel_smallILi13E19rocblas_complex_numIfEPKPS3_EEv13rocblas_fill_17rocblas_diagonal_T1_iil: ; @_ZN9rocsolver6v33100L18trti2_kernel_smallILi13E19rocblas_complex_numIfEPKPS3_EEv13rocblas_fill_17rocblas_diagonal_T1_iil
; %bb.0:
	v_and_b32_e32 v34, 0x3ff, v0
	s_mov_b32 s4, exec_lo
	s_delay_alu instid0(VALU_DEP_1)
	v_cmpx_gt_u32_e32 13, v34
	s_cbranch_execz .LBB76_244
; %bb.1:
	s_load_b64 s[8:9], s[0:1], 0x4
	s_clause 0x1
	s_load_b64 s[10:11], s[2:3], 0x10
	s_load_b128 s[4:7], s[2:3], 0x0
	s_wait_xcnt 0x0
	s_bfe_u32 s0, ttmp6, 0x4000c
	s_and_b32 s1, ttmp6, 15
	s_add_co_i32 s0, s0, 1
	s_getreg_b32 s2, hwreg(HW_REG_IB_STS2, 6, 4)
	s_mul_i32 s0, ttmp9, s0
	v_bfe_u32 v1, v0, 10, 10
	s_add_co_i32 s0, s1, s0
	v_bfe_u32 v0, v0, 20, 10
	v_dual_mov_b32 v27, 0 :: v_dual_lshlrev_b32 v26, 3, v34
	s_wait_kmcnt 0x0
	s_lshr_b32 s8, s8, 16
	s_ashr_i32 s1, s10, 31
	s_cmp_eq_u32 s2, 0
	s_mul_i32 s8, s8, s9
	s_cselect_b32 s2, ttmp9, s0
	s_mov_b32 s0, s10
	s_ashr_i32 s3, s2, 31
	s_lshl_b64 s[0:1], s[0:1], 3
	s_lshl_b64 s[2:3], s[2:3], 3
	v_mul_u32_u24_e32 v1, s9, v1
	s_add_nc_u64 s[2:3], s[6:7], s[2:3]
	v_mul_u32_u24_e32 v2, s8, v34
	s_load_b64 s[2:3], s[2:3], 0x0
	s_delay_alu instid0(VALU_DEP_1) | instskip(NEXT) | instid1(VALU_DEP_1)
	v_add3_u32 v37, v2, v1, v0
	v_mul_lo_u32 v35, 0x68, v37
	s_delay_alu instid0(VALU_DEP_1)
	v_add_nc_u32_e32 v36, 0xe0, v35
	s_wait_kmcnt 0x0
	s_add_nc_u64 s[2:3], s[2:3], s[0:1]
	s_mov_b32 s0, s11
	flat_load_b64 v[4:5], v34, s[2:3] scale_offset
	v_add_nc_u64_e32 v[0:1], s[2:3], v[26:27]
	s_ashr_i32 s1, s11, 31
	s_cmp_lg_u32 s5, 0x84
	s_cselect_b32 s5, -1, 0
	s_delay_alu instid0(SALU_CYCLE_1) | instskip(NEXT) | instid1(VALU_DEP_1)
	s_and_b32 vcc_lo, exec_lo, s5
	v_lshl_add_u64 v[2:3], s[0:1], 3, v[0:1]
	s_mov_b32 s0, -1
	s_wait_loadcnt_dscnt 0x0
	ds_store_b64 v35, v[4:5] offset:224
	flat_load_b64 v[6:7], v[2:3]
	v_add3_u32 v4, s11, s11, v34
	s_wait_loadcnt_dscnt 0x0
	ds_store_b64 v35, v[6:7] offset:232
	flat_load_b64 v[8:9], v4, s[2:3] scale_offset
	v_add_nc_u32_e32 v6, s11, v4
	s_wait_loadcnt_dscnt 0x0
	ds_store_b64 v35, v[8:9] offset:240
	flat_load_b64 v[10:11], v6, s[2:3] scale_offset
	v_add_nc_u32_e32 v8, s11, v6
	;; [unrolled: 4-line block ×10, first 2 shown]
	s_wait_loadcnt_dscnt 0x0
	ds_store_b64 v35, v[28:29] offset:312
	flat_load_b64 v[28:29], v24, s[2:3] scale_offset
	s_wait_loadcnt_dscnt 0x0
	ds_store_b64 v35, v[28:29] offset:320
	s_cbranch_vccz .LBB76_7
; %bb.2:
	v_lshl_add_u32 v5, v34, 3, v36
                                        ; implicit-def: $vgpr33
                                        ; implicit-def: $vgpr30
	ds_load_b64 v[28:29], v5
	s_wait_dscnt 0x0
	v_cmp_ngt_f32_e64 s0, |v28|, |v29|
	s_and_saveexec_b32 s1, s0
	s_delay_alu instid0(SALU_CYCLE_1)
	s_xor_b32 s0, exec_lo, s1
	s_cbranch_execz .LBB76_4
; %bb.3:
	v_div_scale_f32 v7, null, v29, v29, v28
	v_div_scale_f32 v13, vcc_lo, v28, v29, v28
	s_delay_alu instid0(VALU_DEP_2) | instskip(SKIP_1) | instid1(TRANS32_DEP_1)
	v_rcp_f32_e32 v9, v7
	v_nop
	v_fma_f32 v11, -v7, v9, 1.0
	s_delay_alu instid0(VALU_DEP_1) | instskip(NEXT) | instid1(VALU_DEP_1)
	v_fmac_f32_e32 v9, v11, v9
	v_mul_f32_e32 v11, v13, v9
	s_delay_alu instid0(VALU_DEP_1) | instskip(NEXT) | instid1(VALU_DEP_1)
	v_fma_f32 v15, -v7, v11, v13
	v_fmac_f32_e32 v11, v15, v9
	s_delay_alu instid0(VALU_DEP_1) | instskip(NEXT) | instid1(VALU_DEP_1)
	v_fma_f32 v7, -v7, v11, v13
	v_div_fmas_f32 v7, v7, v9, v11
	s_delay_alu instid0(VALU_DEP_1) | instskip(NEXT) | instid1(VALU_DEP_1)
	v_div_fixup_f32 v7, v7, v29, v28
	v_fmac_f32_e32 v29, v28, v7
	s_delay_alu instid0(VALU_DEP_1) | instskip(NEXT) | instid1(VALU_DEP_1)
	v_div_scale_f32 v9, null, v29, v29, -1.0
	v_rcp_f32_e32 v11, v9
	v_nop
	s_delay_alu instid0(TRANS32_DEP_1) | instskip(NEXT) | instid1(VALU_DEP_1)
	v_fma_f32 v13, -v9, v11, 1.0
	v_fmac_f32_e32 v11, v13, v11
	v_div_scale_f32 v13, vcc_lo, -1.0, v29, -1.0
	s_delay_alu instid0(VALU_DEP_1) | instskip(NEXT) | instid1(VALU_DEP_1)
	v_mul_f32_e32 v15, v13, v11
	v_fma_f32 v17, -v9, v15, v13
	s_delay_alu instid0(VALU_DEP_1) | instskip(NEXT) | instid1(VALU_DEP_1)
	v_fmac_f32_e32 v15, v17, v11
	v_fma_f32 v9, -v9, v15, v13
	s_delay_alu instid0(VALU_DEP_1) | instskip(NEXT) | instid1(VALU_DEP_1)
	v_div_fmas_f32 v9, v9, v11, v15
	v_div_fixup_f32 v33, v9, v29, -1.0
                                        ; implicit-def: $vgpr28_vgpr29
	s_delay_alu instid0(VALU_DEP_1) | instskip(NEXT) | instid1(VALU_DEP_1)
	v_mul_f32_e32 v30, v7, v33
	v_xor_b32_e32 v32, 0x80000000, v30
.LBB76_4:
	s_and_not1_saveexec_b32 s0, s0
	s_cbranch_execz .LBB76_6
; %bb.5:
	v_div_scale_f32 v7, null, v28, v28, v29
	v_div_scale_f32 v13, vcc_lo, v29, v28, v29
	s_delay_alu instid0(VALU_DEP_2) | instskip(SKIP_1) | instid1(TRANS32_DEP_1)
	v_rcp_f32_e32 v9, v7
	v_nop
	v_fma_f32 v11, -v7, v9, 1.0
	s_delay_alu instid0(VALU_DEP_1) | instskip(NEXT) | instid1(VALU_DEP_1)
	v_fmac_f32_e32 v9, v11, v9
	v_mul_f32_e32 v11, v13, v9
	s_delay_alu instid0(VALU_DEP_1) | instskip(NEXT) | instid1(VALU_DEP_1)
	v_fma_f32 v15, -v7, v11, v13
	v_fmac_f32_e32 v11, v15, v9
	s_delay_alu instid0(VALU_DEP_1) | instskip(NEXT) | instid1(VALU_DEP_1)
	v_fma_f32 v7, -v7, v11, v13
	v_div_fmas_f32 v7, v7, v9, v11
	s_delay_alu instid0(VALU_DEP_1) | instskip(NEXT) | instid1(VALU_DEP_1)
	v_div_fixup_f32 v7, v7, v28, v29
	v_fmac_f32_e32 v28, v29, v7
	s_delay_alu instid0(VALU_DEP_1) | instskip(SKIP_1) | instid1(VALU_DEP_2)
	v_div_scale_f32 v9, null, v28, v28, 1.0
	v_div_scale_f32 v15, vcc_lo, 1.0, v28, 1.0
	v_rcp_f32_e32 v11, v9
	v_nop
	s_delay_alu instid0(TRANS32_DEP_1) | instskip(NEXT) | instid1(VALU_DEP_1)
	v_fma_f32 v13, -v9, v11, 1.0
	v_fmac_f32_e32 v11, v13, v11
	s_delay_alu instid0(VALU_DEP_1) | instskip(NEXT) | instid1(VALU_DEP_1)
	v_mul_f32_e32 v13, v15, v11
	v_fma_f32 v17, -v9, v13, v15
	s_delay_alu instid0(VALU_DEP_1) | instskip(NEXT) | instid1(VALU_DEP_1)
	v_fmac_f32_e32 v13, v17, v11
	v_fma_f32 v9, -v9, v13, v15
	s_delay_alu instid0(VALU_DEP_1) | instskip(NEXT) | instid1(VALU_DEP_1)
	v_div_fmas_f32 v9, v9, v11, v13
	v_div_fixup_f32 v32, v9, v28, 1.0
	s_delay_alu instid0(VALU_DEP_1)
	v_xor_b32_e32 v30, 0x80000000, v32
	v_mul_f32_e64 v33, v7, -v32
.LBB76_6:
	s_or_b32 exec_lo, exec_lo, s0
	s_delay_alu instid0(VALU_DEP_1)
	v_xor_b32_e32 v31, 0x80000000, v33
	s_mov_b32 s0, 0
	ds_store_b64 v5, v[32:33]
	ds_store_b64 v26, v[30:31]
.LBB76_7:
	s_and_b32 vcc_lo, exec_lo, s0
	s_cbranch_vccz .LBB76_9
; %bb.8:
	s_mov_b64 s[0:1], 0xbf800000
	s_delay_alu instid0(SALU_CYCLE_1)
	v_mov_b64_e32 v[28:29], s[0:1]
	ds_store_b64 v26, v[28:29]
.LBB76_9:
	v_dual_ashrrev_i32 v5, 31, v4 :: v_dual_ashrrev_i32 v7, 31, v6
	v_dual_ashrrev_i32 v9, 31, v8 :: v_dual_ashrrev_i32 v11, 31, v10
	;; [unrolled: 1-line block ×5, first 2 shown]
	v_dual_ashrrev_i32 v25, 31, v24 :: v_dual_add_nc_u32 v30, v36, v26
	v_add_nc_u32_e32 v27, 0x70, v26
	s_cmp_eq_u32 s4, 0x79
	s_cbranch_scc1 .LBB76_13
; %bb.10:
	ds_load_b64 v[28:29], v36 offset:88
	v_cmp_eq_u32_e64 s0, 12, v34
	s_wait_dscnt 0x0
	ds_store_b64 v27, v[28:29]
	s_wait_dscnt 0x0
	s_barrier_signal -1
	s_barrier_wait -1
	s_and_saveexec_b32 s1, s0
	s_cbranch_execz .LBB76_17
; %bb.11:
	s_and_b32 vcc_lo, exec_lo, s5
	s_cbranch_vccz .LBB76_14
; %bb.12:
	ds_load_b64 v[28:29], v30
	ds_load_b64 v[32:33], v27
	s_wait_dscnt 0x0
	v_pk_mul_f32 v[38:39], v[32:33], v[28:29] op_sel:[1,1] op_sel_hi:[0,1]
	v_pk_mul_f32 v[40:41], v[32:33], v[28:29] op_sel_hi:[1,0]
	s_delay_alu instid0(VALU_DEP_2) | instskip(NEXT) | instid1(VALU_DEP_2)
	v_pk_fma_f32 v[28:29], v[32:33], v[28:29], v[38:39] op_sel_hi:[1,0,1]
	v_sub_f32_e32 v28, v40, v38
	s_cbranch_execz .LBB76_15
	s_branch .LBB76_16
.LBB76_13:
	s_mov_b32 s1, 0
                                        ; implicit-def: $vgpr38
                                        ; implicit-def: $vgpr39
	s_cbranch_execnz .LBB76_126
	s_branch .LBB76_241
.LBB76_14:
                                        ; implicit-def: $vgpr29
.LBB76_15:
	ds_load_b64 v[28:29], v27
.LBB76_16:
	s_wait_dscnt 0x0
	v_dual_mov_b32 v31, 0 :: v_dual_mov_b32 v38, v29
	v_mov_b32_e32 v39, v28
	ds_load_b64 v[32:33], v31 offset:88
	s_wait_dscnt 0x0
	v_pk_mul_f32 v[38:39], v[38:39], v[32:33] op_sel:[0,1]
	s_delay_alu instid0(VALU_DEP_1) | instskip(SKIP_1) | instid1(VALU_DEP_2)
	v_pk_fma_f32 v[40:41], v[28:29], v[32:33], v[38:39] op_sel_hi:[1,0,1]
	v_pk_fma_f32 v[28:29], v[28:29], v[32:33], v[38:39] neg_lo:[0,0,1] neg_hi:[0,0,1]
	v_mov_b32_e32 v29, v41
	ds_store_b64 v36, v[28:29] offset:88
.LBB76_17:
	s_or_b32 exec_lo, exec_lo, s1
	ds_load_b64 v[28:29], v36 offset:80
	v_cmp_lt_u32_e64 s1, 10, v34
	s_wait_dscnt 0x0
	ds_store_b64 v27, v[28:29]
	s_wait_dscnt 0x0
	s_barrier_signal -1
	s_barrier_wait -1
	s_and_saveexec_b32 s4, s1
	s_cbranch_execz .LBB76_25
; %bb.18:
	s_and_not1_b32 vcc_lo, exec_lo, s5
	s_cbranch_vccnz .LBB76_20
; %bb.19:
	ds_load_b64 v[28:29], v30
	ds_load_b64 v[32:33], v27
	s_wait_dscnt 0x0
	v_pk_mul_f32 v[38:39], v[32:33], v[28:29] op_sel:[1,1] op_sel_hi:[0,1]
	s_delay_alu instid0(VALU_DEP_1) | instskip(SKIP_1) | instid1(VALU_DEP_2)
	v_pk_fma_f32 v[40:41], v[32:33], v[28:29], v[38:39] op_sel_hi:[1,0,1]
	v_pk_fma_f32 v[28:29], v[32:33], v[28:29], v[38:39] neg_lo:[0,0,1] neg_hi:[0,0,1]
	v_mov_b32_e32 v29, v41
	s_cbranch_execz .LBB76_21
	s_branch .LBB76_22
.LBB76_20:
                                        ; implicit-def: $vgpr28_vgpr29
.LBB76_21:
	ds_load_b64 v[28:29], v27
.LBB76_22:
	s_and_saveexec_b32 s6, s0
	s_cbranch_execz .LBB76_24
; %bb.23:
	v_mov_b32_e32 v31, 0
	ds_load_b64 v[32:33], v36 offset:88
	ds_load_b64 v[38:39], v31 offset:200
	s_wait_dscnt 0x0
	v_pk_mul_f32 v[40:41], v[38:39], v[32:33] op_sel:[1,1] op_sel_hi:[0,1]
	s_delay_alu instid0(VALU_DEP_1) | instskip(SKIP_1) | instid1(VALU_DEP_2)
	v_pk_fma_f32 v[42:43], v[38:39], v[32:33], v[40:41] op_sel_hi:[1,0,1]
	v_pk_fma_f32 v[32:33], v[38:39], v[32:33], v[40:41] neg_lo:[0,0,1] neg_hi:[0,0,1]
	v_mov_b32_e32 v33, v43
	s_delay_alu instid0(VALU_DEP_1)
	v_pk_add_f32 v[28:29], v[28:29], v[32:33]
.LBB76_24:
	s_or_b32 exec_lo, exec_lo, s6
	v_mov_b32_e32 v31, 0
	ds_load_b64 v[32:33], v31 offset:80
	s_wait_dscnt 0x0
	v_pk_mul_f32 v[38:39], v[28:29], v[32:33] op_sel:[1,1] op_sel_hi:[0,1]
	s_delay_alu instid0(VALU_DEP_1) | instskip(SKIP_1) | instid1(VALU_DEP_2)
	v_pk_fma_f32 v[40:41], v[28:29], v[32:33], v[38:39] op_sel_hi:[1,0,1]
	v_pk_fma_f32 v[28:29], v[28:29], v[32:33], v[38:39] neg_lo:[0,0,1] neg_hi:[0,0,1]
	v_mov_b32_e32 v29, v41
	ds_store_b64 v36, v[28:29] offset:80
.LBB76_25:
	s_or_b32 exec_lo, exec_lo, s4
	ds_load_b64 v[28:29], v36 offset:72
	v_cmp_lt_u32_e64 s0, 9, v34
	s_wait_dscnt 0x0
	ds_store_b64 v27, v[28:29]
	s_wait_dscnt 0x0
	s_barrier_signal -1
	s_barrier_wait -1
	s_and_saveexec_b32 s4, s0
	s_cbranch_execz .LBB76_35
; %bb.26:
	s_and_not1_b32 vcc_lo, exec_lo, s5
	s_cbranch_vccnz .LBB76_28
; %bb.27:
	ds_load_b64 v[28:29], v30
	ds_load_b64 v[32:33], v27
	s_wait_dscnt 0x0
	v_pk_mul_f32 v[38:39], v[32:33], v[28:29] op_sel:[1,1] op_sel_hi:[0,1]
	s_delay_alu instid0(VALU_DEP_1) | instskip(SKIP_1) | instid1(VALU_DEP_2)
	v_pk_fma_f32 v[40:41], v[32:33], v[28:29], v[38:39] op_sel_hi:[1,0,1]
	v_pk_fma_f32 v[28:29], v[32:33], v[28:29], v[38:39] neg_lo:[0,0,1] neg_hi:[0,0,1]
	v_mov_b32_e32 v29, v41
	s_cbranch_execz .LBB76_29
	s_branch .LBB76_30
.LBB76_28:
                                        ; implicit-def: $vgpr28_vgpr29
.LBB76_29:
	ds_load_b64 v[28:29], v27
.LBB76_30:
	s_and_saveexec_b32 s6, s1
	s_cbranch_execz .LBB76_34
; %bb.31:
	s_movk_i32 s1, 0x68
	v_add_nc_u32_e32 v32, -10, v34
	v_mad_u32 v31, v37, s1, 0x130
	s_movk_i32 s7, 0xc0
	s_mov_b32 s1, 0
.LBB76_32:                              ; =>This Inner Loop Header: Depth=1
	s_delay_alu instid0(VALU_DEP_2)
	v_dual_mov_b32 v33, s7 :: v_dual_add_nc_u32 v32, -1, v32
	s_add_co_i32 s7, s7, 8
	ds_load_b64 v[38:39], v31
	ds_load_b64 v[40:41], v33
	v_add_nc_u32_e32 v31, 8, v31
	v_cmp_eq_u32_e32 vcc_lo, 0, v32
	s_or_b32 s1, vcc_lo, s1
	s_wait_dscnt 0x0
	v_pk_mul_f32 v[42:43], v[40:41], v[38:39] op_sel:[1,1] op_sel_hi:[0,1]
	s_delay_alu instid0(VALU_DEP_1) | instskip(SKIP_1) | instid1(VALU_DEP_2)
	v_pk_fma_f32 v[44:45], v[40:41], v[38:39], v[42:43] op_sel_hi:[1,0,1]
	v_pk_fma_f32 v[38:39], v[40:41], v[38:39], v[42:43] neg_lo:[0,0,1] neg_hi:[0,0,1]
	v_mov_b32_e32 v39, v45
	s_delay_alu instid0(VALU_DEP_1)
	v_pk_add_f32 v[28:29], v[28:29], v[38:39]
	s_and_not1_b32 exec_lo, exec_lo, s1
	s_cbranch_execnz .LBB76_32
; %bb.33:
	s_or_b32 exec_lo, exec_lo, s1
.LBB76_34:
	s_delay_alu instid0(SALU_CYCLE_1) | instskip(SKIP_4) | instid1(VALU_DEP_1)
	s_or_b32 exec_lo, exec_lo, s6
	v_mov_b32_e32 v31, 0
	ds_load_b64 v[32:33], v31 offset:72
	s_wait_dscnt 0x0
	v_pk_mul_f32 v[38:39], v[28:29], v[32:33] op_sel:[1,1] op_sel_hi:[0,1]
	v_pk_fma_f32 v[40:41], v[28:29], v[32:33], v[38:39] op_sel_hi:[1,0,1]
	v_pk_fma_f32 v[28:29], v[28:29], v[32:33], v[38:39] neg_lo:[0,0,1] neg_hi:[0,0,1]
	s_delay_alu instid0(VALU_DEP_2)
	v_mov_b32_e32 v29, v41
	ds_store_b64 v36, v[28:29] offset:72
.LBB76_35:
	s_or_b32 exec_lo, exec_lo, s4
	ds_load_b64 v[28:29], v36 offset:64
	v_cmp_lt_u32_e64 s1, 8, v34
	s_wait_dscnt 0x0
	ds_store_b64 v27, v[28:29]
	s_wait_dscnt 0x0
	s_barrier_signal -1
	s_barrier_wait -1
	s_and_saveexec_b32 s4, s1
	s_cbranch_execz .LBB76_45
; %bb.36:
	s_and_not1_b32 vcc_lo, exec_lo, s5
	s_cbranch_vccnz .LBB76_38
; %bb.37:
	ds_load_b64 v[28:29], v30
	ds_load_b64 v[32:33], v27
	s_wait_dscnt 0x0
	v_pk_mul_f32 v[38:39], v[32:33], v[28:29] op_sel:[1,1] op_sel_hi:[0,1]
	s_delay_alu instid0(VALU_DEP_1) | instskip(SKIP_1) | instid1(VALU_DEP_2)
	v_pk_fma_f32 v[40:41], v[32:33], v[28:29], v[38:39] op_sel_hi:[1,0,1]
	v_pk_fma_f32 v[28:29], v[32:33], v[28:29], v[38:39] neg_lo:[0,0,1] neg_hi:[0,0,1]
	v_mov_b32_e32 v29, v41
	s_cbranch_execz .LBB76_39
	s_branch .LBB76_40
.LBB76_38:
                                        ; implicit-def: $vgpr28_vgpr29
.LBB76_39:
	ds_load_b64 v[28:29], v27
.LBB76_40:
	s_and_saveexec_b32 s6, s0
	s_cbranch_execz .LBB76_44
; %bb.41:
	s_movk_i32 s0, 0x68
	v_add_nc_u32_e32 v32, -9, v34
	v_mad_u32 v31, v37, s0, 0x128
	s_movk_i32 s7, 0xb8
	s_mov_b32 s0, 0
.LBB76_42:                              ; =>This Inner Loop Header: Depth=1
	s_delay_alu instid0(VALU_DEP_2)
	v_dual_mov_b32 v33, s7 :: v_dual_add_nc_u32 v32, -1, v32
	s_add_co_i32 s7, s7, 8
	ds_load_b64 v[38:39], v31
	ds_load_b64 v[40:41], v33
	v_add_nc_u32_e32 v31, 8, v31
	v_cmp_eq_u32_e32 vcc_lo, 0, v32
	s_or_b32 s0, vcc_lo, s0
	s_wait_dscnt 0x0
	v_pk_mul_f32 v[42:43], v[40:41], v[38:39] op_sel:[1,1] op_sel_hi:[0,1]
	s_delay_alu instid0(VALU_DEP_1) | instskip(SKIP_1) | instid1(VALU_DEP_2)
	v_pk_fma_f32 v[44:45], v[40:41], v[38:39], v[42:43] op_sel_hi:[1,0,1]
	v_pk_fma_f32 v[38:39], v[40:41], v[38:39], v[42:43] neg_lo:[0,0,1] neg_hi:[0,0,1]
	v_mov_b32_e32 v39, v45
	s_delay_alu instid0(VALU_DEP_1)
	v_pk_add_f32 v[28:29], v[28:29], v[38:39]
	s_and_not1_b32 exec_lo, exec_lo, s0
	s_cbranch_execnz .LBB76_42
; %bb.43:
	s_or_b32 exec_lo, exec_lo, s0
.LBB76_44:
	s_delay_alu instid0(SALU_CYCLE_1) | instskip(SKIP_4) | instid1(VALU_DEP_1)
	s_or_b32 exec_lo, exec_lo, s6
	v_mov_b32_e32 v31, 0
	ds_load_b64 v[32:33], v31 offset:64
	s_wait_dscnt 0x0
	v_pk_mul_f32 v[38:39], v[28:29], v[32:33] op_sel:[1,1] op_sel_hi:[0,1]
	v_pk_fma_f32 v[40:41], v[28:29], v[32:33], v[38:39] op_sel_hi:[1,0,1]
	v_pk_fma_f32 v[28:29], v[28:29], v[32:33], v[38:39] neg_lo:[0,0,1] neg_hi:[0,0,1]
	s_delay_alu instid0(VALU_DEP_2)
	v_mov_b32_e32 v29, v41
	ds_store_b64 v36, v[28:29] offset:64
.LBB76_45:
	s_or_b32 exec_lo, exec_lo, s4
	ds_load_b64 v[28:29], v36 offset:56
	v_cmp_lt_u32_e64 s0, 7, v34
	s_wait_dscnt 0x0
	ds_store_b64 v27, v[28:29]
	s_wait_dscnt 0x0
	s_barrier_signal -1
	s_barrier_wait -1
	s_and_saveexec_b32 s4, s0
	s_cbranch_execz .LBB76_55
; %bb.46:
	s_and_not1_b32 vcc_lo, exec_lo, s5
	s_cbranch_vccnz .LBB76_48
; %bb.47:
	ds_load_b64 v[28:29], v30
	ds_load_b64 v[32:33], v27
	s_wait_dscnt 0x0
	v_pk_mul_f32 v[38:39], v[32:33], v[28:29] op_sel:[1,1] op_sel_hi:[0,1]
	s_delay_alu instid0(VALU_DEP_1) | instskip(SKIP_1) | instid1(VALU_DEP_2)
	v_pk_fma_f32 v[40:41], v[32:33], v[28:29], v[38:39] op_sel_hi:[1,0,1]
	v_pk_fma_f32 v[28:29], v[32:33], v[28:29], v[38:39] neg_lo:[0,0,1] neg_hi:[0,0,1]
	v_mov_b32_e32 v29, v41
	s_cbranch_execz .LBB76_49
	s_branch .LBB76_50
.LBB76_48:
                                        ; implicit-def: $vgpr28_vgpr29
.LBB76_49:
	ds_load_b64 v[28:29], v27
.LBB76_50:
	s_and_saveexec_b32 s6, s1
	s_cbranch_execz .LBB76_54
; %bb.51:
	s_movk_i32 s1, 0x68
	v_add_nc_u32_e32 v32, -8, v34
	v_mad_u32 v31, v37, s1, 0x120
	s_movk_i32 s7, 0xb0
	s_mov_b32 s1, 0
.LBB76_52:                              ; =>This Inner Loop Header: Depth=1
	s_delay_alu instid0(VALU_DEP_2)
	v_dual_mov_b32 v33, s7 :: v_dual_add_nc_u32 v32, -1, v32
	s_add_co_i32 s7, s7, 8
	ds_load_b64 v[38:39], v31
	ds_load_b64 v[40:41], v33
	v_add_nc_u32_e32 v31, 8, v31
	v_cmp_eq_u32_e32 vcc_lo, 0, v32
	s_or_b32 s1, vcc_lo, s1
	s_wait_dscnt 0x0
	v_pk_mul_f32 v[42:43], v[40:41], v[38:39] op_sel:[1,1] op_sel_hi:[0,1]
	s_delay_alu instid0(VALU_DEP_1) | instskip(SKIP_1) | instid1(VALU_DEP_2)
	v_pk_fma_f32 v[44:45], v[40:41], v[38:39], v[42:43] op_sel_hi:[1,0,1]
	v_pk_fma_f32 v[38:39], v[40:41], v[38:39], v[42:43] neg_lo:[0,0,1] neg_hi:[0,0,1]
	v_mov_b32_e32 v39, v45
	s_delay_alu instid0(VALU_DEP_1)
	v_pk_add_f32 v[28:29], v[28:29], v[38:39]
	s_and_not1_b32 exec_lo, exec_lo, s1
	s_cbranch_execnz .LBB76_52
; %bb.53:
	s_or_b32 exec_lo, exec_lo, s1
.LBB76_54:
	s_delay_alu instid0(SALU_CYCLE_1) | instskip(SKIP_4) | instid1(VALU_DEP_1)
	s_or_b32 exec_lo, exec_lo, s6
	v_mov_b32_e32 v31, 0
	ds_load_b64 v[32:33], v31 offset:56
	s_wait_dscnt 0x0
	v_pk_mul_f32 v[38:39], v[28:29], v[32:33] op_sel:[1,1] op_sel_hi:[0,1]
	v_pk_fma_f32 v[40:41], v[28:29], v[32:33], v[38:39] op_sel_hi:[1,0,1]
	v_pk_fma_f32 v[28:29], v[28:29], v[32:33], v[38:39] neg_lo:[0,0,1] neg_hi:[0,0,1]
	s_delay_alu instid0(VALU_DEP_2)
	v_mov_b32_e32 v29, v41
	ds_store_b64 v36, v[28:29] offset:56
.LBB76_55:
	s_or_b32 exec_lo, exec_lo, s4
	ds_load_b64 v[28:29], v36 offset:48
	v_cmp_lt_u32_e64 s1, 6, v34
	s_wait_dscnt 0x0
	ds_store_b64 v27, v[28:29]
	s_wait_dscnt 0x0
	s_barrier_signal -1
	s_barrier_wait -1
	s_and_saveexec_b32 s4, s1
	s_cbranch_execz .LBB76_65
; %bb.56:
	s_and_not1_b32 vcc_lo, exec_lo, s5
	s_cbranch_vccnz .LBB76_58
; %bb.57:
	ds_load_b64 v[28:29], v30
	ds_load_b64 v[32:33], v27
	s_wait_dscnt 0x0
	v_pk_mul_f32 v[38:39], v[32:33], v[28:29] op_sel:[1,1] op_sel_hi:[0,1]
	s_delay_alu instid0(VALU_DEP_1) | instskip(SKIP_1) | instid1(VALU_DEP_2)
	v_pk_fma_f32 v[40:41], v[32:33], v[28:29], v[38:39] op_sel_hi:[1,0,1]
	v_pk_fma_f32 v[28:29], v[32:33], v[28:29], v[38:39] neg_lo:[0,0,1] neg_hi:[0,0,1]
	v_mov_b32_e32 v29, v41
	s_cbranch_execz .LBB76_59
	s_branch .LBB76_60
.LBB76_58:
                                        ; implicit-def: $vgpr28_vgpr29
.LBB76_59:
	ds_load_b64 v[28:29], v27
.LBB76_60:
	s_and_saveexec_b32 s6, s0
	s_cbranch_execz .LBB76_64
; %bb.61:
	s_movk_i32 s0, 0x68
	v_add_nc_u32_e32 v32, -7, v34
	v_mad_u32 v31, v37, s0, 0x118
	s_movk_i32 s7, 0xa8
	s_mov_b32 s0, 0
.LBB76_62:                              ; =>This Inner Loop Header: Depth=1
	s_delay_alu instid0(VALU_DEP_2)
	v_dual_mov_b32 v33, s7 :: v_dual_add_nc_u32 v32, -1, v32
	s_add_co_i32 s7, s7, 8
	ds_load_b64 v[38:39], v31
	ds_load_b64 v[40:41], v33
	v_add_nc_u32_e32 v31, 8, v31
	v_cmp_eq_u32_e32 vcc_lo, 0, v32
	s_or_b32 s0, vcc_lo, s0
	s_wait_dscnt 0x0
	v_pk_mul_f32 v[42:43], v[40:41], v[38:39] op_sel:[1,1] op_sel_hi:[0,1]
	s_delay_alu instid0(VALU_DEP_1) | instskip(SKIP_1) | instid1(VALU_DEP_2)
	v_pk_fma_f32 v[44:45], v[40:41], v[38:39], v[42:43] op_sel_hi:[1,0,1]
	v_pk_fma_f32 v[38:39], v[40:41], v[38:39], v[42:43] neg_lo:[0,0,1] neg_hi:[0,0,1]
	v_mov_b32_e32 v39, v45
	s_delay_alu instid0(VALU_DEP_1)
	v_pk_add_f32 v[28:29], v[28:29], v[38:39]
	s_and_not1_b32 exec_lo, exec_lo, s0
	s_cbranch_execnz .LBB76_62
; %bb.63:
	s_or_b32 exec_lo, exec_lo, s0
.LBB76_64:
	s_delay_alu instid0(SALU_CYCLE_1) | instskip(SKIP_4) | instid1(VALU_DEP_1)
	s_or_b32 exec_lo, exec_lo, s6
	v_mov_b32_e32 v31, 0
	ds_load_b64 v[32:33], v31 offset:48
	s_wait_dscnt 0x0
	v_pk_mul_f32 v[38:39], v[28:29], v[32:33] op_sel:[1,1] op_sel_hi:[0,1]
	v_pk_fma_f32 v[40:41], v[28:29], v[32:33], v[38:39] op_sel_hi:[1,0,1]
	v_pk_fma_f32 v[28:29], v[28:29], v[32:33], v[38:39] neg_lo:[0,0,1] neg_hi:[0,0,1]
	s_delay_alu instid0(VALU_DEP_2)
	v_mov_b32_e32 v29, v41
	ds_store_b64 v36, v[28:29] offset:48
.LBB76_65:
	s_or_b32 exec_lo, exec_lo, s4
	ds_load_b64 v[28:29], v36 offset:40
	v_cmp_lt_u32_e64 s0, 5, v34
	s_wait_dscnt 0x0
	ds_store_b64 v27, v[28:29]
	s_wait_dscnt 0x0
	s_barrier_signal -1
	s_barrier_wait -1
	s_and_saveexec_b32 s4, s0
	s_cbranch_execz .LBB76_75
; %bb.66:
	s_and_not1_b32 vcc_lo, exec_lo, s5
	s_cbranch_vccnz .LBB76_68
; %bb.67:
	ds_load_b64 v[28:29], v30
	ds_load_b64 v[32:33], v27
	s_wait_dscnt 0x0
	v_pk_mul_f32 v[38:39], v[32:33], v[28:29] op_sel:[1,1] op_sel_hi:[0,1]
	s_delay_alu instid0(VALU_DEP_1) | instskip(SKIP_1) | instid1(VALU_DEP_2)
	v_pk_fma_f32 v[40:41], v[32:33], v[28:29], v[38:39] op_sel_hi:[1,0,1]
	v_pk_fma_f32 v[28:29], v[32:33], v[28:29], v[38:39] neg_lo:[0,0,1] neg_hi:[0,0,1]
	v_mov_b32_e32 v29, v41
	s_cbranch_execz .LBB76_69
	s_branch .LBB76_70
.LBB76_68:
                                        ; implicit-def: $vgpr28_vgpr29
.LBB76_69:
	ds_load_b64 v[28:29], v27
.LBB76_70:
	s_and_saveexec_b32 s6, s1
	s_cbranch_execz .LBB76_74
; %bb.71:
	s_movk_i32 s1, 0x68
	v_add_nc_u32_e32 v32, -6, v34
	v_mad_u32 v31, v37, s1, 0x110
	s_movk_i32 s7, 0xa0
	s_mov_b32 s1, 0
.LBB76_72:                              ; =>This Inner Loop Header: Depth=1
	s_delay_alu instid0(VALU_DEP_2)
	v_dual_mov_b32 v33, s7 :: v_dual_add_nc_u32 v32, -1, v32
	s_add_co_i32 s7, s7, 8
	ds_load_b64 v[38:39], v31
	ds_load_b64 v[40:41], v33
	v_add_nc_u32_e32 v31, 8, v31
	v_cmp_eq_u32_e32 vcc_lo, 0, v32
	s_or_b32 s1, vcc_lo, s1
	s_wait_dscnt 0x0
	v_pk_mul_f32 v[42:43], v[40:41], v[38:39] op_sel:[1,1] op_sel_hi:[0,1]
	s_delay_alu instid0(VALU_DEP_1) | instskip(SKIP_1) | instid1(VALU_DEP_2)
	v_pk_fma_f32 v[44:45], v[40:41], v[38:39], v[42:43] op_sel_hi:[1,0,1]
	v_pk_fma_f32 v[38:39], v[40:41], v[38:39], v[42:43] neg_lo:[0,0,1] neg_hi:[0,0,1]
	v_mov_b32_e32 v39, v45
	s_delay_alu instid0(VALU_DEP_1)
	v_pk_add_f32 v[28:29], v[28:29], v[38:39]
	s_and_not1_b32 exec_lo, exec_lo, s1
	s_cbranch_execnz .LBB76_72
; %bb.73:
	s_or_b32 exec_lo, exec_lo, s1
.LBB76_74:
	s_delay_alu instid0(SALU_CYCLE_1) | instskip(SKIP_4) | instid1(VALU_DEP_1)
	s_or_b32 exec_lo, exec_lo, s6
	v_mov_b32_e32 v31, 0
	ds_load_b64 v[32:33], v31 offset:40
	s_wait_dscnt 0x0
	v_pk_mul_f32 v[38:39], v[28:29], v[32:33] op_sel:[1,1] op_sel_hi:[0,1]
	v_pk_fma_f32 v[40:41], v[28:29], v[32:33], v[38:39] op_sel_hi:[1,0,1]
	v_pk_fma_f32 v[28:29], v[28:29], v[32:33], v[38:39] neg_lo:[0,0,1] neg_hi:[0,0,1]
	s_delay_alu instid0(VALU_DEP_2)
	v_mov_b32_e32 v29, v41
	ds_store_b64 v36, v[28:29] offset:40
.LBB76_75:
	s_or_b32 exec_lo, exec_lo, s4
	ds_load_b64 v[28:29], v36 offset:32
	v_cmp_lt_u32_e64 s1, 4, v34
	s_wait_dscnt 0x0
	ds_store_b64 v27, v[28:29]
	s_wait_dscnt 0x0
	s_barrier_signal -1
	s_barrier_wait -1
	s_and_saveexec_b32 s4, s1
	s_cbranch_execz .LBB76_85
; %bb.76:
	s_and_not1_b32 vcc_lo, exec_lo, s5
	s_cbranch_vccnz .LBB76_78
; %bb.77:
	ds_load_b64 v[28:29], v30
	ds_load_b64 v[32:33], v27
	s_wait_dscnt 0x0
	v_pk_mul_f32 v[38:39], v[32:33], v[28:29] op_sel:[1,1] op_sel_hi:[0,1]
	s_delay_alu instid0(VALU_DEP_1) | instskip(SKIP_1) | instid1(VALU_DEP_2)
	v_pk_fma_f32 v[40:41], v[32:33], v[28:29], v[38:39] op_sel_hi:[1,0,1]
	v_pk_fma_f32 v[28:29], v[32:33], v[28:29], v[38:39] neg_lo:[0,0,1] neg_hi:[0,0,1]
	v_mov_b32_e32 v29, v41
	s_cbranch_execz .LBB76_79
	s_branch .LBB76_80
.LBB76_78:
                                        ; implicit-def: $vgpr28_vgpr29
.LBB76_79:
	ds_load_b64 v[28:29], v27
.LBB76_80:
	s_and_saveexec_b32 s6, s0
	s_cbranch_execz .LBB76_84
; %bb.81:
	s_movk_i32 s0, 0x68
	v_add_nc_u32_e32 v32, -5, v34
	v_mad_u32 v31, v37, s0, 0x108
	s_movk_i32 s7, 0x98
	s_mov_b32 s0, 0
.LBB76_82:                              ; =>This Inner Loop Header: Depth=1
	s_delay_alu instid0(VALU_DEP_2)
	v_dual_mov_b32 v33, s7 :: v_dual_add_nc_u32 v32, -1, v32
	s_add_co_i32 s7, s7, 8
	ds_load_b64 v[38:39], v31
	ds_load_b64 v[40:41], v33
	v_add_nc_u32_e32 v31, 8, v31
	v_cmp_eq_u32_e32 vcc_lo, 0, v32
	s_or_b32 s0, vcc_lo, s0
	s_wait_dscnt 0x0
	v_pk_mul_f32 v[42:43], v[40:41], v[38:39] op_sel:[1,1] op_sel_hi:[0,1]
	s_delay_alu instid0(VALU_DEP_1) | instskip(SKIP_1) | instid1(VALU_DEP_2)
	v_pk_fma_f32 v[44:45], v[40:41], v[38:39], v[42:43] op_sel_hi:[1,0,1]
	v_pk_fma_f32 v[38:39], v[40:41], v[38:39], v[42:43] neg_lo:[0,0,1] neg_hi:[0,0,1]
	v_mov_b32_e32 v39, v45
	s_delay_alu instid0(VALU_DEP_1)
	v_pk_add_f32 v[28:29], v[28:29], v[38:39]
	s_and_not1_b32 exec_lo, exec_lo, s0
	s_cbranch_execnz .LBB76_82
; %bb.83:
	s_or_b32 exec_lo, exec_lo, s0
.LBB76_84:
	s_delay_alu instid0(SALU_CYCLE_1) | instskip(SKIP_4) | instid1(VALU_DEP_1)
	s_or_b32 exec_lo, exec_lo, s6
	v_mov_b32_e32 v31, 0
	ds_load_b64 v[32:33], v31 offset:32
	s_wait_dscnt 0x0
	v_pk_mul_f32 v[38:39], v[28:29], v[32:33] op_sel:[1,1] op_sel_hi:[0,1]
	v_pk_fma_f32 v[40:41], v[28:29], v[32:33], v[38:39] op_sel_hi:[1,0,1]
	v_pk_fma_f32 v[28:29], v[28:29], v[32:33], v[38:39] neg_lo:[0,0,1] neg_hi:[0,0,1]
	s_delay_alu instid0(VALU_DEP_2)
	v_mov_b32_e32 v29, v41
	ds_store_b64 v36, v[28:29] offset:32
.LBB76_85:
	s_or_b32 exec_lo, exec_lo, s4
	ds_load_b64 v[28:29], v36 offset:24
	v_cmp_lt_u32_e64 s0, 3, v34
	s_wait_dscnt 0x0
	ds_store_b64 v27, v[28:29]
	s_wait_dscnt 0x0
	s_barrier_signal -1
	s_barrier_wait -1
	s_and_saveexec_b32 s4, s0
	s_cbranch_execz .LBB76_95
; %bb.86:
	s_and_not1_b32 vcc_lo, exec_lo, s5
	s_cbranch_vccnz .LBB76_88
; %bb.87:
	ds_load_b64 v[28:29], v30
	ds_load_b64 v[32:33], v27
	s_wait_dscnt 0x0
	v_pk_mul_f32 v[38:39], v[32:33], v[28:29] op_sel:[1,1] op_sel_hi:[0,1]
	s_delay_alu instid0(VALU_DEP_1) | instskip(SKIP_1) | instid1(VALU_DEP_2)
	v_pk_fma_f32 v[40:41], v[32:33], v[28:29], v[38:39] op_sel_hi:[1,0,1]
	v_pk_fma_f32 v[28:29], v[32:33], v[28:29], v[38:39] neg_lo:[0,0,1] neg_hi:[0,0,1]
	v_mov_b32_e32 v29, v41
	s_cbranch_execz .LBB76_89
	s_branch .LBB76_90
.LBB76_88:
                                        ; implicit-def: $vgpr28_vgpr29
.LBB76_89:
	ds_load_b64 v[28:29], v27
.LBB76_90:
	s_and_saveexec_b32 s6, s1
	s_cbranch_execz .LBB76_94
; %bb.91:
	s_movk_i32 s1, 0x68
	v_add_nc_u32_e32 v32, -4, v34
	v_mad_u32 v31, v37, s1, 0x100
	s_movk_i32 s7, 0x90
	s_mov_b32 s1, 0
.LBB76_92:                              ; =>This Inner Loop Header: Depth=1
	s_delay_alu instid0(VALU_DEP_2)
	v_dual_mov_b32 v33, s7 :: v_dual_add_nc_u32 v32, -1, v32
	s_add_co_i32 s7, s7, 8
	ds_load_b64 v[38:39], v31
	ds_load_b64 v[40:41], v33
	v_add_nc_u32_e32 v31, 8, v31
	v_cmp_eq_u32_e32 vcc_lo, 0, v32
	s_or_b32 s1, vcc_lo, s1
	s_wait_dscnt 0x0
	v_pk_mul_f32 v[42:43], v[40:41], v[38:39] op_sel:[1,1] op_sel_hi:[0,1]
	s_delay_alu instid0(VALU_DEP_1) | instskip(SKIP_1) | instid1(VALU_DEP_2)
	v_pk_fma_f32 v[44:45], v[40:41], v[38:39], v[42:43] op_sel_hi:[1,0,1]
	v_pk_fma_f32 v[38:39], v[40:41], v[38:39], v[42:43] neg_lo:[0,0,1] neg_hi:[0,0,1]
	v_mov_b32_e32 v39, v45
	s_delay_alu instid0(VALU_DEP_1)
	v_pk_add_f32 v[28:29], v[28:29], v[38:39]
	s_and_not1_b32 exec_lo, exec_lo, s1
	s_cbranch_execnz .LBB76_92
; %bb.93:
	s_or_b32 exec_lo, exec_lo, s1
.LBB76_94:
	s_delay_alu instid0(SALU_CYCLE_1) | instskip(SKIP_4) | instid1(VALU_DEP_1)
	s_or_b32 exec_lo, exec_lo, s6
	v_mov_b32_e32 v31, 0
	ds_load_b64 v[32:33], v31 offset:24
	s_wait_dscnt 0x0
	v_pk_mul_f32 v[38:39], v[28:29], v[32:33] op_sel:[1,1] op_sel_hi:[0,1]
	v_pk_fma_f32 v[40:41], v[28:29], v[32:33], v[38:39] op_sel_hi:[1,0,1]
	v_pk_fma_f32 v[28:29], v[28:29], v[32:33], v[38:39] neg_lo:[0,0,1] neg_hi:[0,0,1]
	s_delay_alu instid0(VALU_DEP_2)
	v_mov_b32_e32 v29, v41
	ds_store_b64 v36, v[28:29] offset:24
.LBB76_95:
	s_or_b32 exec_lo, exec_lo, s4
	ds_load_b64 v[28:29], v36 offset:16
	v_cmp_lt_u32_e64 s1, 2, v34
	s_wait_dscnt 0x0
	ds_store_b64 v27, v[28:29]
	s_wait_dscnt 0x0
	s_barrier_signal -1
	s_barrier_wait -1
	s_and_saveexec_b32 s4, s1
	s_cbranch_execz .LBB76_105
; %bb.96:
	s_and_not1_b32 vcc_lo, exec_lo, s5
	s_cbranch_vccnz .LBB76_98
; %bb.97:
	ds_load_b64 v[28:29], v30
	ds_load_b64 v[32:33], v27
	s_wait_dscnt 0x0
	v_pk_mul_f32 v[38:39], v[32:33], v[28:29] op_sel:[1,1] op_sel_hi:[0,1]
	s_delay_alu instid0(VALU_DEP_1) | instskip(SKIP_1) | instid1(VALU_DEP_2)
	v_pk_fma_f32 v[40:41], v[32:33], v[28:29], v[38:39] op_sel_hi:[1,0,1]
	v_pk_fma_f32 v[28:29], v[32:33], v[28:29], v[38:39] neg_lo:[0,0,1] neg_hi:[0,0,1]
	v_mov_b32_e32 v29, v41
	s_cbranch_execz .LBB76_99
	s_branch .LBB76_100
.LBB76_98:
                                        ; implicit-def: $vgpr28_vgpr29
.LBB76_99:
	ds_load_b64 v[28:29], v27
.LBB76_100:
	s_and_saveexec_b32 s6, s0
	s_cbranch_execz .LBB76_104
; %bb.101:
	s_movk_i32 s0, 0x68
	v_add_nc_u32_e32 v32, -3, v34
	v_mad_u32 v31, v37, s0, 0xf8
	s_movk_i32 s7, 0x88
	s_mov_b32 s0, 0
.LBB76_102:                             ; =>This Inner Loop Header: Depth=1
	s_delay_alu instid0(VALU_DEP_2)
	v_dual_mov_b32 v33, s7 :: v_dual_add_nc_u32 v32, -1, v32
	s_add_co_i32 s7, s7, 8
	ds_load_b64 v[38:39], v31
	ds_load_b64 v[40:41], v33
	v_add_nc_u32_e32 v31, 8, v31
	v_cmp_eq_u32_e32 vcc_lo, 0, v32
	s_or_b32 s0, vcc_lo, s0
	s_wait_dscnt 0x0
	v_pk_mul_f32 v[42:43], v[40:41], v[38:39] op_sel:[1,1] op_sel_hi:[0,1]
	s_delay_alu instid0(VALU_DEP_1) | instskip(SKIP_1) | instid1(VALU_DEP_2)
	v_pk_fma_f32 v[44:45], v[40:41], v[38:39], v[42:43] op_sel_hi:[1,0,1]
	v_pk_fma_f32 v[38:39], v[40:41], v[38:39], v[42:43] neg_lo:[0,0,1] neg_hi:[0,0,1]
	v_mov_b32_e32 v39, v45
	s_delay_alu instid0(VALU_DEP_1)
	v_pk_add_f32 v[28:29], v[28:29], v[38:39]
	s_and_not1_b32 exec_lo, exec_lo, s0
	s_cbranch_execnz .LBB76_102
; %bb.103:
	s_or_b32 exec_lo, exec_lo, s0
.LBB76_104:
	s_delay_alu instid0(SALU_CYCLE_1) | instskip(SKIP_4) | instid1(VALU_DEP_1)
	s_or_b32 exec_lo, exec_lo, s6
	v_mov_b32_e32 v31, 0
	ds_load_b64 v[32:33], v31 offset:16
	s_wait_dscnt 0x0
	v_pk_mul_f32 v[38:39], v[28:29], v[32:33] op_sel:[1,1] op_sel_hi:[0,1]
	v_pk_fma_f32 v[40:41], v[28:29], v[32:33], v[38:39] op_sel_hi:[1,0,1]
	v_pk_fma_f32 v[28:29], v[28:29], v[32:33], v[38:39] neg_lo:[0,0,1] neg_hi:[0,0,1]
	s_delay_alu instid0(VALU_DEP_2)
	v_mov_b32_e32 v29, v41
	ds_store_b64 v36, v[28:29] offset:16
.LBB76_105:
	s_or_b32 exec_lo, exec_lo, s4
	ds_load_b64 v[28:29], v36 offset:8
	v_cmp_lt_u32_e64 s0, 1, v34
	s_wait_dscnt 0x0
	ds_store_b64 v27, v[28:29]
	s_wait_dscnt 0x0
	s_barrier_signal -1
	s_barrier_wait -1
	s_and_saveexec_b32 s4, s0
	s_cbranch_execz .LBB76_115
; %bb.106:
	s_and_not1_b32 vcc_lo, exec_lo, s5
	s_cbranch_vccnz .LBB76_108
; %bb.107:
	ds_load_b64 v[28:29], v30
	ds_load_b64 v[32:33], v27
	s_wait_dscnt 0x0
	v_pk_mul_f32 v[38:39], v[32:33], v[28:29] op_sel:[1,1] op_sel_hi:[0,1]
	s_delay_alu instid0(VALU_DEP_1) | instskip(SKIP_1) | instid1(VALU_DEP_2)
	v_pk_fma_f32 v[40:41], v[32:33], v[28:29], v[38:39] op_sel_hi:[1,0,1]
	v_pk_fma_f32 v[28:29], v[32:33], v[28:29], v[38:39] neg_lo:[0,0,1] neg_hi:[0,0,1]
	v_mov_b32_e32 v29, v41
	s_cbranch_execz .LBB76_109
	s_branch .LBB76_110
.LBB76_108:
                                        ; implicit-def: $vgpr28_vgpr29
.LBB76_109:
	ds_load_b64 v[28:29], v27
.LBB76_110:
	s_and_saveexec_b32 s6, s1
	s_cbranch_execz .LBB76_114
; %bb.111:
	s_movk_i32 s1, 0x68
	v_add_nc_u32_e32 v32, -2, v34
	v_mad_u32 v31, v37, s1, 0xf0
	s_movk_i32 s7, 0x80
	s_mov_b32 s1, 0
.LBB76_112:                             ; =>This Inner Loop Header: Depth=1
	s_delay_alu instid0(VALU_DEP_2)
	v_dual_mov_b32 v33, s7 :: v_dual_add_nc_u32 v32, -1, v32
	s_add_co_i32 s7, s7, 8
	ds_load_b64 v[38:39], v31
	ds_load_b64 v[40:41], v33
	v_add_nc_u32_e32 v31, 8, v31
	v_cmp_eq_u32_e32 vcc_lo, 0, v32
	s_or_b32 s1, vcc_lo, s1
	s_wait_dscnt 0x0
	v_pk_mul_f32 v[42:43], v[40:41], v[38:39] op_sel:[1,1] op_sel_hi:[0,1]
	s_delay_alu instid0(VALU_DEP_1) | instskip(SKIP_1) | instid1(VALU_DEP_2)
	v_pk_fma_f32 v[44:45], v[40:41], v[38:39], v[42:43] op_sel_hi:[1,0,1]
	v_pk_fma_f32 v[38:39], v[40:41], v[38:39], v[42:43] neg_lo:[0,0,1] neg_hi:[0,0,1]
	v_mov_b32_e32 v39, v45
	s_delay_alu instid0(VALU_DEP_1)
	v_pk_add_f32 v[28:29], v[28:29], v[38:39]
	s_and_not1_b32 exec_lo, exec_lo, s1
	s_cbranch_execnz .LBB76_112
; %bb.113:
	s_or_b32 exec_lo, exec_lo, s1
.LBB76_114:
	s_delay_alu instid0(SALU_CYCLE_1) | instskip(SKIP_4) | instid1(VALU_DEP_1)
	s_or_b32 exec_lo, exec_lo, s6
	v_mov_b32_e32 v31, 0
	ds_load_b64 v[32:33], v31 offset:8
	s_wait_dscnt 0x0
	v_pk_mul_f32 v[38:39], v[28:29], v[32:33] op_sel:[1,1] op_sel_hi:[0,1]
	v_pk_fma_f32 v[40:41], v[28:29], v[32:33], v[38:39] op_sel_hi:[1,0,1]
	v_pk_fma_f32 v[28:29], v[28:29], v[32:33], v[38:39] neg_lo:[0,0,1] neg_hi:[0,0,1]
	s_delay_alu instid0(VALU_DEP_2)
	v_mov_b32_e32 v29, v41
	ds_store_b64 v36, v[28:29] offset:8
.LBB76_115:
	s_or_b32 exec_lo, exec_lo, s4
	ds_load_b64 v[28:29], v36
	s_mov_b32 s4, 0
	s_mov_b32 s1, 0
	s_mov_b32 s6, exec_lo
                                        ; implicit-def: $vgpr38
                                        ; implicit-def: $vgpr39
	s_wait_dscnt 0x0
	ds_store_b64 v27, v[28:29]
	s_wait_dscnt 0x0
	s_barrier_signal -1
	s_barrier_wait -1
	v_cmpx_ne_u32_e32 0, v34
	s_cbranch_execz .LBB76_125
; %bb.116:
	s_and_not1_b32 vcc_lo, exec_lo, s5
	s_cbranch_vccnz .LBB76_118
; %bb.117:
	ds_load_b64 v[32:33], v30
	ds_load_b64 v[38:39], v27
	s_wait_dscnt 0x0
	v_dual_mul_f32 v28, v39, v33 :: v_dual_mul_f32 v29, v38, v33
	s_delay_alu instid0(VALU_DEP_1)
	v_dual_fma_f32 v28, v38, v32, -v28 :: v_dual_fmac_f32 v29, v39, v32
	s_and_not1_b32 vcc_lo, exec_lo, s1
	s_cbranch_vccz .LBB76_119
	s_branch .LBB76_120
.LBB76_118:
                                        ; implicit-def: $vgpr28
.LBB76_119:
	ds_load_b64 v[28:29], v27
.LBB76_120:
	s_and_saveexec_b32 s1, s0
	s_cbranch_execz .LBB76_124
; %bb.121:
	s_movk_i32 s0, 0x68
	v_add_nc_u32_e32 v32, -1, v34
	v_mad_u32 v31, v37, s0, 0xe8
	s_movk_i32 s7, 0x78
	s_mov_b32 s0, 0
.LBB76_122:                             ; =>This Inner Loop Header: Depth=1
	v_mov_b32_e32 v33, s7
	s_add_co_i32 s7, s7, 8
	ds_load_b64 v[38:39], v31
	ds_load_b64 v[40:41], v33
	v_dual_add_nc_u32 v32, -1, v32 :: v_dual_add_nc_u32 v31, 8, v31
	s_delay_alu instid0(VALU_DEP_1) | instskip(SKIP_3) | instid1(VALU_DEP_1)
	v_cmp_eq_u32_e32 vcc_lo, 0, v32
	s_or_b32 s0, vcc_lo, s0
	s_wait_dscnt 0x0
	v_dual_mul_f32 v33, v41, v39 :: v_dual_mul_f32 v37, v40, v39
	v_fma_f32 v33, v40, v38, -v33
	s_delay_alu instid0(VALU_DEP_1) | instskip(NEXT) | instid1(VALU_DEP_1)
	v_dual_fmac_f32 v37, v41, v38 :: v_dual_add_f32 v28, v28, v33
	v_add_f32_e32 v29, v29, v37
	s_and_not1_b32 exec_lo, exec_lo, s0
	s_cbranch_execnz .LBB76_122
; %bb.123:
	s_or_b32 exec_lo, exec_lo, s0
.LBB76_124:
	s_delay_alu instid0(SALU_CYCLE_1)
	s_or_b32 exec_lo, exec_lo, s1
	v_mov_b32_e32 v31, 0
	s_mov_b32 s1, exec_lo
	v_add_nc_u32_e32 v39, 4, v36
	ds_load_b64 v[32:33], v31
	s_wait_dscnt 0x0
	v_dual_mul_f32 v31, v29, v33 :: v_dual_mul_f32 v38, v28, v33
	s_delay_alu instid0(VALU_DEP_1)
	v_dual_fma_f32 v28, v28, v32, -v31 :: v_dual_fmac_f32 v38, v29, v32
	ds_store_b32 v36, v28
.LBB76_125:
	s_or_b32 exec_lo, exec_lo, s6
	s_delay_alu instid0(SALU_CYCLE_1)
	s_and_b32 vcc_lo, exec_lo, s4
	s_cbranch_vccz .LBB76_241
.LBB76_126:
	ds_load_b64 v[28:29], v36 offset:8
	v_cmp_eq_u32_e64 s0, 0, v34
	s_wait_dscnt 0x0
	ds_store_b64 v27, v[28:29]
	s_wait_dscnt 0x0
	s_barrier_signal -1
	s_barrier_wait -1
	s_and_saveexec_b32 s4, s0
	s_cbranch_execz .LBB76_132
; %bb.127:
	s_and_b32 vcc_lo, exec_lo, s5
	s_cbranch_vccz .LBB76_129
; %bb.128:
	ds_load_b64 v[28:29], v30
	ds_load_b64 v[32:33], v27
	s_wait_dscnt 0x0
	v_pk_mul_f32 v[38:39], v[32:33], v[28:29] op_sel:[1,1] op_sel_hi:[0,1]
	v_pk_mul_f32 v[40:41], v[32:33], v[28:29] op_sel_hi:[1,0]
	s_delay_alu instid0(VALU_DEP_2) | instskip(NEXT) | instid1(VALU_DEP_2)
	v_pk_fma_f32 v[28:29], v[32:33], v[28:29], v[38:39] op_sel_hi:[1,0,1]
	v_sub_f32_e32 v28, v40, v38
	s_cbranch_execz .LBB76_130
	s_branch .LBB76_131
.LBB76_129:
                                        ; implicit-def: $vgpr29
.LBB76_130:
	ds_load_b64 v[28:29], v27
.LBB76_131:
	s_wait_dscnt 0x0
	v_dual_mov_b32 v31, 0 :: v_dual_mov_b32 v38, v29
	v_mov_b32_e32 v39, v28
	ds_load_b64 v[32:33], v31 offset:8
	s_wait_dscnt 0x0
	v_pk_mul_f32 v[38:39], v[38:39], v[32:33] op_sel:[0,1]
	s_delay_alu instid0(VALU_DEP_1) | instskip(SKIP_1) | instid1(VALU_DEP_2)
	v_pk_fma_f32 v[40:41], v[28:29], v[32:33], v[38:39] op_sel_hi:[1,0,1]
	v_pk_fma_f32 v[28:29], v[28:29], v[32:33], v[38:39] neg_lo:[0,0,1] neg_hi:[0,0,1]
	v_mov_b32_e32 v29, v41
	ds_store_b64 v36, v[28:29] offset:8
.LBB76_132:
	s_or_b32 exec_lo, exec_lo, s4
	ds_load_b64 v[28:29], v36 offset:16
	v_cndmask_b32_e64 v31, 0, 1, s5
	s_mov_b32 s4, exec_lo
	s_wait_dscnt 0x0
	ds_store_b64 v27, v[28:29]
	s_wait_dscnt 0x0
	s_barrier_signal -1
	s_barrier_wait -1
	v_cmpx_gt_u32_e32 2, v34
	s_cbranch_execz .LBB76_140
; %bb.133:
	s_and_not1_b32 vcc_lo, exec_lo, s5
	s_cbranch_vccnz .LBB76_135
; %bb.134:
	ds_load_b64 v[28:29], v30
	ds_load_b64 v[32:33], v27
	s_wait_dscnt 0x0
	v_pk_mul_f32 v[38:39], v[32:33], v[28:29] op_sel:[1,1] op_sel_hi:[0,1]
	s_delay_alu instid0(VALU_DEP_1) | instskip(SKIP_1) | instid1(VALU_DEP_2)
	v_pk_fma_f32 v[40:41], v[32:33], v[28:29], v[38:39] op_sel_hi:[1,0,1]
	v_pk_fma_f32 v[28:29], v[32:33], v[28:29], v[38:39] neg_lo:[0,0,1] neg_hi:[0,0,1]
	v_mov_b32_e32 v29, v41
	s_cbranch_execz .LBB76_136
	s_branch .LBB76_137
.LBB76_135:
                                        ; implicit-def: $vgpr28_vgpr29
.LBB76_136:
	ds_load_b64 v[28:29], v27
.LBB76_137:
	s_and_saveexec_b32 s5, s0
	s_cbranch_execz .LBB76_139
; %bb.138:
	v_mov_b32_e32 v37, 0
	ds_load_b64 v[32:33], v36 offset:8
	ds_load_b64 v[38:39], v37 offset:120
	s_wait_dscnt 0x0
	v_pk_mul_f32 v[40:41], v[38:39], v[32:33] op_sel:[1,1] op_sel_hi:[0,1]
	s_delay_alu instid0(VALU_DEP_1) | instskip(SKIP_1) | instid1(VALU_DEP_2)
	v_pk_fma_f32 v[42:43], v[38:39], v[32:33], v[40:41] op_sel_hi:[1,0,1]
	v_pk_fma_f32 v[32:33], v[38:39], v[32:33], v[40:41] neg_lo:[0,0,1] neg_hi:[0,0,1]
	v_mov_b32_e32 v33, v43
	s_delay_alu instid0(VALU_DEP_1)
	v_pk_add_f32 v[28:29], v[28:29], v[32:33]
.LBB76_139:
	s_or_b32 exec_lo, exec_lo, s5
	v_mov_b32_e32 v32, 0
	ds_load_b64 v[32:33], v32 offset:16
	s_wait_dscnt 0x0
	v_pk_mul_f32 v[38:39], v[28:29], v[32:33] op_sel:[1,1] op_sel_hi:[0,1]
	s_delay_alu instid0(VALU_DEP_1) | instskip(SKIP_1) | instid1(VALU_DEP_2)
	v_pk_fma_f32 v[40:41], v[28:29], v[32:33], v[38:39] op_sel_hi:[1,0,1]
	v_pk_fma_f32 v[28:29], v[28:29], v[32:33], v[38:39] neg_lo:[0,0,1] neg_hi:[0,0,1]
	v_mov_b32_e32 v29, v41
	ds_store_b64 v36, v[28:29] offset:16
.LBB76_140:
	s_or_b32 exec_lo, exec_lo, s4
	ds_load_b64 v[28:29], v36 offset:24
	s_mov_b32 s4, exec_lo
	s_wait_dscnt 0x0
	ds_store_b64 v27, v[28:29]
	s_wait_dscnt 0x0
	s_barrier_signal -1
	s_barrier_wait -1
	v_cmpx_gt_u32_e32 3, v34
	s_cbranch_execz .LBB76_150
; %bb.141:
	v_cmp_ne_u32_e32 vcc_lo, 1, v31
	s_cbranch_vccnz .LBB76_143
; %bb.142:
	ds_load_b64 v[28:29], v30
	ds_load_b64 v[32:33], v27
	s_wait_dscnt 0x0
	v_pk_mul_f32 v[38:39], v[32:33], v[28:29] op_sel:[1,1] op_sel_hi:[0,1]
	s_delay_alu instid0(VALU_DEP_1) | instskip(SKIP_1) | instid1(VALU_DEP_2)
	v_pk_fma_f32 v[40:41], v[32:33], v[28:29], v[38:39] op_sel_hi:[1,0,1]
	v_pk_fma_f32 v[28:29], v[32:33], v[28:29], v[38:39] neg_lo:[0,0,1] neg_hi:[0,0,1]
	v_mov_b32_e32 v29, v41
	s_cbranch_execz .LBB76_144
	s_branch .LBB76_145
.LBB76_143:
                                        ; implicit-def: $vgpr28_vgpr29
.LBB76_144:
	ds_load_b64 v[28:29], v27
.LBB76_145:
	s_mov_b32 s5, exec_lo
	v_cmpx_ne_u32_e32 2, v34
	s_cbranch_execz .LBB76_149
; %bb.146:
	ds_load_b64 v[32:33], v30 offset:8
	ds_load_b64 v[38:39], v27 offset:8
	s_wait_dscnt 0x0
	v_pk_mul_f32 v[40:41], v[38:39], v[32:33] op_sel:[1,1] op_sel_hi:[0,1]
	s_delay_alu instid0(VALU_DEP_1) | instskip(SKIP_1) | instid1(VALU_DEP_2)
	v_pk_fma_f32 v[42:43], v[38:39], v[32:33], v[40:41] op_sel_hi:[1,0,1]
	v_pk_fma_f32 v[32:33], v[38:39], v[32:33], v[40:41] neg_lo:[0,0,1] neg_hi:[0,0,1]
	v_mov_b32_e32 v33, v43
	s_delay_alu instid0(VALU_DEP_1)
	v_pk_add_f32 v[28:29], v[28:29], v[32:33]
	s_and_saveexec_b32 s6, s0
	s_cbranch_execz .LBB76_148
; %bb.147:
	v_mov_b32_e32 v32, 0
	ds_load_b64 v[32:33], v32 offset:128
	ds_load_b64 v[38:39], v36 offset:16
	s_wait_dscnt 0x0
	v_pk_mul_f32 v[40:41], v[32:33], v[38:39] op_sel:[1,1] op_sel_hi:[0,1]
	s_delay_alu instid0(VALU_DEP_1) | instskip(SKIP_1) | instid1(VALU_DEP_2)
	v_pk_fma_f32 v[42:43], v[32:33], v[38:39], v[40:41] op_sel_hi:[1,0,1]
	v_pk_fma_f32 v[32:33], v[32:33], v[38:39], v[40:41] neg_lo:[0,0,1] neg_hi:[0,0,1]
	v_mov_b32_e32 v33, v43
	s_delay_alu instid0(VALU_DEP_1)
	v_pk_add_f32 v[28:29], v[28:29], v[32:33]
.LBB76_148:
	s_or_b32 exec_lo, exec_lo, s6
.LBB76_149:
	s_delay_alu instid0(SALU_CYCLE_1) | instskip(SKIP_4) | instid1(VALU_DEP_1)
	s_or_b32 exec_lo, exec_lo, s5
	v_mov_b32_e32 v32, 0
	ds_load_b64 v[32:33], v32 offset:24
	s_wait_dscnt 0x0
	v_pk_mul_f32 v[38:39], v[28:29], v[32:33] op_sel:[1,1] op_sel_hi:[0,1]
	v_pk_fma_f32 v[40:41], v[28:29], v[32:33], v[38:39] op_sel_hi:[1,0,1]
	v_pk_fma_f32 v[28:29], v[28:29], v[32:33], v[38:39] neg_lo:[0,0,1] neg_hi:[0,0,1]
	s_delay_alu instid0(VALU_DEP_2)
	v_mov_b32_e32 v29, v41
	ds_store_b64 v36, v[28:29] offset:24
.LBB76_150:
	s_or_b32 exec_lo, exec_lo, s4
	ds_load_b64 v[28:29], v36 offset:32
	s_mov_b32 s0, exec_lo
	s_wait_dscnt 0x0
	ds_store_b64 v27, v[28:29]
	s_wait_dscnt 0x0
	s_barrier_signal -1
	s_barrier_wait -1
	v_cmpx_gt_u32_e32 4, v34
	s_cbranch_execz .LBB76_160
; %bb.151:
	v_cmp_ne_u32_e32 vcc_lo, 1, v31
	s_cbranch_vccnz .LBB76_153
; %bb.152:
	ds_load_b64 v[28:29], v30
	ds_load_b64 v[32:33], v27
	s_wait_dscnt 0x0
	v_pk_mul_f32 v[38:39], v[32:33], v[28:29] op_sel:[1,1] op_sel_hi:[0,1]
	s_delay_alu instid0(VALU_DEP_1) | instskip(SKIP_1) | instid1(VALU_DEP_2)
	v_pk_fma_f32 v[40:41], v[32:33], v[28:29], v[38:39] op_sel_hi:[1,0,1]
	v_pk_fma_f32 v[28:29], v[32:33], v[28:29], v[38:39] neg_lo:[0,0,1] neg_hi:[0,0,1]
	v_mov_b32_e32 v29, v41
	s_cbranch_execz .LBB76_154
	s_branch .LBB76_155
.LBB76_153:
                                        ; implicit-def: $vgpr28_vgpr29
.LBB76_154:
	ds_load_b64 v[28:29], v27
.LBB76_155:
	s_mov_b32 s4, exec_lo
	v_cmpx_ne_u32_e32 3, v34
	s_cbranch_execz .LBB76_159
; %bb.156:
	v_dual_mov_b32 v37, v34 :: v_dual_add_nc_u32 v32, 0x78, v26
	v_add3_u32 v33, v35, v26, 0xe8
	s_mov_b32 s5, 0
.LBB76_157:                             ; =>This Inner Loop Header: Depth=1
	ds_load_b64 v[38:39], v33
	ds_load_b64 v[40:41], v32
	v_dual_add_nc_u32 v32, 8, v32 :: v_dual_add_nc_u32 v33, 8, v33
	s_wait_dscnt 0x0
	v_pk_mul_f32 v[42:43], v[40:41], v[38:39] op_sel:[1,1] op_sel_hi:[0,1]
	s_delay_alu instid0(VALU_DEP_1) | instskip(SKIP_2) | instid1(VALU_DEP_3)
	v_pk_fma_f32 v[44:45], v[40:41], v[38:39], v[42:43] op_sel_hi:[1,0,1]
	v_add_nc_u32_e32 v37, 1, v37
	v_pk_fma_f32 v[38:39], v[40:41], v[38:39], v[42:43] neg_lo:[0,0,1] neg_hi:[0,0,1]
	v_mov_b32_e32 v39, v45
	s_delay_alu instid0(VALU_DEP_3) | instskip(NEXT) | instid1(VALU_DEP_2)
	v_cmp_lt_u32_e32 vcc_lo, 2, v37
	v_pk_add_f32 v[28:29], v[28:29], v[38:39]
	s_or_b32 s5, vcc_lo, s5
	s_delay_alu instid0(SALU_CYCLE_1)
	s_and_not1_b32 exec_lo, exec_lo, s5
	s_cbranch_execnz .LBB76_157
; %bb.158:
	s_or_b32 exec_lo, exec_lo, s5
.LBB76_159:
	s_delay_alu instid0(SALU_CYCLE_1) | instskip(SKIP_4) | instid1(VALU_DEP_1)
	s_or_b32 exec_lo, exec_lo, s4
	v_mov_b32_e32 v32, 0
	ds_load_b64 v[32:33], v32 offset:32
	s_wait_dscnt 0x0
	v_pk_mul_f32 v[38:39], v[28:29], v[32:33] op_sel:[1,1] op_sel_hi:[0,1]
	v_pk_fma_f32 v[40:41], v[28:29], v[32:33], v[38:39] op_sel_hi:[1,0,1]
	v_pk_fma_f32 v[28:29], v[28:29], v[32:33], v[38:39] neg_lo:[0,0,1] neg_hi:[0,0,1]
	s_delay_alu instid0(VALU_DEP_2)
	v_mov_b32_e32 v29, v41
	ds_store_b64 v36, v[28:29] offset:32
.LBB76_160:
	s_or_b32 exec_lo, exec_lo, s0
	ds_load_b64 v[28:29], v36 offset:40
	s_mov_b32 s0, exec_lo
	s_wait_dscnt 0x0
	ds_store_b64 v27, v[28:29]
	s_wait_dscnt 0x0
	s_barrier_signal -1
	s_barrier_wait -1
	v_cmpx_gt_u32_e32 5, v34
	s_cbranch_execz .LBB76_170
; %bb.161:
	v_cmp_ne_u32_e32 vcc_lo, 1, v31
	s_cbranch_vccnz .LBB76_163
; %bb.162:
	ds_load_b64 v[28:29], v30
	ds_load_b64 v[32:33], v27
	s_wait_dscnt 0x0
	v_pk_mul_f32 v[38:39], v[32:33], v[28:29] op_sel:[1,1] op_sel_hi:[0,1]
	s_delay_alu instid0(VALU_DEP_1) | instskip(SKIP_1) | instid1(VALU_DEP_2)
	v_pk_fma_f32 v[40:41], v[32:33], v[28:29], v[38:39] op_sel_hi:[1,0,1]
	v_pk_fma_f32 v[28:29], v[32:33], v[28:29], v[38:39] neg_lo:[0,0,1] neg_hi:[0,0,1]
	v_mov_b32_e32 v29, v41
	s_cbranch_execz .LBB76_164
	s_branch .LBB76_165
.LBB76_163:
                                        ; implicit-def: $vgpr28_vgpr29
.LBB76_164:
	ds_load_b64 v[28:29], v27
.LBB76_165:
	s_mov_b32 s4, exec_lo
	v_cmpx_ne_u32_e32 4, v34
	s_cbranch_execz .LBB76_169
; %bb.166:
	v_dual_mov_b32 v37, v34 :: v_dual_add_nc_u32 v32, 0x78, v26
	v_add3_u32 v33, v35, v26, 0xe8
	s_mov_b32 s5, 0
.LBB76_167:                             ; =>This Inner Loop Header: Depth=1
	ds_load_b64 v[38:39], v33
	ds_load_b64 v[40:41], v32
	v_dual_add_nc_u32 v32, 8, v32 :: v_dual_add_nc_u32 v33, 8, v33
	s_wait_dscnt 0x0
	v_pk_mul_f32 v[42:43], v[40:41], v[38:39] op_sel:[1,1] op_sel_hi:[0,1]
	s_delay_alu instid0(VALU_DEP_1) | instskip(SKIP_2) | instid1(VALU_DEP_3)
	v_pk_fma_f32 v[44:45], v[40:41], v[38:39], v[42:43] op_sel_hi:[1,0,1]
	v_add_nc_u32_e32 v37, 1, v37
	v_pk_fma_f32 v[38:39], v[40:41], v[38:39], v[42:43] neg_lo:[0,0,1] neg_hi:[0,0,1]
	v_mov_b32_e32 v39, v45
	s_delay_alu instid0(VALU_DEP_3) | instskip(NEXT) | instid1(VALU_DEP_2)
	v_cmp_lt_u32_e32 vcc_lo, 3, v37
	v_pk_add_f32 v[28:29], v[28:29], v[38:39]
	s_or_b32 s5, vcc_lo, s5
	s_delay_alu instid0(SALU_CYCLE_1)
	s_and_not1_b32 exec_lo, exec_lo, s5
	s_cbranch_execnz .LBB76_167
; %bb.168:
	s_or_b32 exec_lo, exec_lo, s5
.LBB76_169:
	s_delay_alu instid0(SALU_CYCLE_1) | instskip(SKIP_4) | instid1(VALU_DEP_1)
	s_or_b32 exec_lo, exec_lo, s4
	v_mov_b32_e32 v32, 0
	ds_load_b64 v[32:33], v32 offset:40
	s_wait_dscnt 0x0
	v_pk_mul_f32 v[38:39], v[28:29], v[32:33] op_sel:[1,1] op_sel_hi:[0,1]
	v_pk_fma_f32 v[40:41], v[28:29], v[32:33], v[38:39] op_sel_hi:[1,0,1]
	v_pk_fma_f32 v[28:29], v[28:29], v[32:33], v[38:39] neg_lo:[0,0,1] neg_hi:[0,0,1]
	s_delay_alu instid0(VALU_DEP_2)
	v_mov_b32_e32 v29, v41
	ds_store_b64 v36, v[28:29] offset:40
.LBB76_170:
	s_or_b32 exec_lo, exec_lo, s0
	ds_load_b64 v[28:29], v36 offset:48
	s_mov_b32 s0, exec_lo
	s_wait_dscnt 0x0
	ds_store_b64 v27, v[28:29]
	s_wait_dscnt 0x0
	s_barrier_signal -1
	s_barrier_wait -1
	v_cmpx_gt_u32_e32 6, v34
	s_cbranch_execz .LBB76_180
; %bb.171:
	v_cmp_ne_u32_e32 vcc_lo, 1, v31
	s_cbranch_vccnz .LBB76_173
; %bb.172:
	ds_load_b64 v[28:29], v30
	ds_load_b64 v[32:33], v27
	s_wait_dscnt 0x0
	v_pk_mul_f32 v[38:39], v[32:33], v[28:29] op_sel:[1,1] op_sel_hi:[0,1]
	s_delay_alu instid0(VALU_DEP_1) | instskip(SKIP_1) | instid1(VALU_DEP_2)
	v_pk_fma_f32 v[40:41], v[32:33], v[28:29], v[38:39] op_sel_hi:[1,0,1]
	v_pk_fma_f32 v[28:29], v[32:33], v[28:29], v[38:39] neg_lo:[0,0,1] neg_hi:[0,0,1]
	v_mov_b32_e32 v29, v41
	s_cbranch_execz .LBB76_174
	s_branch .LBB76_175
.LBB76_173:
                                        ; implicit-def: $vgpr28_vgpr29
.LBB76_174:
	ds_load_b64 v[28:29], v27
.LBB76_175:
	s_mov_b32 s4, exec_lo
	v_cmpx_ne_u32_e32 5, v34
	s_cbranch_execz .LBB76_179
; %bb.176:
	v_dual_mov_b32 v37, v34 :: v_dual_add_nc_u32 v32, 0x78, v26
	v_add3_u32 v33, v35, v26, 0xe8
	s_mov_b32 s5, 0
.LBB76_177:                             ; =>This Inner Loop Header: Depth=1
	ds_load_b64 v[38:39], v33
	ds_load_b64 v[40:41], v32
	v_dual_add_nc_u32 v32, 8, v32 :: v_dual_add_nc_u32 v33, 8, v33
	s_wait_dscnt 0x0
	v_pk_mul_f32 v[42:43], v[40:41], v[38:39] op_sel:[1,1] op_sel_hi:[0,1]
	s_delay_alu instid0(VALU_DEP_1) | instskip(SKIP_2) | instid1(VALU_DEP_3)
	v_pk_fma_f32 v[44:45], v[40:41], v[38:39], v[42:43] op_sel_hi:[1,0,1]
	v_add_nc_u32_e32 v37, 1, v37
	v_pk_fma_f32 v[38:39], v[40:41], v[38:39], v[42:43] neg_lo:[0,0,1] neg_hi:[0,0,1]
	v_mov_b32_e32 v39, v45
	s_delay_alu instid0(VALU_DEP_3) | instskip(NEXT) | instid1(VALU_DEP_2)
	v_cmp_lt_u32_e32 vcc_lo, 4, v37
	v_pk_add_f32 v[28:29], v[28:29], v[38:39]
	s_or_b32 s5, vcc_lo, s5
	s_delay_alu instid0(SALU_CYCLE_1)
	s_and_not1_b32 exec_lo, exec_lo, s5
	s_cbranch_execnz .LBB76_177
; %bb.178:
	s_or_b32 exec_lo, exec_lo, s5
.LBB76_179:
	s_delay_alu instid0(SALU_CYCLE_1) | instskip(SKIP_4) | instid1(VALU_DEP_1)
	s_or_b32 exec_lo, exec_lo, s4
	v_mov_b32_e32 v32, 0
	ds_load_b64 v[32:33], v32 offset:48
	s_wait_dscnt 0x0
	v_pk_mul_f32 v[38:39], v[28:29], v[32:33] op_sel:[1,1] op_sel_hi:[0,1]
	v_pk_fma_f32 v[40:41], v[28:29], v[32:33], v[38:39] op_sel_hi:[1,0,1]
	v_pk_fma_f32 v[28:29], v[28:29], v[32:33], v[38:39] neg_lo:[0,0,1] neg_hi:[0,0,1]
	s_delay_alu instid0(VALU_DEP_2)
	v_mov_b32_e32 v29, v41
	ds_store_b64 v36, v[28:29] offset:48
.LBB76_180:
	s_or_b32 exec_lo, exec_lo, s0
	ds_load_b64 v[28:29], v36 offset:56
	s_mov_b32 s0, exec_lo
	s_wait_dscnt 0x0
	ds_store_b64 v27, v[28:29]
	s_wait_dscnt 0x0
	s_barrier_signal -1
	s_barrier_wait -1
	v_cmpx_gt_u32_e32 7, v34
	s_cbranch_execz .LBB76_190
; %bb.181:
	v_cmp_ne_u32_e32 vcc_lo, 1, v31
	s_cbranch_vccnz .LBB76_183
; %bb.182:
	ds_load_b64 v[28:29], v30
	ds_load_b64 v[32:33], v27
	s_wait_dscnt 0x0
	v_pk_mul_f32 v[38:39], v[32:33], v[28:29] op_sel:[1,1] op_sel_hi:[0,1]
	s_delay_alu instid0(VALU_DEP_1) | instskip(SKIP_1) | instid1(VALU_DEP_2)
	v_pk_fma_f32 v[40:41], v[32:33], v[28:29], v[38:39] op_sel_hi:[1,0,1]
	v_pk_fma_f32 v[28:29], v[32:33], v[28:29], v[38:39] neg_lo:[0,0,1] neg_hi:[0,0,1]
	v_mov_b32_e32 v29, v41
	s_cbranch_execz .LBB76_184
	s_branch .LBB76_185
.LBB76_183:
                                        ; implicit-def: $vgpr28_vgpr29
.LBB76_184:
	ds_load_b64 v[28:29], v27
.LBB76_185:
	s_mov_b32 s4, exec_lo
	v_cmpx_ne_u32_e32 6, v34
	s_cbranch_execz .LBB76_189
; %bb.186:
	v_dual_mov_b32 v37, v34 :: v_dual_add_nc_u32 v32, 0x78, v26
	v_add3_u32 v33, v35, v26, 0xe8
	s_mov_b32 s5, 0
.LBB76_187:                             ; =>This Inner Loop Header: Depth=1
	ds_load_b64 v[38:39], v33
	ds_load_b64 v[40:41], v32
	v_dual_add_nc_u32 v32, 8, v32 :: v_dual_add_nc_u32 v33, 8, v33
	s_wait_dscnt 0x0
	v_pk_mul_f32 v[42:43], v[40:41], v[38:39] op_sel:[1,1] op_sel_hi:[0,1]
	s_delay_alu instid0(VALU_DEP_1) | instskip(SKIP_2) | instid1(VALU_DEP_3)
	v_pk_fma_f32 v[44:45], v[40:41], v[38:39], v[42:43] op_sel_hi:[1,0,1]
	v_add_nc_u32_e32 v37, 1, v37
	v_pk_fma_f32 v[38:39], v[40:41], v[38:39], v[42:43] neg_lo:[0,0,1] neg_hi:[0,0,1]
	v_mov_b32_e32 v39, v45
	s_delay_alu instid0(VALU_DEP_3) | instskip(NEXT) | instid1(VALU_DEP_2)
	v_cmp_lt_u32_e32 vcc_lo, 5, v37
	v_pk_add_f32 v[28:29], v[28:29], v[38:39]
	s_or_b32 s5, vcc_lo, s5
	s_delay_alu instid0(SALU_CYCLE_1)
	s_and_not1_b32 exec_lo, exec_lo, s5
	s_cbranch_execnz .LBB76_187
; %bb.188:
	s_or_b32 exec_lo, exec_lo, s5
.LBB76_189:
	s_delay_alu instid0(SALU_CYCLE_1) | instskip(SKIP_4) | instid1(VALU_DEP_1)
	s_or_b32 exec_lo, exec_lo, s4
	v_mov_b32_e32 v32, 0
	ds_load_b64 v[32:33], v32 offset:56
	s_wait_dscnt 0x0
	v_pk_mul_f32 v[38:39], v[28:29], v[32:33] op_sel:[1,1] op_sel_hi:[0,1]
	v_pk_fma_f32 v[40:41], v[28:29], v[32:33], v[38:39] op_sel_hi:[1,0,1]
	v_pk_fma_f32 v[28:29], v[28:29], v[32:33], v[38:39] neg_lo:[0,0,1] neg_hi:[0,0,1]
	s_delay_alu instid0(VALU_DEP_2)
	v_mov_b32_e32 v29, v41
	ds_store_b64 v36, v[28:29] offset:56
.LBB76_190:
	s_or_b32 exec_lo, exec_lo, s0
	ds_load_b64 v[28:29], v36 offset:64
	s_mov_b32 s0, exec_lo
	s_wait_dscnt 0x0
	ds_store_b64 v27, v[28:29]
	s_wait_dscnt 0x0
	s_barrier_signal -1
	s_barrier_wait -1
	v_cmpx_gt_u32_e32 8, v34
	s_cbranch_execz .LBB76_200
; %bb.191:
	v_cmp_ne_u32_e32 vcc_lo, 1, v31
	s_cbranch_vccnz .LBB76_193
; %bb.192:
	ds_load_b64 v[28:29], v30
	ds_load_b64 v[32:33], v27
	s_wait_dscnt 0x0
	v_pk_mul_f32 v[38:39], v[32:33], v[28:29] op_sel:[1,1] op_sel_hi:[0,1]
	s_delay_alu instid0(VALU_DEP_1) | instskip(SKIP_1) | instid1(VALU_DEP_2)
	v_pk_fma_f32 v[40:41], v[32:33], v[28:29], v[38:39] op_sel_hi:[1,0,1]
	v_pk_fma_f32 v[28:29], v[32:33], v[28:29], v[38:39] neg_lo:[0,0,1] neg_hi:[0,0,1]
	v_mov_b32_e32 v29, v41
	s_cbranch_execz .LBB76_194
	s_branch .LBB76_195
.LBB76_193:
                                        ; implicit-def: $vgpr28_vgpr29
.LBB76_194:
	ds_load_b64 v[28:29], v27
.LBB76_195:
	s_mov_b32 s4, exec_lo
	v_cmpx_ne_u32_e32 7, v34
	s_cbranch_execz .LBB76_199
; %bb.196:
	v_dual_mov_b32 v37, v34 :: v_dual_add_nc_u32 v32, 0x78, v26
	v_add3_u32 v33, v35, v26, 0xe8
	s_mov_b32 s5, 0
.LBB76_197:                             ; =>This Inner Loop Header: Depth=1
	ds_load_b64 v[38:39], v33
	ds_load_b64 v[40:41], v32
	v_dual_add_nc_u32 v32, 8, v32 :: v_dual_add_nc_u32 v33, 8, v33
	s_wait_dscnt 0x0
	v_pk_mul_f32 v[42:43], v[40:41], v[38:39] op_sel:[1,1] op_sel_hi:[0,1]
	s_delay_alu instid0(VALU_DEP_1) | instskip(SKIP_2) | instid1(VALU_DEP_3)
	v_pk_fma_f32 v[44:45], v[40:41], v[38:39], v[42:43] op_sel_hi:[1,0,1]
	v_add_nc_u32_e32 v37, 1, v37
	v_pk_fma_f32 v[38:39], v[40:41], v[38:39], v[42:43] neg_lo:[0,0,1] neg_hi:[0,0,1]
	v_mov_b32_e32 v39, v45
	s_delay_alu instid0(VALU_DEP_3) | instskip(NEXT) | instid1(VALU_DEP_2)
	v_cmp_lt_u32_e32 vcc_lo, 6, v37
	v_pk_add_f32 v[28:29], v[28:29], v[38:39]
	s_or_b32 s5, vcc_lo, s5
	s_delay_alu instid0(SALU_CYCLE_1)
	s_and_not1_b32 exec_lo, exec_lo, s5
	s_cbranch_execnz .LBB76_197
; %bb.198:
	s_or_b32 exec_lo, exec_lo, s5
.LBB76_199:
	s_delay_alu instid0(SALU_CYCLE_1) | instskip(SKIP_4) | instid1(VALU_DEP_1)
	s_or_b32 exec_lo, exec_lo, s4
	v_mov_b32_e32 v32, 0
	ds_load_b64 v[32:33], v32 offset:64
	s_wait_dscnt 0x0
	v_pk_mul_f32 v[38:39], v[28:29], v[32:33] op_sel:[1,1] op_sel_hi:[0,1]
	v_pk_fma_f32 v[40:41], v[28:29], v[32:33], v[38:39] op_sel_hi:[1,0,1]
	v_pk_fma_f32 v[28:29], v[28:29], v[32:33], v[38:39] neg_lo:[0,0,1] neg_hi:[0,0,1]
	s_delay_alu instid0(VALU_DEP_2)
	v_mov_b32_e32 v29, v41
	ds_store_b64 v36, v[28:29] offset:64
.LBB76_200:
	s_or_b32 exec_lo, exec_lo, s0
	ds_load_b64 v[28:29], v36 offset:72
	s_mov_b32 s0, exec_lo
	s_wait_dscnt 0x0
	ds_store_b64 v27, v[28:29]
	s_wait_dscnt 0x0
	s_barrier_signal -1
	s_barrier_wait -1
	v_cmpx_gt_u32_e32 9, v34
	s_cbranch_execz .LBB76_210
; %bb.201:
	v_cmp_ne_u32_e32 vcc_lo, 1, v31
	s_cbranch_vccnz .LBB76_203
; %bb.202:
	ds_load_b64 v[28:29], v30
	ds_load_b64 v[32:33], v27
	s_wait_dscnt 0x0
	v_pk_mul_f32 v[38:39], v[32:33], v[28:29] op_sel:[1,1] op_sel_hi:[0,1]
	s_delay_alu instid0(VALU_DEP_1) | instskip(SKIP_1) | instid1(VALU_DEP_2)
	v_pk_fma_f32 v[40:41], v[32:33], v[28:29], v[38:39] op_sel_hi:[1,0,1]
	v_pk_fma_f32 v[28:29], v[32:33], v[28:29], v[38:39] neg_lo:[0,0,1] neg_hi:[0,0,1]
	v_mov_b32_e32 v29, v41
	s_cbranch_execz .LBB76_204
	s_branch .LBB76_205
.LBB76_203:
                                        ; implicit-def: $vgpr28_vgpr29
.LBB76_204:
	ds_load_b64 v[28:29], v27
.LBB76_205:
	s_mov_b32 s4, exec_lo
	v_cmpx_ne_u32_e32 8, v34
	s_cbranch_execz .LBB76_209
; %bb.206:
	v_dual_mov_b32 v37, v34 :: v_dual_add_nc_u32 v32, 0x78, v26
	v_add3_u32 v33, v35, v26, 0xe8
	s_mov_b32 s5, 0
.LBB76_207:                             ; =>This Inner Loop Header: Depth=1
	ds_load_b64 v[38:39], v33
	ds_load_b64 v[40:41], v32
	v_dual_add_nc_u32 v32, 8, v32 :: v_dual_add_nc_u32 v33, 8, v33
	s_wait_dscnt 0x0
	v_pk_mul_f32 v[42:43], v[40:41], v[38:39] op_sel:[1,1] op_sel_hi:[0,1]
	s_delay_alu instid0(VALU_DEP_1) | instskip(SKIP_2) | instid1(VALU_DEP_3)
	v_pk_fma_f32 v[44:45], v[40:41], v[38:39], v[42:43] op_sel_hi:[1,0,1]
	v_add_nc_u32_e32 v37, 1, v37
	v_pk_fma_f32 v[38:39], v[40:41], v[38:39], v[42:43] neg_lo:[0,0,1] neg_hi:[0,0,1]
	v_mov_b32_e32 v39, v45
	s_delay_alu instid0(VALU_DEP_3) | instskip(NEXT) | instid1(VALU_DEP_2)
	v_cmp_lt_u32_e32 vcc_lo, 7, v37
	v_pk_add_f32 v[28:29], v[28:29], v[38:39]
	s_or_b32 s5, vcc_lo, s5
	s_delay_alu instid0(SALU_CYCLE_1)
	s_and_not1_b32 exec_lo, exec_lo, s5
	s_cbranch_execnz .LBB76_207
; %bb.208:
	s_or_b32 exec_lo, exec_lo, s5
.LBB76_209:
	s_delay_alu instid0(SALU_CYCLE_1) | instskip(SKIP_4) | instid1(VALU_DEP_1)
	s_or_b32 exec_lo, exec_lo, s4
	v_mov_b32_e32 v32, 0
	ds_load_b64 v[32:33], v32 offset:72
	s_wait_dscnt 0x0
	v_pk_mul_f32 v[38:39], v[28:29], v[32:33] op_sel:[1,1] op_sel_hi:[0,1]
	v_pk_fma_f32 v[40:41], v[28:29], v[32:33], v[38:39] op_sel_hi:[1,0,1]
	v_pk_fma_f32 v[28:29], v[28:29], v[32:33], v[38:39] neg_lo:[0,0,1] neg_hi:[0,0,1]
	s_delay_alu instid0(VALU_DEP_2)
	v_mov_b32_e32 v29, v41
	ds_store_b64 v36, v[28:29] offset:72
.LBB76_210:
	s_or_b32 exec_lo, exec_lo, s0
	ds_load_b64 v[28:29], v36 offset:80
	s_mov_b32 s0, exec_lo
	s_wait_dscnt 0x0
	ds_store_b64 v27, v[28:29]
	s_wait_dscnt 0x0
	s_barrier_signal -1
	s_barrier_wait -1
	v_cmpx_gt_u32_e32 10, v34
	s_cbranch_execz .LBB76_220
; %bb.211:
	v_cmp_ne_u32_e32 vcc_lo, 1, v31
	s_cbranch_vccnz .LBB76_213
; %bb.212:
	ds_load_b64 v[28:29], v30
	ds_load_b64 v[32:33], v27
	s_wait_dscnt 0x0
	v_pk_mul_f32 v[38:39], v[32:33], v[28:29] op_sel:[1,1] op_sel_hi:[0,1]
	s_delay_alu instid0(VALU_DEP_1) | instskip(SKIP_1) | instid1(VALU_DEP_2)
	v_pk_fma_f32 v[40:41], v[32:33], v[28:29], v[38:39] op_sel_hi:[1,0,1]
	v_pk_fma_f32 v[28:29], v[32:33], v[28:29], v[38:39] neg_lo:[0,0,1] neg_hi:[0,0,1]
	v_mov_b32_e32 v29, v41
	s_cbranch_execz .LBB76_214
	s_branch .LBB76_215
.LBB76_213:
                                        ; implicit-def: $vgpr28_vgpr29
.LBB76_214:
	ds_load_b64 v[28:29], v27
.LBB76_215:
	s_mov_b32 s4, exec_lo
	v_cmpx_ne_u32_e32 9, v34
	s_cbranch_execz .LBB76_219
; %bb.216:
	v_dual_mov_b32 v37, v34 :: v_dual_add_nc_u32 v32, 0x78, v26
	v_add3_u32 v33, v35, v26, 0xe8
	s_mov_b32 s5, 0
.LBB76_217:                             ; =>This Inner Loop Header: Depth=1
	ds_load_b64 v[38:39], v33
	ds_load_b64 v[40:41], v32
	v_dual_add_nc_u32 v32, 8, v32 :: v_dual_add_nc_u32 v33, 8, v33
	s_wait_dscnt 0x0
	v_pk_mul_f32 v[42:43], v[40:41], v[38:39] op_sel:[1,1] op_sel_hi:[0,1]
	s_delay_alu instid0(VALU_DEP_1) | instskip(SKIP_2) | instid1(VALU_DEP_3)
	v_pk_fma_f32 v[44:45], v[40:41], v[38:39], v[42:43] op_sel_hi:[1,0,1]
	v_add_nc_u32_e32 v37, 1, v37
	v_pk_fma_f32 v[38:39], v[40:41], v[38:39], v[42:43] neg_lo:[0,0,1] neg_hi:[0,0,1]
	v_mov_b32_e32 v39, v45
	s_delay_alu instid0(VALU_DEP_3) | instskip(NEXT) | instid1(VALU_DEP_2)
	v_cmp_lt_u32_e32 vcc_lo, 8, v37
	v_pk_add_f32 v[28:29], v[28:29], v[38:39]
	s_or_b32 s5, vcc_lo, s5
	s_delay_alu instid0(SALU_CYCLE_1)
	s_and_not1_b32 exec_lo, exec_lo, s5
	s_cbranch_execnz .LBB76_217
; %bb.218:
	s_or_b32 exec_lo, exec_lo, s5
.LBB76_219:
	s_delay_alu instid0(SALU_CYCLE_1) | instskip(SKIP_4) | instid1(VALU_DEP_1)
	s_or_b32 exec_lo, exec_lo, s4
	v_mov_b32_e32 v32, 0
	ds_load_b64 v[32:33], v32 offset:80
	s_wait_dscnt 0x0
	v_pk_mul_f32 v[38:39], v[28:29], v[32:33] op_sel:[1,1] op_sel_hi:[0,1]
	v_pk_fma_f32 v[40:41], v[28:29], v[32:33], v[38:39] op_sel_hi:[1,0,1]
	v_pk_fma_f32 v[28:29], v[28:29], v[32:33], v[38:39] neg_lo:[0,0,1] neg_hi:[0,0,1]
	s_delay_alu instid0(VALU_DEP_2)
	v_mov_b32_e32 v29, v41
	ds_store_b64 v36, v[28:29] offset:80
.LBB76_220:
	s_or_b32 exec_lo, exec_lo, s0
	ds_load_b64 v[28:29], v36 offset:88
	v_cmp_gt_u32_e64 s0, 11, v34
	s_wait_dscnt 0x0
	ds_store_b64 v27, v[28:29]
	s_wait_dscnt 0x0
	s_barrier_signal -1
	s_barrier_wait -1
	s_and_saveexec_b32 s4, s0
	s_cbranch_execz .LBB76_230
; %bb.221:
	v_cmp_ne_u32_e32 vcc_lo, 1, v31
	s_cbranch_vccnz .LBB76_223
; %bb.222:
	ds_load_b64 v[28:29], v30
	ds_load_b64 v[32:33], v27
	s_wait_dscnt 0x0
	v_pk_mul_f32 v[38:39], v[32:33], v[28:29] op_sel:[1,1] op_sel_hi:[0,1]
	s_delay_alu instid0(VALU_DEP_1) | instskip(SKIP_1) | instid1(VALU_DEP_2)
	v_pk_fma_f32 v[40:41], v[32:33], v[28:29], v[38:39] op_sel_hi:[1,0,1]
	v_pk_fma_f32 v[28:29], v[32:33], v[28:29], v[38:39] neg_lo:[0,0,1] neg_hi:[0,0,1]
	v_mov_b32_e32 v29, v41
	s_cbranch_execz .LBB76_224
	s_branch .LBB76_225
.LBB76_223:
                                        ; implicit-def: $vgpr28_vgpr29
.LBB76_224:
	ds_load_b64 v[28:29], v27
.LBB76_225:
	s_mov_b32 s5, exec_lo
	v_cmpx_ne_u32_e32 10, v34
	s_cbranch_execz .LBB76_229
; %bb.226:
	v_dual_mov_b32 v37, v34 :: v_dual_add_nc_u32 v32, 0x78, v26
	v_add3_u32 v33, v35, v26, 0xe8
	s_mov_b32 s6, 0
.LBB76_227:                             ; =>This Inner Loop Header: Depth=1
	ds_load_b64 v[38:39], v33
	ds_load_b64 v[40:41], v32
	v_dual_add_nc_u32 v32, 8, v32 :: v_dual_add_nc_u32 v33, 8, v33
	s_wait_dscnt 0x0
	v_pk_mul_f32 v[42:43], v[40:41], v[38:39] op_sel:[1,1] op_sel_hi:[0,1]
	s_delay_alu instid0(VALU_DEP_1) | instskip(SKIP_2) | instid1(VALU_DEP_3)
	v_pk_fma_f32 v[44:45], v[40:41], v[38:39], v[42:43] op_sel_hi:[1,0,1]
	v_add_nc_u32_e32 v37, 1, v37
	v_pk_fma_f32 v[38:39], v[40:41], v[38:39], v[42:43] neg_lo:[0,0,1] neg_hi:[0,0,1]
	v_mov_b32_e32 v39, v45
	s_delay_alu instid0(VALU_DEP_3) | instskip(NEXT) | instid1(VALU_DEP_2)
	v_cmp_lt_u32_e32 vcc_lo, 9, v37
	v_pk_add_f32 v[28:29], v[28:29], v[38:39]
	s_or_b32 s6, vcc_lo, s6
	s_delay_alu instid0(SALU_CYCLE_1)
	s_and_not1_b32 exec_lo, exec_lo, s6
	s_cbranch_execnz .LBB76_227
; %bb.228:
	s_or_b32 exec_lo, exec_lo, s6
.LBB76_229:
	s_delay_alu instid0(SALU_CYCLE_1) | instskip(SKIP_4) | instid1(VALU_DEP_1)
	s_or_b32 exec_lo, exec_lo, s5
	v_mov_b32_e32 v32, 0
	ds_load_b64 v[32:33], v32 offset:88
	s_wait_dscnt 0x0
	v_pk_mul_f32 v[38:39], v[28:29], v[32:33] op_sel:[1,1] op_sel_hi:[0,1]
	v_pk_fma_f32 v[40:41], v[28:29], v[32:33], v[38:39] op_sel_hi:[1,0,1]
	v_pk_fma_f32 v[28:29], v[28:29], v[32:33], v[38:39] neg_lo:[0,0,1] neg_hi:[0,0,1]
	s_delay_alu instid0(VALU_DEP_2)
	v_mov_b32_e32 v29, v41
	ds_store_b64 v36, v[28:29] offset:88
.LBB76_230:
	s_or_b32 exec_lo, exec_lo, s4
	ds_load_b64 v[28:29], v36 offset:96
	s_mov_b32 s4, exec_lo
                                        ; implicit-def: $vgpr38
                                        ; implicit-def: $vgpr39
	s_wait_dscnt 0x0
	ds_store_b64 v27, v[28:29]
	s_wait_dscnt 0x0
	s_barrier_signal -1
	s_barrier_wait -1
	v_cmpx_ne_u32_e32 12, v34
	s_cbranch_execz .LBB76_240
; %bb.231:
	v_cmp_ne_u32_e32 vcc_lo, 1, v31
	s_cbranch_vccnz .LBB76_233
; %bb.232:
	ds_load_b64 v[30:31], v30
	ds_load_b64 v[32:33], v27
	s_wait_dscnt 0x0
	v_dual_mul_f32 v28, v33, v31 :: v_dual_mul_f32 v29, v32, v31
	s_delay_alu instid0(VALU_DEP_1)
	v_dual_fma_f32 v28, v32, v30, -v28 :: v_dual_fmac_f32 v29, v33, v30
	s_cbranch_execz .LBB76_234
	s_branch .LBB76_235
.LBB76_233:
                                        ; implicit-def: $vgpr29
.LBB76_234:
	ds_load_b64 v[28:29], v27
.LBB76_235:
	s_and_saveexec_b32 s5, s0
	s_cbranch_execz .LBB76_239
; %bb.236:
	v_add_nc_u32_e32 v27, 0x78, v26
	v_add3_u32 v26, v35, v26, 0xe8
	s_mov_b32 s0, 0
.LBB76_237:                             ; =>This Inner Loop Header: Depth=1
	ds_load_b64 v[30:31], v26
	ds_load_b64 v[32:33], v27
	v_dual_add_nc_u32 v34, 1, v34 :: v_dual_add_nc_u32 v27, 8, v27
	v_add_nc_u32_e32 v26, 8, v26
	s_delay_alu instid0(VALU_DEP_2) | instskip(SKIP_3) | instid1(VALU_DEP_1)
	v_cmp_lt_u32_e32 vcc_lo, 10, v34
	s_or_b32 s0, vcc_lo, s0
	s_wait_dscnt 0x0
	v_dual_mul_f32 v35, v33, v31 :: v_dual_mul_f32 v31, v32, v31
	v_fmac_f32_e32 v31, v33, v30
	s_delay_alu instid0(VALU_DEP_1) | instskip(NEXT) | instid1(VALU_DEP_1)
	v_dual_fma_f32 v32, v32, v30, -v35 :: v_dual_add_f32 v29, v29, v31
	v_add_f32_e32 v28, v28, v32
	s_and_not1_b32 exec_lo, exec_lo, s0
	s_cbranch_execnz .LBB76_237
; %bb.238:
	s_or_b32 exec_lo, exec_lo, s0
.LBB76_239:
	s_delay_alu instid0(SALU_CYCLE_1)
	s_or_b32 exec_lo, exec_lo, s5
	v_mov_b32_e32 v26, 0
	s_or_b32 s1, s1, exec_lo
	v_add_nc_u32_e32 v39, 0x64, v36
	ds_load_b64 v[26:27], v26 offset:96
	s_wait_dscnt 0x0
	v_dual_mul_f32 v30, v29, v27 :: v_dual_mul_f32 v38, v28, v27
	s_delay_alu instid0(VALU_DEP_1) | instskip(NEXT) | instid1(VALU_DEP_2)
	v_fma_f32 v27, v28, v26, -v30
	v_fmac_f32_e32 v38, v29, v26
	ds_store_b32 v36, v27 offset:96
.LBB76_240:
	s_or_b32 exec_lo, exec_lo, s4
.LBB76_241:
	v_lshl_add_u64 v[34:35], v[4:5], 3, s[2:3]
	v_lshl_add_u64 v[32:33], v[6:7], 3, s[2:3]
	;; [unrolled: 1-line block ×11, first 2 shown]
	s_and_saveexec_b32 s0, s1
; %bb.242:
	ds_store_b32 v39, v38
; %bb.243:
	s_or_b32 exec_lo, exec_lo, s0
	ds_load_b64 v[16:17], v36
	s_wait_dscnt 0x0
	flat_store_b64 v[0:1], v[16:17]
	s_wait_xcnt 0x0
	ds_load_b64 v[0:1], v36 offset:8
	s_wait_dscnt 0x0
	flat_store_b64 v[2:3], v[0:1]
	s_wait_xcnt 0x0
	ds_load_b64 v[0:1], v36 offset:16
	;; [unrolled: 4-line block ×12, first 2 shown]
	s_wait_dscnt 0x0
	flat_store_b64 v[4:5], v[0:1]
.LBB76_244:
	s_endpgm
	.section	.rodata,"a",@progbits
	.p2align	6, 0x0
	.amdhsa_kernel _ZN9rocsolver6v33100L18trti2_kernel_smallILi13E19rocblas_complex_numIfEPKPS3_EEv13rocblas_fill_17rocblas_diagonal_T1_iil
		.amdhsa_group_segment_fixed_size 6880
		.amdhsa_private_segment_fixed_size 0
		.amdhsa_kernarg_size 32
		.amdhsa_user_sgpr_count 4
		.amdhsa_user_sgpr_dispatch_ptr 1
		.amdhsa_user_sgpr_queue_ptr 0
		.amdhsa_user_sgpr_kernarg_segment_ptr 1
		.amdhsa_user_sgpr_dispatch_id 0
		.amdhsa_user_sgpr_kernarg_preload_length 0
		.amdhsa_user_sgpr_kernarg_preload_offset 0
		.amdhsa_user_sgpr_private_segment_size 0
		.amdhsa_wavefront_size32 1
		.amdhsa_uses_dynamic_stack 0
		.amdhsa_enable_private_segment 0
		.amdhsa_system_sgpr_workgroup_id_x 1
		.amdhsa_system_sgpr_workgroup_id_y 0
		.amdhsa_system_sgpr_workgroup_id_z 0
		.amdhsa_system_sgpr_workgroup_info 0
		.amdhsa_system_vgpr_workitem_id 2
		.amdhsa_next_free_vgpr 46
		.amdhsa_next_free_sgpr 12
		.amdhsa_named_barrier_count 0
		.amdhsa_reserve_vcc 1
		.amdhsa_float_round_mode_32 0
		.amdhsa_float_round_mode_16_64 0
		.amdhsa_float_denorm_mode_32 3
		.amdhsa_float_denorm_mode_16_64 3
		.amdhsa_fp16_overflow 0
		.amdhsa_memory_ordered 1
		.amdhsa_forward_progress 1
		.amdhsa_inst_pref_size 73
		.amdhsa_round_robin_scheduling 0
		.amdhsa_exception_fp_ieee_invalid_op 0
		.amdhsa_exception_fp_denorm_src 0
		.amdhsa_exception_fp_ieee_div_zero 0
		.amdhsa_exception_fp_ieee_overflow 0
		.amdhsa_exception_fp_ieee_underflow 0
		.amdhsa_exception_fp_ieee_inexact 0
		.amdhsa_exception_int_div_zero 0
	.end_amdhsa_kernel
	.section	.text._ZN9rocsolver6v33100L18trti2_kernel_smallILi13E19rocblas_complex_numIfEPKPS3_EEv13rocblas_fill_17rocblas_diagonal_T1_iil,"axG",@progbits,_ZN9rocsolver6v33100L18trti2_kernel_smallILi13E19rocblas_complex_numIfEPKPS3_EEv13rocblas_fill_17rocblas_diagonal_T1_iil,comdat
.Lfunc_end76:
	.size	_ZN9rocsolver6v33100L18trti2_kernel_smallILi13E19rocblas_complex_numIfEPKPS3_EEv13rocblas_fill_17rocblas_diagonal_T1_iil, .Lfunc_end76-_ZN9rocsolver6v33100L18trti2_kernel_smallILi13E19rocblas_complex_numIfEPKPS3_EEv13rocblas_fill_17rocblas_diagonal_T1_iil
                                        ; -- End function
	.set _ZN9rocsolver6v33100L18trti2_kernel_smallILi13E19rocblas_complex_numIfEPKPS3_EEv13rocblas_fill_17rocblas_diagonal_T1_iil.num_vgpr, 46
	.set _ZN9rocsolver6v33100L18trti2_kernel_smallILi13E19rocblas_complex_numIfEPKPS3_EEv13rocblas_fill_17rocblas_diagonal_T1_iil.num_agpr, 0
	.set _ZN9rocsolver6v33100L18trti2_kernel_smallILi13E19rocblas_complex_numIfEPKPS3_EEv13rocblas_fill_17rocblas_diagonal_T1_iil.numbered_sgpr, 12
	.set _ZN9rocsolver6v33100L18trti2_kernel_smallILi13E19rocblas_complex_numIfEPKPS3_EEv13rocblas_fill_17rocblas_diagonal_T1_iil.num_named_barrier, 0
	.set _ZN9rocsolver6v33100L18trti2_kernel_smallILi13E19rocblas_complex_numIfEPKPS3_EEv13rocblas_fill_17rocblas_diagonal_T1_iil.private_seg_size, 0
	.set _ZN9rocsolver6v33100L18trti2_kernel_smallILi13E19rocblas_complex_numIfEPKPS3_EEv13rocblas_fill_17rocblas_diagonal_T1_iil.uses_vcc, 1
	.set _ZN9rocsolver6v33100L18trti2_kernel_smallILi13E19rocblas_complex_numIfEPKPS3_EEv13rocblas_fill_17rocblas_diagonal_T1_iil.uses_flat_scratch, 0
	.set _ZN9rocsolver6v33100L18trti2_kernel_smallILi13E19rocblas_complex_numIfEPKPS3_EEv13rocblas_fill_17rocblas_diagonal_T1_iil.has_dyn_sized_stack, 0
	.set _ZN9rocsolver6v33100L18trti2_kernel_smallILi13E19rocblas_complex_numIfEPKPS3_EEv13rocblas_fill_17rocblas_diagonal_T1_iil.has_recursion, 0
	.set _ZN9rocsolver6v33100L18trti2_kernel_smallILi13E19rocblas_complex_numIfEPKPS3_EEv13rocblas_fill_17rocblas_diagonal_T1_iil.has_indirect_call, 0
	.section	.AMDGPU.csdata,"",@progbits
; Kernel info:
; codeLenInByte = 9312
; TotalNumSgprs: 14
; NumVgprs: 46
; ScratchSize: 0
; MemoryBound: 0
; FloatMode: 240
; IeeeMode: 1
; LDSByteSize: 6880 bytes/workgroup (compile time only)
; SGPRBlocks: 0
; VGPRBlocks: 2
; NumSGPRsForWavesPerEU: 14
; NumVGPRsForWavesPerEU: 46
; NamedBarCnt: 0
; Occupancy: 12
; WaveLimiterHint : 1
; COMPUTE_PGM_RSRC2:SCRATCH_EN: 0
; COMPUTE_PGM_RSRC2:USER_SGPR: 4
; COMPUTE_PGM_RSRC2:TRAP_HANDLER: 0
; COMPUTE_PGM_RSRC2:TGID_X_EN: 1
; COMPUTE_PGM_RSRC2:TGID_Y_EN: 0
; COMPUTE_PGM_RSRC2:TGID_Z_EN: 0
; COMPUTE_PGM_RSRC2:TIDIG_COMP_CNT: 2
	.section	.text._ZN9rocsolver6v33100L18trti2_kernel_smallILi14E19rocblas_complex_numIfEPKPS3_EEv13rocblas_fill_17rocblas_diagonal_T1_iil,"axG",@progbits,_ZN9rocsolver6v33100L18trti2_kernel_smallILi14E19rocblas_complex_numIfEPKPS3_EEv13rocblas_fill_17rocblas_diagonal_T1_iil,comdat
	.globl	_ZN9rocsolver6v33100L18trti2_kernel_smallILi14E19rocblas_complex_numIfEPKPS3_EEv13rocblas_fill_17rocblas_diagonal_T1_iil ; -- Begin function _ZN9rocsolver6v33100L18trti2_kernel_smallILi14E19rocblas_complex_numIfEPKPS3_EEv13rocblas_fill_17rocblas_diagonal_T1_iil
	.p2align	8
	.type	_ZN9rocsolver6v33100L18trti2_kernel_smallILi14E19rocblas_complex_numIfEPKPS3_EEv13rocblas_fill_17rocblas_diagonal_T1_iil,@function
_ZN9rocsolver6v33100L18trti2_kernel_smallILi14E19rocblas_complex_numIfEPKPS3_EEv13rocblas_fill_17rocblas_diagonal_T1_iil: ; @_ZN9rocsolver6v33100L18trti2_kernel_smallILi14E19rocblas_complex_numIfEPKPS3_EEv13rocblas_fill_17rocblas_diagonal_T1_iil
; %bb.0:
	v_and_b32_e32 v36, 0x3ff, v0
	s_mov_b32 s4, exec_lo
	s_delay_alu instid0(VALU_DEP_1)
	v_cmpx_gt_u32_e32 14, v36
	s_cbranch_execz .LBB77_264
; %bb.1:
	s_load_b64 s[10:11], s[0:1], 0x4
	s_clause 0x1
	s_load_b64 s[8:9], s[2:3], 0x10
	s_load_b128 s[4:7], s[2:3], 0x0
	s_wait_xcnt 0x0
	s_bfe_u32 s0, ttmp6, 0x4000c
	s_and_b32 s1, ttmp6, 15
	s_add_co_i32 s0, s0, 1
	s_getreg_b32 s2, hwreg(HW_REG_IB_STS2, 6, 4)
	s_mul_i32 s0, ttmp9, s0
	v_bfe_u32 v1, v0, 10, 10
	s_add_co_i32 s0, s1, s0
	v_bfe_u32 v0, v0, 20, 10
	v_dual_mov_b32 v29, 0 :: v_dual_lshlrev_b32 v28, 3, v36
	s_wait_kmcnt 0x0
	s_lshr_b32 s10, s10, 16
	s_ashr_i32 s1, s8, 31
	s_cmp_eq_u32 s2, 0
	s_mul_i32 s10, s10, s11
	s_cselect_b32 s2, ttmp9, s0
	s_mov_b32 s0, s8
	s_ashr_i32 s3, s2, 31
	s_lshl_b64 s[0:1], s[0:1], 3
	s_lshl_b64 s[2:3], s[2:3], 3
	v_mul_u32_u24_e32 v1, s11, v1
	s_add_nc_u64 s[2:3], s[6:7], s[2:3]
	v_mul_u32_u24_e32 v2, s10, v36
	s_load_b64 s[2:3], s[2:3], 0x0
	s_delay_alu instid0(VALU_DEP_1) | instskip(NEXT) | instid1(VALU_DEP_1)
	v_add3_u32 v38, v2, v1, v0
	v_mul_lo_u32 v37, 0x70, v38
	s_delay_alu instid0(VALU_DEP_1)
	v_add_nc_u32_e32 v40, 0xe0, v37
	s_wait_kmcnt 0x0
	s_add_nc_u64 s[6:7], s[2:3], s[0:1]
	s_mov_b32 s0, s9
	flat_load_b64 v[4:5], v36, s[6:7] scale_offset
	v_add_nc_u64_e32 v[0:1], s[6:7], v[28:29]
	s_ashr_i32 s1, s9, 31
	s_cmp_lg_u32 s5, 0x84
	s_cselect_b32 s3, -1, 0
	s_delay_alu instid0(SALU_CYCLE_1) | instskip(NEXT) | instid1(VALU_DEP_1)
	s_and_b32 vcc_lo, exec_lo, s3
	v_lshl_add_u64 v[2:3], s[0:1], 3, v[0:1]
	s_mov_b32 s0, -1
	s_wait_loadcnt_dscnt 0x0
	ds_store_b64 v37, v[4:5] offset:224
	flat_load_b64 v[6:7], v[2:3]
	v_add3_u32 v4, s9, s9, v36
	s_wait_loadcnt_dscnt 0x0
	ds_store_b64 v37, v[6:7] offset:232
	flat_load_b64 v[8:9], v4, s[6:7] scale_offset
	v_add_nc_u32_e32 v6, s9, v4
	s_wait_loadcnt_dscnt 0x0
	ds_store_b64 v37, v[8:9] offset:240
	flat_load_b64 v[10:11], v6, s[6:7] scale_offset
	v_add_nc_u32_e32 v8, s9, v6
	;; [unrolled: 4-line block ×11, first 2 shown]
	s_wait_loadcnt_dscnt 0x0
	ds_store_b64 v37, v[30:31] offset:320
	flat_load_b64 v[30:31], v26, s[6:7] scale_offset
	s_wait_loadcnt_dscnt 0x0
	ds_store_b64 v37, v[30:31] offset:328
	s_cbranch_vccz .LBB77_7
; %bb.2:
	v_lshl_add_u32 v5, v36, 3, v40
                                        ; implicit-def: $vgpr35
                                        ; implicit-def: $vgpr32
	ds_load_b64 v[30:31], v5
	s_wait_dscnt 0x0
	v_cmp_ngt_f32_e64 s0, |v30|, |v31|
	s_and_saveexec_b32 s1, s0
	s_delay_alu instid0(SALU_CYCLE_1)
	s_xor_b32 s0, exec_lo, s1
	s_cbranch_execz .LBB77_4
; %bb.3:
	v_div_scale_f32 v7, null, v31, v31, v30
	v_div_scale_f32 v13, vcc_lo, v30, v31, v30
	s_delay_alu instid0(VALU_DEP_2) | instskip(SKIP_1) | instid1(TRANS32_DEP_1)
	v_rcp_f32_e32 v9, v7
	v_nop
	v_fma_f32 v11, -v7, v9, 1.0
	s_delay_alu instid0(VALU_DEP_1) | instskip(NEXT) | instid1(VALU_DEP_1)
	v_fmac_f32_e32 v9, v11, v9
	v_mul_f32_e32 v11, v13, v9
	s_delay_alu instid0(VALU_DEP_1) | instskip(NEXT) | instid1(VALU_DEP_1)
	v_fma_f32 v15, -v7, v11, v13
	v_fmac_f32_e32 v11, v15, v9
	s_delay_alu instid0(VALU_DEP_1) | instskip(NEXT) | instid1(VALU_DEP_1)
	v_fma_f32 v7, -v7, v11, v13
	v_div_fmas_f32 v7, v7, v9, v11
	s_delay_alu instid0(VALU_DEP_1) | instskip(NEXT) | instid1(VALU_DEP_1)
	v_div_fixup_f32 v7, v7, v31, v30
	v_fmac_f32_e32 v31, v30, v7
	s_delay_alu instid0(VALU_DEP_1) | instskip(NEXT) | instid1(VALU_DEP_1)
	v_div_scale_f32 v9, null, v31, v31, -1.0
	v_rcp_f32_e32 v11, v9
	v_nop
	s_delay_alu instid0(TRANS32_DEP_1) | instskip(NEXT) | instid1(VALU_DEP_1)
	v_fma_f32 v13, -v9, v11, 1.0
	v_fmac_f32_e32 v11, v13, v11
	v_div_scale_f32 v13, vcc_lo, -1.0, v31, -1.0
	s_delay_alu instid0(VALU_DEP_1) | instskip(NEXT) | instid1(VALU_DEP_1)
	v_mul_f32_e32 v15, v13, v11
	v_fma_f32 v17, -v9, v15, v13
	s_delay_alu instid0(VALU_DEP_1) | instskip(NEXT) | instid1(VALU_DEP_1)
	v_fmac_f32_e32 v15, v17, v11
	v_fma_f32 v9, -v9, v15, v13
	s_delay_alu instid0(VALU_DEP_1) | instskip(NEXT) | instid1(VALU_DEP_1)
	v_div_fmas_f32 v9, v9, v11, v15
	v_div_fixup_f32 v35, v9, v31, -1.0
                                        ; implicit-def: $vgpr30_vgpr31
	s_delay_alu instid0(VALU_DEP_1) | instskip(NEXT) | instid1(VALU_DEP_1)
	v_mul_f32_e32 v32, v7, v35
	v_xor_b32_e32 v34, 0x80000000, v32
.LBB77_4:
	s_and_not1_saveexec_b32 s0, s0
	s_cbranch_execz .LBB77_6
; %bb.5:
	v_div_scale_f32 v7, null, v30, v30, v31
	v_div_scale_f32 v13, vcc_lo, v31, v30, v31
	s_delay_alu instid0(VALU_DEP_2) | instskip(SKIP_1) | instid1(TRANS32_DEP_1)
	v_rcp_f32_e32 v9, v7
	v_nop
	v_fma_f32 v11, -v7, v9, 1.0
	s_delay_alu instid0(VALU_DEP_1) | instskip(NEXT) | instid1(VALU_DEP_1)
	v_fmac_f32_e32 v9, v11, v9
	v_mul_f32_e32 v11, v13, v9
	s_delay_alu instid0(VALU_DEP_1) | instskip(NEXT) | instid1(VALU_DEP_1)
	v_fma_f32 v15, -v7, v11, v13
	v_fmac_f32_e32 v11, v15, v9
	s_delay_alu instid0(VALU_DEP_1) | instskip(NEXT) | instid1(VALU_DEP_1)
	v_fma_f32 v7, -v7, v11, v13
	v_div_fmas_f32 v7, v7, v9, v11
	s_delay_alu instid0(VALU_DEP_1) | instskip(NEXT) | instid1(VALU_DEP_1)
	v_div_fixup_f32 v7, v7, v30, v31
	v_fmac_f32_e32 v30, v31, v7
	s_delay_alu instid0(VALU_DEP_1) | instskip(SKIP_1) | instid1(VALU_DEP_2)
	v_div_scale_f32 v9, null, v30, v30, 1.0
	v_div_scale_f32 v15, vcc_lo, 1.0, v30, 1.0
	v_rcp_f32_e32 v11, v9
	v_nop
	s_delay_alu instid0(TRANS32_DEP_1) | instskip(NEXT) | instid1(VALU_DEP_1)
	v_fma_f32 v13, -v9, v11, 1.0
	v_fmac_f32_e32 v11, v13, v11
	s_delay_alu instid0(VALU_DEP_1) | instskip(NEXT) | instid1(VALU_DEP_1)
	v_mul_f32_e32 v13, v15, v11
	v_fma_f32 v17, -v9, v13, v15
	s_delay_alu instid0(VALU_DEP_1) | instskip(NEXT) | instid1(VALU_DEP_1)
	v_fmac_f32_e32 v13, v17, v11
	v_fma_f32 v9, -v9, v13, v15
	s_delay_alu instid0(VALU_DEP_1) | instskip(NEXT) | instid1(VALU_DEP_1)
	v_div_fmas_f32 v9, v9, v11, v13
	v_div_fixup_f32 v34, v9, v30, 1.0
	s_delay_alu instid0(VALU_DEP_1)
	v_xor_b32_e32 v32, 0x80000000, v34
	v_mul_f32_e64 v35, v7, -v34
.LBB77_6:
	s_or_b32 exec_lo, exec_lo, s0
	s_delay_alu instid0(VALU_DEP_1)
	v_xor_b32_e32 v33, 0x80000000, v35
	s_mov_b32 s0, 0
	ds_store_b64 v5, v[34:35]
	ds_store_b64 v28, v[32:33]
.LBB77_7:
	s_and_b32 vcc_lo, exec_lo, s0
	s_cbranch_vccz .LBB77_9
; %bb.8:
	s_mov_b64 s[0:1], 0xbf800000
	s_delay_alu instid0(SALU_CYCLE_1)
	v_mov_b64_e32 v[30:31], s[0:1]
	ds_store_b64 v28, v[30:31]
.LBB77_9:
	v_dual_ashrrev_i32 v5, 31, v4 :: v_dual_ashrrev_i32 v7, 31, v6
	v_dual_ashrrev_i32 v9, 31, v8 :: v_dual_ashrrev_i32 v11, 31, v10
	;; [unrolled: 1-line block ×6, first 2 shown]
	v_add_nc_u32_e32 v29, 0x70, v28
	v_add_nc_u32_e32 v32, v40, v28
	s_cmp_eq_u32 s4, 0x79
	s_cbranch_scc1 .LBB77_13
; %bb.10:
	ds_load_b64 v[30:31], v40 offset:96
	v_cmp_eq_u32_e64 s0, 13, v36
	s_wait_dscnt 0x0
	ds_store_b64 v29, v[30:31]
	s_wait_dscnt 0x0
	s_barrier_signal -1
	s_barrier_wait -1
	s_and_saveexec_b32 s1, s0
	s_cbranch_execz .LBB77_17
; %bb.11:
	s_and_b32 vcc_lo, exec_lo, s3
	s_cbranch_vccz .LBB77_14
; %bb.12:
	ds_load_b64 v[30:31], v32
	ds_load_b64 v[34:35], v29
	s_wait_dscnt 0x0
	v_pk_mul_f32 v[42:43], v[34:35], v[30:31] op_sel:[1,1] op_sel_hi:[0,1]
	v_pk_mul_f32 v[44:45], v[34:35], v[30:31] op_sel_hi:[1,0]
	s_delay_alu instid0(VALU_DEP_2) | instskip(NEXT) | instid1(VALU_DEP_2)
	v_pk_fma_f32 v[30:31], v[34:35], v[30:31], v[42:43] op_sel_hi:[1,0,1]
	v_sub_f32_e32 v30, v44, v42
	s_cbranch_execz .LBB77_15
	s_branch .LBB77_16
.LBB77_13:
	s_mov_b32 s1, 0
                                        ; implicit-def: $vgpr41
                                        ; implicit-def: $vgpr42
	s_cbranch_execnz .LBB77_136
	s_branch .LBB77_261
.LBB77_14:
                                        ; implicit-def: $vgpr31
.LBB77_15:
	ds_load_b64 v[30:31], v29
.LBB77_16:
	s_wait_dscnt 0x0
	v_dual_mov_b32 v33, 0 :: v_dual_mov_b32 v42, v31
	v_mov_b32_e32 v43, v30
	ds_load_b64 v[34:35], v33 offset:96
	s_wait_dscnt 0x0
	v_pk_mul_f32 v[42:43], v[42:43], v[34:35] op_sel:[0,1]
	s_delay_alu instid0(VALU_DEP_1) | instskip(SKIP_1) | instid1(VALU_DEP_2)
	v_pk_fma_f32 v[44:45], v[30:31], v[34:35], v[42:43] op_sel_hi:[1,0,1]
	v_pk_fma_f32 v[30:31], v[30:31], v[34:35], v[42:43] neg_lo:[0,0,1] neg_hi:[0,0,1]
	v_mov_b32_e32 v31, v45
	ds_store_b64 v40, v[30:31] offset:96
.LBB77_17:
	s_or_b32 exec_lo, exec_lo, s1
	ds_load_b64 v[30:31], v40 offset:88
	v_cmp_lt_u32_e64 s1, 11, v36
	s_wait_dscnt 0x0
	ds_store_b64 v29, v[30:31]
	s_wait_dscnt 0x0
	s_barrier_signal -1
	s_barrier_wait -1
	s_and_saveexec_b32 s2, s1
	s_cbranch_execz .LBB77_25
; %bb.18:
	s_and_not1_b32 vcc_lo, exec_lo, s3
	s_cbranch_vccnz .LBB77_20
; %bb.19:
	ds_load_b64 v[30:31], v32
	ds_load_b64 v[34:35], v29
	s_wait_dscnt 0x0
	v_pk_mul_f32 v[42:43], v[34:35], v[30:31] op_sel:[1,1] op_sel_hi:[0,1]
	s_delay_alu instid0(VALU_DEP_1) | instskip(SKIP_1) | instid1(VALU_DEP_2)
	v_pk_fma_f32 v[44:45], v[34:35], v[30:31], v[42:43] op_sel_hi:[1,0,1]
	v_pk_fma_f32 v[30:31], v[34:35], v[30:31], v[42:43] neg_lo:[0,0,1] neg_hi:[0,0,1]
	v_mov_b32_e32 v31, v45
	s_cbranch_execz .LBB77_21
	s_branch .LBB77_22
.LBB77_20:
                                        ; implicit-def: $vgpr30_vgpr31
.LBB77_21:
	ds_load_b64 v[30:31], v29
.LBB77_22:
	s_and_saveexec_b32 s4, s0
	s_cbranch_execz .LBB77_24
; %bb.23:
	v_mov_b32_e32 v33, 0
	ds_load_b64 v[34:35], v40 offset:96
	ds_load_b64 v[42:43], v33 offset:208
	s_wait_dscnt 0x0
	v_pk_mul_f32 v[44:45], v[42:43], v[34:35] op_sel:[1,1] op_sel_hi:[0,1]
	s_delay_alu instid0(VALU_DEP_1) | instskip(SKIP_1) | instid1(VALU_DEP_2)
	v_pk_fma_f32 v[46:47], v[42:43], v[34:35], v[44:45] op_sel_hi:[1,0,1]
	v_pk_fma_f32 v[34:35], v[42:43], v[34:35], v[44:45] neg_lo:[0,0,1] neg_hi:[0,0,1]
	v_mov_b32_e32 v35, v47
	s_delay_alu instid0(VALU_DEP_1)
	v_pk_add_f32 v[30:31], v[30:31], v[34:35]
.LBB77_24:
	s_or_b32 exec_lo, exec_lo, s4
	v_mov_b32_e32 v33, 0
	ds_load_b64 v[34:35], v33 offset:88
	s_wait_dscnt 0x0
	v_pk_mul_f32 v[42:43], v[30:31], v[34:35] op_sel:[1,1] op_sel_hi:[0,1]
	s_delay_alu instid0(VALU_DEP_1) | instskip(SKIP_1) | instid1(VALU_DEP_2)
	v_pk_fma_f32 v[44:45], v[30:31], v[34:35], v[42:43] op_sel_hi:[1,0,1]
	v_pk_fma_f32 v[30:31], v[30:31], v[34:35], v[42:43] neg_lo:[0,0,1] neg_hi:[0,0,1]
	v_mov_b32_e32 v31, v45
	ds_store_b64 v40, v[30:31] offset:88
.LBB77_25:
	s_or_b32 exec_lo, exec_lo, s2
	ds_load_b64 v[30:31], v40 offset:80
	v_cmp_lt_u32_e64 s0, 10, v36
	s_wait_dscnt 0x0
	ds_store_b64 v29, v[30:31]
	s_wait_dscnt 0x0
	s_barrier_signal -1
	s_barrier_wait -1
	s_and_saveexec_b32 s2, s0
	s_cbranch_execz .LBB77_35
; %bb.26:
	s_and_not1_b32 vcc_lo, exec_lo, s3
	s_cbranch_vccnz .LBB77_28
; %bb.27:
	ds_load_b64 v[30:31], v32
	ds_load_b64 v[34:35], v29
	s_wait_dscnt 0x0
	v_pk_mul_f32 v[42:43], v[34:35], v[30:31] op_sel:[1,1] op_sel_hi:[0,1]
	s_delay_alu instid0(VALU_DEP_1) | instskip(SKIP_1) | instid1(VALU_DEP_2)
	v_pk_fma_f32 v[44:45], v[34:35], v[30:31], v[42:43] op_sel_hi:[1,0,1]
	v_pk_fma_f32 v[30:31], v[34:35], v[30:31], v[42:43] neg_lo:[0,0,1] neg_hi:[0,0,1]
	v_mov_b32_e32 v31, v45
	s_cbranch_execz .LBB77_29
	s_branch .LBB77_30
.LBB77_28:
                                        ; implicit-def: $vgpr30_vgpr31
.LBB77_29:
	ds_load_b64 v[30:31], v29
.LBB77_30:
	s_and_saveexec_b32 s4, s1
	s_cbranch_execz .LBB77_34
; %bb.31:
	s_movk_i32 s1, 0x70
	v_add_nc_u32_e32 v34, -11, v36
	v_mad_u32 v33, v38, s1, 0x138
	s_movk_i32 s5, 0xc8
	s_mov_b32 s1, 0
.LBB77_32:                              ; =>This Inner Loop Header: Depth=1
	s_delay_alu instid0(VALU_DEP_2)
	v_dual_mov_b32 v35, s5 :: v_dual_add_nc_u32 v34, -1, v34
	s_add_co_i32 s5, s5, 8
	ds_load_b64 v[42:43], v33
	ds_load_b64 v[44:45], v35
	v_add_nc_u32_e32 v33, 8, v33
	v_cmp_eq_u32_e32 vcc_lo, 0, v34
	s_or_b32 s1, vcc_lo, s1
	s_wait_dscnt 0x0
	v_pk_mul_f32 v[46:47], v[44:45], v[42:43] op_sel:[1,1] op_sel_hi:[0,1]
	s_delay_alu instid0(VALU_DEP_1) | instskip(SKIP_1) | instid1(VALU_DEP_2)
	v_pk_fma_f32 v[48:49], v[44:45], v[42:43], v[46:47] op_sel_hi:[1,0,1]
	v_pk_fma_f32 v[42:43], v[44:45], v[42:43], v[46:47] neg_lo:[0,0,1] neg_hi:[0,0,1]
	v_mov_b32_e32 v43, v49
	s_delay_alu instid0(VALU_DEP_1)
	v_pk_add_f32 v[30:31], v[30:31], v[42:43]
	s_and_not1_b32 exec_lo, exec_lo, s1
	s_cbranch_execnz .LBB77_32
; %bb.33:
	s_or_b32 exec_lo, exec_lo, s1
.LBB77_34:
	s_delay_alu instid0(SALU_CYCLE_1) | instskip(SKIP_4) | instid1(VALU_DEP_1)
	s_or_b32 exec_lo, exec_lo, s4
	v_mov_b32_e32 v33, 0
	ds_load_b64 v[34:35], v33 offset:80
	s_wait_dscnt 0x0
	v_pk_mul_f32 v[42:43], v[30:31], v[34:35] op_sel:[1,1] op_sel_hi:[0,1]
	v_pk_fma_f32 v[44:45], v[30:31], v[34:35], v[42:43] op_sel_hi:[1,0,1]
	v_pk_fma_f32 v[30:31], v[30:31], v[34:35], v[42:43] neg_lo:[0,0,1] neg_hi:[0,0,1]
	s_delay_alu instid0(VALU_DEP_2)
	v_mov_b32_e32 v31, v45
	ds_store_b64 v40, v[30:31] offset:80
.LBB77_35:
	s_or_b32 exec_lo, exec_lo, s2
	ds_load_b64 v[30:31], v40 offset:72
	v_cmp_lt_u32_e64 s1, 9, v36
	s_wait_dscnt 0x0
	ds_store_b64 v29, v[30:31]
	s_wait_dscnt 0x0
	s_barrier_signal -1
	s_barrier_wait -1
	s_and_saveexec_b32 s2, s1
	s_cbranch_execz .LBB77_45
; %bb.36:
	s_and_not1_b32 vcc_lo, exec_lo, s3
	s_cbranch_vccnz .LBB77_38
; %bb.37:
	ds_load_b64 v[30:31], v32
	ds_load_b64 v[34:35], v29
	s_wait_dscnt 0x0
	v_pk_mul_f32 v[42:43], v[34:35], v[30:31] op_sel:[1,1] op_sel_hi:[0,1]
	s_delay_alu instid0(VALU_DEP_1) | instskip(SKIP_1) | instid1(VALU_DEP_2)
	v_pk_fma_f32 v[44:45], v[34:35], v[30:31], v[42:43] op_sel_hi:[1,0,1]
	v_pk_fma_f32 v[30:31], v[34:35], v[30:31], v[42:43] neg_lo:[0,0,1] neg_hi:[0,0,1]
	v_mov_b32_e32 v31, v45
	s_cbranch_execz .LBB77_39
	s_branch .LBB77_40
.LBB77_38:
                                        ; implicit-def: $vgpr30_vgpr31
.LBB77_39:
	ds_load_b64 v[30:31], v29
.LBB77_40:
	s_and_saveexec_b32 s4, s0
	s_cbranch_execz .LBB77_44
; %bb.41:
	s_movk_i32 s0, 0x70
	v_add_nc_u32_e32 v34, -10, v36
	v_mad_u32 v33, v38, s0, 0x130
	s_movk_i32 s5, 0xc0
	s_mov_b32 s0, 0
.LBB77_42:                              ; =>This Inner Loop Header: Depth=1
	s_delay_alu instid0(VALU_DEP_2)
	v_dual_mov_b32 v35, s5 :: v_dual_add_nc_u32 v34, -1, v34
	s_add_co_i32 s5, s5, 8
	ds_load_b64 v[42:43], v33
	ds_load_b64 v[44:45], v35
	v_add_nc_u32_e32 v33, 8, v33
	v_cmp_eq_u32_e32 vcc_lo, 0, v34
	s_or_b32 s0, vcc_lo, s0
	s_wait_dscnt 0x0
	v_pk_mul_f32 v[46:47], v[44:45], v[42:43] op_sel:[1,1] op_sel_hi:[0,1]
	s_delay_alu instid0(VALU_DEP_1) | instskip(SKIP_1) | instid1(VALU_DEP_2)
	v_pk_fma_f32 v[48:49], v[44:45], v[42:43], v[46:47] op_sel_hi:[1,0,1]
	v_pk_fma_f32 v[42:43], v[44:45], v[42:43], v[46:47] neg_lo:[0,0,1] neg_hi:[0,0,1]
	v_mov_b32_e32 v43, v49
	s_delay_alu instid0(VALU_DEP_1)
	v_pk_add_f32 v[30:31], v[30:31], v[42:43]
	s_and_not1_b32 exec_lo, exec_lo, s0
	s_cbranch_execnz .LBB77_42
; %bb.43:
	s_or_b32 exec_lo, exec_lo, s0
.LBB77_44:
	s_delay_alu instid0(SALU_CYCLE_1) | instskip(SKIP_4) | instid1(VALU_DEP_1)
	s_or_b32 exec_lo, exec_lo, s4
	v_mov_b32_e32 v33, 0
	ds_load_b64 v[34:35], v33 offset:72
	s_wait_dscnt 0x0
	v_pk_mul_f32 v[42:43], v[30:31], v[34:35] op_sel:[1,1] op_sel_hi:[0,1]
	v_pk_fma_f32 v[44:45], v[30:31], v[34:35], v[42:43] op_sel_hi:[1,0,1]
	v_pk_fma_f32 v[30:31], v[30:31], v[34:35], v[42:43] neg_lo:[0,0,1] neg_hi:[0,0,1]
	s_delay_alu instid0(VALU_DEP_2)
	v_mov_b32_e32 v31, v45
	ds_store_b64 v40, v[30:31] offset:72
.LBB77_45:
	s_or_b32 exec_lo, exec_lo, s2
	ds_load_b64 v[30:31], v40 offset:64
	v_cmp_lt_u32_e64 s0, 8, v36
	s_wait_dscnt 0x0
	ds_store_b64 v29, v[30:31]
	s_wait_dscnt 0x0
	s_barrier_signal -1
	s_barrier_wait -1
	s_and_saveexec_b32 s2, s0
	s_cbranch_execz .LBB77_55
; %bb.46:
	s_and_not1_b32 vcc_lo, exec_lo, s3
	s_cbranch_vccnz .LBB77_48
; %bb.47:
	ds_load_b64 v[30:31], v32
	ds_load_b64 v[34:35], v29
	s_wait_dscnt 0x0
	v_pk_mul_f32 v[42:43], v[34:35], v[30:31] op_sel:[1,1] op_sel_hi:[0,1]
	s_delay_alu instid0(VALU_DEP_1) | instskip(SKIP_1) | instid1(VALU_DEP_2)
	v_pk_fma_f32 v[44:45], v[34:35], v[30:31], v[42:43] op_sel_hi:[1,0,1]
	v_pk_fma_f32 v[30:31], v[34:35], v[30:31], v[42:43] neg_lo:[0,0,1] neg_hi:[0,0,1]
	v_mov_b32_e32 v31, v45
	s_cbranch_execz .LBB77_49
	s_branch .LBB77_50
.LBB77_48:
                                        ; implicit-def: $vgpr30_vgpr31
.LBB77_49:
	ds_load_b64 v[30:31], v29
.LBB77_50:
	s_and_saveexec_b32 s4, s1
	s_cbranch_execz .LBB77_54
; %bb.51:
	s_movk_i32 s1, 0x70
	v_add_nc_u32_e32 v34, -9, v36
	v_mad_u32 v33, v38, s1, 0x128
	s_movk_i32 s5, 0xb8
	s_mov_b32 s1, 0
.LBB77_52:                              ; =>This Inner Loop Header: Depth=1
	s_delay_alu instid0(VALU_DEP_2)
	v_dual_mov_b32 v35, s5 :: v_dual_add_nc_u32 v34, -1, v34
	s_add_co_i32 s5, s5, 8
	ds_load_b64 v[42:43], v33
	ds_load_b64 v[44:45], v35
	v_add_nc_u32_e32 v33, 8, v33
	v_cmp_eq_u32_e32 vcc_lo, 0, v34
	s_or_b32 s1, vcc_lo, s1
	s_wait_dscnt 0x0
	v_pk_mul_f32 v[46:47], v[44:45], v[42:43] op_sel:[1,1] op_sel_hi:[0,1]
	s_delay_alu instid0(VALU_DEP_1) | instskip(SKIP_1) | instid1(VALU_DEP_2)
	v_pk_fma_f32 v[48:49], v[44:45], v[42:43], v[46:47] op_sel_hi:[1,0,1]
	v_pk_fma_f32 v[42:43], v[44:45], v[42:43], v[46:47] neg_lo:[0,0,1] neg_hi:[0,0,1]
	v_mov_b32_e32 v43, v49
	s_delay_alu instid0(VALU_DEP_1)
	v_pk_add_f32 v[30:31], v[30:31], v[42:43]
	s_and_not1_b32 exec_lo, exec_lo, s1
	s_cbranch_execnz .LBB77_52
; %bb.53:
	s_or_b32 exec_lo, exec_lo, s1
.LBB77_54:
	s_delay_alu instid0(SALU_CYCLE_1) | instskip(SKIP_4) | instid1(VALU_DEP_1)
	s_or_b32 exec_lo, exec_lo, s4
	v_mov_b32_e32 v33, 0
	ds_load_b64 v[34:35], v33 offset:64
	s_wait_dscnt 0x0
	v_pk_mul_f32 v[42:43], v[30:31], v[34:35] op_sel:[1,1] op_sel_hi:[0,1]
	v_pk_fma_f32 v[44:45], v[30:31], v[34:35], v[42:43] op_sel_hi:[1,0,1]
	v_pk_fma_f32 v[30:31], v[30:31], v[34:35], v[42:43] neg_lo:[0,0,1] neg_hi:[0,0,1]
	s_delay_alu instid0(VALU_DEP_2)
	v_mov_b32_e32 v31, v45
	ds_store_b64 v40, v[30:31] offset:64
.LBB77_55:
	s_or_b32 exec_lo, exec_lo, s2
	ds_load_b64 v[30:31], v40 offset:56
	v_cmp_lt_u32_e64 s1, 7, v36
	s_wait_dscnt 0x0
	ds_store_b64 v29, v[30:31]
	s_wait_dscnt 0x0
	s_barrier_signal -1
	s_barrier_wait -1
	s_and_saveexec_b32 s2, s1
	s_cbranch_execz .LBB77_65
; %bb.56:
	s_and_not1_b32 vcc_lo, exec_lo, s3
	s_cbranch_vccnz .LBB77_58
; %bb.57:
	ds_load_b64 v[30:31], v32
	ds_load_b64 v[34:35], v29
	s_wait_dscnt 0x0
	v_pk_mul_f32 v[42:43], v[34:35], v[30:31] op_sel:[1,1] op_sel_hi:[0,1]
	s_delay_alu instid0(VALU_DEP_1) | instskip(SKIP_1) | instid1(VALU_DEP_2)
	v_pk_fma_f32 v[44:45], v[34:35], v[30:31], v[42:43] op_sel_hi:[1,0,1]
	v_pk_fma_f32 v[30:31], v[34:35], v[30:31], v[42:43] neg_lo:[0,0,1] neg_hi:[0,0,1]
	v_mov_b32_e32 v31, v45
	s_cbranch_execz .LBB77_59
	s_branch .LBB77_60
.LBB77_58:
                                        ; implicit-def: $vgpr30_vgpr31
.LBB77_59:
	ds_load_b64 v[30:31], v29
.LBB77_60:
	s_and_saveexec_b32 s4, s0
	s_cbranch_execz .LBB77_64
; %bb.61:
	s_movk_i32 s0, 0x70
	v_add_nc_u32_e32 v34, -8, v36
	v_mad_u32 v33, v38, s0, 0x120
	s_movk_i32 s5, 0xb0
	s_mov_b32 s0, 0
.LBB77_62:                              ; =>This Inner Loop Header: Depth=1
	s_delay_alu instid0(VALU_DEP_2)
	v_dual_mov_b32 v35, s5 :: v_dual_add_nc_u32 v34, -1, v34
	s_add_co_i32 s5, s5, 8
	ds_load_b64 v[42:43], v33
	ds_load_b64 v[44:45], v35
	v_add_nc_u32_e32 v33, 8, v33
	v_cmp_eq_u32_e32 vcc_lo, 0, v34
	s_or_b32 s0, vcc_lo, s0
	s_wait_dscnt 0x0
	v_pk_mul_f32 v[46:47], v[44:45], v[42:43] op_sel:[1,1] op_sel_hi:[0,1]
	s_delay_alu instid0(VALU_DEP_1) | instskip(SKIP_1) | instid1(VALU_DEP_2)
	v_pk_fma_f32 v[48:49], v[44:45], v[42:43], v[46:47] op_sel_hi:[1,0,1]
	v_pk_fma_f32 v[42:43], v[44:45], v[42:43], v[46:47] neg_lo:[0,0,1] neg_hi:[0,0,1]
	v_mov_b32_e32 v43, v49
	s_delay_alu instid0(VALU_DEP_1)
	v_pk_add_f32 v[30:31], v[30:31], v[42:43]
	s_and_not1_b32 exec_lo, exec_lo, s0
	s_cbranch_execnz .LBB77_62
; %bb.63:
	s_or_b32 exec_lo, exec_lo, s0
.LBB77_64:
	s_delay_alu instid0(SALU_CYCLE_1) | instskip(SKIP_4) | instid1(VALU_DEP_1)
	s_or_b32 exec_lo, exec_lo, s4
	v_mov_b32_e32 v33, 0
	ds_load_b64 v[34:35], v33 offset:56
	s_wait_dscnt 0x0
	v_pk_mul_f32 v[42:43], v[30:31], v[34:35] op_sel:[1,1] op_sel_hi:[0,1]
	v_pk_fma_f32 v[44:45], v[30:31], v[34:35], v[42:43] op_sel_hi:[1,0,1]
	v_pk_fma_f32 v[30:31], v[30:31], v[34:35], v[42:43] neg_lo:[0,0,1] neg_hi:[0,0,1]
	s_delay_alu instid0(VALU_DEP_2)
	v_mov_b32_e32 v31, v45
	ds_store_b64 v40, v[30:31] offset:56
.LBB77_65:
	s_or_b32 exec_lo, exec_lo, s2
	ds_load_b64 v[30:31], v40 offset:48
	v_cmp_lt_u32_e64 s0, 6, v36
	s_wait_dscnt 0x0
	ds_store_b64 v29, v[30:31]
	s_wait_dscnt 0x0
	s_barrier_signal -1
	s_barrier_wait -1
	s_and_saveexec_b32 s2, s0
	s_cbranch_execz .LBB77_75
; %bb.66:
	s_and_not1_b32 vcc_lo, exec_lo, s3
	s_cbranch_vccnz .LBB77_68
; %bb.67:
	ds_load_b64 v[30:31], v32
	ds_load_b64 v[34:35], v29
	s_wait_dscnt 0x0
	v_pk_mul_f32 v[42:43], v[34:35], v[30:31] op_sel:[1,1] op_sel_hi:[0,1]
	s_delay_alu instid0(VALU_DEP_1) | instskip(SKIP_1) | instid1(VALU_DEP_2)
	v_pk_fma_f32 v[44:45], v[34:35], v[30:31], v[42:43] op_sel_hi:[1,0,1]
	v_pk_fma_f32 v[30:31], v[34:35], v[30:31], v[42:43] neg_lo:[0,0,1] neg_hi:[0,0,1]
	v_mov_b32_e32 v31, v45
	s_cbranch_execz .LBB77_69
	s_branch .LBB77_70
.LBB77_68:
                                        ; implicit-def: $vgpr30_vgpr31
.LBB77_69:
	ds_load_b64 v[30:31], v29
.LBB77_70:
	s_and_saveexec_b32 s4, s1
	s_cbranch_execz .LBB77_74
; %bb.71:
	s_movk_i32 s1, 0x70
	v_add_nc_u32_e32 v34, -7, v36
	v_mad_u32 v33, v38, s1, 0x118
	s_movk_i32 s5, 0xa8
	s_mov_b32 s1, 0
.LBB77_72:                              ; =>This Inner Loop Header: Depth=1
	s_delay_alu instid0(VALU_DEP_2)
	v_dual_mov_b32 v35, s5 :: v_dual_add_nc_u32 v34, -1, v34
	s_add_co_i32 s5, s5, 8
	ds_load_b64 v[42:43], v33
	ds_load_b64 v[44:45], v35
	v_add_nc_u32_e32 v33, 8, v33
	v_cmp_eq_u32_e32 vcc_lo, 0, v34
	s_or_b32 s1, vcc_lo, s1
	s_wait_dscnt 0x0
	v_pk_mul_f32 v[46:47], v[44:45], v[42:43] op_sel:[1,1] op_sel_hi:[0,1]
	s_delay_alu instid0(VALU_DEP_1) | instskip(SKIP_1) | instid1(VALU_DEP_2)
	v_pk_fma_f32 v[48:49], v[44:45], v[42:43], v[46:47] op_sel_hi:[1,0,1]
	v_pk_fma_f32 v[42:43], v[44:45], v[42:43], v[46:47] neg_lo:[0,0,1] neg_hi:[0,0,1]
	v_mov_b32_e32 v43, v49
	s_delay_alu instid0(VALU_DEP_1)
	v_pk_add_f32 v[30:31], v[30:31], v[42:43]
	s_and_not1_b32 exec_lo, exec_lo, s1
	s_cbranch_execnz .LBB77_72
; %bb.73:
	s_or_b32 exec_lo, exec_lo, s1
.LBB77_74:
	s_delay_alu instid0(SALU_CYCLE_1) | instskip(SKIP_4) | instid1(VALU_DEP_1)
	s_or_b32 exec_lo, exec_lo, s4
	v_mov_b32_e32 v33, 0
	ds_load_b64 v[34:35], v33 offset:48
	s_wait_dscnt 0x0
	v_pk_mul_f32 v[42:43], v[30:31], v[34:35] op_sel:[1,1] op_sel_hi:[0,1]
	v_pk_fma_f32 v[44:45], v[30:31], v[34:35], v[42:43] op_sel_hi:[1,0,1]
	v_pk_fma_f32 v[30:31], v[30:31], v[34:35], v[42:43] neg_lo:[0,0,1] neg_hi:[0,0,1]
	s_delay_alu instid0(VALU_DEP_2)
	v_mov_b32_e32 v31, v45
	ds_store_b64 v40, v[30:31] offset:48
.LBB77_75:
	s_or_b32 exec_lo, exec_lo, s2
	ds_load_b64 v[30:31], v40 offset:40
	v_cmp_lt_u32_e64 s1, 5, v36
	s_wait_dscnt 0x0
	ds_store_b64 v29, v[30:31]
	s_wait_dscnt 0x0
	s_barrier_signal -1
	s_barrier_wait -1
	s_and_saveexec_b32 s2, s1
	s_cbranch_execz .LBB77_85
; %bb.76:
	s_and_not1_b32 vcc_lo, exec_lo, s3
	s_cbranch_vccnz .LBB77_78
; %bb.77:
	ds_load_b64 v[30:31], v32
	ds_load_b64 v[34:35], v29
	s_wait_dscnt 0x0
	v_pk_mul_f32 v[42:43], v[34:35], v[30:31] op_sel:[1,1] op_sel_hi:[0,1]
	s_delay_alu instid0(VALU_DEP_1) | instskip(SKIP_1) | instid1(VALU_DEP_2)
	v_pk_fma_f32 v[44:45], v[34:35], v[30:31], v[42:43] op_sel_hi:[1,0,1]
	v_pk_fma_f32 v[30:31], v[34:35], v[30:31], v[42:43] neg_lo:[0,0,1] neg_hi:[0,0,1]
	v_mov_b32_e32 v31, v45
	s_cbranch_execz .LBB77_79
	s_branch .LBB77_80
.LBB77_78:
                                        ; implicit-def: $vgpr30_vgpr31
.LBB77_79:
	ds_load_b64 v[30:31], v29
.LBB77_80:
	s_and_saveexec_b32 s4, s0
	s_cbranch_execz .LBB77_84
; %bb.81:
	s_movk_i32 s0, 0x70
	v_add_nc_u32_e32 v34, -6, v36
	v_mad_u32 v33, v38, s0, 0x110
	s_movk_i32 s5, 0xa0
	s_mov_b32 s0, 0
.LBB77_82:                              ; =>This Inner Loop Header: Depth=1
	s_delay_alu instid0(VALU_DEP_2)
	v_dual_mov_b32 v35, s5 :: v_dual_add_nc_u32 v34, -1, v34
	s_add_co_i32 s5, s5, 8
	ds_load_b64 v[42:43], v33
	ds_load_b64 v[44:45], v35
	v_add_nc_u32_e32 v33, 8, v33
	v_cmp_eq_u32_e32 vcc_lo, 0, v34
	s_or_b32 s0, vcc_lo, s0
	s_wait_dscnt 0x0
	v_pk_mul_f32 v[46:47], v[44:45], v[42:43] op_sel:[1,1] op_sel_hi:[0,1]
	s_delay_alu instid0(VALU_DEP_1) | instskip(SKIP_1) | instid1(VALU_DEP_2)
	v_pk_fma_f32 v[48:49], v[44:45], v[42:43], v[46:47] op_sel_hi:[1,0,1]
	v_pk_fma_f32 v[42:43], v[44:45], v[42:43], v[46:47] neg_lo:[0,0,1] neg_hi:[0,0,1]
	v_mov_b32_e32 v43, v49
	s_delay_alu instid0(VALU_DEP_1)
	v_pk_add_f32 v[30:31], v[30:31], v[42:43]
	s_and_not1_b32 exec_lo, exec_lo, s0
	s_cbranch_execnz .LBB77_82
; %bb.83:
	s_or_b32 exec_lo, exec_lo, s0
.LBB77_84:
	s_delay_alu instid0(SALU_CYCLE_1) | instskip(SKIP_4) | instid1(VALU_DEP_1)
	s_or_b32 exec_lo, exec_lo, s4
	v_mov_b32_e32 v33, 0
	ds_load_b64 v[34:35], v33 offset:40
	s_wait_dscnt 0x0
	v_pk_mul_f32 v[42:43], v[30:31], v[34:35] op_sel:[1,1] op_sel_hi:[0,1]
	v_pk_fma_f32 v[44:45], v[30:31], v[34:35], v[42:43] op_sel_hi:[1,0,1]
	v_pk_fma_f32 v[30:31], v[30:31], v[34:35], v[42:43] neg_lo:[0,0,1] neg_hi:[0,0,1]
	s_delay_alu instid0(VALU_DEP_2)
	v_mov_b32_e32 v31, v45
	ds_store_b64 v40, v[30:31] offset:40
.LBB77_85:
	s_or_b32 exec_lo, exec_lo, s2
	ds_load_b64 v[30:31], v40 offset:32
	v_cmp_lt_u32_e64 s0, 4, v36
	s_wait_dscnt 0x0
	ds_store_b64 v29, v[30:31]
	s_wait_dscnt 0x0
	s_barrier_signal -1
	s_barrier_wait -1
	s_and_saveexec_b32 s2, s0
	s_cbranch_execz .LBB77_95
; %bb.86:
	s_and_not1_b32 vcc_lo, exec_lo, s3
	s_cbranch_vccnz .LBB77_88
; %bb.87:
	ds_load_b64 v[30:31], v32
	ds_load_b64 v[34:35], v29
	s_wait_dscnt 0x0
	v_pk_mul_f32 v[42:43], v[34:35], v[30:31] op_sel:[1,1] op_sel_hi:[0,1]
	s_delay_alu instid0(VALU_DEP_1) | instskip(SKIP_1) | instid1(VALU_DEP_2)
	v_pk_fma_f32 v[44:45], v[34:35], v[30:31], v[42:43] op_sel_hi:[1,0,1]
	v_pk_fma_f32 v[30:31], v[34:35], v[30:31], v[42:43] neg_lo:[0,0,1] neg_hi:[0,0,1]
	v_mov_b32_e32 v31, v45
	s_cbranch_execz .LBB77_89
	s_branch .LBB77_90
.LBB77_88:
                                        ; implicit-def: $vgpr30_vgpr31
.LBB77_89:
	ds_load_b64 v[30:31], v29
.LBB77_90:
	s_and_saveexec_b32 s4, s1
	s_cbranch_execz .LBB77_94
; %bb.91:
	s_movk_i32 s1, 0x70
	v_add_nc_u32_e32 v34, -5, v36
	v_mad_u32 v33, v38, s1, 0x108
	s_movk_i32 s5, 0x98
	s_mov_b32 s1, 0
.LBB77_92:                              ; =>This Inner Loop Header: Depth=1
	s_delay_alu instid0(VALU_DEP_2)
	v_dual_mov_b32 v35, s5 :: v_dual_add_nc_u32 v34, -1, v34
	s_add_co_i32 s5, s5, 8
	ds_load_b64 v[42:43], v33
	ds_load_b64 v[44:45], v35
	v_add_nc_u32_e32 v33, 8, v33
	v_cmp_eq_u32_e32 vcc_lo, 0, v34
	s_or_b32 s1, vcc_lo, s1
	s_wait_dscnt 0x0
	v_pk_mul_f32 v[46:47], v[44:45], v[42:43] op_sel:[1,1] op_sel_hi:[0,1]
	s_delay_alu instid0(VALU_DEP_1) | instskip(SKIP_1) | instid1(VALU_DEP_2)
	v_pk_fma_f32 v[48:49], v[44:45], v[42:43], v[46:47] op_sel_hi:[1,0,1]
	v_pk_fma_f32 v[42:43], v[44:45], v[42:43], v[46:47] neg_lo:[0,0,1] neg_hi:[0,0,1]
	v_mov_b32_e32 v43, v49
	s_delay_alu instid0(VALU_DEP_1)
	v_pk_add_f32 v[30:31], v[30:31], v[42:43]
	s_and_not1_b32 exec_lo, exec_lo, s1
	s_cbranch_execnz .LBB77_92
; %bb.93:
	s_or_b32 exec_lo, exec_lo, s1
.LBB77_94:
	s_delay_alu instid0(SALU_CYCLE_1) | instskip(SKIP_4) | instid1(VALU_DEP_1)
	s_or_b32 exec_lo, exec_lo, s4
	v_mov_b32_e32 v33, 0
	ds_load_b64 v[34:35], v33 offset:32
	s_wait_dscnt 0x0
	v_pk_mul_f32 v[42:43], v[30:31], v[34:35] op_sel:[1,1] op_sel_hi:[0,1]
	v_pk_fma_f32 v[44:45], v[30:31], v[34:35], v[42:43] op_sel_hi:[1,0,1]
	v_pk_fma_f32 v[30:31], v[30:31], v[34:35], v[42:43] neg_lo:[0,0,1] neg_hi:[0,0,1]
	s_delay_alu instid0(VALU_DEP_2)
	v_mov_b32_e32 v31, v45
	ds_store_b64 v40, v[30:31] offset:32
.LBB77_95:
	s_or_b32 exec_lo, exec_lo, s2
	ds_load_b64 v[30:31], v40 offset:24
	v_cmp_lt_u32_e64 s1, 3, v36
	s_wait_dscnt 0x0
	ds_store_b64 v29, v[30:31]
	s_wait_dscnt 0x0
	s_barrier_signal -1
	s_barrier_wait -1
	s_and_saveexec_b32 s2, s1
	s_cbranch_execz .LBB77_105
; %bb.96:
	s_and_not1_b32 vcc_lo, exec_lo, s3
	s_cbranch_vccnz .LBB77_98
; %bb.97:
	ds_load_b64 v[30:31], v32
	ds_load_b64 v[34:35], v29
	s_wait_dscnt 0x0
	v_pk_mul_f32 v[42:43], v[34:35], v[30:31] op_sel:[1,1] op_sel_hi:[0,1]
	s_delay_alu instid0(VALU_DEP_1) | instskip(SKIP_1) | instid1(VALU_DEP_2)
	v_pk_fma_f32 v[44:45], v[34:35], v[30:31], v[42:43] op_sel_hi:[1,0,1]
	v_pk_fma_f32 v[30:31], v[34:35], v[30:31], v[42:43] neg_lo:[0,0,1] neg_hi:[0,0,1]
	v_mov_b32_e32 v31, v45
	s_cbranch_execz .LBB77_99
	s_branch .LBB77_100
.LBB77_98:
                                        ; implicit-def: $vgpr30_vgpr31
.LBB77_99:
	ds_load_b64 v[30:31], v29
.LBB77_100:
	s_and_saveexec_b32 s4, s0
	s_cbranch_execz .LBB77_104
; %bb.101:
	s_movk_i32 s0, 0x70
	v_add_nc_u32_e32 v34, -4, v36
	v_mad_u32 v33, v38, s0, 0x100
	s_movk_i32 s5, 0x90
	s_mov_b32 s0, 0
.LBB77_102:                             ; =>This Inner Loop Header: Depth=1
	s_delay_alu instid0(VALU_DEP_2)
	v_dual_mov_b32 v35, s5 :: v_dual_add_nc_u32 v34, -1, v34
	s_add_co_i32 s5, s5, 8
	ds_load_b64 v[42:43], v33
	ds_load_b64 v[44:45], v35
	v_add_nc_u32_e32 v33, 8, v33
	v_cmp_eq_u32_e32 vcc_lo, 0, v34
	s_or_b32 s0, vcc_lo, s0
	s_wait_dscnt 0x0
	v_pk_mul_f32 v[46:47], v[44:45], v[42:43] op_sel:[1,1] op_sel_hi:[0,1]
	s_delay_alu instid0(VALU_DEP_1) | instskip(SKIP_1) | instid1(VALU_DEP_2)
	v_pk_fma_f32 v[48:49], v[44:45], v[42:43], v[46:47] op_sel_hi:[1,0,1]
	v_pk_fma_f32 v[42:43], v[44:45], v[42:43], v[46:47] neg_lo:[0,0,1] neg_hi:[0,0,1]
	v_mov_b32_e32 v43, v49
	s_delay_alu instid0(VALU_DEP_1)
	v_pk_add_f32 v[30:31], v[30:31], v[42:43]
	s_and_not1_b32 exec_lo, exec_lo, s0
	s_cbranch_execnz .LBB77_102
; %bb.103:
	s_or_b32 exec_lo, exec_lo, s0
.LBB77_104:
	s_delay_alu instid0(SALU_CYCLE_1) | instskip(SKIP_4) | instid1(VALU_DEP_1)
	s_or_b32 exec_lo, exec_lo, s4
	v_mov_b32_e32 v33, 0
	ds_load_b64 v[34:35], v33 offset:24
	s_wait_dscnt 0x0
	v_pk_mul_f32 v[42:43], v[30:31], v[34:35] op_sel:[1,1] op_sel_hi:[0,1]
	v_pk_fma_f32 v[44:45], v[30:31], v[34:35], v[42:43] op_sel_hi:[1,0,1]
	v_pk_fma_f32 v[30:31], v[30:31], v[34:35], v[42:43] neg_lo:[0,0,1] neg_hi:[0,0,1]
	s_delay_alu instid0(VALU_DEP_2)
	v_mov_b32_e32 v31, v45
	ds_store_b64 v40, v[30:31] offset:24
.LBB77_105:
	s_or_b32 exec_lo, exec_lo, s2
	ds_load_b64 v[30:31], v40 offset:16
	v_cmp_lt_u32_e64 s2, 2, v36
	s_wait_dscnt 0x0
	ds_store_b64 v29, v[30:31]
	s_wait_dscnt 0x0
	s_barrier_signal -1
	s_barrier_wait -1
	s_and_saveexec_b32 s0, s2
	s_cbranch_execz .LBB77_115
; %bb.106:
	s_and_not1_b32 vcc_lo, exec_lo, s3
	s_cbranch_vccnz .LBB77_108
; %bb.107:
	ds_load_b64 v[30:31], v32
	ds_load_b64 v[34:35], v29
	s_wait_dscnt 0x0
	v_pk_mul_f32 v[42:43], v[34:35], v[30:31] op_sel:[1,1] op_sel_hi:[0,1]
	s_delay_alu instid0(VALU_DEP_1) | instskip(SKIP_1) | instid1(VALU_DEP_2)
	v_pk_fma_f32 v[44:45], v[34:35], v[30:31], v[42:43] op_sel_hi:[1,0,1]
	v_pk_fma_f32 v[30:31], v[34:35], v[30:31], v[42:43] neg_lo:[0,0,1] neg_hi:[0,0,1]
	v_mov_b32_e32 v31, v45
	s_cbranch_execz .LBB77_109
	s_branch .LBB77_110
.LBB77_108:
                                        ; implicit-def: $vgpr30_vgpr31
.LBB77_109:
	ds_load_b64 v[30:31], v29
.LBB77_110:
	s_and_saveexec_b32 s4, s1
	s_cbranch_execz .LBB77_114
; %bb.111:
	s_movk_i32 s1, 0x70
	v_add_nc_u32_e32 v34, -3, v36
	v_mad_u32 v33, v38, s1, 0xf8
	s_movk_i32 s5, 0x88
	s_mov_b32 s1, 0
.LBB77_112:                             ; =>This Inner Loop Header: Depth=1
	s_delay_alu instid0(VALU_DEP_2)
	v_dual_mov_b32 v35, s5 :: v_dual_add_nc_u32 v34, -1, v34
	s_add_co_i32 s5, s5, 8
	ds_load_b64 v[42:43], v33
	ds_load_b64 v[44:45], v35
	v_add_nc_u32_e32 v33, 8, v33
	v_cmp_eq_u32_e32 vcc_lo, 0, v34
	s_or_b32 s1, vcc_lo, s1
	s_wait_dscnt 0x0
	v_pk_mul_f32 v[46:47], v[44:45], v[42:43] op_sel:[1,1] op_sel_hi:[0,1]
	s_delay_alu instid0(VALU_DEP_1) | instskip(SKIP_1) | instid1(VALU_DEP_2)
	v_pk_fma_f32 v[48:49], v[44:45], v[42:43], v[46:47] op_sel_hi:[1,0,1]
	v_pk_fma_f32 v[42:43], v[44:45], v[42:43], v[46:47] neg_lo:[0,0,1] neg_hi:[0,0,1]
	v_mov_b32_e32 v43, v49
	s_delay_alu instid0(VALU_DEP_1)
	v_pk_add_f32 v[30:31], v[30:31], v[42:43]
	s_and_not1_b32 exec_lo, exec_lo, s1
	s_cbranch_execnz .LBB77_112
; %bb.113:
	s_or_b32 exec_lo, exec_lo, s1
.LBB77_114:
	s_delay_alu instid0(SALU_CYCLE_1) | instskip(SKIP_4) | instid1(VALU_DEP_1)
	s_or_b32 exec_lo, exec_lo, s4
	v_mov_b32_e32 v33, 0
	ds_load_b64 v[34:35], v33 offset:16
	s_wait_dscnt 0x0
	v_pk_mul_f32 v[42:43], v[30:31], v[34:35] op_sel:[1,1] op_sel_hi:[0,1]
	v_pk_fma_f32 v[44:45], v[30:31], v[34:35], v[42:43] op_sel_hi:[1,0,1]
	v_pk_fma_f32 v[30:31], v[30:31], v[34:35], v[42:43] neg_lo:[0,0,1] neg_hi:[0,0,1]
	s_delay_alu instid0(VALU_DEP_2)
	v_mov_b32_e32 v31, v45
	ds_store_b64 v40, v[30:31] offset:16
.LBB77_115:
	s_or_b32 exec_lo, exec_lo, s0
	ds_load_b64 v[30:31], v40 offset:8
	v_cmp_lt_u32_e64 s0, 1, v36
	s_wait_dscnt 0x0
	ds_store_b64 v29, v[30:31]
	s_wait_dscnt 0x0
	s_barrier_signal -1
	s_barrier_wait -1
	s_and_saveexec_b32 s1, s0
	s_cbranch_execz .LBB77_125
; %bb.116:
	s_and_not1_b32 vcc_lo, exec_lo, s3
	s_cbranch_vccnz .LBB77_118
; %bb.117:
	ds_load_b64 v[30:31], v32
	ds_load_b64 v[34:35], v29
	s_wait_dscnt 0x0
	v_pk_mul_f32 v[42:43], v[34:35], v[30:31] op_sel:[1,1] op_sel_hi:[0,1]
	s_delay_alu instid0(VALU_DEP_1) | instskip(SKIP_1) | instid1(VALU_DEP_2)
	v_pk_fma_f32 v[44:45], v[34:35], v[30:31], v[42:43] op_sel_hi:[1,0,1]
	v_pk_fma_f32 v[30:31], v[34:35], v[30:31], v[42:43] neg_lo:[0,0,1] neg_hi:[0,0,1]
	v_mov_b32_e32 v31, v45
	s_cbranch_execz .LBB77_119
	s_branch .LBB77_120
.LBB77_118:
                                        ; implicit-def: $vgpr30_vgpr31
.LBB77_119:
	ds_load_b64 v[30:31], v29
.LBB77_120:
	s_and_saveexec_b32 s4, s2
	s_cbranch_execz .LBB77_124
; %bb.121:
	s_movk_i32 s2, 0x70
	v_add_nc_u32_e32 v34, -2, v36
	v_mad_u32 v33, v38, s2, 0xf0
	s_movk_i32 s5, 0x80
	s_mov_b32 s2, 0
.LBB77_122:                             ; =>This Inner Loop Header: Depth=1
	s_delay_alu instid0(VALU_DEP_2)
	v_dual_mov_b32 v35, s5 :: v_dual_add_nc_u32 v34, -1, v34
	s_add_co_i32 s5, s5, 8
	ds_load_b64 v[42:43], v33
	ds_load_b64 v[44:45], v35
	v_add_nc_u32_e32 v33, 8, v33
	v_cmp_eq_u32_e32 vcc_lo, 0, v34
	s_or_b32 s2, vcc_lo, s2
	s_wait_dscnt 0x0
	v_pk_mul_f32 v[46:47], v[44:45], v[42:43] op_sel:[1,1] op_sel_hi:[0,1]
	s_delay_alu instid0(VALU_DEP_1) | instskip(SKIP_1) | instid1(VALU_DEP_2)
	v_pk_fma_f32 v[48:49], v[44:45], v[42:43], v[46:47] op_sel_hi:[1,0,1]
	v_pk_fma_f32 v[42:43], v[44:45], v[42:43], v[46:47] neg_lo:[0,0,1] neg_hi:[0,0,1]
	v_mov_b32_e32 v43, v49
	s_delay_alu instid0(VALU_DEP_1)
	v_pk_add_f32 v[30:31], v[30:31], v[42:43]
	s_and_not1_b32 exec_lo, exec_lo, s2
	s_cbranch_execnz .LBB77_122
; %bb.123:
	s_or_b32 exec_lo, exec_lo, s2
.LBB77_124:
	s_delay_alu instid0(SALU_CYCLE_1) | instskip(SKIP_4) | instid1(VALU_DEP_1)
	s_or_b32 exec_lo, exec_lo, s4
	v_mov_b32_e32 v33, 0
	ds_load_b64 v[34:35], v33 offset:8
	s_wait_dscnt 0x0
	v_pk_mul_f32 v[42:43], v[30:31], v[34:35] op_sel:[1,1] op_sel_hi:[0,1]
	v_pk_fma_f32 v[44:45], v[30:31], v[34:35], v[42:43] op_sel_hi:[1,0,1]
	v_pk_fma_f32 v[30:31], v[30:31], v[34:35], v[42:43] neg_lo:[0,0,1] neg_hi:[0,0,1]
	s_delay_alu instid0(VALU_DEP_2)
	v_mov_b32_e32 v31, v45
	ds_store_b64 v40, v[30:31] offset:8
.LBB77_125:
	s_or_b32 exec_lo, exec_lo, s1
	ds_load_b64 v[30:31], v40
	s_mov_b32 s2, 0
	s_mov_b32 s1, 0
	s_mov_b32 s4, exec_lo
                                        ; implicit-def: $vgpr41
                                        ; implicit-def: $vgpr42
	s_wait_dscnt 0x0
	ds_store_b64 v29, v[30:31]
	s_wait_dscnt 0x0
	s_barrier_signal -1
	s_barrier_wait -1
	v_cmpx_ne_u32_e32 0, v36
	s_cbranch_execz .LBB77_135
; %bb.126:
	s_and_not1_b32 vcc_lo, exec_lo, s3
	s_cbranch_vccnz .LBB77_128
; %bb.127:
	ds_load_b64 v[34:35], v32
	ds_load_b64 v[42:43], v29
	s_wait_dscnt 0x0
	v_dual_mul_f32 v30, v43, v35 :: v_dual_mul_f32 v31, v42, v35
	s_delay_alu instid0(VALU_DEP_1)
	v_dual_fma_f32 v30, v42, v34, -v30 :: v_dual_fmac_f32 v31, v43, v34
	s_and_not1_b32 vcc_lo, exec_lo, s1
	s_cbranch_vccz .LBB77_129
	s_branch .LBB77_130
.LBB77_128:
                                        ; implicit-def: $vgpr30
.LBB77_129:
	ds_load_b64 v[30:31], v29
.LBB77_130:
	s_and_saveexec_b32 s1, s0
	s_cbranch_execz .LBB77_134
; %bb.131:
	s_movk_i32 s0, 0x70
	v_add_nc_u32_e32 v34, -1, v36
	v_mad_u32 v33, v38, s0, 0xe8
	s_movk_i32 s5, 0x78
	s_mov_b32 s0, 0
.LBB77_132:                             ; =>This Inner Loop Header: Depth=1
	v_mov_b32_e32 v35, s5
	s_add_co_i32 s5, s5, 8
	ds_load_b64 v[38:39], v33
	ds_load_b64 v[42:43], v35
	v_dual_add_nc_u32 v34, -1, v34 :: v_dual_add_nc_u32 v33, 8, v33
	s_delay_alu instid0(VALU_DEP_1) | instskip(SKIP_3) | instid1(VALU_DEP_1)
	v_cmp_eq_u32_e32 vcc_lo, 0, v34
	s_or_b32 s0, vcc_lo, s0
	s_wait_dscnt 0x0
	v_dual_mul_f32 v35, v43, v39 :: v_dual_mul_f32 v39, v42, v39
	v_fma_f32 v35, v42, v38, -v35
	s_delay_alu instid0(VALU_DEP_1) | instskip(NEXT) | instid1(VALU_DEP_1)
	v_dual_fmac_f32 v39, v43, v38 :: v_dual_add_f32 v30, v30, v35
	v_add_f32_e32 v31, v31, v39
	s_and_not1_b32 exec_lo, exec_lo, s0
	s_cbranch_execnz .LBB77_132
; %bb.133:
	s_or_b32 exec_lo, exec_lo, s0
.LBB77_134:
	s_delay_alu instid0(SALU_CYCLE_1)
	s_or_b32 exec_lo, exec_lo, s1
	v_mov_b32_e32 v33, 0
	s_mov_b32 s1, exec_lo
	v_add_nc_u32_e32 v42, 4, v40
	ds_load_b64 v[34:35], v33
	s_wait_dscnt 0x0
	v_dual_mul_f32 v33, v31, v35 :: v_dual_mul_f32 v41, v30, v35
	s_delay_alu instid0(VALU_DEP_1) | instskip(NEXT) | instid1(VALU_DEP_2)
	v_fma_f32 v30, v30, v34, -v33
	v_fmac_f32_e32 v41, v31, v34
	ds_store_b32 v40, v30
.LBB77_135:
	s_or_b32 exec_lo, exec_lo, s4
	s_delay_alu instid0(SALU_CYCLE_1)
	s_and_b32 vcc_lo, exec_lo, s2
	s_cbranch_vccz .LBB77_261
.LBB77_136:
	ds_load_b64 v[30:31], v40 offset:8
	v_cmp_eq_u32_e64 s0, 0, v36
	s_wait_dscnt 0x0
	ds_store_b64 v29, v[30:31]
	s_wait_dscnt 0x0
	s_barrier_signal -1
	s_barrier_wait -1
	s_and_saveexec_b32 s2, s0
	s_cbranch_execz .LBB77_142
; %bb.137:
	s_and_b32 vcc_lo, exec_lo, s3
	s_cbranch_vccz .LBB77_139
; %bb.138:
	ds_load_b64 v[30:31], v32
	ds_load_b64 v[34:35], v29
	s_wait_dscnt 0x0
	v_pk_mul_f32 v[38:39], v[34:35], v[30:31] op_sel:[1,1] op_sel_hi:[0,1]
	v_pk_mul_f32 v[42:43], v[34:35], v[30:31] op_sel_hi:[1,0]
	s_delay_alu instid0(VALU_DEP_2) | instskip(NEXT) | instid1(VALU_DEP_2)
	v_pk_fma_f32 v[30:31], v[34:35], v[30:31], v[38:39] op_sel_hi:[1,0,1]
	v_sub_f32_e32 v30, v42, v38
	s_cbranch_execz .LBB77_140
	s_branch .LBB77_141
.LBB77_139:
                                        ; implicit-def: $vgpr31
.LBB77_140:
	ds_load_b64 v[30:31], v29
.LBB77_141:
	s_wait_dscnt 0x0
	v_dual_mov_b32 v33, 0 :: v_dual_mov_b32 v38, v31
	v_mov_b32_e32 v39, v30
	ds_load_b64 v[34:35], v33 offset:8
	s_wait_dscnt 0x0
	v_pk_mul_f32 v[38:39], v[38:39], v[34:35] op_sel:[0,1]
	s_delay_alu instid0(VALU_DEP_1) | instskip(SKIP_1) | instid1(VALU_DEP_2)
	v_pk_fma_f32 v[42:43], v[30:31], v[34:35], v[38:39] op_sel_hi:[1,0,1]
	v_pk_fma_f32 v[30:31], v[30:31], v[34:35], v[38:39] neg_lo:[0,0,1] neg_hi:[0,0,1]
	v_mov_b32_e32 v31, v43
	ds_store_b64 v40, v[30:31] offset:8
.LBB77_142:
	s_or_b32 exec_lo, exec_lo, s2
	ds_load_b64 v[30:31], v40 offset:16
	v_cndmask_b32_e64 v33, 0, 1, s3
	s_mov_b32 s2, exec_lo
	s_wait_dscnt 0x0
	ds_store_b64 v29, v[30:31]
	s_wait_dscnt 0x0
	s_barrier_signal -1
	s_barrier_wait -1
	v_cmpx_gt_u32_e32 2, v36
	s_cbranch_execz .LBB77_150
; %bb.143:
	s_and_not1_b32 vcc_lo, exec_lo, s3
	s_cbranch_vccnz .LBB77_145
; %bb.144:
	ds_load_b64 v[30:31], v32
	ds_load_b64 v[34:35], v29
	s_wait_dscnt 0x0
	v_pk_mul_f32 v[38:39], v[34:35], v[30:31] op_sel:[1,1] op_sel_hi:[0,1]
	s_delay_alu instid0(VALU_DEP_1) | instskip(SKIP_1) | instid1(VALU_DEP_2)
	v_pk_fma_f32 v[42:43], v[34:35], v[30:31], v[38:39] op_sel_hi:[1,0,1]
	v_pk_fma_f32 v[30:31], v[34:35], v[30:31], v[38:39] neg_lo:[0,0,1] neg_hi:[0,0,1]
	v_mov_b32_e32 v31, v43
	s_cbranch_execz .LBB77_146
	s_branch .LBB77_147
.LBB77_145:
                                        ; implicit-def: $vgpr30_vgpr31
.LBB77_146:
	ds_load_b64 v[30:31], v29
.LBB77_147:
	s_and_saveexec_b32 s3, s0
	s_cbranch_execz .LBB77_149
; %bb.148:
	v_mov_b32_e32 v38, 0
	ds_load_b64 v[34:35], v40 offset:8
	ds_load_b64 v[38:39], v38 offset:120
	s_wait_dscnt 0x0
	v_pk_mul_f32 v[42:43], v[38:39], v[34:35] op_sel:[1,1] op_sel_hi:[0,1]
	s_delay_alu instid0(VALU_DEP_1) | instskip(SKIP_1) | instid1(VALU_DEP_2)
	v_pk_fma_f32 v[44:45], v[38:39], v[34:35], v[42:43] op_sel_hi:[1,0,1]
	v_pk_fma_f32 v[34:35], v[38:39], v[34:35], v[42:43] neg_lo:[0,0,1] neg_hi:[0,0,1]
	v_mov_b32_e32 v35, v45
	s_delay_alu instid0(VALU_DEP_1)
	v_pk_add_f32 v[30:31], v[30:31], v[34:35]
.LBB77_149:
	s_or_b32 exec_lo, exec_lo, s3
	v_mov_b32_e32 v34, 0
	ds_load_b64 v[34:35], v34 offset:16
	s_wait_dscnt 0x0
	v_pk_mul_f32 v[38:39], v[30:31], v[34:35] op_sel:[1,1] op_sel_hi:[0,1]
	s_delay_alu instid0(VALU_DEP_1) | instskip(SKIP_1) | instid1(VALU_DEP_2)
	v_pk_fma_f32 v[42:43], v[30:31], v[34:35], v[38:39] op_sel_hi:[1,0,1]
	v_pk_fma_f32 v[30:31], v[30:31], v[34:35], v[38:39] neg_lo:[0,0,1] neg_hi:[0,0,1]
	v_mov_b32_e32 v31, v43
	ds_store_b64 v40, v[30:31] offset:16
.LBB77_150:
	s_or_b32 exec_lo, exec_lo, s2
	ds_load_b64 v[30:31], v40 offset:24
	s_mov_b32 s2, exec_lo
	s_wait_dscnt 0x0
	ds_store_b64 v29, v[30:31]
	s_wait_dscnt 0x0
	s_barrier_signal -1
	s_barrier_wait -1
	v_cmpx_gt_u32_e32 3, v36
	s_cbranch_execz .LBB77_160
; %bb.151:
	v_cmp_ne_u32_e32 vcc_lo, 1, v33
	s_cbranch_vccnz .LBB77_153
; %bb.152:
	ds_load_b64 v[30:31], v32
	ds_load_b64 v[34:35], v29
	s_wait_dscnt 0x0
	v_pk_mul_f32 v[38:39], v[34:35], v[30:31] op_sel:[1,1] op_sel_hi:[0,1]
	s_delay_alu instid0(VALU_DEP_1) | instskip(SKIP_1) | instid1(VALU_DEP_2)
	v_pk_fma_f32 v[42:43], v[34:35], v[30:31], v[38:39] op_sel_hi:[1,0,1]
	v_pk_fma_f32 v[30:31], v[34:35], v[30:31], v[38:39] neg_lo:[0,0,1] neg_hi:[0,0,1]
	v_mov_b32_e32 v31, v43
	s_cbranch_execz .LBB77_154
	s_branch .LBB77_155
.LBB77_153:
                                        ; implicit-def: $vgpr30_vgpr31
.LBB77_154:
	ds_load_b64 v[30:31], v29
.LBB77_155:
	s_mov_b32 s3, exec_lo
	v_cmpx_ne_u32_e32 2, v36
	s_cbranch_execz .LBB77_159
; %bb.156:
	ds_load_b64 v[34:35], v32 offset:8
	ds_load_b64 v[38:39], v29 offset:8
	s_wait_dscnt 0x0
	v_pk_mul_f32 v[42:43], v[38:39], v[34:35] op_sel:[1,1] op_sel_hi:[0,1]
	s_delay_alu instid0(VALU_DEP_1) | instskip(SKIP_1) | instid1(VALU_DEP_2)
	v_pk_fma_f32 v[44:45], v[38:39], v[34:35], v[42:43] op_sel_hi:[1,0,1]
	v_pk_fma_f32 v[34:35], v[38:39], v[34:35], v[42:43] neg_lo:[0,0,1] neg_hi:[0,0,1]
	v_mov_b32_e32 v35, v45
	s_delay_alu instid0(VALU_DEP_1)
	v_pk_add_f32 v[30:31], v[30:31], v[34:35]
	s_and_saveexec_b32 s4, s0
	s_cbranch_execz .LBB77_158
; %bb.157:
	v_mov_b32_e32 v34, 0
	ds_load_b64 v[34:35], v34 offset:128
	ds_load_b64 v[38:39], v40 offset:16
	s_wait_dscnt 0x0
	v_pk_mul_f32 v[42:43], v[34:35], v[38:39] op_sel:[1,1] op_sel_hi:[0,1]
	s_delay_alu instid0(VALU_DEP_1) | instskip(SKIP_1) | instid1(VALU_DEP_2)
	v_pk_fma_f32 v[44:45], v[34:35], v[38:39], v[42:43] op_sel_hi:[1,0,1]
	v_pk_fma_f32 v[34:35], v[34:35], v[38:39], v[42:43] neg_lo:[0,0,1] neg_hi:[0,0,1]
	v_mov_b32_e32 v35, v45
	s_delay_alu instid0(VALU_DEP_1)
	v_pk_add_f32 v[30:31], v[30:31], v[34:35]
.LBB77_158:
	s_or_b32 exec_lo, exec_lo, s4
.LBB77_159:
	s_delay_alu instid0(SALU_CYCLE_1) | instskip(SKIP_4) | instid1(VALU_DEP_1)
	s_or_b32 exec_lo, exec_lo, s3
	v_mov_b32_e32 v34, 0
	ds_load_b64 v[34:35], v34 offset:24
	s_wait_dscnt 0x0
	v_pk_mul_f32 v[38:39], v[30:31], v[34:35] op_sel:[1,1] op_sel_hi:[0,1]
	v_pk_fma_f32 v[42:43], v[30:31], v[34:35], v[38:39] op_sel_hi:[1,0,1]
	v_pk_fma_f32 v[30:31], v[30:31], v[34:35], v[38:39] neg_lo:[0,0,1] neg_hi:[0,0,1]
	s_delay_alu instid0(VALU_DEP_2)
	v_mov_b32_e32 v31, v43
	ds_store_b64 v40, v[30:31] offset:24
.LBB77_160:
	s_or_b32 exec_lo, exec_lo, s2
	ds_load_b64 v[30:31], v40 offset:32
	s_mov_b32 s0, exec_lo
	s_wait_dscnt 0x0
	ds_store_b64 v29, v[30:31]
	s_wait_dscnt 0x0
	s_barrier_signal -1
	s_barrier_wait -1
	v_cmpx_gt_u32_e32 4, v36
	s_cbranch_execz .LBB77_170
; %bb.161:
	v_cmp_ne_u32_e32 vcc_lo, 1, v33
	s_cbranch_vccnz .LBB77_163
; %bb.162:
	ds_load_b64 v[30:31], v32
	ds_load_b64 v[34:35], v29
	s_wait_dscnt 0x0
	v_pk_mul_f32 v[38:39], v[34:35], v[30:31] op_sel:[1,1] op_sel_hi:[0,1]
	s_delay_alu instid0(VALU_DEP_1) | instskip(SKIP_1) | instid1(VALU_DEP_2)
	v_pk_fma_f32 v[42:43], v[34:35], v[30:31], v[38:39] op_sel_hi:[1,0,1]
	v_pk_fma_f32 v[30:31], v[34:35], v[30:31], v[38:39] neg_lo:[0,0,1] neg_hi:[0,0,1]
	v_mov_b32_e32 v31, v43
	s_cbranch_execz .LBB77_164
	s_branch .LBB77_165
.LBB77_163:
                                        ; implicit-def: $vgpr30_vgpr31
.LBB77_164:
	ds_load_b64 v[30:31], v29
.LBB77_165:
	s_mov_b32 s2, exec_lo
	v_cmpx_ne_u32_e32 3, v36
	s_cbranch_execz .LBB77_169
; %bb.166:
	v_add_nc_u32_e32 v34, 0x78, v28
	v_add3_u32 v35, v37, v28, 0xe8
	v_mov_b32_e32 v38, v36
	s_mov_b32 s3, 0
.LBB77_167:                             ; =>This Inner Loop Header: Depth=1
	ds_load_b64 v[42:43], v35
	ds_load_b64 v[44:45], v34
	v_dual_add_nc_u32 v34, 8, v34 :: v_dual_add_nc_u32 v35, 8, v35
	s_wait_dscnt 0x0
	v_pk_mul_f32 v[46:47], v[44:45], v[42:43] op_sel:[1,1] op_sel_hi:[0,1]
	s_delay_alu instid0(VALU_DEP_1) | instskip(SKIP_2) | instid1(VALU_DEP_3)
	v_pk_fma_f32 v[48:49], v[44:45], v[42:43], v[46:47] op_sel_hi:[1,0,1]
	v_add_nc_u32_e32 v38, 1, v38
	v_pk_fma_f32 v[42:43], v[44:45], v[42:43], v[46:47] neg_lo:[0,0,1] neg_hi:[0,0,1]
	v_mov_b32_e32 v43, v49
	s_delay_alu instid0(VALU_DEP_3) | instskip(NEXT) | instid1(VALU_DEP_2)
	v_cmp_lt_u32_e32 vcc_lo, 2, v38
	v_pk_add_f32 v[30:31], v[30:31], v[42:43]
	s_or_b32 s3, vcc_lo, s3
	s_delay_alu instid0(SALU_CYCLE_1)
	s_and_not1_b32 exec_lo, exec_lo, s3
	s_cbranch_execnz .LBB77_167
; %bb.168:
	s_or_b32 exec_lo, exec_lo, s3
.LBB77_169:
	s_delay_alu instid0(SALU_CYCLE_1) | instskip(SKIP_4) | instid1(VALU_DEP_1)
	s_or_b32 exec_lo, exec_lo, s2
	v_mov_b32_e32 v34, 0
	ds_load_b64 v[34:35], v34 offset:32
	s_wait_dscnt 0x0
	v_pk_mul_f32 v[38:39], v[30:31], v[34:35] op_sel:[1,1] op_sel_hi:[0,1]
	v_pk_fma_f32 v[42:43], v[30:31], v[34:35], v[38:39] op_sel_hi:[1,0,1]
	v_pk_fma_f32 v[30:31], v[30:31], v[34:35], v[38:39] neg_lo:[0,0,1] neg_hi:[0,0,1]
	s_delay_alu instid0(VALU_DEP_2)
	v_mov_b32_e32 v31, v43
	ds_store_b64 v40, v[30:31] offset:32
.LBB77_170:
	s_or_b32 exec_lo, exec_lo, s0
	ds_load_b64 v[30:31], v40 offset:40
	s_mov_b32 s0, exec_lo
	s_wait_dscnt 0x0
	ds_store_b64 v29, v[30:31]
	s_wait_dscnt 0x0
	s_barrier_signal -1
	s_barrier_wait -1
	v_cmpx_gt_u32_e32 5, v36
	s_cbranch_execz .LBB77_180
; %bb.171:
	v_cmp_ne_u32_e32 vcc_lo, 1, v33
	s_cbranch_vccnz .LBB77_173
; %bb.172:
	ds_load_b64 v[30:31], v32
	ds_load_b64 v[34:35], v29
	s_wait_dscnt 0x0
	v_pk_mul_f32 v[38:39], v[34:35], v[30:31] op_sel:[1,1] op_sel_hi:[0,1]
	s_delay_alu instid0(VALU_DEP_1) | instskip(SKIP_1) | instid1(VALU_DEP_2)
	v_pk_fma_f32 v[42:43], v[34:35], v[30:31], v[38:39] op_sel_hi:[1,0,1]
	v_pk_fma_f32 v[30:31], v[34:35], v[30:31], v[38:39] neg_lo:[0,0,1] neg_hi:[0,0,1]
	v_mov_b32_e32 v31, v43
	s_cbranch_execz .LBB77_174
	s_branch .LBB77_175
.LBB77_173:
                                        ; implicit-def: $vgpr30_vgpr31
.LBB77_174:
	ds_load_b64 v[30:31], v29
.LBB77_175:
	s_mov_b32 s2, exec_lo
	v_cmpx_ne_u32_e32 4, v36
	s_cbranch_execz .LBB77_179
; %bb.176:
	v_add_nc_u32_e32 v34, 0x78, v28
	v_add3_u32 v35, v37, v28, 0xe8
	v_mov_b32_e32 v38, v36
	s_mov_b32 s3, 0
.LBB77_177:                             ; =>This Inner Loop Header: Depth=1
	ds_load_b64 v[42:43], v35
	ds_load_b64 v[44:45], v34
	v_dual_add_nc_u32 v34, 8, v34 :: v_dual_add_nc_u32 v35, 8, v35
	s_wait_dscnt 0x0
	v_pk_mul_f32 v[46:47], v[44:45], v[42:43] op_sel:[1,1] op_sel_hi:[0,1]
	s_delay_alu instid0(VALU_DEP_1) | instskip(SKIP_2) | instid1(VALU_DEP_3)
	v_pk_fma_f32 v[48:49], v[44:45], v[42:43], v[46:47] op_sel_hi:[1,0,1]
	v_add_nc_u32_e32 v38, 1, v38
	v_pk_fma_f32 v[42:43], v[44:45], v[42:43], v[46:47] neg_lo:[0,0,1] neg_hi:[0,0,1]
	v_mov_b32_e32 v43, v49
	s_delay_alu instid0(VALU_DEP_3) | instskip(NEXT) | instid1(VALU_DEP_2)
	v_cmp_lt_u32_e32 vcc_lo, 3, v38
	v_pk_add_f32 v[30:31], v[30:31], v[42:43]
	s_or_b32 s3, vcc_lo, s3
	s_delay_alu instid0(SALU_CYCLE_1)
	s_and_not1_b32 exec_lo, exec_lo, s3
	s_cbranch_execnz .LBB77_177
; %bb.178:
	s_or_b32 exec_lo, exec_lo, s3
.LBB77_179:
	s_delay_alu instid0(SALU_CYCLE_1) | instskip(SKIP_4) | instid1(VALU_DEP_1)
	s_or_b32 exec_lo, exec_lo, s2
	v_mov_b32_e32 v34, 0
	ds_load_b64 v[34:35], v34 offset:40
	s_wait_dscnt 0x0
	v_pk_mul_f32 v[38:39], v[30:31], v[34:35] op_sel:[1,1] op_sel_hi:[0,1]
	v_pk_fma_f32 v[42:43], v[30:31], v[34:35], v[38:39] op_sel_hi:[1,0,1]
	v_pk_fma_f32 v[30:31], v[30:31], v[34:35], v[38:39] neg_lo:[0,0,1] neg_hi:[0,0,1]
	s_delay_alu instid0(VALU_DEP_2)
	v_mov_b32_e32 v31, v43
	ds_store_b64 v40, v[30:31] offset:40
.LBB77_180:
	s_or_b32 exec_lo, exec_lo, s0
	ds_load_b64 v[30:31], v40 offset:48
	s_mov_b32 s0, exec_lo
	s_wait_dscnt 0x0
	ds_store_b64 v29, v[30:31]
	s_wait_dscnt 0x0
	s_barrier_signal -1
	s_barrier_wait -1
	v_cmpx_gt_u32_e32 6, v36
	s_cbranch_execz .LBB77_190
; %bb.181:
	v_cmp_ne_u32_e32 vcc_lo, 1, v33
	s_cbranch_vccnz .LBB77_183
; %bb.182:
	ds_load_b64 v[30:31], v32
	ds_load_b64 v[34:35], v29
	s_wait_dscnt 0x0
	v_pk_mul_f32 v[38:39], v[34:35], v[30:31] op_sel:[1,1] op_sel_hi:[0,1]
	s_delay_alu instid0(VALU_DEP_1) | instskip(SKIP_1) | instid1(VALU_DEP_2)
	v_pk_fma_f32 v[42:43], v[34:35], v[30:31], v[38:39] op_sel_hi:[1,0,1]
	v_pk_fma_f32 v[30:31], v[34:35], v[30:31], v[38:39] neg_lo:[0,0,1] neg_hi:[0,0,1]
	v_mov_b32_e32 v31, v43
	s_cbranch_execz .LBB77_184
	s_branch .LBB77_185
.LBB77_183:
                                        ; implicit-def: $vgpr30_vgpr31
.LBB77_184:
	ds_load_b64 v[30:31], v29
.LBB77_185:
	s_mov_b32 s2, exec_lo
	v_cmpx_ne_u32_e32 5, v36
	s_cbranch_execz .LBB77_189
; %bb.186:
	v_add_nc_u32_e32 v34, 0x78, v28
	v_add3_u32 v35, v37, v28, 0xe8
	v_mov_b32_e32 v38, v36
	s_mov_b32 s3, 0
.LBB77_187:                             ; =>This Inner Loop Header: Depth=1
	ds_load_b64 v[42:43], v35
	ds_load_b64 v[44:45], v34
	v_dual_add_nc_u32 v34, 8, v34 :: v_dual_add_nc_u32 v35, 8, v35
	s_wait_dscnt 0x0
	v_pk_mul_f32 v[46:47], v[44:45], v[42:43] op_sel:[1,1] op_sel_hi:[0,1]
	s_delay_alu instid0(VALU_DEP_1) | instskip(SKIP_2) | instid1(VALU_DEP_3)
	v_pk_fma_f32 v[48:49], v[44:45], v[42:43], v[46:47] op_sel_hi:[1,0,1]
	v_add_nc_u32_e32 v38, 1, v38
	v_pk_fma_f32 v[42:43], v[44:45], v[42:43], v[46:47] neg_lo:[0,0,1] neg_hi:[0,0,1]
	v_mov_b32_e32 v43, v49
	s_delay_alu instid0(VALU_DEP_3) | instskip(NEXT) | instid1(VALU_DEP_2)
	v_cmp_lt_u32_e32 vcc_lo, 4, v38
	v_pk_add_f32 v[30:31], v[30:31], v[42:43]
	s_or_b32 s3, vcc_lo, s3
	s_delay_alu instid0(SALU_CYCLE_1)
	s_and_not1_b32 exec_lo, exec_lo, s3
	s_cbranch_execnz .LBB77_187
; %bb.188:
	s_or_b32 exec_lo, exec_lo, s3
.LBB77_189:
	s_delay_alu instid0(SALU_CYCLE_1) | instskip(SKIP_4) | instid1(VALU_DEP_1)
	s_or_b32 exec_lo, exec_lo, s2
	v_mov_b32_e32 v34, 0
	ds_load_b64 v[34:35], v34 offset:48
	s_wait_dscnt 0x0
	v_pk_mul_f32 v[38:39], v[30:31], v[34:35] op_sel:[1,1] op_sel_hi:[0,1]
	v_pk_fma_f32 v[42:43], v[30:31], v[34:35], v[38:39] op_sel_hi:[1,0,1]
	v_pk_fma_f32 v[30:31], v[30:31], v[34:35], v[38:39] neg_lo:[0,0,1] neg_hi:[0,0,1]
	s_delay_alu instid0(VALU_DEP_2)
	v_mov_b32_e32 v31, v43
	ds_store_b64 v40, v[30:31] offset:48
.LBB77_190:
	s_or_b32 exec_lo, exec_lo, s0
	ds_load_b64 v[30:31], v40 offset:56
	s_mov_b32 s0, exec_lo
	s_wait_dscnt 0x0
	ds_store_b64 v29, v[30:31]
	s_wait_dscnt 0x0
	s_barrier_signal -1
	s_barrier_wait -1
	v_cmpx_gt_u32_e32 7, v36
	s_cbranch_execz .LBB77_200
; %bb.191:
	v_cmp_ne_u32_e32 vcc_lo, 1, v33
	s_cbranch_vccnz .LBB77_193
; %bb.192:
	ds_load_b64 v[30:31], v32
	ds_load_b64 v[34:35], v29
	s_wait_dscnt 0x0
	v_pk_mul_f32 v[38:39], v[34:35], v[30:31] op_sel:[1,1] op_sel_hi:[0,1]
	s_delay_alu instid0(VALU_DEP_1) | instskip(SKIP_1) | instid1(VALU_DEP_2)
	v_pk_fma_f32 v[42:43], v[34:35], v[30:31], v[38:39] op_sel_hi:[1,0,1]
	v_pk_fma_f32 v[30:31], v[34:35], v[30:31], v[38:39] neg_lo:[0,0,1] neg_hi:[0,0,1]
	v_mov_b32_e32 v31, v43
	s_cbranch_execz .LBB77_194
	s_branch .LBB77_195
.LBB77_193:
                                        ; implicit-def: $vgpr30_vgpr31
.LBB77_194:
	ds_load_b64 v[30:31], v29
.LBB77_195:
	s_mov_b32 s2, exec_lo
	v_cmpx_ne_u32_e32 6, v36
	s_cbranch_execz .LBB77_199
; %bb.196:
	v_add_nc_u32_e32 v34, 0x78, v28
	v_add3_u32 v35, v37, v28, 0xe8
	v_mov_b32_e32 v38, v36
	s_mov_b32 s3, 0
.LBB77_197:                             ; =>This Inner Loop Header: Depth=1
	ds_load_b64 v[42:43], v35
	ds_load_b64 v[44:45], v34
	v_dual_add_nc_u32 v34, 8, v34 :: v_dual_add_nc_u32 v35, 8, v35
	s_wait_dscnt 0x0
	v_pk_mul_f32 v[46:47], v[44:45], v[42:43] op_sel:[1,1] op_sel_hi:[0,1]
	s_delay_alu instid0(VALU_DEP_1) | instskip(SKIP_2) | instid1(VALU_DEP_3)
	v_pk_fma_f32 v[48:49], v[44:45], v[42:43], v[46:47] op_sel_hi:[1,0,1]
	v_add_nc_u32_e32 v38, 1, v38
	v_pk_fma_f32 v[42:43], v[44:45], v[42:43], v[46:47] neg_lo:[0,0,1] neg_hi:[0,0,1]
	v_mov_b32_e32 v43, v49
	s_delay_alu instid0(VALU_DEP_3) | instskip(NEXT) | instid1(VALU_DEP_2)
	v_cmp_lt_u32_e32 vcc_lo, 5, v38
	v_pk_add_f32 v[30:31], v[30:31], v[42:43]
	s_or_b32 s3, vcc_lo, s3
	s_delay_alu instid0(SALU_CYCLE_1)
	s_and_not1_b32 exec_lo, exec_lo, s3
	s_cbranch_execnz .LBB77_197
; %bb.198:
	s_or_b32 exec_lo, exec_lo, s3
.LBB77_199:
	s_delay_alu instid0(SALU_CYCLE_1) | instskip(SKIP_4) | instid1(VALU_DEP_1)
	s_or_b32 exec_lo, exec_lo, s2
	v_mov_b32_e32 v34, 0
	ds_load_b64 v[34:35], v34 offset:56
	s_wait_dscnt 0x0
	v_pk_mul_f32 v[38:39], v[30:31], v[34:35] op_sel:[1,1] op_sel_hi:[0,1]
	v_pk_fma_f32 v[42:43], v[30:31], v[34:35], v[38:39] op_sel_hi:[1,0,1]
	v_pk_fma_f32 v[30:31], v[30:31], v[34:35], v[38:39] neg_lo:[0,0,1] neg_hi:[0,0,1]
	s_delay_alu instid0(VALU_DEP_2)
	v_mov_b32_e32 v31, v43
	ds_store_b64 v40, v[30:31] offset:56
.LBB77_200:
	s_or_b32 exec_lo, exec_lo, s0
	ds_load_b64 v[30:31], v40 offset:64
	s_mov_b32 s0, exec_lo
	s_wait_dscnt 0x0
	ds_store_b64 v29, v[30:31]
	s_wait_dscnt 0x0
	s_barrier_signal -1
	s_barrier_wait -1
	v_cmpx_gt_u32_e32 8, v36
	s_cbranch_execz .LBB77_210
; %bb.201:
	v_cmp_ne_u32_e32 vcc_lo, 1, v33
	s_cbranch_vccnz .LBB77_203
; %bb.202:
	ds_load_b64 v[30:31], v32
	ds_load_b64 v[34:35], v29
	s_wait_dscnt 0x0
	v_pk_mul_f32 v[38:39], v[34:35], v[30:31] op_sel:[1,1] op_sel_hi:[0,1]
	s_delay_alu instid0(VALU_DEP_1) | instskip(SKIP_1) | instid1(VALU_DEP_2)
	v_pk_fma_f32 v[42:43], v[34:35], v[30:31], v[38:39] op_sel_hi:[1,0,1]
	v_pk_fma_f32 v[30:31], v[34:35], v[30:31], v[38:39] neg_lo:[0,0,1] neg_hi:[0,0,1]
	v_mov_b32_e32 v31, v43
	s_cbranch_execz .LBB77_204
	s_branch .LBB77_205
.LBB77_203:
                                        ; implicit-def: $vgpr30_vgpr31
.LBB77_204:
	ds_load_b64 v[30:31], v29
.LBB77_205:
	s_mov_b32 s2, exec_lo
	v_cmpx_ne_u32_e32 7, v36
	s_cbranch_execz .LBB77_209
; %bb.206:
	v_add_nc_u32_e32 v34, 0x78, v28
	v_add3_u32 v35, v37, v28, 0xe8
	v_mov_b32_e32 v38, v36
	s_mov_b32 s3, 0
.LBB77_207:                             ; =>This Inner Loop Header: Depth=1
	ds_load_b64 v[42:43], v35
	ds_load_b64 v[44:45], v34
	v_dual_add_nc_u32 v34, 8, v34 :: v_dual_add_nc_u32 v35, 8, v35
	s_wait_dscnt 0x0
	v_pk_mul_f32 v[46:47], v[44:45], v[42:43] op_sel:[1,1] op_sel_hi:[0,1]
	s_delay_alu instid0(VALU_DEP_1) | instskip(SKIP_2) | instid1(VALU_DEP_3)
	v_pk_fma_f32 v[48:49], v[44:45], v[42:43], v[46:47] op_sel_hi:[1,0,1]
	v_add_nc_u32_e32 v38, 1, v38
	v_pk_fma_f32 v[42:43], v[44:45], v[42:43], v[46:47] neg_lo:[0,0,1] neg_hi:[0,0,1]
	v_mov_b32_e32 v43, v49
	s_delay_alu instid0(VALU_DEP_3) | instskip(NEXT) | instid1(VALU_DEP_2)
	v_cmp_lt_u32_e32 vcc_lo, 6, v38
	v_pk_add_f32 v[30:31], v[30:31], v[42:43]
	s_or_b32 s3, vcc_lo, s3
	s_delay_alu instid0(SALU_CYCLE_1)
	s_and_not1_b32 exec_lo, exec_lo, s3
	s_cbranch_execnz .LBB77_207
; %bb.208:
	s_or_b32 exec_lo, exec_lo, s3
.LBB77_209:
	s_delay_alu instid0(SALU_CYCLE_1) | instskip(SKIP_4) | instid1(VALU_DEP_1)
	s_or_b32 exec_lo, exec_lo, s2
	v_mov_b32_e32 v34, 0
	ds_load_b64 v[34:35], v34 offset:64
	s_wait_dscnt 0x0
	v_pk_mul_f32 v[38:39], v[30:31], v[34:35] op_sel:[1,1] op_sel_hi:[0,1]
	v_pk_fma_f32 v[42:43], v[30:31], v[34:35], v[38:39] op_sel_hi:[1,0,1]
	v_pk_fma_f32 v[30:31], v[30:31], v[34:35], v[38:39] neg_lo:[0,0,1] neg_hi:[0,0,1]
	s_delay_alu instid0(VALU_DEP_2)
	v_mov_b32_e32 v31, v43
	ds_store_b64 v40, v[30:31] offset:64
.LBB77_210:
	s_or_b32 exec_lo, exec_lo, s0
	ds_load_b64 v[30:31], v40 offset:72
	s_mov_b32 s0, exec_lo
	s_wait_dscnt 0x0
	ds_store_b64 v29, v[30:31]
	s_wait_dscnt 0x0
	s_barrier_signal -1
	s_barrier_wait -1
	v_cmpx_gt_u32_e32 9, v36
	s_cbranch_execz .LBB77_220
; %bb.211:
	v_cmp_ne_u32_e32 vcc_lo, 1, v33
	s_cbranch_vccnz .LBB77_213
; %bb.212:
	ds_load_b64 v[30:31], v32
	ds_load_b64 v[34:35], v29
	s_wait_dscnt 0x0
	v_pk_mul_f32 v[38:39], v[34:35], v[30:31] op_sel:[1,1] op_sel_hi:[0,1]
	s_delay_alu instid0(VALU_DEP_1) | instskip(SKIP_1) | instid1(VALU_DEP_2)
	v_pk_fma_f32 v[42:43], v[34:35], v[30:31], v[38:39] op_sel_hi:[1,0,1]
	v_pk_fma_f32 v[30:31], v[34:35], v[30:31], v[38:39] neg_lo:[0,0,1] neg_hi:[0,0,1]
	v_mov_b32_e32 v31, v43
	s_cbranch_execz .LBB77_214
	s_branch .LBB77_215
.LBB77_213:
                                        ; implicit-def: $vgpr30_vgpr31
.LBB77_214:
	ds_load_b64 v[30:31], v29
.LBB77_215:
	s_mov_b32 s2, exec_lo
	v_cmpx_ne_u32_e32 8, v36
	s_cbranch_execz .LBB77_219
; %bb.216:
	v_add_nc_u32_e32 v34, 0x78, v28
	v_add3_u32 v35, v37, v28, 0xe8
	v_mov_b32_e32 v38, v36
	s_mov_b32 s3, 0
.LBB77_217:                             ; =>This Inner Loop Header: Depth=1
	ds_load_b64 v[42:43], v35
	ds_load_b64 v[44:45], v34
	v_dual_add_nc_u32 v34, 8, v34 :: v_dual_add_nc_u32 v35, 8, v35
	s_wait_dscnt 0x0
	v_pk_mul_f32 v[46:47], v[44:45], v[42:43] op_sel:[1,1] op_sel_hi:[0,1]
	s_delay_alu instid0(VALU_DEP_1) | instskip(SKIP_2) | instid1(VALU_DEP_3)
	v_pk_fma_f32 v[48:49], v[44:45], v[42:43], v[46:47] op_sel_hi:[1,0,1]
	v_add_nc_u32_e32 v38, 1, v38
	v_pk_fma_f32 v[42:43], v[44:45], v[42:43], v[46:47] neg_lo:[0,0,1] neg_hi:[0,0,1]
	v_mov_b32_e32 v43, v49
	s_delay_alu instid0(VALU_DEP_3) | instskip(NEXT) | instid1(VALU_DEP_2)
	v_cmp_lt_u32_e32 vcc_lo, 7, v38
	v_pk_add_f32 v[30:31], v[30:31], v[42:43]
	s_or_b32 s3, vcc_lo, s3
	s_delay_alu instid0(SALU_CYCLE_1)
	s_and_not1_b32 exec_lo, exec_lo, s3
	s_cbranch_execnz .LBB77_217
; %bb.218:
	s_or_b32 exec_lo, exec_lo, s3
.LBB77_219:
	s_delay_alu instid0(SALU_CYCLE_1) | instskip(SKIP_4) | instid1(VALU_DEP_1)
	s_or_b32 exec_lo, exec_lo, s2
	v_mov_b32_e32 v34, 0
	ds_load_b64 v[34:35], v34 offset:72
	s_wait_dscnt 0x0
	v_pk_mul_f32 v[38:39], v[30:31], v[34:35] op_sel:[1,1] op_sel_hi:[0,1]
	v_pk_fma_f32 v[42:43], v[30:31], v[34:35], v[38:39] op_sel_hi:[1,0,1]
	v_pk_fma_f32 v[30:31], v[30:31], v[34:35], v[38:39] neg_lo:[0,0,1] neg_hi:[0,0,1]
	s_delay_alu instid0(VALU_DEP_2)
	v_mov_b32_e32 v31, v43
	ds_store_b64 v40, v[30:31] offset:72
.LBB77_220:
	s_or_b32 exec_lo, exec_lo, s0
	ds_load_b64 v[30:31], v40 offset:80
	s_mov_b32 s0, exec_lo
	s_wait_dscnt 0x0
	ds_store_b64 v29, v[30:31]
	s_wait_dscnt 0x0
	s_barrier_signal -1
	s_barrier_wait -1
	v_cmpx_gt_u32_e32 10, v36
	s_cbranch_execz .LBB77_230
; %bb.221:
	v_cmp_ne_u32_e32 vcc_lo, 1, v33
	s_cbranch_vccnz .LBB77_223
; %bb.222:
	ds_load_b64 v[30:31], v32
	ds_load_b64 v[34:35], v29
	s_wait_dscnt 0x0
	v_pk_mul_f32 v[38:39], v[34:35], v[30:31] op_sel:[1,1] op_sel_hi:[0,1]
	s_delay_alu instid0(VALU_DEP_1) | instskip(SKIP_1) | instid1(VALU_DEP_2)
	v_pk_fma_f32 v[42:43], v[34:35], v[30:31], v[38:39] op_sel_hi:[1,0,1]
	v_pk_fma_f32 v[30:31], v[34:35], v[30:31], v[38:39] neg_lo:[0,0,1] neg_hi:[0,0,1]
	v_mov_b32_e32 v31, v43
	s_cbranch_execz .LBB77_224
	s_branch .LBB77_225
.LBB77_223:
                                        ; implicit-def: $vgpr30_vgpr31
.LBB77_224:
	ds_load_b64 v[30:31], v29
.LBB77_225:
	s_mov_b32 s2, exec_lo
	v_cmpx_ne_u32_e32 9, v36
	s_cbranch_execz .LBB77_229
; %bb.226:
	v_add_nc_u32_e32 v34, 0x78, v28
	v_add3_u32 v35, v37, v28, 0xe8
	v_mov_b32_e32 v38, v36
	s_mov_b32 s3, 0
.LBB77_227:                             ; =>This Inner Loop Header: Depth=1
	ds_load_b64 v[42:43], v35
	ds_load_b64 v[44:45], v34
	v_dual_add_nc_u32 v34, 8, v34 :: v_dual_add_nc_u32 v35, 8, v35
	s_wait_dscnt 0x0
	v_pk_mul_f32 v[46:47], v[44:45], v[42:43] op_sel:[1,1] op_sel_hi:[0,1]
	s_delay_alu instid0(VALU_DEP_1) | instskip(SKIP_2) | instid1(VALU_DEP_3)
	v_pk_fma_f32 v[48:49], v[44:45], v[42:43], v[46:47] op_sel_hi:[1,0,1]
	v_add_nc_u32_e32 v38, 1, v38
	v_pk_fma_f32 v[42:43], v[44:45], v[42:43], v[46:47] neg_lo:[0,0,1] neg_hi:[0,0,1]
	v_mov_b32_e32 v43, v49
	s_delay_alu instid0(VALU_DEP_3) | instskip(NEXT) | instid1(VALU_DEP_2)
	v_cmp_lt_u32_e32 vcc_lo, 8, v38
	v_pk_add_f32 v[30:31], v[30:31], v[42:43]
	s_or_b32 s3, vcc_lo, s3
	s_delay_alu instid0(SALU_CYCLE_1)
	s_and_not1_b32 exec_lo, exec_lo, s3
	s_cbranch_execnz .LBB77_227
; %bb.228:
	s_or_b32 exec_lo, exec_lo, s3
.LBB77_229:
	s_delay_alu instid0(SALU_CYCLE_1) | instskip(SKIP_4) | instid1(VALU_DEP_1)
	s_or_b32 exec_lo, exec_lo, s2
	v_mov_b32_e32 v34, 0
	ds_load_b64 v[34:35], v34 offset:80
	s_wait_dscnt 0x0
	v_pk_mul_f32 v[38:39], v[30:31], v[34:35] op_sel:[1,1] op_sel_hi:[0,1]
	v_pk_fma_f32 v[42:43], v[30:31], v[34:35], v[38:39] op_sel_hi:[1,0,1]
	v_pk_fma_f32 v[30:31], v[30:31], v[34:35], v[38:39] neg_lo:[0,0,1] neg_hi:[0,0,1]
	s_delay_alu instid0(VALU_DEP_2)
	v_mov_b32_e32 v31, v43
	ds_store_b64 v40, v[30:31] offset:80
.LBB77_230:
	s_or_b32 exec_lo, exec_lo, s0
	ds_load_b64 v[30:31], v40 offset:88
	s_mov_b32 s0, exec_lo
	s_wait_dscnt 0x0
	ds_store_b64 v29, v[30:31]
	s_wait_dscnt 0x0
	s_barrier_signal -1
	s_barrier_wait -1
	v_cmpx_gt_u32_e32 11, v36
	s_cbranch_execz .LBB77_240
; %bb.231:
	v_cmp_ne_u32_e32 vcc_lo, 1, v33
	s_cbranch_vccnz .LBB77_233
; %bb.232:
	ds_load_b64 v[30:31], v32
	ds_load_b64 v[34:35], v29
	s_wait_dscnt 0x0
	v_pk_mul_f32 v[38:39], v[34:35], v[30:31] op_sel:[1,1] op_sel_hi:[0,1]
	s_delay_alu instid0(VALU_DEP_1) | instskip(SKIP_1) | instid1(VALU_DEP_2)
	v_pk_fma_f32 v[42:43], v[34:35], v[30:31], v[38:39] op_sel_hi:[1,0,1]
	v_pk_fma_f32 v[30:31], v[34:35], v[30:31], v[38:39] neg_lo:[0,0,1] neg_hi:[0,0,1]
	v_mov_b32_e32 v31, v43
	s_cbranch_execz .LBB77_234
	s_branch .LBB77_235
.LBB77_233:
                                        ; implicit-def: $vgpr30_vgpr31
.LBB77_234:
	ds_load_b64 v[30:31], v29
.LBB77_235:
	s_mov_b32 s2, exec_lo
	v_cmpx_ne_u32_e32 10, v36
	s_cbranch_execz .LBB77_239
; %bb.236:
	v_add_nc_u32_e32 v34, 0x78, v28
	v_add3_u32 v35, v37, v28, 0xe8
	v_mov_b32_e32 v38, v36
	s_mov_b32 s3, 0
.LBB77_237:                             ; =>This Inner Loop Header: Depth=1
	ds_load_b64 v[42:43], v35
	ds_load_b64 v[44:45], v34
	v_dual_add_nc_u32 v34, 8, v34 :: v_dual_add_nc_u32 v35, 8, v35
	s_wait_dscnt 0x0
	v_pk_mul_f32 v[46:47], v[44:45], v[42:43] op_sel:[1,1] op_sel_hi:[0,1]
	s_delay_alu instid0(VALU_DEP_1) | instskip(SKIP_2) | instid1(VALU_DEP_3)
	v_pk_fma_f32 v[48:49], v[44:45], v[42:43], v[46:47] op_sel_hi:[1,0,1]
	v_add_nc_u32_e32 v38, 1, v38
	v_pk_fma_f32 v[42:43], v[44:45], v[42:43], v[46:47] neg_lo:[0,0,1] neg_hi:[0,0,1]
	v_mov_b32_e32 v43, v49
	s_delay_alu instid0(VALU_DEP_3) | instskip(NEXT) | instid1(VALU_DEP_2)
	v_cmp_lt_u32_e32 vcc_lo, 9, v38
	v_pk_add_f32 v[30:31], v[30:31], v[42:43]
	s_or_b32 s3, vcc_lo, s3
	s_delay_alu instid0(SALU_CYCLE_1)
	s_and_not1_b32 exec_lo, exec_lo, s3
	s_cbranch_execnz .LBB77_237
; %bb.238:
	s_or_b32 exec_lo, exec_lo, s3
.LBB77_239:
	s_delay_alu instid0(SALU_CYCLE_1) | instskip(SKIP_4) | instid1(VALU_DEP_1)
	s_or_b32 exec_lo, exec_lo, s2
	v_mov_b32_e32 v34, 0
	ds_load_b64 v[34:35], v34 offset:88
	s_wait_dscnt 0x0
	v_pk_mul_f32 v[38:39], v[30:31], v[34:35] op_sel:[1,1] op_sel_hi:[0,1]
	v_pk_fma_f32 v[42:43], v[30:31], v[34:35], v[38:39] op_sel_hi:[1,0,1]
	v_pk_fma_f32 v[30:31], v[30:31], v[34:35], v[38:39] neg_lo:[0,0,1] neg_hi:[0,0,1]
	s_delay_alu instid0(VALU_DEP_2)
	v_mov_b32_e32 v31, v43
	ds_store_b64 v40, v[30:31] offset:88
.LBB77_240:
	s_or_b32 exec_lo, exec_lo, s0
	ds_load_b64 v[30:31], v40 offset:96
	v_cmp_gt_u32_e64 s0, 12, v36
	s_wait_dscnt 0x0
	ds_store_b64 v29, v[30:31]
	s_wait_dscnt 0x0
	s_barrier_signal -1
	s_barrier_wait -1
	s_and_saveexec_b32 s2, s0
	s_cbranch_execz .LBB77_250
; %bb.241:
	v_cmp_ne_u32_e32 vcc_lo, 1, v33
	s_cbranch_vccnz .LBB77_243
; %bb.242:
	ds_load_b64 v[30:31], v32
	ds_load_b64 v[34:35], v29
	s_wait_dscnt 0x0
	v_pk_mul_f32 v[38:39], v[34:35], v[30:31] op_sel:[1,1] op_sel_hi:[0,1]
	s_delay_alu instid0(VALU_DEP_1) | instskip(SKIP_1) | instid1(VALU_DEP_2)
	v_pk_fma_f32 v[42:43], v[34:35], v[30:31], v[38:39] op_sel_hi:[1,0,1]
	v_pk_fma_f32 v[30:31], v[34:35], v[30:31], v[38:39] neg_lo:[0,0,1] neg_hi:[0,0,1]
	v_mov_b32_e32 v31, v43
	s_cbranch_execz .LBB77_244
	s_branch .LBB77_245
.LBB77_243:
                                        ; implicit-def: $vgpr30_vgpr31
.LBB77_244:
	ds_load_b64 v[30:31], v29
.LBB77_245:
	s_mov_b32 s3, exec_lo
	v_cmpx_ne_u32_e32 11, v36
	s_cbranch_execz .LBB77_249
; %bb.246:
	v_add_nc_u32_e32 v34, 0x78, v28
	v_add3_u32 v35, v37, v28, 0xe8
	v_mov_b32_e32 v38, v36
	s_mov_b32 s4, 0
.LBB77_247:                             ; =>This Inner Loop Header: Depth=1
	ds_load_b64 v[42:43], v35
	ds_load_b64 v[44:45], v34
	v_dual_add_nc_u32 v34, 8, v34 :: v_dual_add_nc_u32 v35, 8, v35
	s_wait_dscnt 0x0
	v_pk_mul_f32 v[46:47], v[44:45], v[42:43] op_sel:[1,1] op_sel_hi:[0,1]
	s_delay_alu instid0(VALU_DEP_1) | instskip(SKIP_2) | instid1(VALU_DEP_3)
	v_pk_fma_f32 v[48:49], v[44:45], v[42:43], v[46:47] op_sel_hi:[1,0,1]
	v_add_nc_u32_e32 v38, 1, v38
	v_pk_fma_f32 v[42:43], v[44:45], v[42:43], v[46:47] neg_lo:[0,0,1] neg_hi:[0,0,1]
	v_mov_b32_e32 v43, v49
	s_delay_alu instid0(VALU_DEP_3) | instskip(NEXT) | instid1(VALU_DEP_2)
	v_cmp_lt_u32_e32 vcc_lo, 10, v38
	v_pk_add_f32 v[30:31], v[30:31], v[42:43]
	s_or_b32 s4, vcc_lo, s4
	s_delay_alu instid0(SALU_CYCLE_1)
	s_and_not1_b32 exec_lo, exec_lo, s4
	s_cbranch_execnz .LBB77_247
; %bb.248:
	s_or_b32 exec_lo, exec_lo, s4
.LBB77_249:
	s_delay_alu instid0(SALU_CYCLE_1) | instskip(SKIP_4) | instid1(VALU_DEP_1)
	s_or_b32 exec_lo, exec_lo, s3
	v_mov_b32_e32 v34, 0
	ds_load_b64 v[34:35], v34 offset:96
	s_wait_dscnt 0x0
	v_pk_mul_f32 v[38:39], v[30:31], v[34:35] op_sel:[1,1] op_sel_hi:[0,1]
	v_pk_fma_f32 v[42:43], v[30:31], v[34:35], v[38:39] op_sel_hi:[1,0,1]
	v_pk_fma_f32 v[30:31], v[30:31], v[34:35], v[38:39] neg_lo:[0,0,1] neg_hi:[0,0,1]
	s_delay_alu instid0(VALU_DEP_2)
	v_mov_b32_e32 v31, v43
	ds_store_b64 v40, v[30:31] offset:96
.LBB77_250:
	s_or_b32 exec_lo, exec_lo, s2
	ds_load_b64 v[30:31], v40 offset:104
	s_mov_b32 s2, exec_lo
                                        ; implicit-def: $vgpr41
                                        ; implicit-def: $vgpr42
	s_wait_dscnt 0x0
	ds_store_b64 v29, v[30:31]
	s_wait_dscnt 0x0
	s_barrier_signal -1
	s_barrier_wait -1
	v_cmpx_ne_u32_e32 13, v36
	s_cbranch_execz .LBB77_260
; %bb.251:
	v_cmp_ne_u32_e32 vcc_lo, 1, v33
	s_cbranch_vccnz .LBB77_253
; %bb.252:
	ds_load_b64 v[32:33], v32
	ds_load_b64 v[34:35], v29
	s_wait_dscnt 0x0
	v_dual_mul_f32 v30, v35, v33 :: v_dual_mul_f32 v31, v34, v33
	s_delay_alu instid0(VALU_DEP_1)
	v_dual_fma_f32 v30, v34, v32, -v30 :: v_dual_fmac_f32 v31, v35, v32
	s_cbranch_execz .LBB77_254
	s_branch .LBB77_255
.LBB77_253:
                                        ; implicit-def: $vgpr31
.LBB77_254:
	ds_load_b64 v[30:31], v29
.LBB77_255:
	s_and_saveexec_b32 s3, s0
	s_cbranch_execz .LBB77_259
; %bb.256:
	v_add_nc_u32_e32 v29, 0x78, v28
	v_add3_u32 v28, v37, v28, 0xe8
	s_mov_b32 s0, 0
.LBB77_257:                             ; =>This Inner Loop Header: Depth=1
	ds_load_b64 v[32:33], v28
	ds_load_b64 v[34:35], v29
	v_dual_add_nc_u32 v36, 1, v36 :: v_dual_add_nc_u32 v29, 8, v29
	v_add_nc_u32_e32 v28, 8, v28
	s_delay_alu instid0(VALU_DEP_2) | instskip(SKIP_3) | instid1(VALU_DEP_1)
	v_cmp_lt_u32_e32 vcc_lo, 11, v36
	s_or_b32 s0, vcc_lo, s0
	s_wait_dscnt 0x0
	v_dual_mul_f32 v37, v35, v33 :: v_dual_mul_f32 v33, v34, v33
	v_fmac_f32_e32 v33, v35, v32
	s_delay_alu instid0(VALU_DEP_1) | instskip(NEXT) | instid1(VALU_DEP_1)
	v_dual_fma_f32 v34, v34, v32, -v37 :: v_dual_add_f32 v31, v31, v33
	v_add_f32_e32 v30, v30, v34
	s_and_not1_b32 exec_lo, exec_lo, s0
	s_cbranch_execnz .LBB77_257
; %bb.258:
	s_or_b32 exec_lo, exec_lo, s0
.LBB77_259:
	s_delay_alu instid0(SALU_CYCLE_1)
	s_or_b32 exec_lo, exec_lo, s3
	v_mov_b32_e32 v28, 0
	s_or_b32 s1, s1, exec_lo
	v_add_nc_u32_e32 v42, 0x6c, v40
	ds_load_b64 v[28:29], v28 offset:104
	s_wait_dscnt 0x0
	v_dual_mul_f32 v32, v31, v29 :: v_dual_mul_f32 v41, v30, v29
	s_delay_alu instid0(VALU_DEP_1)
	v_dual_fma_f32 v29, v30, v28, -v32 :: v_dual_fmac_f32 v41, v31, v28
	ds_store_b32 v40, v29 offset:104
.LBB77_260:
	s_or_b32 exec_lo, exec_lo, s2
.LBB77_261:
	v_lshl_add_u64 v[38:39], v[4:5], 3, s[6:7]
	v_lshl_add_u64 v[36:37], v[6:7], 3, s[6:7]
	;; [unrolled: 1-line block ×12, first 2 shown]
	s_and_saveexec_b32 s0, s1
; %bb.262:
	ds_store_b32 v42, v41
; %bb.263:
	s_or_b32 exec_lo, exec_lo, s0
	ds_load_b64 v[16:17], v40
	s_wait_dscnt 0x0
	flat_store_b64 v[0:1], v[16:17]
	s_wait_xcnt 0x0
	ds_load_b64 v[0:1], v40 offset:8
	s_wait_dscnt 0x0
	flat_store_b64 v[2:3], v[0:1]
	s_wait_xcnt 0x0
	ds_load_b64 v[0:1], v40 offset:16
	;; [unrolled: 4-line block ×13, first 2 shown]
	s_wait_dscnt 0x0
	flat_store_b64 v[4:5], v[0:1]
.LBB77_264:
	s_endpgm
	.section	.rodata,"a",@progbits
	.p2align	6, 0x0
	.amdhsa_kernel _ZN9rocsolver6v33100L18trti2_kernel_smallILi14E19rocblas_complex_numIfEPKPS3_EEv13rocblas_fill_17rocblas_diagonal_T1_iil
		.amdhsa_group_segment_fixed_size 7392
		.amdhsa_private_segment_fixed_size 0
		.amdhsa_kernarg_size 32
		.amdhsa_user_sgpr_count 4
		.amdhsa_user_sgpr_dispatch_ptr 1
		.amdhsa_user_sgpr_queue_ptr 0
		.amdhsa_user_sgpr_kernarg_segment_ptr 1
		.amdhsa_user_sgpr_dispatch_id 0
		.amdhsa_user_sgpr_kernarg_preload_length 0
		.amdhsa_user_sgpr_kernarg_preload_offset 0
		.amdhsa_user_sgpr_private_segment_size 0
		.amdhsa_wavefront_size32 1
		.amdhsa_uses_dynamic_stack 0
		.amdhsa_enable_private_segment 0
		.amdhsa_system_sgpr_workgroup_id_x 1
		.amdhsa_system_sgpr_workgroup_id_y 0
		.amdhsa_system_sgpr_workgroup_id_z 0
		.amdhsa_system_sgpr_workgroup_info 0
		.amdhsa_system_vgpr_workitem_id 2
		.amdhsa_next_free_vgpr 50
		.amdhsa_next_free_sgpr 12
		.amdhsa_named_barrier_count 0
		.amdhsa_reserve_vcc 1
		.amdhsa_float_round_mode_32 0
		.amdhsa_float_round_mode_16_64 0
		.amdhsa_float_denorm_mode_32 3
		.amdhsa_float_denorm_mode_16_64 3
		.amdhsa_fp16_overflow 0
		.amdhsa_memory_ordered 1
		.amdhsa_forward_progress 1
		.amdhsa_inst_pref_size 79
		.amdhsa_round_robin_scheduling 0
		.amdhsa_exception_fp_ieee_invalid_op 0
		.amdhsa_exception_fp_denorm_src 0
		.amdhsa_exception_fp_ieee_div_zero 0
		.amdhsa_exception_fp_ieee_overflow 0
		.amdhsa_exception_fp_ieee_underflow 0
		.amdhsa_exception_fp_ieee_inexact 0
		.amdhsa_exception_int_div_zero 0
	.end_amdhsa_kernel
	.section	.text._ZN9rocsolver6v33100L18trti2_kernel_smallILi14E19rocblas_complex_numIfEPKPS3_EEv13rocblas_fill_17rocblas_diagonal_T1_iil,"axG",@progbits,_ZN9rocsolver6v33100L18trti2_kernel_smallILi14E19rocblas_complex_numIfEPKPS3_EEv13rocblas_fill_17rocblas_diagonal_T1_iil,comdat
.Lfunc_end77:
	.size	_ZN9rocsolver6v33100L18trti2_kernel_smallILi14E19rocblas_complex_numIfEPKPS3_EEv13rocblas_fill_17rocblas_diagonal_T1_iil, .Lfunc_end77-_ZN9rocsolver6v33100L18trti2_kernel_smallILi14E19rocblas_complex_numIfEPKPS3_EEv13rocblas_fill_17rocblas_diagonal_T1_iil
                                        ; -- End function
	.set _ZN9rocsolver6v33100L18trti2_kernel_smallILi14E19rocblas_complex_numIfEPKPS3_EEv13rocblas_fill_17rocblas_diagonal_T1_iil.num_vgpr, 50
	.set _ZN9rocsolver6v33100L18trti2_kernel_smallILi14E19rocblas_complex_numIfEPKPS3_EEv13rocblas_fill_17rocblas_diagonal_T1_iil.num_agpr, 0
	.set _ZN9rocsolver6v33100L18trti2_kernel_smallILi14E19rocblas_complex_numIfEPKPS3_EEv13rocblas_fill_17rocblas_diagonal_T1_iil.numbered_sgpr, 12
	.set _ZN9rocsolver6v33100L18trti2_kernel_smallILi14E19rocblas_complex_numIfEPKPS3_EEv13rocblas_fill_17rocblas_diagonal_T1_iil.num_named_barrier, 0
	.set _ZN9rocsolver6v33100L18trti2_kernel_smallILi14E19rocblas_complex_numIfEPKPS3_EEv13rocblas_fill_17rocblas_diagonal_T1_iil.private_seg_size, 0
	.set _ZN9rocsolver6v33100L18trti2_kernel_smallILi14E19rocblas_complex_numIfEPKPS3_EEv13rocblas_fill_17rocblas_diagonal_T1_iil.uses_vcc, 1
	.set _ZN9rocsolver6v33100L18trti2_kernel_smallILi14E19rocblas_complex_numIfEPKPS3_EEv13rocblas_fill_17rocblas_diagonal_T1_iil.uses_flat_scratch, 0
	.set _ZN9rocsolver6v33100L18trti2_kernel_smallILi14E19rocblas_complex_numIfEPKPS3_EEv13rocblas_fill_17rocblas_diagonal_T1_iil.has_dyn_sized_stack, 0
	.set _ZN9rocsolver6v33100L18trti2_kernel_smallILi14E19rocblas_complex_numIfEPKPS3_EEv13rocblas_fill_17rocblas_diagonal_T1_iil.has_recursion, 0
	.set _ZN9rocsolver6v33100L18trti2_kernel_smallILi14E19rocblas_complex_numIfEPKPS3_EEv13rocblas_fill_17rocblas_diagonal_T1_iil.has_indirect_call, 0
	.section	.AMDGPU.csdata,"",@progbits
; Kernel info:
; codeLenInByte = 10044
; TotalNumSgprs: 14
; NumVgprs: 50
; ScratchSize: 0
; MemoryBound: 0
; FloatMode: 240
; IeeeMode: 1
; LDSByteSize: 7392 bytes/workgroup (compile time only)
; SGPRBlocks: 0
; VGPRBlocks: 3
; NumSGPRsForWavesPerEU: 14
; NumVGPRsForWavesPerEU: 50
; NamedBarCnt: 0
; Occupancy: 11
; WaveLimiterHint : 1
; COMPUTE_PGM_RSRC2:SCRATCH_EN: 0
; COMPUTE_PGM_RSRC2:USER_SGPR: 4
; COMPUTE_PGM_RSRC2:TRAP_HANDLER: 0
; COMPUTE_PGM_RSRC2:TGID_X_EN: 1
; COMPUTE_PGM_RSRC2:TGID_Y_EN: 0
; COMPUTE_PGM_RSRC2:TGID_Z_EN: 0
; COMPUTE_PGM_RSRC2:TIDIG_COMP_CNT: 2
	.section	.text._ZN9rocsolver6v33100L18trti2_kernel_smallILi15E19rocblas_complex_numIfEPKPS3_EEv13rocblas_fill_17rocblas_diagonal_T1_iil,"axG",@progbits,_ZN9rocsolver6v33100L18trti2_kernel_smallILi15E19rocblas_complex_numIfEPKPS3_EEv13rocblas_fill_17rocblas_diagonal_T1_iil,comdat
	.globl	_ZN9rocsolver6v33100L18trti2_kernel_smallILi15E19rocblas_complex_numIfEPKPS3_EEv13rocblas_fill_17rocblas_diagonal_T1_iil ; -- Begin function _ZN9rocsolver6v33100L18trti2_kernel_smallILi15E19rocblas_complex_numIfEPKPS3_EEv13rocblas_fill_17rocblas_diagonal_T1_iil
	.p2align	8
	.type	_ZN9rocsolver6v33100L18trti2_kernel_smallILi15E19rocblas_complex_numIfEPKPS3_EEv13rocblas_fill_17rocblas_diagonal_T1_iil,@function
_ZN9rocsolver6v33100L18trti2_kernel_smallILi15E19rocblas_complex_numIfEPKPS3_EEv13rocblas_fill_17rocblas_diagonal_T1_iil: ; @_ZN9rocsolver6v33100L18trti2_kernel_smallILi15E19rocblas_complex_numIfEPKPS3_EEv13rocblas_fill_17rocblas_diagonal_T1_iil
; %bb.0:
	v_and_b32_e32 v38, 0x3ff, v0
	s_mov_b32 s4, exec_lo
	s_delay_alu instid0(VALU_DEP_1)
	v_cmpx_gt_u32_e32 15, v38
	s_cbranch_execz .LBB78_284
; %bb.1:
	s_load_b64 s[10:11], s[0:1], 0x4
	s_clause 0x1
	s_load_b64 s[8:9], s[2:3], 0x10
	s_load_b128 s[4:7], s[2:3], 0x0
	s_wait_xcnt 0x0
	s_bfe_u32 s0, ttmp6, 0x4000c
	s_and_b32 s1, ttmp6, 15
	s_add_co_i32 s0, s0, 1
	s_getreg_b32 s2, hwreg(HW_REG_IB_STS2, 6, 4)
	s_mul_i32 s0, ttmp9, s0
	v_bfe_u32 v1, v0, 10, 10
	s_add_co_i32 s0, s1, s0
	v_bfe_u32 v0, v0, 20, 10
	v_dual_mov_b32 v31, 0 :: v_dual_lshlrev_b32 v30, 3, v38
	s_wait_kmcnt 0x0
	s_lshr_b32 s10, s10, 16
	s_ashr_i32 s1, s8, 31
	s_cmp_eq_u32 s2, 0
	s_mul_i32 s10, s10, s11
	s_cselect_b32 s2, ttmp9, s0
	s_mov_b32 s0, s8
	s_ashr_i32 s3, s2, 31
	s_lshl_b64 s[0:1], s[0:1], 3
	s_lshl_b64 s[2:3], s[2:3], 3
	v_mul_u32_u24_e32 v1, s11, v1
	s_add_nc_u64 s[2:3], s[6:7], s[2:3]
	v_mul_u32_u24_e32 v2, s10, v38
	s_load_b64 s[2:3], s[2:3], 0x0
	s_delay_alu instid0(VALU_DEP_1) | instskip(NEXT) | instid1(VALU_DEP_1)
	v_add3_u32 v40, v2, v1, v0
	v_mul_lo_u32 v39, 0x78, v40
	s_delay_alu instid0(VALU_DEP_1)
	v_add_nc_u32_e32 v42, 0x100, v39
	s_wait_kmcnt 0x0
	s_add_nc_u64 s[2:3], s[2:3], s[0:1]
	s_mov_b32 s0, s9
	flat_load_b64 v[4:5], v38, s[2:3] scale_offset
	v_add_nc_u64_e32 v[0:1], s[2:3], v[30:31]
	s_ashr_i32 s1, s9, 31
	s_cmp_lg_u32 s5, 0x84
	s_cselect_b32 s5, -1, 0
	s_delay_alu instid0(SALU_CYCLE_1) | instskip(NEXT) | instid1(VALU_DEP_1)
	s_and_b32 vcc_lo, exec_lo, s5
	v_lshl_add_u64 v[2:3], s[0:1], 3, v[0:1]
	s_mov_b32 s0, -1
	s_wait_loadcnt_dscnt 0x0
	ds_store_b64 v39, v[4:5] offset:256
	flat_load_b64 v[6:7], v[2:3]
	v_add3_u32 v4, s9, s9, v38
	s_wait_loadcnt_dscnt 0x0
	ds_store_b64 v39, v[6:7] offset:264
	flat_load_b64 v[8:9], v4, s[2:3] scale_offset
	v_add_nc_u32_e32 v6, s9, v4
	s_wait_loadcnt_dscnt 0x0
	ds_store_b64 v39, v[8:9] offset:272
	flat_load_b64 v[10:11], v6, s[2:3] scale_offset
	v_add_nc_u32_e32 v8, s9, v6
	;; [unrolled: 4-line block ×12, first 2 shown]
	s_wait_loadcnt_dscnt 0x0
	ds_store_b64 v39, v[32:33] offset:360
	flat_load_b64 v[32:33], v28, s[2:3] scale_offset
	s_wait_loadcnt_dscnt 0x0
	ds_store_b64 v39, v[32:33] offset:368
	s_cbranch_vccz .LBB78_7
; %bb.2:
	v_lshl_add_u32 v5, v38, 3, v42
                                        ; implicit-def: $vgpr37
                                        ; implicit-def: $vgpr34
	ds_load_b64 v[32:33], v5
	s_wait_dscnt 0x0
	v_cmp_ngt_f32_e64 s0, |v32|, |v33|
	s_and_saveexec_b32 s1, s0
	s_delay_alu instid0(SALU_CYCLE_1)
	s_xor_b32 s0, exec_lo, s1
	s_cbranch_execz .LBB78_4
; %bb.3:
	v_div_scale_f32 v7, null, v33, v33, v32
	v_div_scale_f32 v13, vcc_lo, v32, v33, v32
	s_delay_alu instid0(VALU_DEP_2) | instskip(SKIP_1) | instid1(TRANS32_DEP_1)
	v_rcp_f32_e32 v9, v7
	v_nop
	v_fma_f32 v11, -v7, v9, 1.0
	s_delay_alu instid0(VALU_DEP_1) | instskip(NEXT) | instid1(VALU_DEP_1)
	v_fmac_f32_e32 v9, v11, v9
	v_mul_f32_e32 v11, v13, v9
	s_delay_alu instid0(VALU_DEP_1) | instskip(NEXT) | instid1(VALU_DEP_1)
	v_fma_f32 v15, -v7, v11, v13
	v_fmac_f32_e32 v11, v15, v9
	s_delay_alu instid0(VALU_DEP_1) | instskip(NEXT) | instid1(VALU_DEP_1)
	v_fma_f32 v7, -v7, v11, v13
	v_div_fmas_f32 v7, v7, v9, v11
	s_delay_alu instid0(VALU_DEP_1) | instskip(NEXT) | instid1(VALU_DEP_1)
	v_div_fixup_f32 v7, v7, v33, v32
	v_fmac_f32_e32 v33, v32, v7
	s_delay_alu instid0(VALU_DEP_1) | instskip(NEXT) | instid1(VALU_DEP_1)
	v_div_scale_f32 v9, null, v33, v33, -1.0
	v_rcp_f32_e32 v11, v9
	v_nop
	s_delay_alu instid0(TRANS32_DEP_1) | instskip(NEXT) | instid1(VALU_DEP_1)
	v_fma_f32 v13, -v9, v11, 1.0
	v_fmac_f32_e32 v11, v13, v11
	v_div_scale_f32 v13, vcc_lo, -1.0, v33, -1.0
	s_delay_alu instid0(VALU_DEP_1) | instskip(NEXT) | instid1(VALU_DEP_1)
	v_mul_f32_e32 v15, v13, v11
	v_fma_f32 v17, -v9, v15, v13
	s_delay_alu instid0(VALU_DEP_1) | instskip(NEXT) | instid1(VALU_DEP_1)
	v_fmac_f32_e32 v15, v17, v11
	v_fma_f32 v9, -v9, v15, v13
	s_delay_alu instid0(VALU_DEP_1) | instskip(NEXT) | instid1(VALU_DEP_1)
	v_div_fmas_f32 v9, v9, v11, v15
	v_div_fixup_f32 v37, v9, v33, -1.0
                                        ; implicit-def: $vgpr32_vgpr33
	s_delay_alu instid0(VALU_DEP_1) | instskip(NEXT) | instid1(VALU_DEP_1)
	v_mul_f32_e32 v34, v7, v37
	v_xor_b32_e32 v36, 0x80000000, v34
.LBB78_4:
	s_and_not1_saveexec_b32 s0, s0
	s_cbranch_execz .LBB78_6
; %bb.5:
	v_div_scale_f32 v7, null, v32, v32, v33
	v_div_scale_f32 v13, vcc_lo, v33, v32, v33
	s_delay_alu instid0(VALU_DEP_2) | instskip(SKIP_1) | instid1(TRANS32_DEP_1)
	v_rcp_f32_e32 v9, v7
	v_nop
	v_fma_f32 v11, -v7, v9, 1.0
	s_delay_alu instid0(VALU_DEP_1) | instskip(NEXT) | instid1(VALU_DEP_1)
	v_fmac_f32_e32 v9, v11, v9
	v_mul_f32_e32 v11, v13, v9
	s_delay_alu instid0(VALU_DEP_1) | instskip(NEXT) | instid1(VALU_DEP_1)
	v_fma_f32 v15, -v7, v11, v13
	v_fmac_f32_e32 v11, v15, v9
	s_delay_alu instid0(VALU_DEP_1) | instskip(NEXT) | instid1(VALU_DEP_1)
	v_fma_f32 v7, -v7, v11, v13
	v_div_fmas_f32 v7, v7, v9, v11
	s_delay_alu instid0(VALU_DEP_1) | instskip(NEXT) | instid1(VALU_DEP_1)
	v_div_fixup_f32 v7, v7, v32, v33
	v_fmac_f32_e32 v32, v33, v7
	s_delay_alu instid0(VALU_DEP_1) | instskip(SKIP_1) | instid1(VALU_DEP_2)
	v_div_scale_f32 v9, null, v32, v32, 1.0
	v_div_scale_f32 v15, vcc_lo, 1.0, v32, 1.0
	v_rcp_f32_e32 v11, v9
	v_nop
	s_delay_alu instid0(TRANS32_DEP_1) | instskip(NEXT) | instid1(VALU_DEP_1)
	v_fma_f32 v13, -v9, v11, 1.0
	v_fmac_f32_e32 v11, v13, v11
	s_delay_alu instid0(VALU_DEP_1) | instskip(NEXT) | instid1(VALU_DEP_1)
	v_mul_f32_e32 v13, v15, v11
	v_fma_f32 v17, -v9, v13, v15
	s_delay_alu instid0(VALU_DEP_1) | instskip(NEXT) | instid1(VALU_DEP_1)
	v_fmac_f32_e32 v13, v17, v11
	v_fma_f32 v9, -v9, v13, v15
	s_delay_alu instid0(VALU_DEP_1) | instskip(NEXT) | instid1(VALU_DEP_1)
	v_div_fmas_f32 v9, v9, v11, v13
	v_div_fixup_f32 v36, v9, v32, 1.0
	s_delay_alu instid0(VALU_DEP_1)
	v_xor_b32_e32 v34, 0x80000000, v36
	v_mul_f32_e64 v37, v7, -v36
.LBB78_6:
	s_or_b32 exec_lo, exec_lo, s0
	s_delay_alu instid0(VALU_DEP_1)
	v_xor_b32_e32 v35, 0x80000000, v37
	s_mov_b32 s0, 0
	ds_store_b64 v5, v[36:37]
	ds_store_b64 v30, v[34:35]
.LBB78_7:
	s_and_b32 vcc_lo, exec_lo, s0
	s_cbranch_vccz .LBB78_9
; %bb.8:
	s_mov_b64 s[0:1], 0xbf800000
	s_delay_alu instid0(SALU_CYCLE_1)
	v_mov_b64_e32 v[32:33], s[0:1]
	ds_store_b64 v30, v[32:33]
.LBB78_9:
	v_dual_ashrrev_i32 v5, 31, v4 :: v_dual_ashrrev_i32 v7, 31, v6
	v_dual_ashrrev_i32 v9, 31, v8 :: v_dual_ashrrev_i32 v11, 31, v10
	;; [unrolled: 1-line block ×6, first 2 shown]
	v_dual_ashrrev_i32 v29, 31, v28 :: v_dual_add_nc_u32 v34, v42, v30
	v_add_nc_u32_e32 v31, 0x80, v30
	s_cmp_eq_u32 s4, 0x79
	s_cbranch_scc1 .LBB78_13
; %bb.10:
	ds_load_b64 v[32:33], v42 offset:104
	v_cmp_eq_u32_e64 s0, 14, v38
	s_wait_dscnt 0x0
	ds_store_b64 v31, v[32:33]
	s_wait_dscnt 0x0
	s_barrier_signal -1
	s_barrier_wait -1
	s_and_saveexec_b32 s1, s0
	s_cbranch_execz .LBB78_17
; %bb.11:
	s_and_b32 vcc_lo, exec_lo, s5
	s_cbranch_vccz .LBB78_14
; %bb.12:
	ds_load_b64 v[32:33], v34
	ds_load_b64 v[36:37], v31
	s_wait_dscnt 0x0
	v_pk_mul_f32 v[44:45], v[36:37], v[32:33] op_sel:[1,1] op_sel_hi:[0,1]
	v_pk_mul_f32 v[46:47], v[36:37], v[32:33] op_sel_hi:[1,0]
	s_delay_alu instid0(VALU_DEP_2) | instskip(NEXT) | instid1(VALU_DEP_2)
	v_pk_fma_f32 v[32:33], v[36:37], v[32:33], v[44:45] op_sel_hi:[1,0,1]
	v_sub_f32_e32 v32, v46, v44
	s_cbranch_execz .LBB78_15
	s_branch .LBB78_16
.LBB78_13:
	s_mov_b32 s1, 0
                                        ; implicit-def: $vgpr43
                                        ; implicit-def: $vgpr44
	s_cbranch_execnz .LBB78_146
	s_branch .LBB78_281
.LBB78_14:
                                        ; implicit-def: $vgpr33
.LBB78_15:
	ds_load_b64 v[32:33], v31
.LBB78_16:
	s_wait_dscnt 0x0
	v_dual_mov_b32 v35, 0 :: v_dual_mov_b32 v44, v33
	v_mov_b32_e32 v45, v32
	ds_load_b64 v[36:37], v35 offset:104
	s_wait_dscnt 0x0
	v_pk_mul_f32 v[44:45], v[44:45], v[36:37] op_sel:[0,1]
	s_delay_alu instid0(VALU_DEP_1) | instskip(SKIP_1) | instid1(VALU_DEP_2)
	v_pk_fma_f32 v[46:47], v[32:33], v[36:37], v[44:45] op_sel_hi:[1,0,1]
	v_pk_fma_f32 v[32:33], v[32:33], v[36:37], v[44:45] neg_lo:[0,0,1] neg_hi:[0,0,1]
	v_mov_b32_e32 v33, v47
	ds_store_b64 v42, v[32:33] offset:104
.LBB78_17:
	s_or_b32 exec_lo, exec_lo, s1
	ds_load_b64 v[32:33], v42 offset:96
	v_cmp_lt_u32_e64 s1, 12, v38
	s_wait_dscnt 0x0
	ds_store_b64 v31, v[32:33]
	s_wait_dscnt 0x0
	s_barrier_signal -1
	s_barrier_wait -1
	s_and_saveexec_b32 s4, s1
	s_cbranch_execz .LBB78_25
; %bb.18:
	s_and_not1_b32 vcc_lo, exec_lo, s5
	s_cbranch_vccnz .LBB78_20
; %bb.19:
	ds_load_b64 v[32:33], v34
	ds_load_b64 v[36:37], v31
	s_wait_dscnt 0x0
	v_pk_mul_f32 v[44:45], v[36:37], v[32:33] op_sel:[1,1] op_sel_hi:[0,1]
	s_delay_alu instid0(VALU_DEP_1) | instskip(SKIP_1) | instid1(VALU_DEP_2)
	v_pk_fma_f32 v[46:47], v[36:37], v[32:33], v[44:45] op_sel_hi:[1,0,1]
	v_pk_fma_f32 v[32:33], v[36:37], v[32:33], v[44:45] neg_lo:[0,0,1] neg_hi:[0,0,1]
	v_mov_b32_e32 v33, v47
	s_cbranch_execz .LBB78_21
	s_branch .LBB78_22
.LBB78_20:
                                        ; implicit-def: $vgpr32_vgpr33
.LBB78_21:
	ds_load_b64 v[32:33], v31
.LBB78_22:
	s_and_saveexec_b32 s6, s0
	s_cbranch_execz .LBB78_24
; %bb.23:
	v_mov_b32_e32 v35, 0
	ds_load_b64 v[36:37], v42 offset:104
	ds_load_b64 v[44:45], v35 offset:232
	s_wait_dscnt 0x0
	v_pk_mul_f32 v[46:47], v[44:45], v[36:37] op_sel:[1,1] op_sel_hi:[0,1]
	s_delay_alu instid0(VALU_DEP_1) | instskip(SKIP_1) | instid1(VALU_DEP_2)
	v_pk_fma_f32 v[48:49], v[44:45], v[36:37], v[46:47] op_sel_hi:[1,0,1]
	v_pk_fma_f32 v[36:37], v[44:45], v[36:37], v[46:47] neg_lo:[0,0,1] neg_hi:[0,0,1]
	v_mov_b32_e32 v37, v49
	s_delay_alu instid0(VALU_DEP_1)
	v_pk_add_f32 v[32:33], v[32:33], v[36:37]
.LBB78_24:
	s_or_b32 exec_lo, exec_lo, s6
	v_mov_b32_e32 v35, 0
	ds_load_b64 v[36:37], v35 offset:96
	s_wait_dscnt 0x0
	v_pk_mul_f32 v[44:45], v[32:33], v[36:37] op_sel:[1,1] op_sel_hi:[0,1]
	s_delay_alu instid0(VALU_DEP_1) | instskip(SKIP_1) | instid1(VALU_DEP_2)
	v_pk_fma_f32 v[46:47], v[32:33], v[36:37], v[44:45] op_sel_hi:[1,0,1]
	v_pk_fma_f32 v[32:33], v[32:33], v[36:37], v[44:45] neg_lo:[0,0,1] neg_hi:[0,0,1]
	v_mov_b32_e32 v33, v47
	ds_store_b64 v42, v[32:33] offset:96
.LBB78_25:
	s_or_b32 exec_lo, exec_lo, s4
	ds_load_b64 v[32:33], v42 offset:88
	v_cmp_lt_u32_e64 s0, 11, v38
	s_wait_dscnt 0x0
	ds_store_b64 v31, v[32:33]
	s_wait_dscnt 0x0
	s_barrier_signal -1
	s_barrier_wait -1
	s_and_saveexec_b32 s4, s0
	s_cbranch_execz .LBB78_35
; %bb.26:
	s_and_not1_b32 vcc_lo, exec_lo, s5
	s_cbranch_vccnz .LBB78_28
; %bb.27:
	ds_load_b64 v[32:33], v34
	ds_load_b64 v[36:37], v31
	s_wait_dscnt 0x0
	v_pk_mul_f32 v[44:45], v[36:37], v[32:33] op_sel:[1,1] op_sel_hi:[0,1]
	s_delay_alu instid0(VALU_DEP_1) | instskip(SKIP_1) | instid1(VALU_DEP_2)
	v_pk_fma_f32 v[46:47], v[36:37], v[32:33], v[44:45] op_sel_hi:[1,0,1]
	v_pk_fma_f32 v[32:33], v[36:37], v[32:33], v[44:45] neg_lo:[0,0,1] neg_hi:[0,0,1]
	v_mov_b32_e32 v33, v47
	s_cbranch_execz .LBB78_29
	s_branch .LBB78_30
.LBB78_28:
                                        ; implicit-def: $vgpr32_vgpr33
.LBB78_29:
	ds_load_b64 v[32:33], v31
.LBB78_30:
	s_and_saveexec_b32 s6, s1
	s_cbranch_execz .LBB78_34
; %bb.31:
	s_movk_i32 s1, 0x78
	v_add_nc_u32_e32 v36, -12, v38
	v_mad_u32 v35, v40, s1, 0x160
	s_movk_i32 s7, 0xe0
	s_mov_b32 s1, 0
.LBB78_32:                              ; =>This Inner Loop Header: Depth=1
	s_delay_alu instid0(VALU_DEP_2)
	v_dual_mov_b32 v37, s7 :: v_dual_add_nc_u32 v36, -1, v36
	s_add_co_i32 s7, s7, 8
	ds_load_b64 v[44:45], v35
	ds_load_b64 v[46:47], v37
	v_add_nc_u32_e32 v35, 8, v35
	v_cmp_eq_u32_e32 vcc_lo, 0, v36
	s_or_b32 s1, vcc_lo, s1
	s_wait_dscnt 0x0
	v_pk_mul_f32 v[48:49], v[46:47], v[44:45] op_sel:[1,1] op_sel_hi:[0,1]
	s_delay_alu instid0(VALU_DEP_1) | instskip(SKIP_1) | instid1(VALU_DEP_2)
	v_pk_fma_f32 v[50:51], v[46:47], v[44:45], v[48:49] op_sel_hi:[1,0,1]
	v_pk_fma_f32 v[44:45], v[46:47], v[44:45], v[48:49] neg_lo:[0,0,1] neg_hi:[0,0,1]
	v_mov_b32_e32 v45, v51
	s_delay_alu instid0(VALU_DEP_1)
	v_pk_add_f32 v[32:33], v[32:33], v[44:45]
	s_and_not1_b32 exec_lo, exec_lo, s1
	s_cbranch_execnz .LBB78_32
; %bb.33:
	s_or_b32 exec_lo, exec_lo, s1
.LBB78_34:
	s_delay_alu instid0(SALU_CYCLE_1) | instskip(SKIP_4) | instid1(VALU_DEP_1)
	s_or_b32 exec_lo, exec_lo, s6
	v_mov_b32_e32 v35, 0
	ds_load_b64 v[36:37], v35 offset:88
	s_wait_dscnt 0x0
	v_pk_mul_f32 v[44:45], v[32:33], v[36:37] op_sel:[1,1] op_sel_hi:[0,1]
	v_pk_fma_f32 v[46:47], v[32:33], v[36:37], v[44:45] op_sel_hi:[1,0,1]
	v_pk_fma_f32 v[32:33], v[32:33], v[36:37], v[44:45] neg_lo:[0,0,1] neg_hi:[0,0,1]
	s_delay_alu instid0(VALU_DEP_2)
	v_mov_b32_e32 v33, v47
	ds_store_b64 v42, v[32:33] offset:88
.LBB78_35:
	s_or_b32 exec_lo, exec_lo, s4
	ds_load_b64 v[32:33], v42 offset:80
	v_cmp_lt_u32_e64 s1, 10, v38
	s_wait_dscnt 0x0
	ds_store_b64 v31, v[32:33]
	s_wait_dscnt 0x0
	s_barrier_signal -1
	s_barrier_wait -1
	s_and_saveexec_b32 s4, s1
	s_cbranch_execz .LBB78_45
; %bb.36:
	s_and_not1_b32 vcc_lo, exec_lo, s5
	s_cbranch_vccnz .LBB78_38
; %bb.37:
	ds_load_b64 v[32:33], v34
	ds_load_b64 v[36:37], v31
	s_wait_dscnt 0x0
	v_pk_mul_f32 v[44:45], v[36:37], v[32:33] op_sel:[1,1] op_sel_hi:[0,1]
	s_delay_alu instid0(VALU_DEP_1) | instskip(SKIP_1) | instid1(VALU_DEP_2)
	v_pk_fma_f32 v[46:47], v[36:37], v[32:33], v[44:45] op_sel_hi:[1,0,1]
	v_pk_fma_f32 v[32:33], v[36:37], v[32:33], v[44:45] neg_lo:[0,0,1] neg_hi:[0,0,1]
	v_mov_b32_e32 v33, v47
	s_cbranch_execz .LBB78_39
	s_branch .LBB78_40
.LBB78_38:
                                        ; implicit-def: $vgpr32_vgpr33
.LBB78_39:
	ds_load_b64 v[32:33], v31
.LBB78_40:
	s_and_saveexec_b32 s6, s0
	s_cbranch_execz .LBB78_44
; %bb.41:
	s_movk_i32 s0, 0x78
	v_add_nc_u32_e32 v36, -11, v38
	v_mad_u32 v35, v40, s0, 0x158
	s_movk_i32 s7, 0xd8
	s_mov_b32 s0, 0
.LBB78_42:                              ; =>This Inner Loop Header: Depth=1
	s_delay_alu instid0(VALU_DEP_2)
	v_dual_mov_b32 v37, s7 :: v_dual_add_nc_u32 v36, -1, v36
	s_add_co_i32 s7, s7, 8
	ds_load_b64 v[44:45], v35
	ds_load_b64 v[46:47], v37
	v_add_nc_u32_e32 v35, 8, v35
	v_cmp_eq_u32_e32 vcc_lo, 0, v36
	s_or_b32 s0, vcc_lo, s0
	s_wait_dscnt 0x0
	v_pk_mul_f32 v[48:49], v[46:47], v[44:45] op_sel:[1,1] op_sel_hi:[0,1]
	s_delay_alu instid0(VALU_DEP_1) | instskip(SKIP_1) | instid1(VALU_DEP_2)
	v_pk_fma_f32 v[50:51], v[46:47], v[44:45], v[48:49] op_sel_hi:[1,0,1]
	v_pk_fma_f32 v[44:45], v[46:47], v[44:45], v[48:49] neg_lo:[0,0,1] neg_hi:[0,0,1]
	v_mov_b32_e32 v45, v51
	s_delay_alu instid0(VALU_DEP_1)
	v_pk_add_f32 v[32:33], v[32:33], v[44:45]
	s_and_not1_b32 exec_lo, exec_lo, s0
	s_cbranch_execnz .LBB78_42
; %bb.43:
	s_or_b32 exec_lo, exec_lo, s0
.LBB78_44:
	s_delay_alu instid0(SALU_CYCLE_1) | instskip(SKIP_4) | instid1(VALU_DEP_1)
	s_or_b32 exec_lo, exec_lo, s6
	v_mov_b32_e32 v35, 0
	ds_load_b64 v[36:37], v35 offset:80
	s_wait_dscnt 0x0
	v_pk_mul_f32 v[44:45], v[32:33], v[36:37] op_sel:[1,1] op_sel_hi:[0,1]
	v_pk_fma_f32 v[46:47], v[32:33], v[36:37], v[44:45] op_sel_hi:[1,0,1]
	v_pk_fma_f32 v[32:33], v[32:33], v[36:37], v[44:45] neg_lo:[0,0,1] neg_hi:[0,0,1]
	s_delay_alu instid0(VALU_DEP_2)
	v_mov_b32_e32 v33, v47
	ds_store_b64 v42, v[32:33] offset:80
.LBB78_45:
	s_or_b32 exec_lo, exec_lo, s4
	ds_load_b64 v[32:33], v42 offset:72
	v_cmp_lt_u32_e64 s0, 9, v38
	s_wait_dscnt 0x0
	ds_store_b64 v31, v[32:33]
	s_wait_dscnt 0x0
	s_barrier_signal -1
	s_barrier_wait -1
	s_and_saveexec_b32 s4, s0
	s_cbranch_execz .LBB78_55
; %bb.46:
	s_and_not1_b32 vcc_lo, exec_lo, s5
	s_cbranch_vccnz .LBB78_48
; %bb.47:
	ds_load_b64 v[32:33], v34
	ds_load_b64 v[36:37], v31
	s_wait_dscnt 0x0
	v_pk_mul_f32 v[44:45], v[36:37], v[32:33] op_sel:[1,1] op_sel_hi:[0,1]
	s_delay_alu instid0(VALU_DEP_1) | instskip(SKIP_1) | instid1(VALU_DEP_2)
	v_pk_fma_f32 v[46:47], v[36:37], v[32:33], v[44:45] op_sel_hi:[1,0,1]
	v_pk_fma_f32 v[32:33], v[36:37], v[32:33], v[44:45] neg_lo:[0,0,1] neg_hi:[0,0,1]
	v_mov_b32_e32 v33, v47
	s_cbranch_execz .LBB78_49
	s_branch .LBB78_50
.LBB78_48:
                                        ; implicit-def: $vgpr32_vgpr33
.LBB78_49:
	ds_load_b64 v[32:33], v31
.LBB78_50:
	s_and_saveexec_b32 s6, s1
	s_cbranch_execz .LBB78_54
; %bb.51:
	s_movk_i32 s1, 0x78
	v_add_nc_u32_e32 v36, -10, v38
	v_mad_u32 v35, v40, s1, 0x150
	s_movk_i32 s7, 0xd0
	s_mov_b32 s1, 0
.LBB78_52:                              ; =>This Inner Loop Header: Depth=1
	s_delay_alu instid0(VALU_DEP_2)
	v_dual_mov_b32 v37, s7 :: v_dual_add_nc_u32 v36, -1, v36
	s_add_co_i32 s7, s7, 8
	ds_load_b64 v[44:45], v35
	ds_load_b64 v[46:47], v37
	v_add_nc_u32_e32 v35, 8, v35
	v_cmp_eq_u32_e32 vcc_lo, 0, v36
	s_or_b32 s1, vcc_lo, s1
	s_wait_dscnt 0x0
	v_pk_mul_f32 v[48:49], v[46:47], v[44:45] op_sel:[1,1] op_sel_hi:[0,1]
	s_delay_alu instid0(VALU_DEP_1) | instskip(SKIP_1) | instid1(VALU_DEP_2)
	v_pk_fma_f32 v[50:51], v[46:47], v[44:45], v[48:49] op_sel_hi:[1,0,1]
	v_pk_fma_f32 v[44:45], v[46:47], v[44:45], v[48:49] neg_lo:[0,0,1] neg_hi:[0,0,1]
	v_mov_b32_e32 v45, v51
	s_delay_alu instid0(VALU_DEP_1)
	v_pk_add_f32 v[32:33], v[32:33], v[44:45]
	s_and_not1_b32 exec_lo, exec_lo, s1
	s_cbranch_execnz .LBB78_52
; %bb.53:
	s_or_b32 exec_lo, exec_lo, s1
.LBB78_54:
	s_delay_alu instid0(SALU_CYCLE_1) | instskip(SKIP_4) | instid1(VALU_DEP_1)
	s_or_b32 exec_lo, exec_lo, s6
	v_mov_b32_e32 v35, 0
	ds_load_b64 v[36:37], v35 offset:72
	s_wait_dscnt 0x0
	v_pk_mul_f32 v[44:45], v[32:33], v[36:37] op_sel:[1,1] op_sel_hi:[0,1]
	v_pk_fma_f32 v[46:47], v[32:33], v[36:37], v[44:45] op_sel_hi:[1,0,1]
	v_pk_fma_f32 v[32:33], v[32:33], v[36:37], v[44:45] neg_lo:[0,0,1] neg_hi:[0,0,1]
	s_delay_alu instid0(VALU_DEP_2)
	v_mov_b32_e32 v33, v47
	ds_store_b64 v42, v[32:33] offset:72
.LBB78_55:
	s_or_b32 exec_lo, exec_lo, s4
	ds_load_b64 v[32:33], v42 offset:64
	v_cmp_lt_u32_e64 s1, 8, v38
	s_wait_dscnt 0x0
	ds_store_b64 v31, v[32:33]
	s_wait_dscnt 0x0
	s_barrier_signal -1
	s_barrier_wait -1
	s_and_saveexec_b32 s4, s1
	s_cbranch_execz .LBB78_65
; %bb.56:
	s_and_not1_b32 vcc_lo, exec_lo, s5
	s_cbranch_vccnz .LBB78_58
; %bb.57:
	ds_load_b64 v[32:33], v34
	ds_load_b64 v[36:37], v31
	s_wait_dscnt 0x0
	v_pk_mul_f32 v[44:45], v[36:37], v[32:33] op_sel:[1,1] op_sel_hi:[0,1]
	s_delay_alu instid0(VALU_DEP_1) | instskip(SKIP_1) | instid1(VALU_DEP_2)
	v_pk_fma_f32 v[46:47], v[36:37], v[32:33], v[44:45] op_sel_hi:[1,0,1]
	v_pk_fma_f32 v[32:33], v[36:37], v[32:33], v[44:45] neg_lo:[0,0,1] neg_hi:[0,0,1]
	v_mov_b32_e32 v33, v47
	s_cbranch_execz .LBB78_59
	s_branch .LBB78_60
.LBB78_58:
                                        ; implicit-def: $vgpr32_vgpr33
.LBB78_59:
	ds_load_b64 v[32:33], v31
.LBB78_60:
	s_and_saveexec_b32 s6, s0
	s_cbranch_execz .LBB78_64
; %bb.61:
	s_movk_i32 s0, 0x78
	v_add_nc_u32_e32 v36, -9, v38
	v_mad_u32 v35, v40, s0, 0x148
	s_movk_i32 s7, 0xc8
	s_mov_b32 s0, 0
.LBB78_62:                              ; =>This Inner Loop Header: Depth=1
	s_delay_alu instid0(VALU_DEP_2)
	v_dual_mov_b32 v37, s7 :: v_dual_add_nc_u32 v36, -1, v36
	s_add_co_i32 s7, s7, 8
	ds_load_b64 v[44:45], v35
	ds_load_b64 v[46:47], v37
	v_add_nc_u32_e32 v35, 8, v35
	v_cmp_eq_u32_e32 vcc_lo, 0, v36
	s_or_b32 s0, vcc_lo, s0
	s_wait_dscnt 0x0
	v_pk_mul_f32 v[48:49], v[46:47], v[44:45] op_sel:[1,1] op_sel_hi:[0,1]
	s_delay_alu instid0(VALU_DEP_1) | instskip(SKIP_1) | instid1(VALU_DEP_2)
	v_pk_fma_f32 v[50:51], v[46:47], v[44:45], v[48:49] op_sel_hi:[1,0,1]
	v_pk_fma_f32 v[44:45], v[46:47], v[44:45], v[48:49] neg_lo:[0,0,1] neg_hi:[0,0,1]
	v_mov_b32_e32 v45, v51
	s_delay_alu instid0(VALU_DEP_1)
	v_pk_add_f32 v[32:33], v[32:33], v[44:45]
	s_and_not1_b32 exec_lo, exec_lo, s0
	s_cbranch_execnz .LBB78_62
; %bb.63:
	s_or_b32 exec_lo, exec_lo, s0
.LBB78_64:
	s_delay_alu instid0(SALU_CYCLE_1) | instskip(SKIP_4) | instid1(VALU_DEP_1)
	s_or_b32 exec_lo, exec_lo, s6
	v_mov_b32_e32 v35, 0
	ds_load_b64 v[36:37], v35 offset:64
	s_wait_dscnt 0x0
	v_pk_mul_f32 v[44:45], v[32:33], v[36:37] op_sel:[1,1] op_sel_hi:[0,1]
	v_pk_fma_f32 v[46:47], v[32:33], v[36:37], v[44:45] op_sel_hi:[1,0,1]
	v_pk_fma_f32 v[32:33], v[32:33], v[36:37], v[44:45] neg_lo:[0,0,1] neg_hi:[0,0,1]
	s_delay_alu instid0(VALU_DEP_2)
	v_mov_b32_e32 v33, v47
	ds_store_b64 v42, v[32:33] offset:64
.LBB78_65:
	s_or_b32 exec_lo, exec_lo, s4
	ds_load_b64 v[32:33], v42 offset:56
	v_cmp_lt_u32_e64 s0, 7, v38
	s_wait_dscnt 0x0
	ds_store_b64 v31, v[32:33]
	s_wait_dscnt 0x0
	s_barrier_signal -1
	s_barrier_wait -1
	s_and_saveexec_b32 s4, s0
	s_cbranch_execz .LBB78_75
; %bb.66:
	s_and_not1_b32 vcc_lo, exec_lo, s5
	s_cbranch_vccnz .LBB78_68
; %bb.67:
	ds_load_b64 v[32:33], v34
	ds_load_b64 v[36:37], v31
	s_wait_dscnt 0x0
	v_pk_mul_f32 v[44:45], v[36:37], v[32:33] op_sel:[1,1] op_sel_hi:[0,1]
	s_delay_alu instid0(VALU_DEP_1) | instskip(SKIP_1) | instid1(VALU_DEP_2)
	v_pk_fma_f32 v[46:47], v[36:37], v[32:33], v[44:45] op_sel_hi:[1,0,1]
	v_pk_fma_f32 v[32:33], v[36:37], v[32:33], v[44:45] neg_lo:[0,0,1] neg_hi:[0,0,1]
	v_mov_b32_e32 v33, v47
	s_cbranch_execz .LBB78_69
	s_branch .LBB78_70
.LBB78_68:
                                        ; implicit-def: $vgpr32_vgpr33
.LBB78_69:
	ds_load_b64 v[32:33], v31
.LBB78_70:
	s_and_saveexec_b32 s6, s1
	s_cbranch_execz .LBB78_74
; %bb.71:
	s_movk_i32 s1, 0x78
	v_add_nc_u32_e32 v36, -8, v38
	v_mad_u32 v35, v40, s1, 0x140
	s_movk_i32 s7, 0xc0
	s_mov_b32 s1, 0
.LBB78_72:                              ; =>This Inner Loop Header: Depth=1
	s_delay_alu instid0(VALU_DEP_2)
	v_dual_mov_b32 v37, s7 :: v_dual_add_nc_u32 v36, -1, v36
	s_add_co_i32 s7, s7, 8
	ds_load_b64 v[44:45], v35
	ds_load_b64 v[46:47], v37
	v_add_nc_u32_e32 v35, 8, v35
	v_cmp_eq_u32_e32 vcc_lo, 0, v36
	s_or_b32 s1, vcc_lo, s1
	s_wait_dscnt 0x0
	v_pk_mul_f32 v[48:49], v[46:47], v[44:45] op_sel:[1,1] op_sel_hi:[0,1]
	s_delay_alu instid0(VALU_DEP_1) | instskip(SKIP_1) | instid1(VALU_DEP_2)
	v_pk_fma_f32 v[50:51], v[46:47], v[44:45], v[48:49] op_sel_hi:[1,0,1]
	v_pk_fma_f32 v[44:45], v[46:47], v[44:45], v[48:49] neg_lo:[0,0,1] neg_hi:[0,0,1]
	v_mov_b32_e32 v45, v51
	s_delay_alu instid0(VALU_DEP_1)
	v_pk_add_f32 v[32:33], v[32:33], v[44:45]
	s_and_not1_b32 exec_lo, exec_lo, s1
	s_cbranch_execnz .LBB78_72
; %bb.73:
	s_or_b32 exec_lo, exec_lo, s1
.LBB78_74:
	s_delay_alu instid0(SALU_CYCLE_1) | instskip(SKIP_4) | instid1(VALU_DEP_1)
	s_or_b32 exec_lo, exec_lo, s6
	v_mov_b32_e32 v35, 0
	ds_load_b64 v[36:37], v35 offset:56
	s_wait_dscnt 0x0
	v_pk_mul_f32 v[44:45], v[32:33], v[36:37] op_sel:[1,1] op_sel_hi:[0,1]
	v_pk_fma_f32 v[46:47], v[32:33], v[36:37], v[44:45] op_sel_hi:[1,0,1]
	v_pk_fma_f32 v[32:33], v[32:33], v[36:37], v[44:45] neg_lo:[0,0,1] neg_hi:[0,0,1]
	s_delay_alu instid0(VALU_DEP_2)
	v_mov_b32_e32 v33, v47
	ds_store_b64 v42, v[32:33] offset:56
.LBB78_75:
	s_or_b32 exec_lo, exec_lo, s4
	ds_load_b64 v[32:33], v42 offset:48
	v_cmp_lt_u32_e64 s1, 6, v38
	s_wait_dscnt 0x0
	ds_store_b64 v31, v[32:33]
	s_wait_dscnt 0x0
	s_barrier_signal -1
	s_barrier_wait -1
	s_and_saveexec_b32 s4, s1
	s_cbranch_execz .LBB78_85
; %bb.76:
	s_and_not1_b32 vcc_lo, exec_lo, s5
	s_cbranch_vccnz .LBB78_78
; %bb.77:
	ds_load_b64 v[32:33], v34
	ds_load_b64 v[36:37], v31
	s_wait_dscnt 0x0
	v_pk_mul_f32 v[44:45], v[36:37], v[32:33] op_sel:[1,1] op_sel_hi:[0,1]
	s_delay_alu instid0(VALU_DEP_1) | instskip(SKIP_1) | instid1(VALU_DEP_2)
	v_pk_fma_f32 v[46:47], v[36:37], v[32:33], v[44:45] op_sel_hi:[1,0,1]
	v_pk_fma_f32 v[32:33], v[36:37], v[32:33], v[44:45] neg_lo:[0,0,1] neg_hi:[0,0,1]
	v_mov_b32_e32 v33, v47
	s_cbranch_execz .LBB78_79
	s_branch .LBB78_80
.LBB78_78:
                                        ; implicit-def: $vgpr32_vgpr33
.LBB78_79:
	ds_load_b64 v[32:33], v31
.LBB78_80:
	s_and_saveexec_b32 s6, s0
	s_cbranch_execz .LBB78_84
; %bb.81:
	s_movk_i32 s0, 0x78
	v_add_nc_u32_e32 v36, -7, v38
	v_mad_u32 v35, v40, s0, 0x138
	s_movk_i32 s7, 0xb8
	s_mov_b32 s0, 0
.LBB78_82:                              ; =>This Inner Loop Header: Depth=1
	s_delay_alu instid0(VALU_DEP_2)
	v_dual_mov_b32 v37, s7 :: v_dual_add_nc_u32 v36, -1, v36
	s_add_co_i32 s7, s7, 8
	ds_load_b64 v[44:45], v35
	ds_load_b64 v[46:47], v37
	v_add_nc_u32_e32 v35, 8, v35
	v_cmp_eq_u32_e32 vcc_lo, 0, v36
	s_or_b32 s0, vcc_lo, s0
	s_wait_dscnt 0x0
	v_pk_mul_f32 v[48:49], v[46:47], v[44:45] op_sel:[1,1] op_sel_hi:[0,1]
	s_delay_alu instid0(VALU_DEP_1) | instskip(SKIP_1) | instid1(VALU_DEP_2)
	v_pk_fma_f32 v[50:51], v[46:47], v[44:45], v[48:49] op_sel_hi:[1,0,1]
	v_pk_fma_f32 v[44:45], v[46:47], v[44:45], v[48:49] neg_lo:[0,0,1] neg_hi:[0,0,1]
	v_mov_b32_e32 v45, v51
	s_delay_alu instid0(VALU_DEP_1)
	v_pk_add_f32 v[32:33], v[32:33], v[44:45]
	s_and_not1_b32 exec_lo, exec_lo, s0
	s_cbranch_execnz .LBB78_82
; %bb.83:
	s_or_b32 exec_lo, exec_lo, s0
.LBB78_84:
	s_delay_alu instid0(SALU_CYCLE_1) | instskip(SKIP_4) | instid1(VALU_DEP_1)
	s_or_b32 exec_lo, exec_lo, s6
	v_mov_b32_e32 v35, 0
	ds_load_b64 v[36:37], v35 offset:48
	s_wait_dscnt 0x0
	v_pk_mul_f32 v[44:45], v[32:33], v[36:37] op_sel:[1,1] op_sel_hi:[0,1]
	v_pk_fma_f32 v[46:47], v[32:33], v[36:37], v[44:45] op_sel_hi:[1,0,1]
	v_pk_fma_f32 v[32:33], v[32:33], v[36:37], v[44:45] neg_lo:[0,0,1] neg_hi:[0,0,1]
	s_delay_alu instid0(VALU_DEP_2)
	v_mov_b32_e32 v33, v47
	ds_store_b64 v42, v[32:33] offset:48
.LBB78_85:
	s_or_b32 exec_lo, exec_lo, s4
	ds_load_b64 v[32:33], v42 offset:40
	v_cmp_lt_u32_e64 s0, 5, v38
	s_wait_dscnt 0x0
	ds_store_b64 v31, v[32:33]
	s_wait_dscnt 0x0
	s_barrier_signal -1
	s_barrier_wait -1
	s_and_saveexec_b32 s4, s0
	s_cbranch_execz .LBB78_95
; %bb.86:
	s_and_not1_b32 vcc_lo, exec_lo, s5
	s_cbranch_vccnz .LBB78_88
; %bb.87:
	ds_load_b64 v[32:33], v34
	ds_load_b64 v[36:37], v31
	s_wait_dscnt 0x0
	v_pk_mul_f32 v[44:45], v[36:37], v[32:33] op_sel:[1,1] op_sel_hi:[0,1]
	s_delay_alu instid0(VALU_DEP_1) | instskip(SKIP_1) | instid1(VALU_DEP_2)
	v_pk_fma_f32 v[46:47], v[36:37], v[32:33], v[44:45] op_sel_hi:[1,0,1]
	v_pk_fma_f32 v[32:33], v[36:37], v[32:33], v[44:45] neg_lo:[0,0,1] neg_hi:[0,0,1]
	v_mov_b32_e32 v33, v47
	s_cbranch_execz .LBB78_89
	s_branch .LBB78_90
.LBB78_88:
                                        ; implicit-def: $vgpr32_vgpr33
.LBB78_89:
	ds_load_b64 v[32:33], v31
.LBB78_90:
	s_and_saveexec_b32 s6, s1
	s_cbranch_execz .LBB78_94
; %bb.91:
	s_movk_i32 s1, 0x78
	v_add_nc_u32_e32 v36, -6, v38
	v_mad_u32 v35, v40, s1, 0x130
	s_movk_i32 s7, 0xb0
	s_mov_b32 s1, 0
.LBB78_92:                              ; =>This Inner Loop Header: Depth=1
	s_delay_alu instid0(VALU_DEP_2)
	v_dual_mov_b32 v37, s7 :: v_dual_add_nc_u32 v36, -1, v36
	s_add_co_i32 s7, s7, 8
	ds_load_b64 v[44:45], v35
	ds_load_b64 v[46:47], v37
	v_add_nc_u32_e32 v35, 8, v35
	v_cmp_eq_u32_e32 vcc_lo, 0, v36
	s_or_b32 s1, vcc_lo, s1
	s_wait_dscnt 0x0
	v_pk_mul_f32 v[48:49], v[46:47], v[44:45] op_sel:[1,1] op_sel_hi:[0,1]
	s_delay_alu instid0(VALU_DEP_1) | instskip(SKIP_1) | instid1(VALU_DEP_2)
	v_pk_fma_f32 v[50:51], v[46:47], v[44:45], v[48:49] op_sel_hi:[1,0,1]
	v_pk_fma_f32 v[44:45], v[46:47], v[44:45], v[48:49] neg_lo:[0,0,1] neg_hi:[0,0,1]
	v_mov_b32_e32 v45, v51
	s_delay_alu instid0(VALU_DEP_1)
	v_pk_add_f32 v[32:33], v[32:33], v[44:45]
	s_and_not1_b32 exec_lo, exec_lo, s1
	s_cbranch_execnz .LBB78_92
; %bb.93:
	s_or_b32 exec_lo, exec_lo, s1
.LBB78_94:
	s_delay_alu instid0(SALU_CYCLE_1) | instskip(SKIP_4) | instid1(VALU_DEP_1)
	s_or_b32 exec_lo, exec_lo, s6
	v_mov_b32_e32 v35, 0
	ds_load_b64 v[36:37], v35 offset:40
	s_wait_dscnt 0x0
	v_pk_mul_f32 v[44:45], v[32:33], v[36:37] op_sel:[1,1] op_sel_hi:[0,1]
	v_pk_fma_f32 v[46:47], v[32:33], v[36:37], v[44:45] op_sel_hi:[1,0,1]
	v_pk_fma_f32 v[32:33], v[32:33], v[36:37], v[44:45] neg_lo:[0,0,1] neg_hi:[0,0,1]
	s_delay_alu instid0(VALU_DEP_2)
	v_mov_b32_e32 v33, v47
	ds_store_b64 v42, v[32:33] offset:40
.LBB78_95:
	s_or_b32 exec_lo, exec_lo, s4
	ds_load_b64 v[32:33], v42 offset:32
	v_cmp_lt_u32_e64 s1, 4, v38
	s_wait_dscnt 0x0
	ds_store_b64 v31, v[32:33]
	s_wait_dscnt 0x0
	s_barrier_signal -1
	s_barrier_wait -1
	s_and_saveexec_b32 s4, s1
	s_cbranch_execz .LBB78_105
; %bb.96:
	s_and_not1_b32 vcc_lo, exec_lo, s5
	s_cbranch_vccnz .LBB78_98
; %bb.97:
	ds_load_b64 v[32:33], v34
	ds_load_b64 v[36:37], v31
	s_wait_dscnt 0x0
	v_pk_mul_f32 v[44:45], v[36:37], v[32:33] op_sel:[1,1] op_sel_hi:[0,1]
	s_delay_alu instid0(VALU_DEP_1) | instskip(SKIP_1) | instid1(VALU_DEP_2)
	v_pk_fma_f32 v[46:47], v[36:37], v[32:33], v[44:45] op_sel_hi:[1,0,1]
	v_pk_fma_f32 v[32:33], v[36:37], v[32:33], v[44:45] neg_lo:[0,0,1] neg_hi:[0,0,1]
	v_mov_b32_e32 v33, v47
	s_cbranch_execz .LBB78_99
	s_branch .LBB78_100
.LBB78_98:
                                        ; implicit-def: $vgpr32_vgpr33
.LBB78_99:
	ds_load_b64 v[32:33], v31
.LBB78_100:
	s_and_saveexec_b32 s6, s0
	s_cbranch_execz .LBB78_104
; %bb.101:
	s_movk_i32 s0, 0x78
	v_add_nc_u32_e32 v36, -5, v38
	v_mad_u32 v35, v40, s0, 0x128
	s_movk_i32 s7, 0xa8
	s_mov_b32 s0, 0
.LBB78_102:                             ; =>This Inner Loop Header: Depth=1
	s_delay_alu instid0(VALU_DEP_2)
	v_dual_mov_b32 v37, s7 :: v_dual_add_nc_u32 v36, -1, v36
	s_add_co_i32 s7, s7, 8
	ds_load_b64 v[44:45], v35
	ds_load_b64 v[46:47], v37
	v_add_nc_u32_e32 v35, 8, v35
	v_cmp_eq_u32_e32 vcc_lo, 0, v36
	s_or_b32 s0, vcc_lo, s0
	s_wait_dscnt 0x0
	v_pk_mul_f32 v[48:49], v[46:47], v[44:45] op_sel:[1,1] op_sel_hi:[0,1]
	s_delay_alu instid0(VALU_DEP_1) | instskip(SKIP_1) | instid1(VALU_DEP_2)
	v_pk_fma_f32 v[50:51], v[46:47], v[44:45], v[48:49] op_sel_hi:[1,0,1]
	v_pk_fma_f32 v[44:45], v[46:47], v[44:45], v[48:49] neg_lo:[0,0,1] neg_hi:[0,0,1]
	v_mov_b32_e32 v45, v51
	s_delay_alu instid0(VALU_DEP_1)
	v_pk_add_f32 v[32:33], v[32:33], v[44:45]
	s_and_not1_b32 exec_lo, exec_lo, s0
	s_cbranch_execnz .LBB78_102
; %bb.103:
	s_or_b32 exec_lo, exec_lo, s0
.LBB78_104:
	s_delay_alu instid0(SALU_CYCLE_1) | instskip(SKIP_4) | instid1(VALU_DEP_1)
	s_or_b32 exec_lo, exec_lo, s6
	v_mov_b32_e32 v35, 0
	ds_load_b64 v[36:37], v35 offset:32
	s_wait_dscnt 0x0
	v_pk_mul_f32 v[44:45], v[32:33], v[36:37] op_sel:[1,1] op_sel_hi:[0,1]
	v_pk_fma_f32 v[46:47], v[32:33], v[36:37], v[44:45] op_sel_hi:[1,0,1]
	v_pk_fma_f32 v[32:33], v[32:33], v[36:37], v[44:45] neg_lo:[0,0,1] neg_hi:[0,0,1]
	s_delay_alu instid0(VALU_DEP_2)
	v_mov_b32_e32 v33, v47
	ds_store_b64 v42, v[32:33] offset:32
.LBB78_105:
	s_or_b32 exec_lo, exec_lo, s4
	ds_load_b64 v[32:33], v42 offset:24
	v_cmp_lt_u32_e64 s0, 3, v38
	s_wait_dscnt 0x0
	ds_store_b64 v31, v[32:33]
	s_wait_dscnt 0x0
	s_barrier_signal -1
	s_barrier_wait -1
	s_and_saveexec_b32 s4, s0
	s_cbranch_execz .LBB78_115
; %bb.106:
	s_and_not1_b32 vcc_lo, exec_lo, s5
	s_cbranch_vccnz .LBB78_108
; %bb.107:
	ds_load_b64 v[32:33], v34
	ds_load_b64 v[36:37], v31
	s_wait_dscnt 0x0
	v_pk_mul_f32 v[44:45], v[36:37], v[32:33] op_sel:[1,1] op_sel_hi:[0,1]
	s_delay_alu instid0(VALU_DEP_1) | instskip(SKIP_1) | instid1(VALU_DEP_2)
	v_pk_fma_f32 v[46:47], v[36:37], v[32:33], v[44:45] op_sel_hi:[1,0,1]
	v_pk_fma_f32 v[32:33], v[36:37], v[32:33], v[44:45] neg_lo:[0,0,1] neg_hi:[0,0,1]
	v_mov_b32_e32 v33, v47
	s_cbranch_execz .LBB78_109
	s_branch .LBB78_110
.LBB78_108:
                                        ; implicit-def: $vgpr32_vgpr33
.LBB78_109:
	ds_load_b64 v[32:33], v31
.LBB78_110:
	s_and_saveexec_b32 s6, s1
	s_cbranch_execz .LBB78_114
; %bb.111:
	s_movk_i32 s1, 0x78
	v_add_nc_u32_e32 v36, -4, v38
	v_mad_u32 v35, v40, s1, 0x120
	s_movk_i32 s7, 0xa0
	s_mov_b32 s1, 0
.LBB78_112:                             ; =>This Inner Loop Header: Depth=1
	s_delay_alu instid0(VALU_DEP_2)
	v_dual_mov_b32 v37, s7 :: v_dual_add_nc_u32 v36, -1, v36
	s_add_co_i32 s7, s7, 8
	ds_load_b64 v[44:45], v35
	ds_load_b64 v[46:47], v37
	v_add_nc_u32_e32 v35, 8, v35
	v_cmp_eq_u32_e32 vcc_lo, 0, v36
	s_or_b32 s1, vcc_lo, s1
	s_wait_dscnt 0x0
	v_pk_mul_f32 v[48:49], v[46:47], v[44:45] op_sel:[1,1] op_sel_hi:[0,1]
	s_delay_alu instid0(VALU_DEP_1) | instskip(SKIP_1) | instid1(VALU_DEP_2)
	v_pk_fma_f32 v[50:51], v[46:47], v[44:45], v[48:49] op_sel_hi:[1,0,1]
	v_pk_fma_f32 v[44:45], v[46:47], v[44:45], v[48:49] neg_lo:[0,0,1] neg_hi:[0,0,1]
	v_mov_b32_e32 v45, v51
	s_delay_alu instid0(VALU_DEP_1)
	v_pk_add_f32 v[32:33], v[32:33], v[44:45]
	s_and_not1_b32 exec_lo, exec_lo, s1
	s_cbranch_execnz .LBB78_112
; %bb.113:
	s_or_b32 exec_lo, exec_lo, s1
.LBB78_114:
	s_delay_alu instid0(SALU_CYCLE_1) | instskip(SKIP_4) | instid1(VALU_DEP_1)
	s_or_b32 exec_lo, exec_lo, s6
	v_mov_b32_e32 v35, 0
	ds_load_b64 v[36:37], v35 offset:24
	s_wait_dscnt 0x0
	v_pk_mul_f32 v[44:45], v[32:33], v[36:37] op_sel:[1,1] op_sel_hi:[0,1]
	v_pk_fma_f32 v[46:47], v[32:33], v[36:37], v[44:45] op_sel_hi:[1,0,1]
	v_pk_fma_f32 v[32:33], v[32:33], v[36:37], v[44:45] neg_lo:[0,0,1] neg_hi:[0,0,1]
	s_delay_alu instid0(VALU_DEP_2)
	v_mov_b32_e32 v33, v47
	ds_store_b64 v42, v[32:33] offset:24
.LBB78_115:
	s_or_b32 exec_lo, exec_lo, s4
	ds_load_b64 v[32:33], v42 offset:16
	v_cmp_lt_u32_e64 s1, 2, v38
	s_wait_dscnt 0x0
	ds_store_b64 v31, v[32:33]
	s_wait_dscnt 0x0
	s_barrier_signal -1
	s_barrier_wait -1
	s_and_saveexec_b32 s4, s1
	s_cbranch_execz .LBB78_125
; %bb.116:
	s_and_not1_b32 vcc_lo, exec_lo, s5
	s_cbranch_vccnz .LBB78_118
; %bb.117:
	ds_load_b64 v[32:33], v34
	ds_load_b64 v[36:37], v31
	s_wait_dscnt 0x0
	v_pk_mul_f32 v[44:45], v[36:37], v[32:33] op_sel:[1,1] op_sel_hi:[0,1]
	s_delay_alu instid0(VALU_DEP_1) | instskip(SKIP_1) | instid1(VALU_DEP_2)
	v_pk_fma_f32 v[46:47], v[36:37], v[32:33], v[44:45] op_sel_hi:[1,0,1]
	v_pk_fma_f32 v[32:33], v[36:37], v[32:33], v[44:45] neg_lo:[0,0,1] neg_hi:[0,0,1]
	v_mov_b32_e32 v33, v47
	s_cbranch_execz .LBB78_119
	s_branch .LBB78_120
.LBB78_118:
                                        ; implicit-def: $vgpr32_vgpr33
.LBB78_119:
	ds_load_b64 v[32:33], v31
.LBB78_120:
	s_and_saveexec_b32 s6, s0
	s_cbranch_execz .LBB78_124
; %bb.121:
	s_movk_i32 s0, 0x78
	v_add_nc_u32_e32 v36, -3, v38
	v_mad_u32 v35, v40, s0, 0x118
	s_movk_i32 s7, 0x98
	s_mov_b32 s0, 0
.LBB78_122:                             ; =>This Inner Loop Header: Depth=1
	s_delay_alu instid0(VALU_DEP_2)
	v_dual_mov_b32 v37, s7 :: v_dual_add_nc_u32 v36, -1, v36
	s_add_co_i32 s7, s7, 8
	ds_load_b64 v[44:45], v35
	ds_load_b64 v[46:47], v37
	v_add_nc_u32_e32 v35, 8, v35
	v_cmp_eq_u32_e32 vcc_lo, 0, v36
	s_or_b32 s0, vcc_lo, s0
	s_wait_dscnt 0x0
	v_pk_mul_f32 v[48:49], v[46:47], v[44:45] op_sel:[1,1] op_sel_hi:[0,1]
	s_delay_alu instid0(VALU_DEP_1) | instskip(SKIP_1) | instid1(VALU_DEP_2)
	v_pk_fma_f32 v[50:51], v[46:47], v[44:45], v[48:49] op_sel_hi:[1,0,1]
	v_pk_fma_f32 v[44:45], v[46:47], v[44:45], v[48:49] neg_lo:[0,0,1] neg_hi:[0,0,1]
	v_mov_b32_e32 v45, v51
	s_delay_alu instid0(VALU_DEP_1)
	v_pk_add_f32 v[32:33], v[32:33], v[44:45]
	s_and_not1_b32 exec_lo, exec_lo, s0
	s_cbranch_execnz .LBB78_122
; %bb.123:
	s_or_b32 exec_lo, exec_lo, s0
.LBB78_124:
	s_delay_alu instid0(SALU_CYCLE_1) | instskip(SKIP_4) | instid1(VALU_DEP_1)
	s_or_b32 exec_lo, exec_lo, s6
	v_mov_b32_e32 v35, 0
	ds_load_b64 v[36:37], v35 offset:16
	s_wait_dscnt 0x0
	v_pk_mul_f32 v[44:45], v[32:33], v[36:37] op_sel:[1,1] op_sel_hi:[0,1]
	v_pk_fma_f32 v[46:47], v[32:33], v[36:37], v[44:45] op_sel_hi:[1,0,1]
	v_pk_fma_f32 v[32:33], v[32:33], v[36:37], v[44:45] neg_lo:[0,0,1] neg_hi:[0,0,1]
	s_delay_alu instid0(VALU_DEP_2)
	v_mov_b32_e32 v33, v47
	ds_store_b64 v42, v[32:33] offset:16
.LBB78_125:
	s_or_b32 exec_lo, exec_lo, s4
	ds_load_b64 v[32:33], v42 offset:8
	v_cmp_lt_u32_e64 s0, 1, v38
	s_wait_dscnt 0x0
	ds_store_b64 v31, v[32:33]
	s_wait_dscnt 0x0
	s_barrier_signal -1
	s_barrier_wait -1
	s_and_saveexec_b32 s4, s0
	s_cbranch_execz .LBB78_135
; %bb.126:
	s_and_not1_b32 vcc_lo, exec_lo, s5
	s_cbranch_vccnz .LBB78_128
; %bb.127:
	ds_load_b64 v[32:33], v34
	ds_load_b64 v[36:37], v31
	s_wait_dscnt 0x0
	v_pk_mul_f32 v[44:45], v[36:37], v[32:33] op_sel:[1,1] op_sel_hi:[0,1]
	s_delay_alu instid0(VALU_DEP_1) | instskip(SKIP_1) | instid1(VALU_DEP_2)
	v_pk_fma_f32 v[46:47], v[36:37], v[32:33], v[44:45] op_sel_hi:[1,0,1]
	v_pk_fma_f32 v[32:33], v[36:37], v[32:33], v[44:45] neg_lo:[0,0,1] neg_hi:[0,0,1]
	v_mov_b32_e32 v33, v47
	s_cbranch_execz .LBB78_129
	s_branch .LBB78_130
.LBB78_128:
                                        ; implicit-def: $vgpr32_vgpr33
.LBB78_129:
	ds_load_b64 v[32:33], v31
.LBB78_130:
	s_and_saveexec_b32 s6, s1
	s_cbranch_execz .LBB78_134
; %bb.131:
	s_movk_i32 s1, 0x78
	v_add_nc_u32_e32 v36, -2, v38
	v_mad_u32 v35, v40, s1, 0x110
	s_movk_i32 s7, 0x90
	s_mov_b32 s1, 0
.LBB78_132:                             ; =>This Inner Loop Header: Depth=1
	s_delay_alu instid0(VALU_DEP_2)
	v_dual_mov_b32 v37, s7 :: v_dual_add_nc_u32 v36, -1, v36
	s_add_co_i32 s7, s7, 8
	ds_load_b64 v[44:45], v35
	ds_load_b64 v[46:47], v37
	v_add_nc_u32_e32 v35, 8, v35
	v_cmp_eq_u32_e32 vcc_lo, 0, v36
	s_or_b32 s1, vcc_lo, s1
	s_wait_dscnt 0x0
	v_pk_mul_f32 v[48:49], v[46:47], v[44:45] op_sel:[1,1] op_sel_hi:[0,1]
	s_delay_alu instid0(VALU_DEP_1) | instskip(SKIP_1) | instid1(VALU_DEP_2)
	v_pk_fma_f32 v[50:51], v[46:47], v[44:45], v[48:49] op_sel_hi:[1,0,1]
	v_pk_fma_f32 v[44:45], v[46:47], v[44:45], v[48:49] neg_lo:[0,0,1] neg_hi:[0,0,1]
	v_mov_b32_e32 v45, v51
	s_delay_alu instid0(VALU_DEP_1)
	v_pk_add_f32 v[32:33], v[32:33], v[44:45]
	s_and_not1_b32 exec_lo, exec_lo, s1
	s_cbranch_execnz .LBB78_132
; %bb.133:
	s_or_b32 exec_lo, exec_lo, s1
.LBB78_134:
	s_delay_alu instid0(SALU_CYCLE_1) | instskip(SKIP_4) | instid1(VALU_DEP_1)
	s_or_b32 exec_lo, exec_lo, s6
	v_mov_b32_e32 v35, 0
	ds_load_b64 v[36:37], v35 offset:8
	s_wait_dscnt 0x0
	v_pk_mul_f32 v[44:45], v[32:33], v[36:37] op_sel:[1,1] op_sel_hi:[0,1]
	v_pk_fma_f32 v[46:47], v[32:33], v[36:37], v[44:45] op_sel_hi:[1,0,1]
	v_pk_fma_f32 v[32:33], v[32:33], v[36:37], v[44:45] neg_lo:[0,0,1] neg_hi:[0,0,1]
	s_delay_alu instid0(VALU_DEP_2)
	v_mov_b32_e32 v33, v47
	ds_store_b64 v42, v[32:33] offset:8
.LBB78_135:
	s_or_b32 exec_lo, exec_lo, s4
	ds_load_b64 v[32:33], v42
	s_mov_b32 s4, 0
	s_mov_b32 s1, 0
	s_mov_b32 s6, exec_lo
                                        ; implicit-def: $vgpr43
                                        ; implicit-def: $vgpr44
	s_wait_dscnt 0x0
	ds_store_b64 v31, v[32:33]
	s_wait_dscnt 0x0
	s_barrier_signal -1
	s_barrier_wait -1
	v_cmpx_ne_u32_e32 0, v38
	s_cbranch_execz .LBB78_145
; %bb.136:
	s_and_not1_b32 vcc_lo, exec_lo, s5
	s_cbranch_vccnz .LBB78_138
; %bb.137:
	ds_load_b64 v[36:37], v34
	ds_load_b64 v[44:45], v31
	s_wait_dscnt 0x0
	v_dual_mul_f32 v32, v45, v37 :: v_dual_mul_f32 v33, v44, v37
	s_delay_alu instid0(VALU_DEP_1)
	v_dual_fma_f32 v32, v44, v36, -v32 :: v_dual_fmac_f32 v33, v45, v36
	s_and_not1_b32 vcc_lo, exec_lo, s1
	s_cbranch_vccz .LBB78_139
	s_branch .LBB78_140
.LBB78_138:
                                        ; implicit-def: $vgpr32
.LBB78_139:
	ds_load_b64 v[32:33], v31
.LBB78_140:
	s_and_saveexec_b32 s1, s0
	s_cbranch_execz .LBB78_144
; %bb.141:
	s_movk_i32 s0, 0x78
	v_add_nc_u32_e32 v36, -1, v38
	v_mad_u32 v35, v40, s0, 0x108
	s_movk_i32 s7, 0x88
	s_mov_b32 s0, 0
.LBB78_142:                             ; =>This Inner Loop Header: Depth=1
	v_mov_b32_e32 v37, s7
	s_add_co_i32 s7, s7, 8
	ds_load_b64 v[40:41], v35
	ds_load_b64 v[44:45], v37
	v_dual_add_nc_u32 v36, -1, v36 :: v_dual_add_nc_u32 v35, 8, v35
	s_delay_alu instid0(VALU_DEP_1) | instskip(SKIP_3) | instid1(VALU_DEP_1)
	v_cmp_eq_u32_e32 vcc_lo, 0, v36
	s_or_b32 s0, vcc_lo, s0
	s_wait_dscnt 0x0
	v_dual_mul_f32 v37, v45, v41 :: v_dual_mul_f32 v41, v44, v41
	v_fma_f32 v37, v44, v40, -v37
	s_delay_alu instid0(VALU_DEP_1) | instskip(NEXT) | instid1(VALU_DEP_1)
	v_dual_fmac_f32 v41, v45, v40 :: v_dual_add_f32 v32, v32, v37
	v_add_f32_e32 v33, v33, v41
	s_and_not1_b32 exec_lo, exec_lo, s0
	s_cbranch_execnz .LBB78_142
; %bb.143:
	s_or_b32 exec_lo, exec_lo, s0
.LBB78_144:
	s_delay_alu instid0(SALU_CYCLE_1)
	s_or_b32 exec_lo, exec_lo, s1
	v_mov_b32_e32 v35, 0
	s_mov_b32 s1, exec_lo
	v_add_nc_u32_e32 v44, 4, v42
	ds_load_b64 v[36:37], v35
	s_wait_dscnt 0x0
	v_dual_mul_f32 v35, v33, v37 :: v_dual_mul_f32 v43, v32, v37
	s_delay_alu instid0(VALU_DEP_1) | instskip(NEXT) | instid1(VALU_DEP_2)
	v_fma_f32 v32, v32, v36, -v35
	v_fmac_f32_e32 v43, v33, v36
	ds_store_b32 v42, v32
.LBB78_145:
	s_or_b32 exec_lo, exec_lo, s6
	s_delay_alu instid0(SALU_CYCLE_1)
	s_and_b32 vcc_lo, exec_lo, s4
	s_cbranch_vccz .LBB78_281
.LBB78_146:
	ds_load_b64 v[32:33], v42 offset:8
	v_cmp_eq_u32_e64 s0, 0, v38
	s_wait_dscnt 0x0
	ds_store_b64 v31, v[32:33]
	s_wait_dscnt 0x0
	s_barrier_signal -1
	s_barrier_wait -1
	s_and_saveexec_b32 s4, s0
	s_cbranch_execz .LBB78_152
; %bb.147:
	s_and_b32 vcc_lo, exec_lo, s5
	s_cbranch_vccz .LBB78_149
; %bb.148:
	ds_load_b64 v[32:33], v34
	ds_load_b64 v[36:37], v31
	s_wait_dscnt 0x0
	v_pk_mul_f32 v[40:41], v[36:37], v[32:33] op_sel:[1,1] op_sel_hi:[0,1]
	v_pk_mul_f32 v[44:45], v[36:37], v[32:33] op_sel_hi:[1,0]
	s_delay_alu instid0(VALU_DEP_2) | instskip(NEXT) | instid1(VALU_DEP_2)
	v_pk_fma_f32 v[32:33], v[36:37], v[32:33], v[40:41] op_sel_hi:[1,0,1]
	v_sub_f32_e32 v32, v44, v40
	s_cbranch_execz .LBB78_150
	s_branch .LBB78_151
.LBB78_149:
                                        ; implicit-def: $vgpr33
.LBB78_150:
	ds_load_b64 v[32:33], v31
.LBB78_151:
	s_wait_dscnt 0x0
	v_dual_mov_b32 v35, 0 :: v_dual_mov_b32 v40, v33
	v_mov_b32_e32 v41, v32
	ds_load_b64 v[36:37], v35 offset:8
	s_wait_dscnt 0x0
	v_pk_mul_f32 v[40:41], v[40:41], v[36:37] op_sel:[0,1]
	s_delay_alu instid0(VALU_DEP_1) | instskip(SKIP_1) | instid1(VALU_DEP_2)
	v_pk_fma_f32 v[44:45], v[32:33], v[36:37], v[40:41] op_sel_hi:[1,0,1]
	v_pk_fma_f32 v[32:33], v[32:33], v[36:37], v[40:41] neg_lo:[0,0,1] neg_hi:[0,0,1]
	v_mov_b32_e32 v33, v45
	ds_store_b64 v42, v[32:33] offset:8
.LBB78_152:
	s_or_b32 exec_lo, exec_lo, s4
	ds_load_b64 v[32:33], v42 offset:16
	v_cndmask_b32_e64 v35, 0, 1, s5
	s_mov_b32 s4, exec_lo
	s_wait_dscnt 0x0
	ds_store_b64 v31, v[32:33]
	s_wait_dscnt 0x0
	s_barrier_signal -1
	s_barrier_wait -1
	v_cmpx_gt_u32_e32 2, v38
	s_cbranch_execz .LBB78_160
; %bb.153:
	s_and_not1_b32 vcc_lo, exec_lo, s5
	s_cbranch_vccnz .LBB78_155
; %bb.154:
	ds_load_b64 v[32:33], v34
	ds_load_b64 v[36:37], v31
	s_wait_dscnt 0x0
	v_pk_mul_f32 v[40:41], v[36:37], v[32:33] op_sel:[1,1] op_sel_hi:[0,1]
	s_delay_alu instid0(VALU_DEP_1) | instskip(SKIP_1) | instid1(VALU_DEP_2)
	v_pk_fma_f32 v[44:45], v[36:37], v[32:33], v[40:41] op_sel_hi:[1,0,1]
	v_pk_fma_f32 v[32:33], v[36:37], v[32:33], v[40:41] neg_lo:[0,0,1] neg_hi:[0,0,1]
	v_mov_b32_e32 v33, v45
	s_cbranch_execz .LBB78_156
	s_branch .LBB78_157
.LBB78_155:
                                        ; implicit-def: $vgpr32_vgpr33
.LBB78_156:
	ds_load_b64 v[32:33], v31
.LBB78_157:
	s_and_saveexec_b32 s5, s0
	s_cbranch_execz .LBB78_159
; %bb.158:
	v_mov_b32_e32 v40, 0
	ds_load_b64 v[36:37], v42 offset:8
	ds_load_b64 v[40:41], v40 offset:136
	s_wait_dscnt 0x0
	v_pk_mul_f32 v[44:45], v[40:41], v[36:37] op_sel:[1,1] op_sel_hi:[0,1]
	s_delay_alu instid0(VALU_DEP_1) | instskip(SKIP_1) | instid1(VALU_DEP_2)
	v_pk_fma_f32 v[46:47], v[40:41], v[36:37], v[44:45] op_sel_hi:[1,0,1]
	v_pk_fma_f32 v[36:37], v[40:41], v[36:37], v[44:45] neg_lo:[0,0,1] neg_hi:[0,0,1]
	v_mov_b32_e32 v37, v47
	s_delay_alu instid0(VALU_DEP_1)
	v_pk_add_f32 v[32:33], v[32:33], v[36:37]
.LBB78_159:
	s_or_b32 exec_lo, exec_lo, s5
	v_mov_b32_e32 v36, 0
	ds_load_b64 v[36:37], v36 offset:16
	s_wait_dscnt 0x0
	v_pk_mul_f32 v[40:41], v[32:33], v[36:37] op_sel:[1,1] op_sel_hi:[0,1]
	s_delay_alu instid0(VALU_DEP_1) | instskip(SKIP_1) | instid1(VALU_DEP_2)
	v_pk_fma_f32 v[44:45], v[32:33], v[36:37], v[40:41] op_sel_hi:[1,0,1]
	v_pk_fma_f32 v[32:33], v[32:33], v[36:37], v[40:41] neg_lo:[0,0,1] neg_hi:[0,0,1]
	v_mov_b32_e32 v33, v45
	ds_store_b64 v42, v[32:33] offset:16
.LBB78_160:
	s_or_b32 exec_lo, exec_lo, s4
	ds_load_b64 v[32:33], v42 offset:24
	s_mov_b32 s4, exec_lo
	s_wait_dscnt 0x0
	ds_store_b64 v31, v[32:33]
	s_wait_dscnt 0x0
	s_barrier_signal -1
	s_barrier_wait -1
	v_cmpx_gt_u32_e32 3, v38
	s_cbranch_execz .LBB78_170
; %bb.161:
	v_cmp_ne_u32_e32 vcc_lo, 1, v35
	s_cbranch_vccnz .LBB78_163
; %bb.162:
	ds_load_b64 v[32:33], v34
	ds_load_b64 v[36:37], v31
	s_wait_dscnt 0x0
	v_pk_mul_f32 v[40:41], v[36:37], v[32:33] op_sel:[1,1] op_sel_hi:[0,1]
	s_delay_alu instid0(VALU_DEP_1) | instskip(SKIP_1) | instid1(VALU_DEP_2)
	v_pk_fma_f32 v[44:45], v[36:37], v[32:33], v[40:41] op_sel_hi:[1,0,1]
	v_pk_fma_f32 v[32:33], v[36:37], v[32:33], v[40:41] neg_lo:[0,0,1] neg_hi:[0,0,1]
	v_mov_b32_e32 v33, v45
	s_cbranch_execz .LBB78_164
	s_branch .LBB78_165
.LBB78_163:
                                        ; implicit-def: $vgpr32_vgpr33
.LBB78_164:
	ds_load_b64 v[32:33], v31
.LBB78_165:
	s_mov_b32 s5, exec_lo
	v_cmpx_ne_u32_e32 2, v38
	s_cbranch_execz .LBB78_169
; %bb.166:
	ds_load_b64 v[36:37], v34 offset:8
	ds_load_b64 v[40:41], v31 offset:8
	s_wait_dscnt 0x0
	v_pk_mul_f32 v[44:45], v[40:41], v[36:37] op_sel:[1,1] op_sel_hi:[0,1]
	s_delay_alu instid0(VALU_DEP_1) | instskip(SKIP_1) | instid1(VALU_DEP_2)
	v_pk_fma_f32 v[46:47], v[40:41], v[36:37], v[44:45] op_sel_hi:[1,0,1]
	v_pk_fma_f32 v[36:37], v[40:41], v[36:37], v[44:45] neg_lo:[0,0,1] neg_hi:[0,0,1]
	v_mov_b32_e32 v37, v47
	s_delay_alu instid0(VALU_DEP_1)
	v_pk_add_f32 v[32:33], v[32:33], v[36:37]
	s_and_saveexec_b32 s6, s0
	s_cbranch_execz .LBB78_168
; %bb.167:
	v_mov_b32_e32 v36, 0
	ds_load_b64 v[36:37], v36 offset:144
	ds_load_b64 v[40:41], v42 offset:16
	s_wait_dscnt 0x0
	v_pk_mul_f32 v[44:45], v[36:37], v[40:41] op_sel:[1,1] op_sel_hi:[0,1]
	s_delay_alu instid0(VALU_DEP_1) | instskip(SKIP_1) | instid1(VALU_DEP_2)
	v_pk_fma_f32 v[46:47], v[36:37], v[40:41], v[44:45] op_sel_hi:[1,0,1]
	v_pk_fma_f32 v[36:37], v[36:37], v[40:41], v[44:45] neg_lo:[0,0,1] neg_hi:[0,0,1]
	v_mov_b32_e32 v37, v47
	s_delay_alu instid0(VALU_DEP_1)
	v_pk_add_f32 v[32:33], v[32:33], v[36:37]
.LBB78_168:
	s_or_b32 exec_lo, exec_lo, s6
.LBB78_169:
	s_delay_alu instid0(SALU_CYCLE_1) | instskip(SKIP_4) | instid1(VALU_DEP_1)
	s_or_b32 exec_lo, exec_lo, s5
	v_mov_b32_e32 v36, 0
	ds_load_b64 v[36:37], v36 offset:24
	s_wait_dscnt 0x0
	v_pk_mul_f32 v[40:41], v[32:33], v[36:37] op_sel:[1,1] op_sel_hi:[0,1]
	v_pk_fma_f32 v[44:45], v[32:33], v[36:37], v[40:41] op_sel_hi:[1,0,1]
	v_pk_fma_f32 v[32:33], v[32:33], v[36:37], v[40:41] neg_lo:[0,0,1] neg_hi:[0,0,1]
	s_delay_alu instid0(VALU_DEP_2)
	v_mov_b32_e32 v33, v45
	ds_store_b64 v42, v[32:33] offset:24
.LBB78_170:
	s_or_b32 exec_lo, exec_lo, s4
	ds_load_b64 v[32:33], v42 offset:32
	s_mov_b32 s0, exec_lo
	s_wait_dscnt 0x0
	ds_store_b64 v31, v[32:33]
	s_wait_dscnt 0x0
	s_barrier_signal -1
	s_barrier_wait -1
	v_cmpx_gt_u32_e32 4, v38
	s_cbranch_execz .LBB78_180
; %bb.171:
	v_cmp_ne_u32_e32 vcc_lo, 1, v35
	s_cbranch_vccnz .LBB78_173
; %bb.172:
	ds_load_b64 v[32:33], v34
	ds_load_b64 v[36:37], v31
	s_wait_dscnt 0x0
	v_pk_mul_f32 v[40:41], v[36:37], v[32:33] op_sel:[1,1] op_sel_hi:[0,1]
	s_delay_alu instid0(VALU_DEP_1) | instskip(SKIP_1) | instid1(VALU_DEP_2)
	v_pk_fma_f32 v[44:45], v[36:37], v[32:33], v[40:41] op_sel_hi:[1,0,1]
	v_pk_fma_f32 v[32:33], v[36:37], v[32:33], v[40:41] neg_lo:[0,0,1] neg_hi:[0,0,1]
	v_mov_b32_e32 v33, v45
	s_cbranch_execz .LBB78_174
	s_branch .LBB78_175
.LBB78_173:
                                        ; implicit-def: $vgpr32_vgpr33
.LBB78_174:
	ds_load_b64 v[32:33], v31
.LBB78_175:
	s_mov_b32 s4, exec_lo
	v_cmpx_ne_u32_e32 3, v38
	s_cbranch_execz .LBB78_179
; %bb.176:
	v_add_nc_u32_e32 v36, 0x88, v30
	v_add3_u32 v37, v39, v30, 0x108
	v_mov_b32_e32 v40, v38
	s_mov_b32 s5, 0
.LBB78_177:                             ; =>This Inner Loop Header: Depth=1
	ds_load_b64 v[44:45], v37
	ds_load_b64 v[46:47], v36
	v_dual_add_nc_u32 v36, 8, v36 :: v_dual_add_nc_u32 v37, 8, v37
	s_wait_dscnt 0x0
	v_pk_mul_f32 v[48:49], v[46:47], v[44:45] op_sel:[1,1] op_sel_hi:[0,1]
	s_delay_alu instid0(VALU_DEP_1) | instskip(SKIP_2) | instid1(VALU_DEP_3)
	v_pk_fma_f32 v[50:51], v[46:47], v[44:45], v[48:49] op_sel_hi:[1,0,1]
	v_add_nc_u32_e32 v40, 1, v40
	v_pk_fma_f32 v[44:45], v[46:47], v[44:45], v[48:49] neg_lo:[0,0,1] neg_hi:[0,0,1]
	v_mov_b32_e32 v45, v51
	s_delay_alu instid0(VALU_DEP_3) | instskip(NEXT) | instid1(VALU_DEP_2)
	v_cmp_lt_u32_e32 vcc_lo, 2, v40
	v_pk_add_f32 v[32:33], v[32:33], v[44:45]
	s_or_b32 s5, vcc_lo, s5
	s_delay_alu instid0(SALU_CYCLE_1)
	s_and_not1_b32 exec_lo, exec_lo, s5
	s_cbranch_execnz .LBB78_177
; %bb.178:
	s_or_b32 exec_lo, exec_lo, s5
.LBB78_179:
	s_delay_alu instid0(SALU_CYCLE_1) | instskip(SKIP_4) | instid1(VALU_DEP_1)
	s_or_b32 exec_lo, exec_lo, s4
	v_mov_b32_e32 v36, 0
	ds_load_b64 v[36:37], v36 offset:32
	s_wait_dscnt 0x0
	v_pk_mul_f32 v[40:41], v[32:33], v[36:37] op_sel:[1,1] op_sel_hi:[0,1]
	v_pk_fma_f32 v[44:45], v[32:33], v[36:37], v[40:41] op_sel_hi:[1,0,1]
	v_pk_fma_f32 v[32:33], v[32:33], v[36:37], v[40:41] neg_lo:[0,0,1] neg_hi:[0,0,1]
	s_delay_alu instid0(VALU_DEP_2)
	v_mov_b32_e32 v33, v45
	ds_store_b64 v42, v[32:33] offset:32
.LBB78_180:
	s_or_b32 exec_lo, exec_lo, s0
	ds_load_b64 v[32:33], v42 offset:40
	s_mov_b32 s0, exec_lo
	s_wait_dscnt 0x0
	ds_store_b64 v31, v[32:33]
	s_wait_dscnt 0x0
	s_barrier_signal -1
	s_barrier_wait -1
	v_cmpx_gt_u32_e32 5, v38
	s_cbranch_execz .LBB78_190
; %bb.181:
	v_cmp_ne_u32_e32 vcc_lo, 1, v35
	s_cbranch_vccnz .LBB78_183
; %bb.182:
	ds_load_b64 v[32:33], v34
	ds_load_b64 v[36:37], v31
	s_wait_dscnt 0x0
	v_pk_mul_f32 v[40:41], v[36:37], v[32:33] op_sel:[1,1] op_sel_hi:[0,1]
	s_delay_alu instid0(VALU_DEP_1) | instskip(SKIP_1) | instid1(VALU_DEP_2)
	v_pk_fma_f32 v[44:45], v[36:37], v[32:33], v[40:41] op_sel_hi:[1,0,1]
	v_pk_fma_f32 v[32:33], v[36:37], v[32:33], v[40:41] neg_lo:[0,0,1] neg_hi:[0,0,1]
	v_mov_b32_e32 v33, v45
	s_cbranch_execz .LBB78_184
	s_branch .LBB78_185
.LBB78_183:
                                        ; implicit-def: $vgpr32_vgpr33
.LBB78_184:
	ds_load_b64 v[32:33], v31
.LBB78_185:
	s_mov_b32 s4, exec_lo
	v_cmpx_ne_u32_e32 4, v38
	s_cbranch_execz .LBB78_189
; %bb.186:
	v_add_nc_u32_e32 v36, 0x88, v30
	v_add3_u32 v37, v39, v30, 0x108
	v_mov_b32_e32 v40, v38
	s_mov_b32 s5, 0
.LBB78_187:                             ; =>This Inner Loop Header: Depth=1
	ds_load_b64 v[44:45], v37
	ds_load_b64 v[46:47], v36
	v_dual_add_nc_u32 v36, 8, v36 :: v_dual_add_nc_u32 v37, 8, v37
	s_wait_dscnt 0x0
	v_pk_mul_f32 v[48:49], v[46:47], v[44:45] op_sel:[1,1] op_sel_hi:[0,1]
	s_delay_alu instid0(VALU_DEP_1) | instskip(SKIP_2) | instid1(VALU_DEP_3)
	v_pk_fma_f32 v[50:51], v[46:47], v[44:45], v[48:49] op_sel_hi:[1,0,1]
	v_add_nc_u32_e32 v40, 1, v40
	v_pk_fma_f32 v[44:45], v[46:47], v[44:45], v[48:49] neg_lo:[0,0,1] neg_hi:[0,0,1]
	v_mov_b32_e32 v45, v51
	s_delay_alu instid0(VALU_DEP_3) | instskip(NEXT) | instid1(VALU_DEP_2)
	v_cmp_lt_u32_e32 vcc_lo, 3, v40
	v_pk_add_f32 v[32:33], v[32:33], v[44:45]
	s_or_b32 s5, vcc_lo, s5
	s_delay_alu instid0(SALU_CYCLE_1)
	s_and_not1_b32 exec_lo, exec_lo, s5
	s_cbranch_execnz .LBB78_187
; %bb.188:
	s_or_b32 exec_lo, exec_lo, s5
.LBB78_189:
	s_delay_alu instid0(SALU_CYCLE_1) | instskip(SKIP_4) | instid1(VALU_DEP_1)
	s_or_b32 exec_lo, exec_lo, s4
	v_mov_b32_e32 v36, 0
	ds_load_b64 v[36:37], v36 offset:40
	s_wait_dscnt 0x0
	v_pk_mul_f32 v[40:41], v[32:33], v[36:37] op_sel:[1,1] op_sel_hi:[0,1]
	v_pk_fma_f32 v[44:45], v[32:33], v[36:37], v[40:41] op_sel_hi:[1,0,1]
	v_pk_fma_f32 v[32:33], v[32:33], v[36:37], v[40:41] neg_lo:[0,0,1] neg_hi:[0,0,1]
	s_delay_alu instid0(VALU_DEP_2)
	v_mov_b32_e32 v33, v45
	ds_store_b64 v42, v[32:33] offset:40
.LBB78_190:
	s_or_b32 exec_lo, exec_lo, s0
	ds_load_b64 v[32:33], v42 offset:48
	s_mov_b32 s0, exec_lo
	s_wait_dscnt 0x0
	ds_store_b64 v31, v[32:33]
	s_wait_dscnt 0x0
	s_barrier_signal -1
	s_barrier_wait -1
	v_cmpx_gt_u32_e32 6, v38
	s_cbranch_execz .LBB78_200
; %bb.191:
	v_cmp_ne_u32_e32 vcc_lo, 1, v35
	s_cbranch_vccnz .LBB78_193
; %bb.192:
	ds_load_b64 v[32:33], v34
	ds_load_b64 v[36:37], v31
	s_wait_dscnt 0x0
	v_pk_mul_f32 v[40:41], v[36:37], v[32:33] op_sel:[1,1] op_sel_hi:[0,1]
	s_delay_alu instid0(VALU_DEP_1) | instskip(SKIP_1) | instid1(VALU_DEP_2)
	v_pk_fma_f32 v[44:45], v[36:37], v[32:33], v[40:41] op_sel_hi:[1,0,1]
	v_pk_fma_f32 v[32:33], v[36:37], v[32:33], v[40:41] neg_lo:[0,0,1] neg_hi:[0,0,1]
	v_mov_b32_e32 v33, v45
	s_cbranch_execz .LBB78_194
	s_branch .LBB78_195
.LBB78_193:
                                        ; implicit-def: $vgpr32_vgpr33
.LBB78_194:
	ds_load_b64 v[32:33], v31
.LBB78_195:
	s_mov_b32 s4, exec_lo
	v_cmpx_ne_u32_e32 5, v38
	s_cbranch_execz .LBB78_199
; %bb.196:
	v_add_nc_u32_e32 v36, 0x88, v30
	v_add3_u32 v37, v39, v30, 0x108
	v_mov_b32_e32 v40, v38
	s_mov_b32 s5, 0
.LBB78_197:                             ; =>This Inner Loop Header: Depth=1
	ds_load_b64 v[44:45], v37
	ds_load_b64 v[46:47], v36
	v_dual_add_nc_u32 v36, 8, v36 :: v_dual_add_nc_u32 v37, 8, v37
	s_wait_dscnt 0x0
	v_pk_mul_f32 v[48:49], v[46:47], v[44:45] op_sel:[1,1] op_sel_hi:[0,1]
	s_delay_alu instid0(VALU_DEP_1) | instskip(SKIP_2) | instid1(VALU_DEP_3)
	v_pk_fma_f32 v[50:51], v[46:47], v[44:45], v[48:49] op_sel_hi:[1,0,1]
	v_add_nc_u32_e32 v40, 1, v40
	v_pk_fma_f32 v[44:45], v[46:47], v[44:45], v[48:49] neg_lo:[0,0,1] neg_hi:[0,0,1]
	v_mov_b32_e32 v45, v51
	s_delay_alu instid0(VALU_DEP_3) | instskip(NEXT) | instid1(VALU_DEP_2)
	v_cmp_lt_u32_e32 vcc_lo, 4, v40
	v_pk_add_f32 v[32:33], v[32:33], v[44:45]
	s_or_b32 s5, vcc_lo, s5
	s_delay_alu instid0(SALU_CYCLE_1)
	s_and_not1_b32 exec_lo, exec_lo, s5
	s_cbranch_execnz .LBB78_197
; %bb.198:
	s_or_b32 exec_lo, exec_lo, s5
.LBB78_199:
	s_delay_alu instid0(SALU_CYCLE_1) | instskip(SKIP_4) | instid1(VALU_DEP_1)
	s_or_b32 exec_lo, exec_lo, s4
	v_mov_b32_e32 v36, 0
	ds_load_b64 v[36:37], v36 offset:48
	s_wait_dscnt 0x0
	v_pk_mul_f32 v[40:41], v[32:33], v[36:37] op_sel:[1,1] op_sel_hi:[0,1]
	v_pk_fma_f32 v[44:45], v[32:33], v[36:37], v[40:41] op_sel_hi:[1,0,1]
	v_pk_fma_f32 v[32:33], v[32:33], v[36:37], v[40:41] neg_lo:[0,0,1] neg_hi:[0,0,1]
	s_delay_alu instid0(VALU_DEP_2)
	v_mov_b32_e32 v33, v45
	ds_store_b64 v42, v[32:33] offset:48
.LBB78_200:
	s_or_b32 exec_lo, exec_lo, s0
	ds_load_b64 v[32:33], v42 offset:56
	s_mov_b32 s0, exec_lo
	s_wait_dscnt 0x0
	ds_store_b64 v31, v[32:33]
	s_wait_dscnt 0x0
	s_barrier_signal -1
	s_barrier_wait -1
	v_cmpx_gt_u32_e32 7, v38
	s_cbranch_execz .LBB78_210
; %bb.201:
	v_cmp_ne_u32_e32 vcc_lo, 1, v35
	s_cbranch_vccnz .LBB78_203
; %bb.202:
	ds_load_b64 v[32:33], v34
	ds_load_b64 v[36:37], v31
	s_wait_dscnt 0x0
	v_pk_mul_f32 v[40:41], v[36:37], v[32:33] op_sel:[1,1] op_sel_hi:[0,1]
	s_delay_alu instid0(VALU_DEP_1) | instskip(SKIP_1) | instid1(VALU_DEP_2)
	v_pk_fma_f32 v[44:45], v[36:37], v[32:33], v[40:41] op_sel_hi:[1,0,1]
	v_pk_fma_f32 v[32:33], v[36:37], v[32:33], v[40:41] neg_lo:[0,0,1] neg_hi:[0,0,1]
	v_mov_b32_e32 v33, v45
	s_cbranch_execz .LBB78_204
	s_branch .LBB78_205
.LBB78_203:
                                        ; implicit-def: $vgpr32_vgpr33
.LBB78_204:
	ds_load_b64 v[32:33], v31
.LBB78_205:
	s_mov_b32 s4, exec_lo
	v_cmpx_ne_u32_e32 6, v38
	s_cbranch_execz .LBB78_209
; %bb.206:
	v_add_nc_u32_e32 v36, 0x88, v30
	v_add3_u32 v37, v39, v30, 0x108
	v_mov_b32_e32 v40, v38
	s_mov_b32 s5, 0
.LBB78_207:                             ; =>This Inner Loop Header: Depth=1
	ds_load_b64 v[44:45], v37
	ds_load_b64 v[46:47], v36
	v_dual_add_nc_u32 v36, 8, v36 :: v_dual_add_nc_u32 v37, 8, v37
	s_wait_dscnt 0x0
	v_pk_mul_f32 v[48:49], v[46:47], v[44:45] op_sel:[1,1] op_sel_hi:[0,1]
	s_delay_alu instid0(VALU_DEP_1) | instskip(SKIP_2) | instid1(VALU_DEP_3)
	v_pk_fma_f32 v[50:51], v[46:47], v[44:45], v[48:49] op_sel_hi:[1,0,1]
	v_add_nc_u32_e32 v40, 1, v40
	v_pk_fma_f32 v[44:45], v[46:47], v[44:45], v[48:49] neg_lo:[0,0,1] neg_hi:[0,0,1]
	v_mov_b32_e32 v45, v51
	s_delay_alu instid0(VALU_DEP_3) | instskip(NEXT) | instid1(VALU_DEP_2)
	v_cmp_lt_u32_e32 vcc_lo, 5, v40
	v_pk_add_f32 v[32:33], v[32:33], v[44:45]
	s_or_b32 s5, vcc_lo, s5
	s_delay_alu instid0(SALU_CYCLE_1)
	s_and_not1_b32 exec_lo, exec_lo, s5
	s_cbranch_execnz .LBB78_207
; %bb.208:
	s_or_b32 exec_lo, exec_lo, s5
.LBB78_209:
	s_delay_alu instid0(SALU_CYCLE_1) | instskip(SKIP_4) | instid1(VALU_DEP_1)
	s_or_b32 exec_lo, exec_lo, s4
	v_mov_b32_e32 v36, 0
	ds_load_b64 v[36:37], v36 offset:56
	s_wait_dscnt 0x0
	v_pk_mul_f32 v[40:41], v[32:33], v[36:37] op_sel:[1,1] op_sel_hi:[0,1]
	v_pk_fma_f32 v[44:45], v[32:33], v[36:37], v[40:41] op_sel_hi:[1,0,1]
	v_pk_fma_f32 v[32:33], v[32:33], v[36:37], v[40:41] neg_lo:[0,0,1] neg_hi:[0,0,1]
	s_delay_alu instid0(VALU_DEP_2)
	v_mov_b32_e32 v33, v45
	ds_store_b64 v42, v[32:33] offset:56
.LBB78_210:
	s_or_b32 exec_lo, exec_lo, s0
	ds_load_b64 v[32:33], v42 offset:64
	s_mov_b32 s0, exec_lo
	s_wait_dscnt 0x0
	ds_store_b64 v31, v[32:33]
	s_wait_dscnt 0x0
	s_barrier_signal -1
	s_barrier_wait -1
	v_cmpx_gt_u32_e32 8, v38
	s_cbranch_execz .LBB78_220
; %bb.211:
	v_cmp_ne_u32_e32 vcc_lo, 1, v35
	s_cbranch_vccnz .LBB78_213
; %bb.212:
	ds_load_b64 v[32:33], v34
	ds_load_b64 v[36:37], v31
	s_wait_dscnt 0x0
	v_pk_mul_f32 v[40:41], v[36:37], v[32:33] op_sel:[1,1] op_sel_hi:[0,1]
	s_delay_alu instid0(VALU_DEP_1) | instskip(SKIP_1) | instid1(VALU_DEP_2)
	v_pk_fma_f32 v[44:45], v[36:37], v[32:33], v[40:41] op_sel_hi:[1,0,1]
	v_pk_fma_f32 v[32:33], v[36:37], v[32:33], v[40:41] neg_lo:[0,0,1] neg_hi:[0,0,1]
	v_mov_b32_e32 v33, v45
	s_cbranch_execz .LBB78_214
	s_branch .LBB78_215
.LBB78_213:
                                        ; implicit-def: $vgpr32_vgpr33
.LBB78_214:
	ds_load_b64 v[32:33], v31
.LBB78_215:
	s_mov_b32 s4, exec_lo
	v_cmpx_ne_u32_e32 7, v38
	s_cbranch_execz .LBB78_219
; %bb.216:
	v_add_nc_u32_e32 v36, 0x88, v30
	v_add3_u32 v37, v39, v30, 0x108
	v_mov_b32_e32 v40, v38
	s_mov_b32 s5, 0
.LBB78_217:                             ; =>This Inner Loop Header: Depth=1
	ds_load_b64 v[44:45], v37
	ds_load_b64 v[46:47], v36
	v_dual_add_nc_u32 v36, 8, v36 :: v_dual_add_nc_u32 v37, 8, v37
	s_wait_dscnt 0x0
	v_pk_mul_f32 v[48:49], v[46:47], v[44:45] op_sel:[1,1] op_sel_hi:[0,1]
	s_delay_alu instid0(VALU_DEP_1) | instskip(SKIP_2) | instid1(VALU_DEP_3)
	v_pk_fma_f32 v[50:51], v[46:47], v[44:45], v[48:49] op_sel_hi:[1,0,1]
	v_add_nc_u32_e32 v40, 1, v40
	v_pk_fma_f32 v[44:45], v[46:47], v[44:45], v[48:49] neg_lo:[0,0,1] neg_hi:[0,0,1]
	v_mov_b32_e32 v45, v51
	s_delay_alu instid0(VALU_DEP_3) | instskip(NEXT) | instid1(VALU_DEP_2)
	v_cmp_lt_u32_e32 vcc_lo, 6, v40
	v_pk_add_f32 v[32:33], v[32:33], v[44:45]
	s_or_b32 s5, vcc_lo, s5
	s_delay_alu instid0(SALU_CYCLE_1)
	s_and_not1_b32 exec_lo, exec_lo, s5
	s_cbranch_execnz .LBB78_217
; %bb.218:
	s_or_b32 exec_lo, exec_lo, s5
.LBB78_219:
	s_delay_alu instid0(SALU_CYCLE_1) | instskip(SKIP_4) | instid1(VALU_DEP_1)
	s_or_b32 exec_lo, exec_lo, s4
	v_mov_b32_e32 v36, 0
	ds_load_b64 v[36:37], v36 offset:64
	s_wait_dscnt 0x0
	v_pk_mul_f32 v[40:41], v[32:33], v[36:37] op_sel:[1,1] op_sel_hi:[0,1]
	v_pk_fma_f32 v[44:45], v[32:33], v[36:37], v[40:41] op_sel_hi:[1,0,1]
	v_pk_fma_f32 v[32:33], v[32:33], v[36:37], v[40:41] neg_lo:[0,0,1] neg_hi:[0,0,1]
	s_delay_alu instid0(VALU_DEP_2)
	v_mov_b32_e32 v33, v45
	ds_store_b64 v42, v[32:33] offset:64
.LBB78_220:
	s_or_b32 exec_lo, exec_lo, s0
	ds_load_b64 v[32:33], v42 offset:72
	s_mov_b32 s0, exec_lo
	s_wait_dscnt 0x0
	ds_store_b64 v31, v[32:33]
	s_wait_dscnt 0x0
	s_barrier_signal -1
	s_barrier_wait -1
	v_cmpx_gt_u32_e32 9, v38
	s_cbranch_execz .LBB78_230
; %bb.221:
	v_cmp_ne_u32_e32 vcc_lo, 1, v35
	s_cbranch_vccnz .LBB78_223
; %bb.222:
	ds_load_b64 v[32:33], v34
	ds_load_b64 v[36:37], v31
	s_wait_dscnt 0x0
	v_pk_mul_f32 v[40:41], v[36:37], v[32:33] op_sel:[1,1] op_sel_hi:[0,1]
	s_delay_alu instid0(VALU_DEP_1) | instskip(SKIP_1) | instid1(VALU_DEP_2)
	v_pk_fma_f32 v[44:45], v[36:37], v[32:33], v[40:41] op_sel_hi:[1,0,1]
	v_pk_fma_f32 v[32:33], v[36:37], v[32:33], v[40:41] neg_lo:[0,0,1] neg_hi:[0,0,1]
	v_mov_b32_e32 v33, v45
	s_cbranch_execz .LBB78_224
	s_branch .LBB78_225
.LBB78_223:
                                        ; implicit-def: $vgpr32_vgpr33
.LBB78_224:
	ds_load_b64 v[32:33], v31
.LBB78_225:
	s_mov_b32 s4, exec_lo
	v_cmpx_ne_u32_e32 8, v38
	s_cbranch_execz .LBB78_229
; %bb.226:
	v_add_nc_u32_e32 v36, 0x88, v30
	v_add3_u32 v37, v39, v30, 0x108
	v_mov_b32_e32 v40, v38
	s_mov_b32 s5, 0
.LBB78_227:                             ; =>This Inner Loop Header: Depth=1
	ds_load_b64 v[44:45], v37
	ds_load_b64 v[46:47], v36
	v_dual_add_nc_u32 v36, 8, v36 :: v_dual_add_nc_u32 v37, 8, v37
	s_wait_dscnt 0x0
	v_pk_mul_f32 v[48:49], v[46:47], v[44:45] op_sel:[1,1] op_sel_hi:[0,1]
	s_delay_alu instid0(VALU_DEP_1) | instskip(SKIP_2) | instid1(VALU_DEP_3)
	v_pk_fma_f32 v[50:51], v[46:47], v[44:45], v[48:49] op_sel_hi:[1,0,1]
	v_add_nc_u32_e32 v40, 1, v40
	v_pk_fma_f32 v[44:45], v[46:47], v[44:45], v[48:49] neg_lo:[0,0,1] neg_hi:[0,0,1]
	v_mov_b32_e32 v45, v51
	s_delay_alu instid0(VALU_DEP_3) | instskip(NEXT) | instid1(VALU_DEP_2)
	v_cmp_lt_u32_e32 vcc_lo, 7, v40
	v_pk_add_f32 v[32:33], v[32:33], v[44:45]
	s_or_b32 s5, vcc_lo, s5
	s_delay_alu instid0(SALU_CYCLE_1)
	s_and_not1_b32 exec_lo, exec_lo, s5
	s_cbranch_execnz .LBB78_227
; %bb.228:
	s_or_b32 exec_lo, exec_lo, s5
.LBB78_229:
	s_delay_alu instid0(SALU_CYCLE_1) | instskip(SKIP_4) | instid1(VALU_DEP_1)
	s_or_b32 exec_lo, exec_lo, s4
	v_mov_b32_e32 v36, 0
	ds_load_b64 v[36:37], v36 offset:72
	s_wait_dscnt 0x0
	v_pk_mul_f32 v[40:41], v[32:33], v[36:37] op_sel:[1,1] op_sel_hi:[0,1]
	v_pk_fma_f32 v[44:45], v[32:33], v[36:37], v[40:41] op_sel_hi:[1,0,1]
	v_pk_fma_f32 v[32:33], v[32:33], v[36:37], v[40:41] neg_lo:[0,0,1] neg_hi:[0,0,1]
	s_delay_alu instid0(VALU_DEP_2)
	v_mov_b32_e32 v33, v45
	ds_store_b64 v42, v[32:33] offset:72
.LBB78_230:
	s_or_b32 exec_lo, exec_lo, s0
	ds_load_b64 v[32:33], v42 offset:80
	s_mov_b32 s0, exec_lo
	s_wait_dscnt 0x0
	ds_store_b64 v31, v[32:33]
	s_wait_dscnt 0x0
	s_barrier_signal -1
	s_barrier_wait -1
	v_cmpx_gt_u32_e32 10, v38
	s_cbranch_execz .LBB78_240
; %bb.231:
	v_cmp_ne_u32_e32 vcc_lo, 1, v35
	s_cbranch_vccnz .LBB78_233
; %bb.232:
	ds_load_b64 v[32:33], v34
	ds_load_b64 v[36:37], v31
	s_wait_dscnt 0x0
	v_pk_mul_f32 v[40:41], v[36:37], v[32:33] op_sel:[1,1] op_sel_hi:[0,1]
	s_delay_alu instid0(VALU_DEP_1) | instskip(SKIP_1) | instid1(VALU_DEP_2)
	v_pk_fma_f32 v[44:45], v[36:37], v[32:33], v[40:41] op_sel_hi:[1,0,1]
	v_pk_fma_f32 v[32:33], v[36:37], v[32:33], v[40:41] neg_lo:[0,0,1] neg_hi:[0,0,1]
	v_mov_b32_e32 v33, v45
	s_cbranch_execz .LBB78_234
	s_branch .LBB78_235
.LBB78_233:
                                        ; implicit-def: $vgpr32_vgpr33
.LBB78_234:
	ds_load_b64 v[32:33], v31
.LBB78_235:
	s_mov_b32 s4, exec_lo
	v_cmpx_ne_u32_e32 9, v38
	s_cbranch_execz .LBB78_239
; %bb.236:
	v_add_nc_u32_e32 v36, 0x88, v30
	v_add3_u32 v37, v39, v30, 0x108
	v_mov_b32_e32 v40, v38
	s_mov_b32 s5, 0
.LBB78_237:                             ; =>This Inner Loop Header: Depth=1
	ds_load_b64 v[44:45], v37
	ds_load_b64 v[46:47], v36
	v_dual_add_nc_u32 v36, 8, v36 :: v_dual_add_nc_u32 v37, 8, v37
	s_wait_dscnt 0x0
	v_pk_mul_f32 v[48:49], v[46:47], v[44:45] op_sel:[1,1] op_sel_hi:[0,1]
	s_delay_alu instid0(VALU_DEP_1) | instskip(SKIP_2) | instid1(VALU_DEP_3)
	v_pk_fma_f32 v[50:51], v[46:47], v[44:45], v[48:49] op_sel_hi:[1,0,1]
	v_add_nc_u32_e32 v40, 1, v40
	v_pk_fma_f32 v[44:45], v[46:47], v[44:45], v[48:49] neg_lo:[0,0,1] neg_hi:[0,0,1]
	v_mov_b32_e32 v45, v51
	s_delay_alu instid0(VALU_DEP_3) | instskip(NEXT) | instid1(VALU_DEP_2)
	v_cmp_lt_u32_e32 vcc_lo, 8, v40
	v_pk_add_f32 v[32:33], v[32:33], v[44:45]
	s_or_b32 s5, vcc_lo, s5
	s_delay_alu instid0(SALU_CYCLE_1)
	s_and_not1_b32 exec_lo, exec_lo, s5
	s_cbranch_execnz .LBB78_237
; %bb.238:
	s_or_b32 exec_lo, exec_lo, s5
.LBB78_239:
	s_delay_alu instid0(SALU_CYCLE_1) | instskip(SKIP_4) | instid1(VALU_DEP_1)
	s_or_b32 exec_lo, exec_lo, s4
	v_mov_b32_e32 v36, 0
	ds_load_b64 v[36:37], v36 offset:80
	s_wait_dscnt 0x0
	v_pk_mul_f32 v[40:41], v[32:33], v[36:37] op_sel:[1,1] op_sel_hi:[0,1]
	v_pk_fma_f32 v[44:45], v[32:33], v[36:37], v[40:41] op_sel_hi:[1,0,1]
	v_pk_fma_f32 v[32:33], v[32:33], v[36:37], v[40:41] neg_lo:[0,0,1] neg_hi:[0,0,1]
	s_delay_alu instid0(VALU_DEP_2)
	v_mov_b32_e32 v33, v45
	ds_store_b64 v42, v[32:33] offset:80
.LBB78_240:
	s_or_b32 exec_lo, exec_lo, s0
	ds_load_b64 v[32:33], v42 offset:88
	s_mov_b32 s0, exec_lo
	s_wait_dscnt 0x0
	ds_store_b64 v31, v[32:33]
	s_wait_dscnt 0x0
	s_barrier_signal -1
	s_barrier_wait -1
	v_cmpx_gt_u32_e32 11, v38
	s_cbranch_execz .LBB78_250
; %bb.241:
	v_cmp_ne_u32_e32 vcc_lo, 1, v35
	s_cbranch_vccnz .LBB78_243
; %bb.242:
	ds_load_b64 v[32:33], v34
	ds_load_b64 v[36:37], v31
	s_wait_dscnt 0x0
	v_pk_mul_f32 v[40:41], v[36:37], v[32:33] op_sel:[1,1] op_sel_hi:[0,1]
	s_delay_alu instid0(VALU_DEP_1) | instskip(SKIP_1) | instid1(VALU_DEP_2)
	v_pk_fma_f32 v[44:45], v[36:37], v[32:33], v[40:41] op_sel_hi:[1,0,1]
	v_pk_fma_f32 v[32:33], v[36:37], v[32:33], v[40:41] neg_lo:[0,0,1] neg_hi:[0,0,1]
	v_mov_b32_e32 v33, v45
	s_cbranch_execz .LBB78_244
	s_branch .LBB78_245
.LBB78_243:
                                        ; implicit-def: $vgpr32_vgpr33
.LBB78_244:
	ds_load_b64 v[32:33], v31
.LBB78_245:
	s_mov_b32 s4, exec_lo
	v_cmpx_ne_u32_e32 10, v38
	s_cbranch_execz .LBB78_249
; %bb.246:
	v_add_nc_u32_e32 v36, 0x88, v30
	v_add3_u32 v37, v39, v30, 0x108
	v_mov_b32_e32 v40, v38
	s_mov_b32 s5, 0
.LBB78_247:                             ; =>This Inner Loop Header: Depth=1
	ds_load_b64 v[44:45], v37
	ds_load_b64 v[46:47], v36
	v_dual_add_nc_u32 v36, 8, v36 :: v_dual_add_nc_u32 v37, 8, v37
	s_wait_dscnt 0x0
	v_pk_mul_f32 v[48:49], v[46:47], v[44:45] op_sel:[1,1] op_sel_hi:[0,1]
	s_delay_alu instid0(VALU_DEP_1) | instskip(SKIP_2) | instid1(VALU_DEP_3)
	v_pk_fma_f32 v[50:51], v[46:47], v[44:45], v[48:49] op_sel_hi:[1,0,1]
	v_add_nc_u32_e32 v40, 1, v40
	v_pk_fma_f32 v[44:45], v[46:47], v[44:45], v[48:49] neg_lo:[0,0,1] neg_hi:[0,0,1]
	v_mov_b32_e32 v45, v51
	s_delay_alu instid0(VALU_DEP_3) | instskip(NEXT) | instid1(VALU_DEP_2)
	v_cmp_lt_u32_e32 vcc_lo, 9, v40
	v_pk_add_f32 v[32:33], v[32:33], v[44:45]
	s_or_b32 s5, vcc_lo, s5
	s_delay_alu instid0(SALU_CYCLE_1)
	s_and_not1_b32 exec_lo, exec_lo, s5
	s_cbranch_execnz .LBB78_247
; %bb.248:
	s_or_b32 exec_lo, exec_lo, s5
.LBB78_249:
	s_delay_alu instid0(SALU_CYCLE_1) | instskip(SKIP_4) | instid1(VALU_DEP_1)
	s_or_b32 exec_lo, exec_lo, s4
	v_mov_b32_e32 v36, 0
	ds_load_b64 v[36:37], v36 offset:88
	s_wait_dscnt 0x0
	v_pk_mul_f32 v[40:41], v[32:33], v[36:37] op_sel:[1,1] op_sel_hi:[0,1]
	v_pk_fma_f32 v[44:45], v[32:33], v[36:37], v[40:41] op_sel_hi:[1,0,1]
	v_pk_fma_f32 v[32:33], v[32:33], v[36:37], v[40:41] neg_lo:[0,0,1] neg_hi:[0,0,1]
	s_delay_alu instid0(VALU_DEP_2)
	v_mov_b32_e32 v33, v45
	ds_store_b64 v42, v[32:33] offset:88
.LBB78_250:
	s_or_b32 exec_lo, exec_lo, s0
	ds_load_b64 v[32:33], v42 offset:96
	s_mov_b32 s0, exec_lo
	s_wait_dscnt 0x0
	ds_store_b64 v31, v[32:33]
	s_wait_dscnt 0x0
	s_barrier_signal -1
	s_barrier_wait -1
	v_cmpx_gt_u32_e32 12, v38
	s_cbranch_execz .LBB78_260
; %bb.251:
	v_cmp_ne_u32_e32 vcc_lo, 1, v35
	s_cbranch_vccnz .LBB78_253
; %bb.252:
	ds_load_b64 v[32:33], v34
	ds_load_b64 v[36:37], v31
	s_wait_dscnt 0x0
	v_pk_mul_f32 v[40:41], v[36:37], v[32:33] op_sel:[1,1] op_sel_hi:[0,1]
	s_delay_alu instid0(VALU_DEP_1) | instskip(SKIP_1) | instid1(VALU_DEP_2)
	v_pk_fma_f32 v[44:45], v[36:37], v[32:33], v[40:41] op_sel_hi:[1,0,1]
	v_pk_fma_f32 v[32:33], v[36:37], v[32:33], v[40:41] neg_lo:[0,0,1] neg_hi:[0,0,1]
	v_mov_b32_e32 v33, v45
	s_cbranch_execz .LBB78_254
	s_branch .LBB78_255
.LBB78_253:
                                        ; implicit-def: $vgpr32_vgpr33
.LBB78_254:
	ds_load_b64 v[32:33], v31
.LBB78_255:
	s_mov_b32 s4, exec_lo
	v_cmpx_ne_u32_e32 11, v38
	s_cbranch_execz .LBB78_259
; %bb.256:
	v_add_nc_u32_e32 v36, 0x88, v30
	v_add3_u32 v37, v39, v30, 0x108
	v_mov_b32_e32 v40, v38
	s_mov_b32 s5, 0
.LBB78_257:                             ; =>This Inner Loop Header: Depth=1
	ds_load_b64 v[44:45], v37
	ds_load_b64 v[46:47], v36
	v_dual_add_nc_u32 v36, 8, v36 :: v_dual_add_nc_u32 v37, 8, v37
	s_wait_dscnt 0x0
	v_pk_mul_f32 v[48:49], v[46:47], v[44:45] op_sel:[1,1] op_sel_hi:[0,1]
	s_delay_alu instid0(VALU_DEP_1) | instskip(SKIP_2) | instid1(VALU_DEP_3)
	v_pk_fma_f32 v[50:51], v[46:47], v[44:45], v[48:49] op_sel_hi:[1,0,1]
	v_add_nc_u32_e32 v40, 1, v40
	v_pk_fma_f32 v[44:45], v[46:47], v[44:45], v[48:49] neg_lo:[0,0,1] neg_hi:[0,0,1]
	v_mov_b32_e32 v45, v51
	s_delay_alu instid0(VALU_DEP_3) | instskip(NEXT) | instid1(VALU_DEP_2)
	v_cmp_lt_u32_e32 vcc_lo, 10, v40
	v_pk_add_f32 v[32:33], v[32:33], v[44:45]
	s_or_b32 s5, vcc_lo, s5
	s_delay_alu instid0(SALU_CYCLE_1)
	s_and_not1_b32 exec_lo, exec_lo, s5
	s_cbranch_execnz .LBB78_257
; %bb.258:
	s_or_b32 exec_lo, exec_lo, s5
.LBB78_259:
	s_delay_alu instid0(SALU_CYCLE_1) | instskip(SKIP_4) | instid1(VALU_DEP_1)
	s_or_b32 exec_lo, exec_lo, s4
	v_mov_b32_e32 v36, 0
	ds_load_b64 v[36:37], v36 offset:96
	s_wait_dscnt 0x0
	v_pk_mul_f32 v[40:41], v[32:33], v[36:37] op_sel:[1,1] op_sel_hi:[0,1]
	v_pk_fma_f32 v[44:45], v[32:33], v[36:37], v[40:41] op_sel_hi:[1,0,1]
	v_pk_fma_f32 v[32:33], v[32:33], v[36:37], v[40:41] neg_lo:[0,0,1] neg_hi:[0,0,1]
	s_delay_alu instid0(VALU_DEP_2)
	v_mov_b32_e32 v33, v45
	ds_store_b64 v42, v[32:33] offset:96
.LBB78_260:
	s_or_b32 exec_lo, exec_lo, s0
	ds_load_b64 v[32:33], v42 offset:104
	v_cmp_gt_u32_e64 s0, 13, v38
	s_wait_dscnt 0x0
	ds_store_b64 v31, v[32:33]
	s_wait_dscnt 0x0
	s_barrier_signal -1
	s_barrier_wait -1
	s_and_saveexec_b32 s4, s0
	s_cbranch_execz .LBB78_270
; %bb.261:
	v_cmp_ne_u32_e32 vcc_lo, 1, v35
	s_cbranch_vccnz .LBB78_263
; %bb.262:
	ds_load_b64 v[32:33], v34
	ds_load_b64 v[36:37], v31
	s_wait_dscnt 0x0
	v_pk_mul_f32 v[40:41], v[36:37], v[32:33] op_sel:[1,1] op_sel_hi:[0,1]
	s_delay_alu instid0(VALU_DEP_1) | instskip(SKIP_1) | instid1(VALU_DEP_2)
	v_pk_fma_f32 v[44:45], v[36:37], v[32:33], v[40:41] op_sel_hi:[1,0,1]
	v_pk_fma_f32 v[32:33], v[36:37], v[32:33], v[40:41] neg_lo:[0,0,1] neg_hi:[0,0,1]
	v_mov_b32_e32 v33, v45
	s_cbranch_execz .LBB78_264
	s_branch .LBB78_265
.LBB78_263:
                                        ; implicit-def: $vgpr32_vgpr33
.LBB78_264:
	ds_load_b64 v[32:33], v31
.LBB78_265:
	s_mov_b32 s5, exec_lo
	v_cmpx_ne_u32_e32 12, v38
	s_cbranch_execz .LBB78_269
; %bb.266:
	v_add_nc_u32_e32 v36, 0x88, v30
	v_add3_u32 v37, v39, v30, 0x108
	v_mov_b32_e32 v40, v38
	s_mov_b32 s6, 0
.LBB78_267:                             ; =>This Inner Loop Header: Depth=1
	ds_load_b64 v[44:45], v37
	ds_load_b64 v[46:47], v36
	v_dual_add_nc_u32 v36, 8, v36 :: v_dual_add_nc_u32 v37, 8, v37
	s_wait_dscnt 0x0
	v_pk_mul_f32 v[48:49], v[46:47], v[44:45] op_sel:[1,1] op_sel_hi:[0,1]
	s_delay_alu instid0(VALU_DEP_1) | instskip(SKIP_2) | instid1(VALU_DEP_3)
	v_pk_fma_f32 v[50:51], v[46:47], v[44:45], v[48:49] op_sel_hi:[1,0,1]
	v_add_nc_u32_e32 v40, 1, v40
	v_pk_fma_f32 v[44:45], v[46:47], v[44:45], v[48:49] neg_lo:[0,0,1] neg_hi:[0,0,1]
	v_mov_b32_e32 v45, v51
	s_delay_alu instid0(VALU_DEP_3) | instskip(NEXT) | instid1(VALU_DEP_2)
	v_cmp_lt_u32_e32 vcc_lo, 11, v40
	v_pk_add_f32 v[32:33], v[32:33], v[44:45]
	s_or_b32 s6, vcc_lo, s6
	s_delay_alu instid0(SALU_CYCLE_1)
	s_and_not1_b32 exec_lo, exec_lo, s6
	s_cbranch_execnz .LBB78_267
; %bb.268:
	s_or_b32 exec_lo, exec_lo, s6
.LBB78_269:
	s_delay_alu instid0(SALU_CYCLE_1) | instskip(SKIP_4) | instid1(VALU_DEP_1)
	s_or_b32 exec_lo, exec_lo, s5
	v_mov_b32_e32 v36, 0
	ds_load_b64 v[36:37], v36 offset:104
	s_wait_dscnt 0x0
	v_pk_mul_f32 v[40:41], v[32:33], v[36:37] op_sel:[1,1] op_sel_hi:[0,1]
	v_pk_fma_f32 v[44:45], v[32:33], v[36:37], v[40:41] op_sel_hi:[1,0,1]
	v_pk_fma_f32 v[32:33], v[32:33], v[36:37], v[40:41] neg_lo:[0,0,1] neg_hi:[0,0,1]
	s_delay_alu instid0(VALU_DEP_2)
	v_mov_b32_e32 v33, v45
	ds_store_b64 v42, v[32:33] offset:104
.LBB78_270:
	s_or_b32 exec_lo, exec_lo, s4
	ds_load_b64 v[32:33], v42 offset:112
	s_mov_b32 s4, exec_lo
                                        ; implicit-def: $vgpr43
                                        ; implicit-def: $vgpr44
	s_wait_dscnt 0x0
	ds_store_b64 v31, v[32:33]
	s_wait_dscnt 0x0
	s_barrier_signal -1
	s_barrier_wait -1
	v_cmpx_ne_u32_e32 14, v38
	s_cbranch_execz .LBB78_280
; %bb.271:
	v_cmp_ne_u32_e32 vcc_lo, 1, v35
	s_cbranch_vccnz .LBB78_273
; %bb.272:
	ds_load_b64 v[34:35], v34
	ds_load_b64 v[36:37], v31
	s_wait_dscnt 0x0
	v_dual_mul_f32 v32, v37, v35 :: v_dual_mul_f32 v33, v36, v35
	s_delay_alu instid0(VALU_DEP_1)
	v_dual_fma_f32 v32, v36, v34, -v32 :: v_dual_fmac_f32 v33, v37, v34
	s_cbranch_execz .LBB78_274
	s_branch .LBB78_275
.LBB78_273:
                                        ; implicit-def: $vgpr33
.LBB78_274:
	ds_load_b64 v[32:33], v31
.LBB78_275:
	s_and_saveexec_b32 s5, s0
	s_cbranch_execz .LBB78_279
; %bb.276:
	v_add_nc_u32_e32 v31, 0x88, v30
	v_add3_u32 v30, v39, v30, 0x108
	s_mov_b32 s0, 0
.LBB78_277:                             ; =>This Inner Loop Header: Depth=1
	ds_load_b64 v[34:35], v30
	ds_load_b64 v[36:37], v31
	v_dual_add_nc_u32 v38, 1, v38 :: v_dual_add_nc_u32 v31, 8, v31
	v_add_nc_u32_e32 v30, 8, v30
	s_delay_alu instid0(VALU_DEP_2) | instskip(SKIP_3) | instid1(VALU_DEP_1)
	v_cmp_lt_u32_e32 vcc_lo, 12, v38
	s_or_b32 s0, vcc_lo, s0
	s_wait_dscnt 0x0
	v_dual_mul_f32 v39, v37, v35 :: v_dual_mul_f32 v35, v36, v35
	v_fmac_f32_e32 v35, v37, v34
	s_delay_alu instid0(VALU_DEP_1) | instskip(NEXT) | instid1(VALU_DEP_1)
	v_dual_fma_f32 v36, v36, v34, -v39 :: v_dual_add_f32 v33, v33, v35
	v_add_f32_e32 v32, v32, v36
	s_and_not1_b32 exec_lo, exec_lo, s0
	s_cbranch_execnz .LBB78_277
; %bb.278:
	s_or_b32 exec_lo, exec_lo, s0
.LBB78_279:
	s_delay_alu instid0(SALU_CYCLE_1)
	s_or_b32 exec_lo, exec_lo, s5
	v_mov_b32_e32 v30, 0
	s_or_b32 s1, s1, exec_lo
	v_add_nc_u32_e32 v44, 0x74, v42
	ds_load_b64 v[30:31], v30 offset:112
	s_wait_dscnt 0x0
	v_dual_mul_f32 v34, v33, v31 :: v_dual_mul_f32 v43, v32, v31
	s_delay_alu instid0(VALU_DEP_1)
	v_dual_fma_f32 v31, v32, v30, -v34 :: v_dual_fmac_f32 v43, v33, v30
	ds_store_b32 v42, v31 offset:112
.LBB78_280:
	s_or_b32 exec_lo, exec_lo, s4
.LBB78_281:
	v_lshl_add_u64 v[40:41], v[4:5], 3, s[2:3]
	v_lshl_add_u64 v[38:39], v[6:7], 3, s[2:3]
	;; [unrolled: 1-line block ×13, first 2 shown]
	s_and_saveexec_b32 s0, s1
; %bb.282:
	ds_store_b32 v44, v43
; %bb.283:
	s_or_b32 exec_lo, exec_lo, s0
	ds_load_b64 v[18:19], v42
	s_wait_dscnt 0x0
	flat_store_b64 v[0:1], v[18:19]
	s_wait_xcnt 0x0
	ds_load_b64 v[0:1], v42 offset:8
	s_wait_dscnt 0x0
	flat_store_b64 v[2:3], v[0:1]
	s_wait_xcnt 0x0
	ds_load_b64 v[0:1], v42 offset:16
	;; [unrolled: 4-line block ×14, first 2 shown]
	s_wait_dscnt 0x0
	flat_store_b64 v[4:5], v[0:1]
.LBB78_284:
	s_endpgm
	.section	.rodata,"a",@progbits
	.p2align	6, 0x0
	.amdhsa_kernel _ZN9rocsolver6v33100L18trti2_kernel_smallILi15E19rocblas_complex_numIfEPKPS3_EEv13rocblas_fill_17rocblas_diagonal_T1_iil
		.amdhsa_group_segment_fixed_size 7936
		.amdhsa_private_segment_fixed_size 0
		.amdhsa_kernarg_size 32
		.amdhsa_user_sgpr_count 4
		.amdhsa_user_sgpr_dispatch_ptr 1
		.amdhsa_user_sgpr_queue_ptr 0
		.amdhsa_user_sgpr_kernarg_segment_ptr 1
		.amdhsa_user_sgpr_dispatch_id 0
		.amdhsa_user_sgpr_kernarg_preload_length 0
		.amdhsa_user_sgpr_kernarg_preload_offset 0
		.amdhsa_user_sgpr_private_segment_size 0
		.amdhsa_wavefront_size32 1
		.amdhsa_uses_dynamic_stack 0
		.amdhsa_enable_private_segment 0
		.amdhsa_system_sgpr_workgroup_id_x 1
		.amdhsa_system_sgpr_workgroup_id_y 0
		.amdhsa_system_sgpr_workgroup_id_z 0
		.amdhsa_system_sgpr_workgroup_info 0
		.amdhsa_system_vgpr_workitem_id 2
		.amdhsa_next_free_vgpr 52
		.amdhsa_next_free_sgpr 12
		.amdhsa_named_barrier_count 0
		.amdhsa_reserve_vcc 1
		.amdhsa_float_round_mode_32 0
		.amdhsa_float_round_mode_16_64 0
		.amdhsa_float_denorm_mode_32 3
		.amdhsa_float_denorm_mode_16_64 3
		.amdhsa_fp16_overflow 0
		.amdhsa_memory_ordered 1
		.amdhsa_forward_progress 1
		.amdhsa_inst_pref_size 85
		.amdhsa_round_robin_scheduling 0
		.amdhsa_exception_fp_ieee_invalid_op 0
		.amdhsa_exception_fp_denorm_src 0
		.amdhsa_exception_fp_ieee_div_zero 0
		.amdhsa_exception_fp_ieee_overflow 0
		.amdhsa_exception_fp_ieee_underflow 0
		.amdhsa_exception_fp_ieee_inexact 0
		.amdhsa_exception_int_div_zero 0
	.end_amdhsa_kernel
	.section	.text._ZN9rocsolver6v33100L18trti2_kernel_smallILi15E19rocblas_complex_numIfEPKPS3_EEv13rocblas_fill_17rocblas_diagonal_T1_iil,"axG",@progbits,_ZN9rocsolver6v33100L18trti2_kernel_smallILi15E19rocblas_complex_numIfEPKPS3_EEv13rocblas_fill_17rocblas_diagonal_T1_iil,comdat
.Lfunc_end78:
	.size	_ZN9rocsolver6v33100L18trti2_kernel_smallILi15E19rocblas_complex_numIfEPKPS3_EEv13rocblas_fill_17rocblas_diagonal_T1_iil, .Lfunc_end78-_ZN9rocsolver6v33100L18trti2_kernel_smallILi15E19rocblas_complex_numIfEPKPS3_EEv13rocblas_fill_17rocblas_diagonal_T1_iil
                                        ; -- End function
	.set _ZN9rocsolver6v33100L18trti2_kernel_smallILi15E19rocblas_complex_numIfEPKPS3_EEv13rocblas_fill_17rocblas_diagonal_T1_iil.num_vgpr, 52
	.set _ZN9rocsolver6v33100L18trti2_kernel_smallILi15E19rocblas_complex_numIfEPKPS3_EEv13rocblas_fill_17rocblas_diagonal_T1_iil.num_agpr, 0
	.set _ZN9rocsolver6v33100L18trti2_kernel_smallILi15E19rocblas_complex_numIfEPKPS3_EEv13rocblas_fill_17rocblas_diagonal_T1_iil.numbered_sgpr, 12
	.set _ZN9rocsolver6v33100L18trti2_kernel_smallILi15E19rocblas_complex_numIfEPKPS3_EEv13rocblas_fill_17rocblas_diagonal_T1_iil.num_named_barrier, 0
	.set _ZN9rocsolver6v33100L18trti2_kernel_smallILi15E19rocblas_complex_numIfEPKPS3_EEv13rocblas_fill_17rocblas_diagonal_T1_iil.private_seg_size, 0
	.set _ZN9rocsolver6v33100L18trti2_kernel_smallILi15E19rocblas_complex_numIfEPKPS3_EEv13rocblas_fill_17rocblas_diagonal_T1_iil.uses_vcc, 1
	.set _ZN9rocsolver6v33100L18trti2_kernel_smallILi15E19rocblas_complex_numIfEPKPS3_EEv13rocblas_fill_17rocblas_diagonal_T1_iil.uses_flat_scratch, 0
	.set _ZN9rocsolver6v33100L18trti2_kernel_smallILi15E19rocblas_complex_numIfEPKPS3_EEv13rocblas_fill_17rocblas_diagonal_T1_iil.has_dyn_sized_stack, 0
	.set _ZN9rocsolver6v33100L18trti2_kernel_smallILi15E19rocblas_complex_numIfEPKPS3_EEv13rocblas_fill_17rocblas_diagonal_T1_iil.has_recursion, 0
	.set _ZN9rocsolver6v33100L18trti2_kernel_smallILi15E19rocblas_complex_numIfEPKPS3_EEv13rocblas_fill_17rocblas_diagonal_T1_iil.has_indirect_call, 0
	.section	.AMDGPU.csdata,"",@progbits
; Kernel info:
; codeLenInByte = 10780
; TotalNumSgprs: 14
; NumVgprs: 52
; ScratchSize: 0
; MemoryBound: 0
; FloatMode: 240
; IeeeMode: 1
; LDSByteSize: 7936 bytes/workgroup (compile time only)
; SGPRBlocks: 0
; VGPRBlocks: 3
; NumSGPRsForWavesPerEU: 14
; NumVGPRsForWavesPerEU: 52
; NamedBarCnt: 0
; Occupancy: 11
; WaveLimiterHint : 1
; COMPUTE_PGM_RSRC2:SCRATCH_EN: 0
; COMPUTE_PGM_RSRC2:USER_SGPR: 4
; COMPUTE_PGM_RSRC2:TRAP_HANDLER: 0
; COMPUTE_PGM_RSRC2:TGID_X_EN: 1
; COMPUTE_PGM_RSRC2:TGID_Y_EN: 0
; COMPUTE_PGM_RSRC2:TGID_Z_EN: 0
; COMPUTE_PGM_RSRC2:TIDIG_COMP_CNT: 2
	.section	.text._ZN9rocsolver6v33100L18trti2_kernel_smallILi16E19rocblas_complex_numIfEPKPS3_EEv13rocblas_fill_17rocblas_diagonal_T1_iil,"axG",@progbits,_ZN9rocsolver6v33100L18trti2_kernel_smallILi16E19rocblas_complex_numIfEPKPS3_EEv13rocblas_fill_17rocblas_diagonal_T1_iil,comdat
	.globl	_ZN9rocsolver6v33100L18trti2_kernel_smallILi16E19rocblas_complex_numIfEPKPS3_EEv13rocblas_fill_17rocblas_diagonal_T1_iil ; -- Begin function _ZN9rocsolver6v33100L18trti2_kernel_smallILi16E19rocblas_complex_numIfEPKPS3_EEv13rocblas_fill_17rocblas_diagonal_T1_iil
	.p2align	8
	.type	_ZN9rocsolver6v33100L18trti2_kernel_smallILi16E19rocblas_complex_numIfEPKPS3_EEv13rocblas_fill_17rocblas_diagonal_T1_iil,@function
_ZN9rocsolver6v33100L18trti2_kernel_smallILi16E19rocblas_complex_numIfEPKPS3_EEv13rocblas_fill_17rocblas_diagonal_T1_iil: ; @_ZN9rocsolver6v33100L18trti2_kernel_smallILi16E19rocblas_complex_numIfEPKPS3_EEv13rocblas_fill_17rocblas_diagonal_T1_iil
; %bb.0:
	v_and_b32_e32 v40, 0x3ff, v0
	s_mov_b32 s4, exec_lo
	s_delay_alu instid0(VALU_DEP_1)
	v_cmpx_gt_u32_e32 16, v40
	s_cbranch_execz .LBB79_304
; %bb.1:
	s_load_b64 s[10:11], s[0:1], 0x4
	s_clause 0x1
	s_load_b64 s[8:9], s[2:3], 0x10
	s_load_b128 s[4:7], s[2:3], 0x0
	s_wait_xcnt 0x0
	s_bfe_u32 s0, ttmp6, 0x4000c
	s_and_b32 s1, ttmp6, 15
	s_add_co_i32 s0, s0, 1
	s_getreg_b32 s2, hwreg(HW_REG_IB_STS2, 6, 4)
	s_mul_i32 s0, ttmp9, s0
	v_bfe_u32 v1, v0, 10, 10
	s_add_co_i32 s0, s1, s0
	v_dual_mov_b32 v33, 0 :: v_dual_lshlrev_b32 v32, 3, v40
	v_bfe_u32 v2, v0, 20, 10
	s_wait_kmcnt 0x0
	s_lshr_b32 s10, s10, 16
	s_ashr_i32 s1, s8, 31
	s_cmp_eq_u32 s2, 0
	s_mul_i32 s10, s10, s11
	s_cselect_b32 s2, ttmp9, s0
	s_mov_b32 s0, s8
	s_ashr_i32 s3, s2, 31
	s_lshl_b64 s[0:1], s[0:1], 3
	s_lshl_b64 s[2:3], s[2:3], 3
	v_mul_u32_u24_e32 v3, s11, v1
	s_add_nc_u64 s[2:3], s[6:7], s[2:3]
	v_mul_u32_u24_e32 v6, s10, v40
	s_load_b64 s[2:3], s[2:3], 0x0
	s_delay_alu instid0(VALU_DEP_1)
	v_add3_u32 v41, v6, v3, v2
	s_wait_kmcnt 0x0
	s_add_nc_u64 s[6:7], s[2:3], s[0:1]
	s_mov_b32 s0, s9
	flat_load_b64 v[4:5], v40, s[6:7] scale_offset
	v_add_nc_u64_e32 v[0:1], s[6:7], v[32:33]
	s_ashr_i32 s1, s9, 31
	v_lshlrev_b32_e32 v33, 7, v41
	s_cmp_lg_u32 s5, 0x84
	s_cselect_b32 s3, -1, 0
	s_delay_alu instid0(VALU_DEP_2)
	v_lshl_add_u64 v[2:3], s[0:1], 3, v[0:1]
	s_mov_b32 s0, -1
	s_and_b32 vcc_lo, exec_lo, s3
	s_wait_loadcnt_dscnt 0x0
	ds_store_b64 v33, v[4:5] offset:256
	flat_load_b64 v[6:7], v[2:3]
	v_add3_u32 v4, s9, s9, v40
	s_wait_loadcnt_dscnt 0x0
	ds_store_b64 v33, v[6:7] offset:264
	flat_load_b64 v[8:9], v4, s[6:7] scale_offset
	v_add_nc_u32_e32 v6, s9, v4
	v_add_nc_u32_e32 v46, 0x100, v33
	s_wait_loadcnt_dscnt 0x0
	ds_store_b64 v33, v[8:9] offset:272
	flat_load_b64 v[10:11], v6, s[6:7] scale_offset
	v_add_nc_u32_e32 v8, s9, v6
	s_wait_loadcnt_dscnt 0x0
	ds_store_b64 v33, v[10:11] offset:280
	flat_load_b64 v[12:13], v8, s[6:7] scale_offset
	;; [unrolled: 4-line block ×13, first 2 shown]
	s_wait_loadcnt_dscnt 0x0
	ds_store_b64 v33, v[34:35] offset:376
	s_cbranch_vccz .LBB79_7
; %bb.2:
	v_lshl_add_u32 v5, v40, 3, v46
                                        ; implicit-def: $vgpr39
                                        ; implicit-def: $vgpr36
	ds_load_b64 v[34:35], v5
	s_wait_dscnt 0x0
	v_cmp_ngt_f32_e64 s0, |v34|, |v35|
	s_and_saveexec_b32 s1, s0
	s_delay_alu instid0(SALU_CYCLE_1)
	s_xor_b32 s0, exec_lo, s1
	s_cbranch_execz .LBB79_4
; %bb.3:
	v_div_scale_f32 v7, null, v35, v35, v34
	v_div_scale_f32 v13, vcc_lo, v34, v35, v34
	s_delay_alu instid0(VALU_DEP_2) | instskip(SKIP_1) | instid1(TRANS32_DEP_1)
	v_rcp_f32_e32 v9, v7
	v_nop
	v_fma_f32 v11, -v7, v9, 1.0
	s_delay_alu instid0(VALU_DEP_1) | instskip(NEXT) | instid1(VALU_DEP_1)
	v_fmac_f32_e32 v9, v11, v9
	v_mul_f32_e32 v11, v13, v9
	s_delay_alu instid0(VALU_DEP_1) | instskip(NEXT) | instid1(VALU_DEP_1)
	v_fma_f32 v15, -v7, v11, v13
	v_fmac_f32_e32 v11, v15, v9
	s_delay_alu instid0(VALU_DEP_1) | instskip(NEXT) | instid1(VALU_DEP_1)
	v_fma_f32 v7, -v7, v11, v13
	v_div_fmas_f32 v7, v7, v9, v11
	s_delay_alu instid0(VALU_DEP_1) | instskip(NEXT) | instid1(VALU_DEP_1)
	v_div_fixup_f32 v7, v7, v35, v34
	v_fmac_f32_e32 v35, v34, v7
	s_delay_alu instid0(VALU_DEP_1) | instskip(NEXT) | instid1(VALU_DEP_1)
	v_div_scale_f32 v9, null, v35, v35, -1.0
	v_rcp_f32_e32 v11, v9
	v_nop
	s_delay_alu instid0(TRANS32_DEP_1) | instskip(NEXT) | instid1(VALU_DEP_1)
	v_fma_f32 v13, -v9, v11, 1.0
	v_fmac_f32_e32 v11, v13, v11
	v_div_scale_f32 v13, vcc_lo, -1.0, v35, -1.0
	s_delay_alu instid0(VALU_DEP_1) | instskip(NEXT) | instid1(VALU_DEP_1)
	v_mul_f32_e32 v15, v13, v11
	v_fma_f32 v17, -v9, v15, v13
	s_delay_alu instid0(VALU_DEP_1) | instskip(NEXT) | instid1(VALU_DEP_1)
	v_fmac_f32_e32 v15, v17, v11
	v_fma_f32 v9, -v9, v15, v13
	s_delay_alu instid0(VALU_DEP_1) | instskip(NEXT) | instid1(VALU_DEP_1)
	v_div_fmas_f32 v9, v9, v11, v15
	v_div_fixup_f32 v39, v9, v35, -1.0
                                        ; implicit-def: $vgpr34_vgpr35
	s_delay_alu instid0(VALU_DEP_1) | instskip(NEXT) | instid1(VALU_DEP_1)
	v_mul_f32_e32 v36, v7, v39
	v_xor_b32_e32 v38, 0x80000000, v36
.LBB79_4:
	s_and_not1_saveexec_b32 s0, s0
	s_cbranch_execz .LBB79_6
; %bb.5:
	v_div_scale_f32 v7, null, v34, v34, v35
	v_div_scale_f32 v13, vcc_lo, v35, v34, v35
	s_delay_alu instid0(VALU_DEP_2) | instskip(SKIP_1) | instid1(TRANS32_DEP_1)
	v_rcp_f32_e32 v9, v7
	v_nop
	v_fma_f32 v11, -v7, v9, 1.0
	s_delay_alu instid0(VALU_DEP_1) | instskip(NEXT) | instid1(VALU_DEP_1)
	v_fmac_f32_e32 v9, v11, v9
	v_mul_f32_e32 v11, v13, v9
	s_delay_alu instid0(VALU_DEP_1) | instskip(NEXT) | instid1(VALU_DEP_1)
	v_fma_f32 v15, -v7, v11, v13
	v_fmac_f32_e32 v11, v15, v9
	s_delay_alu instid0(VALU_DEP_1) | instskip(NEXT) | instid1(VALU_DEP_1)
	v_fma_f32 v7, -v7, v11, v13
	v_div_fmas_f32 v7, v7, v9, v11
	s_delay_alu instid0(VALU_DEP_1) | instskip(NEXT) | instid1(VALU_DEP_1)
	v_div_fixup_f32 v7, v7, v34, v35
	v_fmac_f32_e32 v34, v35, v7
	s_delay_alu instid0(VALU_DEP_1) | instskip(SKIP_1) | instid1(VALU_DEP_2)
	v_div_scale_f32 v9, null, v34, v34, 1.0
	v_div_scale_f32 v15, vcc_lo, 1.0, v34, 1.0
	v_rcp_f32_e32 v11, v9
	v_nop
	s_delay_alu instid0(TRANS32_DEP_1) | instskip(NEXT) | instid1(VALU_DEP_1)
	v_fma_f32 v13, -v9, v11, 1.0
	v_fmac_f32_e32 v11, v13, v11
	s_delay_alu instid0(VALU_DEP_1) | instskip(NEXT) | instid1(VALU_DEP_1)
	v_mul_f32_e32 v13, v15, v11
	v_fma_f32 v17, -v9, v13, v15
	s_delay_alu instid0(VALU_DEP_1) | instskip(NEXT) | instid1(VALU_DEP_1)
	v_fmac_f32_e32 v13, v17, v11
	v_fma_f32 v9, -v9, v13, v15
	s_delay_alu instid0(VALU_DEP_1) | instskip(NEXT) | instid1(VALU_DEP_1)
	v_div_fmas_f32 v9, v9, v11, v13
	v_div_fixup_f32 v38, v9, v34, 1.0
	s_delay_alu instid0(VALU_DEP_1)
	v_xor_b32_e32 v36, 0x80000000, v38
	v_mul_f32_e64 v39, v7, -v38
.LBB79_6:
	s_or_b32 exec_lo, exec_lo, s0
	s_delay_alu instid0(VALU_DEP_1)
	v_xor_b32_e32 v37, 0x80000000, v39
	s_mov_b32 s0, 0
	ds_store_b64 v5, v[38:39]
	ds_store_b64 v32, v[36:37]
.LBB79_7:
	s_and_b32 vcc_lo, exec_lo, s0
	s_cbranch_vccz .LBB79_9
; %bb.8:
	s_mov_b64 s[0:1], 0xbf800000
	s_delay_alu instid0(SALU_CYCLE_1)
	v_mov_b64_e32 v[34:35], s[0:1]
	ds_store_b64 v32, v[34:35]
.LBB79_9:
	v_dual_ashrrev_i32 v5, 31, v4 :: v_dual_ashrrev_i32 v7, 31, v6
	v_dual_ashrrev_i32 v9, 31, v8 :: v_dual_ashrrev_i32 v11, 31, v10
	;; [unrolled: 1-line block ×7, first 2 shown]
	v_add_nc_u32_e32 v36, 0x80, v32
	v_add_nc_u32_e32 v37, v46, v32
	s_cmp_eq_u32 s4, 0x79
	s_cbranch_scc1 .LBB79_13
; %bb.10:
	ds_load_b64 v[34:35], v46 offset:112
	v_cmp_eq_u32_e64 s0, 15, v40
	s_wait_dscnt 0x0
	ds_store_b64 v36, v[34:35]
	s_wait_dscnt 0x0
	s_barrier_signal -1
	s_barrier_wait -1
	s_and_saveexec_b32 s1, s0
	s_cbranch_execz .LBB79_17
; %bb.11:
	s_and_b32 vcc_lo, exec_lo, s3
	s_cbranch_vccz .LBB79_14
; %bb.12:
	ds_load_b64 v[34:35], v37
	ds_load_b64 v[38:39], v36
	s_wait_dscnt 0x0
	v_pk_mul_f32 v[42:43], v[38:39], v[34:35] op_sel:[1,1] op_sel_hi:[0,1]
	v_pk_mul_f32 v[44:45], v[38:39], v[34:35] op_sel_hi:[1,0]
	s_delay_alu instid0(VALU_DEP_2) | instskip(NEXT) | instid1(VALU_DEP_2)
	v_pk_fma_f32 v[34:35], v[38:39], v[34:35], v[42:43] op_sel_hi:[1,0,1]
	v_sub_f32_e32 v34, v44, v42
	s_cbranch_execz .LBB79_15
	s_branch .LBB79_16
.LBB79_13:
	s_mov_b32 s1, 0
                                        ; implicit-def: $vgpr47
                                        ; implicit-def: $vgpr48
	s_cbranch_execnz .LBB79_156
	s_branch .LBB79_301
.LBB79_14:
                                        ; implicit-def: $vgpr35
.LBB79_15:
	ds_load_b64 v[34:35], v36
.LBB79_16:
	s_wait_dscnt 0x0
	v_dual_mov_b32 v38, 0 :: v_dual_mov_b32 v42, v35
	v_mov_b32_e32 v43, v34
	ds_load_b64 v[38:39], v38 offset:112
	s_wait_dscnt 0x0
	v_pk_mul_f32 v[42:43], v[42:43], v[38:39] op_sel:[0,1]
	s_delay_alu instid0(VALU_DEP_1) | instskip(SKIP_1) | instid1(VALU_DEP_2)
	v_pk_fma_f32 v[44:45], v[34:35], v[38:39], v[42:43] op_sel_hi:[1,0,1]
	v_pk_fma_f32 v[34:35], v[34:35], v[38:39], v[42:43] neg_lo:[0,0,1] neg_hi:[0,0,1]
	v_mov_b32_e32 v35, v45
	ds_store_b64 v46, v[34:35] offset:112
.LBB79_17:
	s_or_b32 exec_lo, exec_lo, s1
	ds_load_b64 v[34:35], v46 offset:104
	v_cmp_lt_u32_e64 s1, 13, v40
	s_wait_dscnt 0x0
	ds_store_b64 v36, v[34:35]
	s_wait_dscnt 0x0
	s_barrier_signal -1
	s_barrier_wait -1
	s_and_saveexec_b32 s2, s1
	s_cbranch_execz .LBB79_25
; %bb.18:
	s_and_not1_b32 vcc_lo, exec_lo, s3
	s_cbranch_vccnz .LBB79_20
; %bb.19:
	ds_load_b64 v[34:35], v37
	ds_load_b64 v[38:39], v36
	s_wait_dscnt 0x0
	v_pk_mul_f32 v[42:43], v[38:39], v[34:35] op_sel:[1,1] op_sel_hi:[0,1]
	s_delay_alu instid0(VALU_DEP_1) | instskip(SKIP_1) | instid1(VALU_DEP_2)
	v_pk_fma_f32 v[44:45], v[38:39], v[34:35], v[42:43] op_sel_hi:[1,0,1]
	v_pk_fma_f32 v[34:35], v[38:39], v[34:35], v[42:43] neg_lo:[0,0,1] neg_hi:[0,0,1]
	v_mov_b32_e32 v35, v45
	s_cbranch_execz .LBB79_21
	s_branch .LBB79_22
.LBB79_20:
                                        ; implicit-def: $vgpr34_vgpr35
.LBB79_21:
	ds_load_b64 v[34:35], v36
.LBB79_22:
	s_and_saveexec_b32 s4, s0
	s_cbranch_execz .LBB79_24
; %bb.23:
	v_mov_b32_e32 v42, 0
	ds_load_b64 v[38:39], v46 offset:112
	ds_load_b64 v[42:43], v42 offset:240
	s_wait_dscnt 0x0
	v_pk_mul_f32 v[44:45], v[42:43], v[38:39] op_sel:[1,1] op_sel_hi:[0,1]
	s_delay_alu instid0(VALU_DEP_1) | instskip(SKIP_1) | instid1(VALU_DEP_2)
	v_pk_fma_f32 v[48:49], v[42:43], v[38:39], v[44:45] op_sel_hi:[1,0,1]
	v_pk_fma_f32 v[38:39], v[42:43], v[38:39], v[44:45] neg_lo:[0,0,1] neg_hi:[0,0,1]
	v_mov_b32_e32 v39, v49
	s_delay_alu instid0(VALU_DEP_1)
	v_pk_add_f32 v[34:35], v[34:35], v[38:39]
.LBB79_24:
	s_or_b32 exec_lo, exec_lo, s4
	v_mov_b32_e32 v38, 0
	ds_load_b64 v[38:39], v38 offset:104
	s_wait_dscnt 0x0
	v_pk_mul_f32 v[42:43], v[34:35], v[38:39] op_sel:[1,1] op_sel_hi:[0,1]
	s_delay_alu instid0(VALU_DEP_1) | instskip(SKIP_1) | instid1(VALU_DEP_2)
	v_pk_fma_f32 v[44:45], v[34:35], v[38:39], v[42:43] op_sel_hi:[1,0,1]
	v_pk_fma_f32 v[34:35], v[34:35], v[38:39], v[42:43] neg_lo:[0,0,1] neg_hi:[0,0,1]
	v_mov_b32_e32 v35, v45
	ds_store_b64 v46, v[34:35] offset:104
.LBB79_25:
	s_or_b32 exec_lo, exec_lo, s2
	ds_load_b64 v[34:35], v46 offset:96
	v_cmp_lt_u32_e64 s0, 12, v40
	s_wait_dscnt 0x0
	ds_store_b64 v36, v[34:35]
	s_wait_dscnt 0x0
	s_barrier_signal -1
	s_barrier_wait -1
	s_and_saveexec_b32 s2, s0
	s_cbranch_execz .LBB79_35
; %bb.26:
	s_and_not1_b32 vcc_lo, exec_lo, s3
	s_cbranch_vccnz .LBB79_28
; %bb.27:
	ds_load_b64 v[34:35], v37
	ds_load_b64 v[38:39], v36
	s_wait_dscnt 0x0
	v_pk_mul_f32 v[42:43], v[38:39], v[34:35] op_sel:[1,1] op_sel_hi:[0,1]
	s_delay_alu instid0(VALU_DEP_1) | instskip(SKIP_1) | instid1(VALU_DEP_2)
	v_pk_fma_f32 v[44:45], v[38:39], v[34:35], v[42:43] op_sel_hi:[1,0,1]
	v_pk_fma_f32 v[34:35], v[38:39], v[34:35], v[42:43] neg_lo:[0,0,1] neg_hi:[0,0,1]
	v_mov_b32_e32 v35, v45
	s_cbranch_execz .LBB79_29
	s_branch .LBB79_30
.LBB79_28:
                                        ; implicit-def: $vgpr34_vgpr35
.LBB79_29:
	ds_load_b64 v[34:35], v36
.LBB79_30:
	s_and_saveexec_b32 s4, s1
	s_cbranch_execz .LBB79_34
; %bb.31:
	v_add_nc_u32_e32 v38, -13, v40
	v_lshl_add_u32 v39, v41, 7, 0x168
	s_movk_i32 s5, 0xe8
	s_mov_b32 s1, 0
.LBB79_32:                              ; =>This Inner Loop Header: Depth=1
	s_delay_alu instid0(VALU_DEP_2)
	v_dual_mov_b32 v44, s5 :: v_dual_add_nc_u32 v38, -1, v38
	s_add_co_i32 s5, s5, 8
	ds_load_b64 v[42:43], v39
	ds_load_b64 v[44:45], v44
	v_add_nc_u32_e32 v39, 8, v39
	v_cmp_eq_u32_e32 vcc_lo, 0, v38
	s_or_b32 s1, vcc_lo, s1
	s_wait_dscnt 0x0
	v_pk_mul_f32 v[48:49], v[44:45], v[42:43] op_sel:[1,1] op_sel_hi:[0,1]
	s_delay_alu instid0(VALU_DEP_1) | instskip(SKIP_1) | instid1(VALU_DEP_2)
	v_pk_fma_f32 v[50:51], v[44:45], v[42:43], v[48:49] op_sel_hi:[1,0,1]
	v_pk_fma_f32 v[42:43], v[44:45], v[42:43], v[48:49] neg_lo:[0,0,1] neg_hi:[0,0,1]
	v_mov_b32_e32 v43, v51
	s_delay_alu instid0(VALU_DEP_1)
	v_pk_add_f32 v[34:35], v[34:35], v[42:43]
	s_and_not1_b32 exec_lo, exec_lo, s1
	s_cbranch_execnz .LBB79_32
; %bb.33:
	s_or_b32 exec_lo, exec_lo, s1
.LBB79_34:
	s_delay_alu instid0(SALU_CYCLE_1) | instskip(SKIP_4) | instid1(VALU_DEP_1)
	s_or_b32 exec_lo, exec_lo, s4
	v_mov_b32_e32 v38, 0
	ds_load_b64 v[38:39], v38 offset:96
	s_wait_dscnt 0x0
	v_pk_mul_f32 v[42:43], v[34:35], v[38:39] op_sel:[1,1] op_sel_hi:[0,1]
	v_pk_fma_f32 v[44:45], v[34:35], v[38:39], v[42:43] op_sel_hi:[1,0,1]
	v_pk_fma_f32 v[34:35], v[34:35], v[38:39], v[42:43] neg_lo:[0,0,1] neg_hi:[0,0,1]
	s_delay_alu instid0(VALU_DEP_2)
	v_mov_b32_e32 v35, v45
	ds_store_b64 v46, v[34:35] offset:96
.LBB79_35:
	s_or_b32 exec_lo, exec_lo, s2
	ds_load_b64 v[34:35], v46 offset:88
	v_cmp_lt_u32_e64 s1, 11, v40
	s_wait_dscnt 0x0
	ds_store_b64 v36, v[34:35]
	s_wait_dscnt 0x0
	s_barrier_signal -1
	s_barrier_wait -1
	s_and_saveexec_b32 s2, s1
	s_cbranch_execz .LBB79_45
; %bb.36:
	s_and_not1_b32 vcc_lo, exec_lo, s3
	s_cbranch_vccnz .LBB79_38
; %bb.37:
	ds_load_b64 v[34:35], v37
	ds_load_b64 v[38:39], v36
	s_wait_dscnt 0x0
	v_pk_mul_f32 v[42:43], v[38:39], v[34:35] op_sel:[1,1] op_sel_hi:[0,1]
	s_delay_alu instid0(VALU_DEP_1) | instskip(SKIP_1) | instid1(VALU_DEP_2)
	v_pk_fma_f32 v[44:45], v[38:39], v[34:35], v[42:43] op_sel_hi:[1,0,1]
	v_pk_fma_f32 v[34:35], v[38:39], v[34:35], v[42:43] neg_lo:[0,0,1] neg_hi:[0,0,1]
	v_mov_b32_e32 v35, v45
	s_cbranch_execz .LBB79_39
	s_branch .LBB79_40
.LBB79_38:
                                        ; implicit-def: $vgpr34_vgpr35
.LBB79_39:
	ds_load_b64 v[34:35], v36
.LBB79_40:
	s_and_saveexec_b32 s4, s0
	s_cbranch_execz .LBB79_44
; %bb.41:
	v_add_nc_u32_e32 v38, -12, v40
	v_lshl_add_u32 v39, v41, 7, 0x160
	s_movk_i32 s5, 0xe0
	s_mov_b32 s0, 0
.LBB79_42:                              ; =>This Inner Loop Header: Depth=1
	s_delay_alu instid0(VALU_DEP_2)
	v_dual_mov_b32 v44, s5 :: v_dual_add_nc_u32 v38, -1, v38
	s_add_co_i32 s5, s5, 8
	ds_load_b64 v[42:43], v39
	ds_load_b64 v[44:45], v44
	v_add_nc_u32_e32 v39, 8, v39
	v_cmp_eq_u32_e32 vcc_lo, 0, v38
	s_or_b32 s0, vcc_lo, s0
	s_wait_dscnt 0x0
	v_pk_mul_f32 v[48:49], v[44:45], v[42:43] op_sel:[1,1] op_sel_hi:[0,1]
	s_delay_alu instid0(VALU_DEP_1) | instskip(SKIP_1) | instid1(VALU_DEP_2)
	v_pk_fma_f32 v[50:51], v[44:45], v[42:43], v[48:49] op_sel_hi:[1,0,1]
	v_pk_fma_f32 v[42:43], v[44:45], v[42:43], v[48:49] neg_lo:[0,0,1] neg_hi:[0,0,1]
	v_mov_b32_e32 v43, v51
	s_delay_alu instid0(VALU_DEP_1)
	v_pk_add_f32 v[34:35], v[34:35], v[42:43]
	s_and_not1_b32 exec_lo, exec_lo, s0
	s_cbranch_execnz .LBB79_42
; %bb.43:
	s_or_b32 exec_lo, exec_lo, s0
.LBB79_44:
	s_delay_alu instid0(SALU_CYCLE_1) | instskip(SKIP_4) | instid1(VALU_DEP_1)
	s_or_b32 exec_lo, exec_lo, s4
	v_mov_b32_e32 v38, 0
	ds_load_b64 v[38:39], v38 offset:88
	s_wait_dscnt 0x0
	v_pk_mul_f32 v[42:43], v[34:35], v[38:39] op_sel:[1,1] op_sel_hi:[0,1]
	v_pk_fma_f32 v[44:45], v[34:35], v[38:39], v[42:43] op_sel_hi:[1,0,1]
	v_pk_fma_f32 v[34:35], v[34:35], v[38:39], v[42:43] neg_lo:[0,0,1] neg_hi:[0,0,1]
	s_delay_alu instid0(VALU_DEP_2)
	v_mov_b32_e32 v35, v45
	ds_store_b64 v46, v[34:35] offset:88
.LBB79_45:
	s_or_b32 exec_lo, exec_lo, s2
	ds_load_b64 v[34:35], v46 offset:80
	v_cmp_lt_u32_e64 s0, 10, v40
	s_wait_dscnt 0x0
	ds_store_b64 v36, v[34:35]
	s_wait_dscnt 0x0
	s_barrier_signal -1
	s_barrier_wait -1
	s_and_saveexec_b32 s2, s0
	s_cbranch_execz .LBB79_55
; %bb.46:
	s_and_not1_b32 vcc_lo, exec_lo, s3
	s_cbranch_vccnz .LBB79_48
; %bb.47:
	ds_load_b64 v[34:35], v37
	ds_load_b64 v[38:39], v36
	s_wait_dscnt 0x0
	v_pk_mul_f32 v[42:43], v[38:39], v[34:35] op_sel:[1,1] op_sel_hi:[0,1]
	s_delay_alu instid0(VALU_DEP_1) | instskip(SKIP_1) | instid1(VALU_DEP_2)
	v_pk_fma_f32 v[44:45], v[38:39], v[34:35], v[42:43] op_sel_hi:[1,0,1]
	v_pk_fma_f32 v[34:35], v[38:39], v[34:35], v[42:43] neg_lo:[0,0,1] neg_hi:[0,0,1]
	v_mov_b32_e32 v35, v45
	s_cbranch_execz .LBB79_49
	s_branch .LBB79_50
.LBB79_48:
                                        ; implicit-def: $vgpr34_vgpr35
.LBB79_49:
	ds_load_b64 v[34:35], v36
.LBB79_50:
	s_and_saveexec_b32 s4, s1
	s_cbranch_execz .LBB79_54
; %bb.51:
	v_add_nc_u32_e32 v38, -11, v40
	v_lshl_add_u32 v39, v41, 7, 0x158
	s_movk_i32 s5, 0xd8
	s_mov_b32 s1, 0
.LBB79_52:                              ; =>This Inner Loop Header: Depth=1
	s_delay_alu instid0(VALU_DEP_2)
	v_dual_mov_b32 v44, s5 :: v_dual_add_nc_u32 v38, -1, v38
	s_add_co_i32 s5, s5, 8
	ds_load_b64 v[42:43], v39
	ds_load_b64 v[44:45], v44
	v_add_nc_u32_e32 v39, 8, v39
	v_cmp_eq_u32_e32 vcc_lo, 0, v38
	s_or_b32 s1, vcc_lo, s1
	s_wait_dscnt 0x0
	v_pk_mul_f32 v[48:49], v[44:45], v[42:43] op_sel:[1,1] op_sel_hi:[0,1]
	s_delay_alu instid0(VALU_DEP_1) | instskip(SKIP_1) | instid1(VALU_DEP_2)
	v_pk_fma_f32 v[50:51], v[44:45], v[42:43], v[48:49] op_sel_hi:[1,0,1]
	v_pk_fma_f32 v[42:43], v[44:45], v[42:43], v[48:49] neg_lo:[0,0,1] neg_hi:[0,0,1]
	v_mov_b32_e32 v43, v51
	s_delay_alu instid0(VALU_DEP_1)
	v_pk_add_f32 v[34:35], v[34:35], v[42:43]
	s_and_not1_b32 exec_lo, exec_lo, s1
	s_cbranch_execnz .LBB79_52
; %bb.53:
	s_or_b32 exec_lo, exec_lo, s1
.LBB79_54:
	s_delay_alu instid0(SALU_CYCLE_1) | instskip(SKIP_4) | instid1(VALU_DEP_1)
	s_or_b32 exec_lo, exec_lo, s4
	v_mov_b32_e32 v38, 0
	ds_load_b64 v[38:39], v38 offset:80
	s_wait_dscnt 0x0
	v_pk_mul_f32 v[42:43], v[34:35], v[38:39] op_sel:[1,1] op_sel_hi:[0,1]
	v_pk_fma_f32 v[44:45], v[34:35], v[38:39], v[42:43] op_sel_hi:[1,0,1]
	v_pk_fma_f32 v[34:35], v[34:35], v[38:39], v[42:43] neg_lo:[0,0,1] neg_hi:[0,0,1]
	s_delay_alu instid0(VALU_DEP_2)
	v_mov_b32_e32 v35, v45
	ds_store_b64 v46, v[34:35] offset:80
.LBB79_55:
	s_or_b32 exec_lo, exec_lo, s2
	ds_load_b64 v[34:35], v46 offset:72
	v_cmp_lt_u32_e64 s1, 9, v40
	s_wait_dscnt 0x0
	ds_store_b64 v36, v[34:35]
	s_wait_dscnt 0x0
	s_barrier_signal -1
	s_barrier_wait -1
	s_and_saveexec_b32 s2, s1
	s_cbranch_execz .LBB79_65
; %bb.56:
	s_and_not1_b32 vcc_lo, exec_lo, s3
	s_cbranch_vccnz .LBB79_58
; %bb.57:
	ds_load_b64 v[34:35], v37
	ds_load_b64 v[38:39], v36
	s_wait_dscnt 0x0
	v_pk_mul_f32 v[42:43], v[38:39], v[34:35] op_sel:[1,1] op_sel_hi:[0,1]
	s_delay_alu instid0(VALU_DEP_1) | instskip(SKIP_1) | instid1(VALU_DEP_2)
	v_pk_fma_f32 v[44:45], v[38:39], v[34:35], v[42:43] op_sel_hi:[1,0,1]
	v_pk_fma_f32 v[34:35], v[38:39], v[34:35], v[42:43] neg_lo:[0,0,1] neg_hi:[0,0,1]
	v_mov_b32_e32 v35, v45
	s_cbranch_execz .LBB79_59
	s_branch .LBB79_60
.LBB79_58:
                                        ; implicit-def: $vgpr34_vgpr35
.LBB79_59:
	ds_load_b64 v[34:35], v36
.LBB79_60:
	s_and_saveexec_b32 s4, s0
	s_cbranch_execz .LBB79_64
; %bb.61:
	v_add_nc_u32_e32 v38, -10, v40
	v_lshl_add_u32 v39, v41, 7, 0x150
	s_movk_i32 s5, 0xd0
	s_mov_b32 s0, 0
.LBB79_62:                              ; =>This Inner Loop Header: Depth=1
	s_delay_alu instid0(VALU_DEP_2)
	v_dual_mov_b32 v44, s5 :: v_dual_add_nc_u32 v38, -1, v38
	s_add_co_i32 s5, s5, 8
	ds_load_b64 v[42:43], v39
	ds_load_b64 v[44:45], v44
	v_add_nc_u32_e32 v39, 8, v39
	v_cmp_eq_u32_e32 vcc_lo, 0, v38
	s_or_b32 s0, vcc_lo, s0
	s_wait_dscnt 0x0
	v_pk_mul_f32 v[48:49], v[44:45], v[42:43] op_sel:[1,1] op_sel_hi:[0,1]
	s_delay_alu instid0(VALU_DEP_1) | instskip(SKIP_1) | instid1(VALU_DEP_2)
	v_pk_fma_f32 v[50:51], v[44:45], v[42:43], v[48:49] op_sel_hi:[1,0,1]
	v_pk_fma_f32 v[42:43], v[44:45], v[42:43], v[48:49] neg_lo:[0,0,1] neg_hi:[0,0,1]
	v_mov_b32_e32 v43, v51
	s_delay_alu instid0(VALU_DEP_1)
	v_pk_add_f32 v[34:35], v[34:35], v[42:43]
	s_and_not1_b32 exec_lo, exec_lo, s0
	s_cbranch_execnz .LBB79_62
; %bb.63:
	s_or_b32 exec_lo, exec_lo, s0
.LBB79_64:
	s_delay_alu instid0(SALU_CYCLE_1) | instskip(SKIP_4) | instid1(VALU_DEP_1)
	s_or_b32 exec_lo, exec_lo, s4
	v_mov_b32_e32 v38, 0
	ds_load_b64 v[38:39], v38 offset:72
	s_wait_dscnt 0x0
	v_pk_mul_f32 v[42:43], v[34:35], v[38:39] op_sel:[1,1] op_sel_hi:[0,1]
	v_pk_fma_f32 v[44:45], v[34:35], v[38:39], v[42:43] op_sel_hi:[1,0,1]
	v_pk_fma_f32 v[34:35], v[34:35], v[38:39], v[42:43] neg_lo:[0,0,1] neg_hi:[0,0,1]
	s_delay_alu instid0(VALU_DEP_2)
	v_mov_b32_e32 v35, v45
	ds_store_b64 v46, v[34:35] offset:72
.LBB79_65:
	s_or_b32 exec_lo, exec_lo, s2
	ds_load_b64 v[34:35], v46 offset:64
	v_cmp_lt_u32_e64 s0, 8, v40
	s_wait_dscnt 0x0
	ds_store_b64 v36, v[34:35]
	s_wait_dscnt 0x0
	s_barrier_signal -1
	s_barrier_wait -1
	s_and_saveexec_b32 s2, s0
	s_cbranch_execz .LBB79_75
; %bb.66:
	s_and_not1_b32 vcc_lo, exec_lo, s3
	s_cbranch_vccnz .LBB79_68
; %bb.67:
	ds_load_b64 v[34:35], v37
	ds_load_b64 v[38:39], v36
	s_wait_dscnt 0x0
	v_pk_mul_f32 v[42:43], v[38:39], v[34:35] op_sel:[1,1] op_sel_hi:[0,1]
	s_delay_alu instid0(VALU_DEP_1) | instskip(SKIP_1) | instid1(VALU_DEP_2)
	v_pk_fma_f32 v[44:45], v[38:39], v[34:35], v[42:43] op_sel_hi:[1,0,1]
	v_pk_fma_f32 v[34:35], v[38:39], v[34:35], v[42:43] neg_lo:[0,0,1] neg_hi:[0,0,1]
	v_mov_b32_e32 v35, v45
	s_cbranch_execz .LBB79_69
	s_branch .LBB79_70
.LBB79_68:
                                        ; implicit-def: $vgpr34_vgpr35
.LBB79_69:
	ds_load_b64 v[34:35], v36
.LBB79_70:
	s_and_saveexec_b32 s4, s1
	s_cbranch_execz .LBB79_74
; %bb.71:
	v_add_nc_u32_e32 v38, -9, v40
	v_lshl_add_u32 v39, v41, 7, 0x148
	s_movk_i32 s5, 0xc8
	s_mov_b32 s1, 0
.LBB79_72:                              ; =>This Inner Loop Header: Depth=1
	s_delay_alu instid0(VALU_DEP_2)
	v_dual_mov_b32 v44, s5 :: v_dual_add_nc_u32 v38, -1, v38
	s_add_co_i32 s5, s5, 8
	ds_load_b64 v[42:43], v39
	ds_load_b64 v[44:45], v44
	v_add_nc_u32_e32 v39, 8, v39
	v_cmp_eq_u32_e32 vcc_lo, 0, v38
	s_or_b32 s1, vcc_lo, s1
	s_wait_dscnt 0x0
	v_pk_mul_f32 v[48:49], v[44:45], v[42:43] op_sel:[1,1] op_sel_hi:[0,1]
	s_delay_alu instid0(VALU_DEP_1) | instskip(SKIP_1) | instid1(VALU_DEP_2)
	v_pk_fma_f32 v[50:51], v[44:45], v[42:43], v[48:49] op_sel_hi:[1,0,1]
	v_pk_fma_f32 v[42:43], v[44:45], v[42:43], v[48:49] neg_lo:[0,0,1] neg_hi:[0,0,1]
	v_mov_b32_e32 v43, v51
	s_delay_alu instid0(VALU_DEP_1)
	v_pk_add_f32 v[34:35], v[34:35], v[42:43]
	s_and_not1_b32 exec_lo, exec_lo, s1
	s_cbranch_execnz .LBB79_72
; %bb.73:
	s_or_b32 exec_lo, exec_lo, s1
.LBB79_74:
	s_delay_alu instid0(SALU_CYCLE_1) | instskip(SKIP_4) | instid1(VALU_DEP_1)
	s_or_b32 exec_lo, exec_lo, s4
	v_mov_b32_e32 v38, 0
	ds_load_b64 v[38:39], v38 offset:64
	s_wait_dscnt 0x0
	v_pk_mul_f32 v[42:43], v[34:35], v[38:39] op_sel:[1,1] op_sel_hi:[0,1]
	v_pk_fma_f32 v[44:45], v[34:35], v[38:39], v[42:43] op_sel_hi:[1,0,1]
	v_pk_fma_f32 v[34:35], v[34:35], v[38:39], v[42:43] neg_lo:[0,0,1] neg_hi:[0,0,1]
	s_delay_alu instid0(VALU_DEP_2)
	v_mov_b32_e32 v35, v45
	ds_store_b64 v46, v[34:35] offset:64
.LBB79_75:
	s_or_b32 exec_lo, exec_lo, s2
	ds_load_b64 v[34:35], v46 offset:56
	v_cmp_lt_u32_e64 s1, 7, v40
	s_wait_dscnt 0x0
	ds_store_b64 v36, v[34:35]
	s_wait_dscnt 0x0
	s_barrier_signal -1
	s_barrier_wait -1
	s_and_saveexec_b32 s2, s1
	s_cbranch_execz .LBB79_85
; %bb.76:
	s_and_not1_b32 vcc_lo, exec_lo, s3
	s_cbranch_vccnz .LBB79_78
; %bb.77:
	ds_load_b64 v[34:35], v37
	ds_load_b64 v[38:39], v36
	s_wait_dscnt 0x0
	v_pk_mul_f32 v[42:43], v[38:39], v[34:35] op_sel:[1,1] op_sel_hi:[0,1]
	s_delay_alu instid0(VALU_DEP_1) | instskip(SKIP_1) | instid1(VALU_DEP_2)
	v_pk_fma_f32 v[44:45], v[38:39], v[34:35], v[42:43] op_sel_hi:[1,0,1]
	v_pk_fma_f32 v[34:35], v[38:39], v[34:35], v[42:43] neg_lo:[0,0,1] neg_hi:[0,0,1]
	v_mov_b32_e32 v35, v45
	s_cbranch_execz .LBB79_79
	s_branch .LBB79_80
.LBB79_78:
                                        ; implicit-def: $vgpr34_vgpr35
.LBB79_79:
	ds_load_b64 v[34:35], v36
.LBB79_80:
	s_and_saveexec_b32 s4, s0
	s_cbranch_execz .LBB79_84
; %bb.81:
	v_add_nc_u32_e32 v38, -8, v40
	v_lshl_add_u32 v39, v41, 7, 0x140
	s_movk_i32 s5, 0xc0
	s_mov_b32 s0, 0
.LBB79_82:                              ; =>This Inner Loop Header: Depth=1
	s_delay_alu instid0(VALU_DEP_2)
	v_dual_mov_b32 v44, s5 :: v_dual_add_nc_u32 v38, -1, v38
	s_add_co_i32 s5, s5, 8
	ds_load_b64 v[42:43], v39
	ds_load_b64 v[44:45], v44
	v_add_nc_u32_e32 v39, 8, v39
	v_cmp_eq_u32_e32 vcc_lo, 0, v38
	s_or_b32 s0, vcc_lo, s0
	s_wait_dscnt 0x0
	v_pk_mul_f32 v[48:49], v[44:45], v[42:43] op_sel:[1,1] op_sel_hi:[0,1]
	s_delay_alu instid0(VALU_DEP_1) | instskip(SKIP_1) | instid1(VALU_DEP_2)
	v_pk_fma_f32 v[50:51], v[44:45], v[42:43], v[48:49] op_sel_hi:[1,0,1]
	v_pk_fma_f32 v[42:43], v[44:45], v[42:43], v[48:49] neg_lo:[0,0,1] neg_hi:[0,0,1]
	v_mov_b32_e32 v43, v51
	s_delay_alu instid0(VALU_DEP_1)
	v_pk_add_f32 v[34:35], v[34:35], v[42:43]
	s_and_not1_b32 exec_lo, exec_lo, s0
	s_cbranch_execnz .LBB79_82
; %bb.83:
	s_or_b32 exec_lo, exec_lo, s0
.LBB79_84:
	s_delay_alu instid0(SALU_CYCLE_1) | instskip(SKIP_4) | instid1(VALU_DEP_1)
	s_or_b32 exec_lo, exec_lo, s4
	v_mov_b32_e32 v38, 0
	ds_load_b64 v[38:39], v38 offset:56
	s_wait_dscnt 0x0
	v_pk_mul_f32 v[42:43], v[34:35], v[38:39] op_sel:[1,1] op_sel_hi:[0,1]
	v_pk_fma_f32 v[44:45], v[34:35], v[38:39], v[42:43] op_sel_hi:[1,0,1]
	v_pk_fma_f32 v[34:35], v[34:35], v[38:39], v[42:43] neg_lo:[0,0,1] neg_hi:[0,0,1]
	s_delay_alu instid0(VALU_DEP_2)
	v_mov_b32_e32 v35, v45
	ds_store_b64 v46, v[34:35] offset:56
.LBB79_85:
	s_or_b32 exec_lo, exec_lo, s2
	ds_load_b64 v[34:35], v46 offset:48
	v_cmp_lt_u32_e64 s0, 6, v40
	s_wait_dscnt 0x0
	ds_store_b64 v36, v[34:35]
	s_wait_dscnt 0x0
	s_barrier_signal -1
	s_barrier_wait -1
	s_and_saveexec_b32 s2, s0
	s_cbranch_execz .LBB79_95
; %bb.86:
	s_and_not1_b32 vcc_lo, exec_lo, s3
	s_cbranch_vccnz .LBB79_88
; %bb.87:
	ds_load_b64 v[34:35], v37
	ds_load_b64 v[38:39], v36
	s_wait_dscnt 0x0
	v_pk_mul_f32 v[42:43], v[38:39], v[34:35] op_sel:[1,1] op_sel_hi:[0,1]
	s_delay_alu instid0(VALU_DEP_1) | instskip(SKIP_1) | instid1(VALU_DEP_2)
	v_pk_fma_f32 v[44:45], v[38:39], v[34:35], v[42:43] op_sel_hi:[1,0,1]
	v_pk_fma_f32 v[34:35], v[38:39], v[34:35], v[42:43] neg_lo:[0,0,1] neg_hi:[0,0,1]
	v_mov_b32_e32 v35, v45
	s_cbranch_execz .LBB79_89
	s_branch .LBB79_90
.LBB79_88:
                                        ; implicit-def: $vgpr34_vgpr35
.LBB79_89:
	ds_load_b64 v[34:35], v36
.LBB79_90:
	s_and_saveexec_b32 s4, s1
	s_cbranch_execz .LBB79_94
; %bb.91:
	v_add_nc_u32_e32 v38, -7, v40
	v_lshl_add_u32 v39, v41, 7, 0x138
	s_movk_i32 s5, 0xb8
	s_mov_b32 s1, 0
.LBB79_92:                              ; =>This Inner Loop Header: Depth=1
	s_delay_alu instid0(VALU_DEP_2)
	v_dual_mov_b32 v44, s5 :: v_dual_add_nc_u32 v38, -1, v38
	s_add_co_i32 s5, s5, 8
	ds_load_b64 v[42:43], v39
	ds_load_b64 v[44:45], v44
	v_add_nc_u32_e32 v39, 8, v39
	v_cmp_eq_u32_e32 vcc_lo, 0, v38
	s_or_b32 s1, vcc_lo, s1
	s_wait_dscnt 0x0
	v_pk_mul_f32 v[48:49], v[44:45], v[42:43] op_sel:[1,1] op_sel_hi:[0,1]
	s_delay_alu instid0(VALU_DEP_1) | instskip(SKIP_1) | instid1(VALU_DEP_2)
	v_pk_fma_f32 v[50:51], v[44:45], v[42:43], v[48:49] op_sel_hi:[1,0,1]
	v_pk_fma_f32 v[42:43], v[44:45], v[42:43], v[48:49] neg_lo:[0,0,1] neg_hi:[0,0,1]
	v_mov_b32_e32 v43, v51
	s_delay_alu instid0(VALU_DEP_1)
	v_pk_add_f32 v[34:35], v[34:35], v[42:43]
	s_and_not1_b32 exec_lo, exec_lo, s1
	s_cbranch_execnz .LBB79_92
; %bb.93:
	s_or_b32 exec_lo, exec_lo, s1
.LBB79_94:
	s_delay_alu instid0(SALU_CYCLE_1) | instskip(SKIP_4) | instid1(VALU_DEP_1)
	s_or_b32 exec_lo, exec_lo, s4
	v_mov_b32_e32 v38, 0
	ds_load_b64 v[38:39], v38 offset:48
	s_wait_dscnt 0x0
	v_pk_mul_f32 v[42:43], v[34:35], v[38:39] op_sel:[1,1] op_sel_hi:[0,1]
	v_pk_fma_f32 v[44:45], v[34:35], v[38:39], v[42:43] op_sel_hi:[1,0,1]
	v_pk_fma_f32 v[34:35], v[34:35], v[38:39], v[42:43] neg_lo:[0,0,1] neg_hi:[0,0,1]
	s_delay_alu instid0(VALU_DEP_2)
	v_mov_b32_e32 v35, v45
	ds_store_b64 v46, v[34:35] offset:48
.LBB79_95:
	s_or_b32 exec_lo, exec_lo, s2
	ds_load_b64 v[34:35], v46 offset:40
	v_cmp_lt_u32_e64 s1, 5, v40
	s_wait_dscnt 0x0
	ds_store_b64 v36, v[34:35]
	s_wait_dscnt 0x0
	s_barrier_signal -1
	s_barrier_wait -1
	s_and_saveexec_b32 s2, s1
	s_cbranch_execz .LBB79_105
; %bb.96:
	s_and_not1_b32 vcc_lo, exec_lo, s3
	s_cbranch_vccnz .LBB79_98
; %bb.97:
	ds_load_b64 v[34:35], v37
	ds_load_b64 v[38:39], v36
	s_wait_dscnt 0x0
	v_pk_mul_f32 v[42:43], v[38:39], v[34:35] op_sel:[1,1] op_sel_hi:[0,1]
	s_delay_alu instid0(VALU_DEP_1) | instskip(SKIP_1) | instid1(VALU_DEP_2)
	v_pk_fma_f32 v[44:45], v[38:39], v[34:35], v[42:43] op_sel_hi:[1,0,1]
	v_pk_fma_f32 v[34:35], v[38:39], v[34:35], v[42:43] neg_lo:[0,0,1] neg_hi:[0,0,1]
	v_mov_b32_e32 v35, v45
	s_cbranch_execz .LBB79_99
	s_branch .LBB79_100
.LBB79_98:
                                        ; implicit-def: $vgpr34_vgpr35
.LBB79_99:
	ds_load_b64 v[34:35], v36
.LBB79_100:
	s_and_saveexec_b32 s4, s0
	s_cbranch_execz .LBB79_104
; %bb.101:
	v_add_nc_u32_e32 v38, -6, v40
	v_lshl_add_u32 v39, v41, 7, 0x130
	s_movk_i32 s5, 0xb0
	s_mov_b32 s0, 0
.LBB79_102:                             ; =>This Inner Loop Header: Depth=1
	s_delay_alu instid0(VALU_DEP_2)
	v_dual_mov_b32 v44, s5 :: v_dual_add_nc_u32 v38, -1, v38
	s_add_co_i32 s5, s5, 8
	ds_load_b64 v[42:43], v39
	ds_load_b64 v[44:45], v44
	v_add_nc_u32_e32 v39, 8, v39
	v_cmp_eq_u32_e32 vcc_lo, 0, v38
	s_or_b32 s0, vcc_lo, s0
	s_wait_dscnt 0x0
	v_pk_mul_f32 v[48:49], v[44:45], v[42:43] op_sel:[1,1] op_sel_hi:[0,1]
	s_delay_alu instid0(VALU_DEP_1) | instskip(SKIP_1) | instid1(VALU_DEP_2)
	v_pk_fma_f32 v[50:51], v[44:45], v[42:43], v[48:49] op_sel_hi:[1,0,1]
	v_pk_fma_f32 v[42:43], v[44:45], v[42:43], v[48:49] neg_lo:[0,0,1] neg_hi:[0,0,1]
	v_mov_b32_e32 v43, v51
	s_delay_alu instid0(VALU_DEP_1)
	v_pk_add_f32 v[34:35], v[34:35], v[42:43]
	s_and_not1_b32 exec_lo, exec_lo, s0
	s_cbranch_execnz .LBB79_102
; %bb.103:
	s_or_b32 exec_lo, exec_lo, s0
.LBB79_104:
	s_delay_alu instid0(SALU_CYCLE_1) | instskip(SKIP_4) | instid1(VALU_DEP_1)
	s_or_b32 exec_lo, exec_lo, s4
	v_mov_b32_e32 v38, 0
	ds_load_b64 v[38:39], v38 offset:40
	s_wait_dscnt 0x0
	v_pk_mul_f32 v[42:43], v[34:35], v[38:39] op_sel:[1,1] op_sel_hi:[0,1]
	v_pk_fma_f32 v[44:45], v[34:35], v[38:39], v[42:43] op_sel_hi:[1,0,1]
	v_pk_fma_f32 v[34:35], v[34:35], v[38:39], v[42:43] neg_lo:[0,0,1] neg_hi:[0,0,1]
	s_delay_alu instid0(VALU_DEP_2)
	v_mov_b32_e32 v35, v45
	ds_store_b64 v46, v[34:35] offset:40
.LBB79_105:
	s_or_b32 exec_lo, exec_lo, s2
	ds_load_b64 v[34:35], v46 offset:32
	v_cmp_lt_u32_e64 s0, 4, v40
	s_wait_dscnt 0x0
	ds_store_b64 v36, v[34:35]
	s_wait_dscnt 0x0
	s_barrier_signal -1
	s_barrier_wait -1
	s_and_saveexec_b32 s2, s0
	s_cbranch_execz .LBB79_115
; %bb.106:
	s_and_not1_b32 vcc_lo, exec_lo, s3
	s_cbranch_vccnz .LBB79_108
; %bb.107:
	ds_load_b64 v[34:35], v37
	ds_load_b64 v[38:39], v36
	s_wait_dscnt 0x0
	v_pk_mul_f32 v[42:43], v[38:39], v[34:35] op_sel:[1,1] op_sel_hi:[0,1]
	s_delay_alu instid0(VALU_DEP_1) | instskip(SKIP_1) | instid1(VALU_DEP_2)
	v_pk_fma_f32 v[44:45], v[38:39], v[34:35], v[42:43] op_sel_hi:[1,0,1]
	v_pk_fma_f32 v[34:35], v[38:39], v[34:35], v[42:43] neg_lo:[0,0,1] neg_hi:[0,0,1]
	v_mov_b32_e32 v35, v45
	s_cbranch_execz .LBB79_109
	s_branch .LBB79_110
.LBB79_108:
                                        ; implicit-def: $vgpr34_vgpr35
.LBB79_109:
	ds_load_b64 v[34:35], v36
.LBB79_110:
	s_and_saveexec_b32 s4, s1
	s_cbranch_execz .LBB79_114
; %bb.111:
	v_add_nc_u32_e32 v38, -5, v40
	v_lshl_add_u32 v39, v41, 7, 0x128
	s_movk_i32 s5, 0xa8
	s_mov_b32 s1, 0
.LBB79_112:                             ; =>This Inner Loop Header: Depth=1
	s_delay_alu instid0(VALU_DEP_2)
	v_dual_mov_b32 v44, s5 :: v_dual_add_nc_u32 v38, -1, v38
	s_add_co_i32 s5, s5, 8
	ds_load_b64 v[42:43], v39
	ds_load_b64 v[44:45], v44
	v_add_nc_u32_e32 v39, 8, v39
	v_cmp_eq_u32_e32 vcc_lo, 0, v38
	s_or_b32 s1, vcc_lo, s1
	s_wait_dscnt 0x0
	v_pk_mul_f32 v[48:49], v[44:45], v[42:43] op_sel:[1,1] op_sel_hi:[0,1]
	s_delay_alu instid0(VALU_DEP_1) | instskip(SKIP_1) | instid1(VALU_DEP_2)
	v_pk_fma_f32 v[50:51], v[44:45], v[42:43], v[48:49] op_sel_hi:[1,0,1]
	v_pk_fma_f32 v[42:43], v[44:45], v[42:43], v[48:49] neg_lo:[0,0,1] neg_hi:[0,0,1]
	v_mov_b32_e32 v43, v51
	s_delay_alu instid0(VALU_DEP_1)
	v_pk_add_f32 v[34:35], v[34:35], v[42:43]
	s_and_not1_b32 exec_lo, exec_lo, s1
	s_cbranch_execnz .LBB79_112
; %bb.113:
	s_or_b32 exec_lo, exec_lo, s1
.LBB79_114:
	s_delay_alu instid0(SALU_CYCLE_1) | instskip(SKIP_4) | instid1(VALU_DEP_1)
	s_or_b32 exec_lo, exec_lo, s4
	v_mov_b32_e32 v38, 0
	ds_load_b64 v[38:39], v38 offset:32
	s_wait_dscnt 0x0
	v_pk_mul_f32 v[42:43], v[34:35], v[38:39] op_sel:[1,1] op_sel_hi:[0,1]
	v_pk_fma_f32 v[44:45], v[34:35], v[38:39], v[42:43] op_sel_hi:[1,0,1]
	v_pk_fma_f32 v[34:35], v[34:35], v[38:39], v[42:43] neg_lo:[0,0,1] neg_hi:[0,0,1]
	s_delay_alu instid0(VALU_DEP_2)
	v_mov_b32_e32 v35, v45
	ds_store_b64 v46, v[34:35] offset:32
.LBB79_115:
	s_or_b32 exec_lo, exec_lo, s2
	ds_load_b64 v[34:35], v46 offset:24
	v_cmp_lt_u32_e64 s1, 3, v40
	s_wait_dscnt 0x0
	ds_store_b64 v36, v[34:35]
	s_wait_dscnt 0x0
	s_barrier_signal -1
	s_barrier_wait -1
	s_and_saveexec_b32 s2, s1
	s_cbranch_execz .LBB79_125
; %bb.116:
	s_and_not1_b32 vcc_lo, exec_lo, s3
	s_cbranch_vccnz .LBB79_118
; %bb.117:
	ds_load_b64 v[34:35], v37
	ds_load_b64 v[38:39], v36
	s_wait_dscnt 0x0
	v_pk_mul_f32 v[42:43], v[38:39], v[34:35] op_sel:[1,1] op_sel_hi:[0,1]
	s_delay_alu instid0(VALU_DEP_1) | instskip(SKIP_1) | instid1(VALU_DEP_2)
	v_pk_fma_f32 v[44:45], v[38:39], v[34:35], v[42:43] op_sel_hi:[1,0,1]
	v_pk_fma_f32 v[34:35], v[38:39], v[34:35], v[42:43] neg_lo:[0,0,1] neg_hi:[0,0,1]
	v_mov_b32_e32 v35, v45
	s_cbranch_execz .LBB79_119
	s_branch .LBB79_120
.LBB79_118:
                                        ; implicit-def: $vgpr34_vgpr35
.LBB79_119:
	ds_load_b64 v[34:35], v36
.LBB79_120:
	s_and_saveexec_b32 s4, s0
	s_cbranch_execz .LBB79_124
; %bb.121:
	v_add_nc_u32_e32 v38, -4, v40
	v_lshl_add_u32 v39, v41, 7, 0x120
	s_movk_i32 s5, 0xa0
	s_mov_b32 s0, 0
.LBB79_122:                             ; =>This Inner Loop Header: Depth=1
	s_delay_alu instid0(VALU_DEP_2)
	v_dual_mov_b32 v44, s5 :: v_dual_add_nc_u32 v38, -1, v38
	s_add_co_i32 s5, s5, 8
	ds_load_b64 v[42:43], v39
	ds_load_b64 v[44:45], v44
	v_add_nc_u32_e32 v39, 8, v39
	v_cmp_eq_u32_e32 vcc_lo, 0, v38
	s_or_b32 s0, vcc_lo, s0
	s_wait_dscnt 0x0
	v_pk_mul_f32 v[48:49], v[44:45], v[42:43] op_sel:[1,1] op_sel_hi:[0,1]
	s_delay_alu instid0(VALU_DEP_1) | instskip(SKIP_1) | instid1(VALU_DEP_2)
	v_pk_fma_f32 v[50:51], v[44:45], v[42:43], v[48:49] op_sel_hi:[1,0,1]
	v_pk_fma_f32 v[42:43], v[44:45], v[42:43], v[48:49] neg_lo:[0,0,1] neg_hi:[0,0,1]
	v_mov_b32_e32 v43, v51
	s_delay_alu instid0(VALU_DEP_1)
	v_pk_add_f32 v[34:35], v[34:35], v[42:43]
	s_and_not1_b32 exec_lo, exec_lo, s0
	s_cbranch_execnz .LBB79_122
; %bb.123:
	s_or_b32 exec_lo, exec_lo, s0
.LBB79_124:
	s_delay_alu instid0(SALU_CYCLE_1) | instskip(SKIP_4) | instid1(VALU_DEP_1)
	s_or_b32 exec_lo, exec_lo, s4
	v_mov_b32_e32 v38, 0
	ds_load_b64 v[38:39], v38 offset:24
	s_wait_dscnt 0x0
	v_pk_mul_f32 v[42:43], v[34:35], v[38:39] op_sel:[1,1] op_sel_hi:[0,1]
	v_pk_fma_f32 v[44:45], v[34:35], v[38:39], v[42:43] op_sel_hi:[1,0,1]
	v_pk_fma_f32 v[34:35], v[34:35], v[38:39], v[42:43] neg_lo:[0,0,1] neg_hi:[0,0,1]
	s_delay_alu instid0(VALU_DEP_2)
	v_mov_b32_e32 v35, v45
	ds_store_b64 v46, v[34:35] offset:24
.LBB79_125:
	s_or_b32 exec_lo, exec_lo, s2
	ds_load_b64 v[34:35], v46 offset:16
	v_cmp_lt_u32_e64 s2, 2, v40
	s_wait_dscnt 0x0
	ds_store_b64 v36, v[34:35]
	s_wait_dscnt 0x0
	s_barrier_signal -1
	s_barrier_wait -1
	s_and_saveexec_b32 s0, s2
	s_cbranch_execz .LBB79_135
; %bb.126:
	s_and_not1_b32 vcc_lo, exec_lo, s3
	s_cbranch_vccnz .LBB79_128
; %bb.127:
	ds_load_b64 v[34:35], v37
	ds_load_b64 v[38:39], v36
	s_wait_dscnt 0x0
	v_pk_mul_f32 v[42:43], v[38:39], v[34:35] op_sel:[1,1] op_sel_hi:[0,1]
	s_delay_alu instid0(VALU_DEP_1) | instskip(SKIP_1) | instid1(VALU_DEP_2)
	v_pk_fma_f32 v[44:45], v[38:39], v[34:35], v[42:43] op_sel_hi:[1,0,1]
	v_pk_fma_f32 v[34:35], v[38:39], v[34:35], v[42:43] neg_lo:[0,0,1] neg_hi:[0,0,1]
	v_mov_b32_e32 v35, v45
	s_cbranch_execz .LBB79_129
	s_branch .LBB79_130
.LBB79_128:
                                        ; implicit-def: $vgpr34_vgpr35
.LBB79_129:
	ds_load_b64 v[34:35], v36
.LBB79_130:
	s_and_saveexec_b32 s4, s1
	s_cbranch_execz .LBB79_134
; %bb.131:
	v_add_nc_u32_e32 v38, -3, v40
	v_lshl_add_u32 v39, v41, 7, 0x118
	s_movk_i32 s5, 0x98
	s_mov_b32 s1, 0
.LBB79_132:                             ; =>This Inner Loop Header: Depth=1
	s_delay_alu instid0(VALU_DEP_2)
	v_dual_mov_b32 v44, s5 :: v_dual_add_nc_u32 v38, -1, v38
	s_add_co_i32 s5, s5, 8
	ds_load_b64 v[42:43], v39
	ds_load_b64 v[44:45], v44
	v_add_nc_u32_e32 v39, 8, v39
	v_cmp_eq_u32_e32 vcc_lo, 0, v38
	s_or_b32 s1, vcc_lo, s1
	s_wait_dscnt 0x0
	v_pk_mul_f32 v[48:49], v[44:45], v[42:43] op_sel:[1,1] op_sel_hi:[0,1]
	s_delay_alu instid0(VALU_DEP_1) | instskip(SKIP_1) | instid1(VALU_DEP_2)
	v_pk_fma_f32 v[50:51], v[44:45], v[42:43], v[48:49] op_sel_hi:[1,0,1]
	v_pk_fma_f32 v[42:43], v[44:45], v[42:43], v[48:49] neg_lo:[0,0,1] neg_hi:[0,0,1]
	v_mov_b32_e32 v43, v51
	s_delay_alu instid0(VALU_DEP_1)
	v_pk_add_f32 v[34:35], v[34:35], v[42:43]
	s_and_not1_b32 exec_lo, exec_lo, s1
	s_cbranch_execnz .LBB79_132
; %bb.133:
	s_or_b32 exec_lo, exec_lo, s1
.LBB79_134:
	s_delay_alu instid0(SALU_CYCLE_1) | instskip(SKIP_4) | instid1(VALU_DEP_1)
	s_or_b32 exec_lo, exec_lo, s4
	v_mov_b32_e32 v38, 0
	ds_load_b64 v[38:39], v38 offset:16
	s_wait_dscnt 0x0
	v_pk_mul_f32 v[42:43], v[34:35], v[38:39] op_sel:[1,1] op_sel_hi:[0,1]
	v_pk_fma_f32 v[44:45], v[34:35], v[38:39], v[42:43] op_sel_hi:[1,0,1]
	v_pk_fma_f32 v[34:35], v[34:35], v[38:39], v[42:43] neg_lo:[0,0,1] neg_hi:[0,0,1]
	s_delay_alu instid0(VALU_DEP_2)
	v_mov_b32_e32 v35, v45
	ds_store_b64 v46, v[34:35] offset:16
.LBB79_135:
	s_or_b32 exec_lo, exec_lo, s0
	ds_load_b64 v[34:35], v46 offset:8
	v_cmp_lt_u32_e64 s0, 1, v40
	s_wait_dscnt 0x0
	ds_store_b64 v36, v[34:35]
	s_wait_dscnt 0x0
	s_barrier_signal -1
	s_barrier_wait -1
	s_and_saveexec_b32 s1, s0
	s_cbranch_execz .LBB79_145
; %bb.136:
	s_and_not1_b32 vcc_lo, exec_lo, s3
	s_cbranch_vccnz .LBB79_138
; %bb.137:
	ds_load_b64 v[34:35], v37
	ds_load_b64 v[38:39], v36
	s_wait_dscnt 0x0
	v_pk_mul_f32 v[42:43], v[38:39], v[34:35] op_sel:[1,1] op_sel_hi:[0,1]
	s_delay_alu instid0(VALU_DEP_1) | instskip(SKIP_1) | instid1(VALU_DEP_2)
	v_pk_fma_f32 v[44:45], v[38:39], v[34:35], v[42:43] op_sel_hi:[1,0,1]
	v_pk_fma_f32 v[34:35], v[38:39], v[34:35], v[42:43] neg_lo:[0,0,1] neg_hi:[0,0,1]
	v_mov_b32_e32 v35, v45
	s_cbranch_execz .LBB79_139
	s_branch .LBB79_140
.LBB79_138:
                                        ; implicit-def: $vgpr34_vgpr35
.LBB79_139:
	ds_load_b64 v[34:35], v36
.LBB79_140:
	s_and_saveexec_b32 s4, s2
	s_cbranch_execz .LBB79_144
; %bb.141:
	v_add_nc_u32_e32 v38, -2, v40
	v_lshl_add_u32 v39, v41, 7, 0x110
	s_movk_i32 s5, 0x90
	s_mov_b32 s2, 0
.LBB79_142:                             ; =>This Inner Loop Header: Depth=1
	s_delay_alu instid0(VALU_DEP_2)
	v_dual_mov_b32 v44, s5 :: v_dual_add_nc_u32 v38, -1, v38
	s_add_co_i32 s5, s5, 8
	ds_load_b64 v[42:43], v39
	ds_load_b64 v[44:45], v44
	v_add_nc_u32_e32 v39, 8, v39
	v_cmp_eq_u32_e32 vcc_lo, 0, v38
	s_or_b32 s2, vcc_lo, s2
	s_wait_dscnt 0x0
	v_pk_mul_f32 v[48:49], v[44:45], v[42:43] op_sel:[1,1] op_sel_hi:[0,1]
	s_delay_alu instid0(VALU_DEP_1) | instskip(SKIP_1) | instid1(VALU_DEP_2)
	v_pk_fma_f32 v[50:51], v[44:45], v[42:43], v[48:49] op_sel_hi:[1,0,1]
	v_pk_fma_f32 v[42:43], v[44:45], v[42:43], v[48:49] neg_lo:[0,0,1] neg_hi:[0,0,1]
	v_mov_b32_e32 v43, v51
	s_delay_alu instid0(VALU_DEP_1)
	v_pk_add_f32 v[34:35], v[34:35], v[42:43]
	s_and_not1_b32 exec_lo, exec_lo, s2
	s_cbranch_execnz .LBB79_142
; %bb.143:
	s_or_b32 exec_lo, exec_lo, s2
.LBB79_144:
	s_delay_alu instid0(SALU_CYCLE_1) | instskip(SKIP_4) | instid1(VALU_DEP_1)
	s_or_b32 exec_lo, exec_lo, s4
	v_mov_b32_e32 v38, 0
	ds_load_b64 v[38:39], v38 offset:8
	s_wait_dscnt 0x0
	v_pk_mul_f32 v[42:43], v[34:35], v[38:39] op_sel:[1,1] op_sel_hi:[0,1]
	v_pk_fma_f32 v[44:45], v[34:35], v[38:39], v[42:43] op_sel_hi:[1,0,1]
	v_pk_fma_f32 v[34:35], v[34:35], v[38:39], v[42:43] neg_lo:[0,0,1] neg_hi:[0,0,1]
	s_delay_alu instid0(VALU_DEP_2)
	v_mov_b32_e32 v35, v45
	ds_store_b64 v46, v[34:35] offset:8
.LBB79_145:
	s_or_b32 exec_lo, exec_lo, s1
	ds_load_b64 v[34:35], v46
	s_mov_b32 s2, 0
	s_mov_b32 s1, 0
	s_mov_b32 s4, exec_lo
                                        ; implicit-def: $vgpr47
                                        ; implicit-def: $vgpr48
	s_wait_dscnt 0x0
	ds_store_b64 v36, v[34:35]
	s_wait_dscnt 0x0
	s_barrier_signal -1
	s_barrier_wait -1
	v_cmpx_ne_u32_e32 0, v40
	s_cbranch_execz .LBB79_155
; %bb.146:
	s_and_not1_b32 vcc_lo, exec_lo, s3
	s_cbranch_vccnz .LBB79_148
; %bb.147:
	ds_load_b64 v[38:39], v37
	ds_load_b64 v[42:43], v36
	s_wait_dscnt 0x0
	v_dual_mul_f32 v34, v43, v39 :: v_dual_mul_f32 v35, v42, v39
	s_delay_alu instid0(VALU_DEP_1)
	v_dual_fma_f32 v34, v42, v38, -v34 :: v_dual_fmac_f32 v35, v43, v38
	s_and_not1_b32 vcc_lo, exec_lo, s1
	s_cbranch_vccz .LBB79_149
	s_branch .LBB79_150
.LBB79_148:
                                        ; implicit-def: $vgpr34
.LBB79_149:
	ds_load_b64 v[34:35], v36
.LBB79_150:
	s_and_saveexec_b32 s1, s0
	s_cbranch_execz .LBB79_154
; %bb.151:
	v_add_nc_u32_e32 v38, -1, v40
	v_lshl_add_u32 v39, v41, 7, 0x108
	s_movk_i32 s5, 0x88
	s_mov_b32 s0, 0
.LBB79_152:                             ; =>This Inner Loop Header: Depth=1
	v_mov_b32_e32 v41, s5
	s_add_co_i32 s5, s5, 8
	ds_load_b64 v[42:43], v39
	ds_load_b64 v[44:45], v41
	v_add_nc_u32_e32 v38, -1, v38
	s_delay_alu instid0(VALU_DEP_1) | instskip(SKIP_3) | instid1(VALU_DEP_1)
	v_cmp_eq_u32_e32 vcc_lo, 0, v38
	s_or_b32 s0, vcc_lo, s0
	s_wait_dscnt 0x0
	v_dual_mul_f32 v41, v45, v43 :: v_dual_mul_f32 v43, v44, v43
	v_dual_fma_f32 v41, v44, v42, -v41 :: v_dual_fmac_f32 v43, v45, v42
	s_delay_alu instid0(VALU_DEP_1) | instskip(NEXT) | instid1(VALU_DEP_2)
	v_dual_add_f32 v34, v34, v41 :: v_dual_add_nc_u32 v39, 8, v39
	v_add_f32_e32 v35, v35, v43
	s_and_not1_b32 exec_lo, exec_lo, s0
	s_cbranch_execnz .LBB79_152
; %bb.153:
	s_or_b32 exec_lo, exec_lo, s0
.LBB79_154:
	s_delay_alu instid0(SALU_CYCLE_1)
	s_or_b32 exec_lo, exec_lo, s1
	v_mov_b32_e32 v38, 0
	s_mov_b32 s1, exec_lo
	v_add_nc_u32_e32 v48, 4, v46
	ds_load_b64 v[38:39], v38
	s_wait_dscnt 0x0
	v_dual_mul_f32 v41, v35, v39 :: v_dual_mul_f32 v47, v34, v39
	s_delay_alu instid0(VALU_DEP_1)
	v_dual_fma_f32 v34, v34, v38, -v41 :: v_dual_fmac_f32 v47, v35, v38
	ds_store_b32 v46, v34
.LBB79_155:
	s_or_b32 exec_lo, exec_lo, s4
	s_delay_alu instid0(SALU_CYCLE_1)
	s_and_b32 vcc_lo, exec_lo, s2
	s_cbranch_vccz .LBB79_301
.LBB79_156:
	ds_load_b64 v[34:35], v46 offset:8
	v_cmp_eq_u32_e64 s0, 0, v40
	s_wait_dscnt 0x0
	ds_store_b64 v36, v[34:35]
	s_wait_dscnt 0x0
	s_barrier_signal -1
	s_barrier_wait -1
	s_and_saveexec_b32 s2, s0
	s_cbranch_execz .LBB79_162
; %bb.157:
	s_and_b32 vcc_lo, exec_lo, s3
	s_cbranch_vccz .LBB79_159
; %bb.158:
	ds_load_b64 v[34:35], v37
	ds_load_b64 v[38:39], v36
	s_wait_dscnt 0x0
	v_pk_mul_f32 v[42:43], v[38:39], v[34:35] op_sel:[1,1] op_sel_hi:[0,1]
	v_pk_mul_f32 v[44:45], v[38:39], v[34:35] op_sel_hi:[1,0]
	s_delay_alu instid0(VALU_DEP_2) | instskip(NEXT) | instid1(VALU_DEP_2)
	v_pk_fma_f32 v[34:35], v[38:39], v[34:35], v[42:43] op_sel_hi:[1,0,1]
	v_sub_f32_e32 v34, v44, v42
	s_cbranch_execz .LBB79_160
	s_branch .LBB79_161
.LBB79_159:
                                        ; implicit-def: $vgpr35
.LBB79_160:
	ds_load_b64 v[34:35], v36
.LBB79_161:
	s_wait_dscnt 0x0
	v_dual_mov_b32 v38, 0 :: v_dual_mov_b32 v42, v35
	v_mov_b32_e32 v43, v34
	ds_load_b64 v[38:39], v38 offset:8
	s_wait_dscnt 0x0
	v_pk_mul_f32 v[42:43], v[42:43], v[38:39] op_sel:[0,1]
	s_delay_alu instid0(VALU_DEP_1) | instskip(SKIP_1) | instid1(VALU_DEP_2)
	v_pk_fma_f32 v[44:45], v[34:35], v[38:39], v[42:43] op_sel_hi:[1,0,1]
	v_pk_fma_f32 v[34:35], v[34:35], v[38:39], v[42:43] neg_lo:[0,0,1] neg_hi:[0,0,1]
	v_mov_b32_e32 v35, v45
	ds_store_b64 v46, v[34:35] offset:8
.LBB79_162:
	s_or_b32 exec_lo, exec_lo, s2
	ds_load_b64 v[34:35], v46 offset:16
	v_cndmask_b32_e64 v38, 0, 1, s3
	s_mov_b32 s2, exec_lo
	s_wait_dscnt 0x0
	ds_store_b64 v36, v[34:35]
	s_wait_dscnt 0x0
	s_barrier_signal -1
	s_barrier_wait -1
	v_cmpx_gt_u32_e32 2, v40
	s_cbranch_execz .LBB79_170
; %bb.163:
	s_and_not1_b32 vcc_lo, exec_lo, s3
	s_cbranch_vccnz .LBB79_165
; %bb.164:
	ds_load_b64 v[34:35], v37
	ds_load_b64 v[42:43], v36
	s_wait_dscnt 0x0
	v_pk_mul_f32 v[44:45], v[42:43], v[34:35] op_sel:[1,1] op_sel_hi:[0,1]
	s_delay_alu instid0(VALU_DEP_1) | instskip(SKIP_1) | instid1(VALU_DEP_2)
	v_pk_fma_f32 v[48:49], v[42:43], v[34:35], v[44:45] op_sel_hi:[1,0,1]
	v_pk_fma_f32 v[34:35], v[42:43], v[34:35], v[44:45] neg_lo:[0,0,1] neg_hi:[0,0,1]
	v_mov_b32_e32 v35, v49
	s_cbranch_execz .LBB79_166
	s_branch .LBB79_167
.LBB79_165:
                                        ; implicit-def: $vgpr34_vgpr35
.LBB79_166:
	ds_load_b64 v[34:35], v36
.LBB79_167:
	s_and_saveexec_b32 s3, s0
	s_cbranch_execz .LBB79_169
; %bb.168:
	v_mov_b32_e32 v39, 0
	ds_load_b64 v[42:43], v46 offset:8
	ds_load_b64 v[44:45], v39 offset:136
	s_wait_dscnt 0x0
	v_pk_mul_f32 v[48:49], v[44:45], v[42:43] op_sel:[1,1] op_sel_hi:[0,1]
	s_delay_alu instid0(VALU_DEP_1) | instskip(SKIP_1) | instid1(VALU_DEP_2)
	v_pk_fma_f32 v[50:51], v[44:45], v[42:43], v[48:49] op_sel_hi:[1,0,1]
	v_pk_fma_f32 v[42:43], v[44:45], v[42:43], v[48:49] neg_lo:[0,0,1] neg_hi:[0,0,1]
	v_mov_b32_e32 v43, v51
	s_delay_alu instid0(VALU_DEP_1)
	v_pk_add_f32 v[34:35], v[34:35], v[42:43]
.LBB79_169:
	s_or_b32 exec_lo, exec_lo, s3
	v_mov_b32_e32 v39, 0
	ds_load_b64 v[42:43], v39 offset:16
	s_wait_dscnt 0x0
	v_pk_mul_f32 v[44:45], v[34:35], v[42:43] op_sel:[1,1] op_sel_hi:[0,1]
	s_delay_alu instid0(VALU_DEP_1) | instskip(SKIP_1) | instid1(VALU_DEP_2)
	v_pk_fma_f32 v[48:49], v[34:35], v[42:43], v[44:45] op_sel_hi:[1,0,1]
	v_pk_fma_f32 v[34:35], v[34:35], v[42:43], v[44:45] neg_lo:[0,0,1] neg_hi:[0,0,1]
	v_mov_b32_e32 v35, v49
	ds_store_b64 v46, v[34:35] offset:16
.LBB79_170:
	s_or_b32 exec_lo, exec_lo, s2
	ds_load_b64 v[34:35], v46 offset:24
	s_mov_b32 s2, exec_lo
	s_wait_dscnt 0x0
	ds_store_b64 v36, v[34:35]
	s_wait_dscnt 0x0
	s_barrier_signal -1
	s_barrier_wait -1
	v_cmpx_gt_u32_e32 3, v40
	s_cbranch_execz .LBB79_180
; %bb.171:
	v_cmp_ne_u32_e32 vcc_lo, 1, v38
	s_cbranch_vccnz .LBB79_173
; %bb.172:
	ds_load_b64 v[34:35], v37
	ds_load_b64 v[42:43], v36
	s_wait_dscnt 0x0
	v_pk_mul_f32 v[44:45], v[42:43], v[34:35] op_sel:[1,1] op_sel_hi:[0,1]
	s_delay_alu instid0(VALU_DEP_1) | instskip(SKIP_1) | instid1(VALU_DEP_2)
	v_pk_fma_f32 v[48:49], v[42:43], v[34:35], v[44:45] op_sel_hi:[1,0,1]
	v_pk_fma_f32 v[34:35], v[42:43], v[34:35], v[44:45] neg_lo:[0,0,1] neg_hi:[0,0,1]
	v_mov_b32_e32 v35, v49
	s_cbranch_execz .LBB79_174
	s_branch .LBB79_175
.LBB79_173:
                                        ; implicit-def: $vgpr34_vgpr35
.LBB79_174:
	ds_load_b64 v[34:35], v36
.LBB79_175:
	s_mov_b32 s3, exec_lo
	v_cmpx_ne_u32_e32 2, v40
	s_cbranch_execz .LBB79_179
; %bb.176:
	ds_load_b64 v[42:43], v37 offset:8
	ds_load_b64 v[44:45], v36 offset:8
	s_wait_dscnt 0x0
	v_pk_mul_f32 v[48:49], v[44:45], v[42:43] op_sel:[1,1] op_sel_hi:[0,1]
	s_delay_alu instid0(VALU_DEP_1) | instskip(SKIP_1) | instid1(VALU_DEP_2)
	v_pk_fma_f32 v[50:51], v[44:45], v[42:43], v[48:49] op_sel_hi:[1,0,1]
	v_pk_fma_f32 v[42:43], v[44:45], v[42:43], v[48:49] neg_lo:[0,0,1] neg_hi:[0,0,1]
	v_mov_b32_e32 v43, v51
	s_delay_alu instid0(VALU_DEP_1)
	v_pk_add_f32 v[34:35], v[34:35], v[42:43]
	s_and_saveexec_b32 s4, s0
	s_cbranch_execz .LBB79_178
; %bb.177:
	v_mov_b32_e32 v39, 0
	ds_load_b64 v[42:43], v39 offset:144
	ds_load_b64 v[44:45], v46 offset:16
	s_wait_dscnt 0x0
	v_pk_mul_f32 v[48:49], v[42:43], v[44:45] op_sel:[1,1] op_sel_hi:[0,1]
	s_delay_alu instid0(VALU_DEP_1) | instskip(SKIP_1) | instid1(VALU_DEP_2)
	v_pk_fma_f32 v[50:51], v[42:43], v[44:45], v[48:49] op_sel_hi:[1,0,1]
	v_pk_fma_f32 v[42:43], v[42:43], v[44:45], v[48:49] neg_lo:[0,0,1] neg_hi:[0,0,1]
	v_mov_b32_e32 v43, v51
	s_delay_alu instid0(VALU_DEP_1)
	v_pk_add_f32 v[34:35], v[34:35], v[42:43]
.LBB79_178:
	s_or_b32 exec_lo, exec_lo, s4
.LBB79_179:
	s_delay_alu instid0(SALU_CYCLE_1) | instskip(SKIP_4) | instid1(VALU_DEP_1)
	s_or_b32 exec_lo, exec_lo, s3
	v_mov_b32_e32 v39, 0
	ds_load_b64 v[42:43], v39 offset:24
	s_wait_dscnt 0x0
	v_pk_mul_f32 v[44:45], v[34:35], v[42:43] op_sel:[1,1] op_sel_hi:[0,1]
	v_pk_fma_f32 v[48:49], v[34:35], v[42:43], v[44:45] op_sel_hi:[1,0,1]
	v_pk_fma_f32 v[34:35], v[34:35], v[42:43], v[44:45] neg_lo:[0,0,1] neg_hi:[0,0,1]
	s_delay_alu instid0(VALU_DEP_2)
	v_mov_b32_e32 v35, v49
	ds_store_b64 v46, v[34:35] offset:24
.LBB79_180:
	s_or_b32 exec_lo, exec_lo, s2
	ds_load_b64 v[34:35], v46 offset:32
	s_mov_b32 s0, exec_lo
	s_wait_dscnt 0x0
	ds_store_b64 v36, v[34:35]
	s_wait_dscnt 0x0
	s_barrier_signal -1
	s_barrier_wait -1
	v_cmpx_gt_u32_e32 4, v40
	s_cbranch_execz .LBB79_190
; %bb.181:
	v_cmp_ne_u32_e32 vcc_lo, 1, v38
	s_cbranch_vccnz .LBB79_183
; %bb.182:
	ds_load_b64 v[34:35], v37
	ds_load_b64 v[42:43], v36
	s_wait_dscnt 0x0
	v_pk_mul_f32 v[44:45], v[42:43], v[34:35] op_sel:[1,1] op_sel_hi:[0,1]
	s_delay_alu instid0(VALU_DEP_1) | instskip(SKIP_1) | instid1(VALU_DEP_2)
	v_pk_fma_f32 v[48:49], v[42:43], v[34:35], v[44:45] op_sel_hi:[1,0,1]
	v_pk_fma_f32 v[34:35], v[42:43], v[34:35], v[44:45] neg_lo:[0,0,1] neg_hi:[0,0,1]
	v_mov_b32_e32 v35, v49
	s_cbranch_execz .LBB79_184
	s_branch .LBB79_185
.LBB79_183:
                                        ; implicit-def: $vgpr34_vgpr35
.LBB79_184:
	ds_load_b64 v[34:35], v36
.LBB79_185:
	s_mov_b32 s2, exec_lo
	v_cmpx_ne_u32_e32 3, v40
	s_cbranch_execz .LBB79_189
; %bb.186:
	v_dual_mov_b32 v42, v40 :: v_dual_add_nc_u32 v39, 0x88, v32
	v_add3_u32 v41, v33, v32, 0x108
	s_mov_b32 s3, 0
.LBB79_187:                             ; =>This Inner Loop Header: Depth=1
	ds_load_b64 v[44:45], v41
	ds_load_b64 v[48:49], v39
	v_dual_add_nc_u32 v39, 8, v39 :: v_dual_add_nc_u32 v41, 8, v41
	s_wait_dscnt 0x0
	v_pk_mul_f32 v[50:51], v[48:49], v[44:45] op_sel:[1,1] op_sel_hi:[0,1]
	s_delay_alu instid0(VALU_DEP_1) | instskip(SKIP_2) | instid1(VALU_DEP_3)
	v_pk_fma_f32 v[52:53], v[48:49], v[44:45], v[50:51] op_sel_hi:[1,0,1]
	v_add_nc_u32_e32 v42, 1, v42
	v_pk_fma_f32 v[44:45], v[48:49], v[44:45], v[50:51] neg_lo:[0,0,1] neg_hi:[0,0,1]
	v_mov_b32_e32 v45, v53
	s_delay_alu instid0(VALU_DEP_3) | instskip(NEXT) | instid1(VALU_DEP_2)
	v_cmp_lt_u32_e32 vcc_lo, 2, v42
	v_pk_add_f32 v[34:35], v[34:35], v[44:45]
	s_or_b32 s3, vcc_lo, s3
	s_delay_alu instid0(SALU_CYCLE_1)
	s_and_not1_b32 exec_lo, exec_lo, s3
	s_cbranch_execnz .LBB79_187
; %bb.188:
	s_or_b32 exec_lo, exec_lo, s3
.LBB79_189:
	s_delay_alu instid0(SALU_CYCLE_1) | instskip(SKIP_4) | instid1(VALU_DEP_1)
	s_or_b32 exec_lo, exec_lo, s2
	v_mov_b32_e32 v39, 0
	ds_load_b64 v[42:43], v39 offset:32
	s_wait_dscnt 0x0
	v_pk_mul_f32 v[44:45], v[34:35], v[42:43] op_sel:[1,1] op_sel_hi:[0,1]
	v_pk_fma_f32 v[48:49], v[34:35], v[42:43], v[44:45] op_sel_hi:[1,0,1]
	v_pk_fma_f32 v[34:35], v[34:35], v[42:43], v[44:45] neg_lo:[0,0,1] neg_hi:[0,0,1]
	s_delay_alu instid0(VALU_DEP_2)
	v_mov_b32_e32 v35, v49
	ds_store_b64 v46, v[34:35] offset:32
.LBB79_190:
	s_or_b32 exec_lo, exec_lo, s0
	ds_load_b64 v[34:35], v46 offset:40
	s_mov_b32 s0, exec_lo
	s_wait_dscnt 0x0
	ds_store_b64 v36, v[34:35]
	s_wait_dscnt 0x0
	s_barrier_signal -1
	s_barrier_wait -1
	v_cmpx_gt_u32_e32 5, v40
	s_cbranch_execz .LBB79_200
; %bb.191:
	v_cmp_ne_u32_e32 vcc_lo, 1, v38
	s_cbranch_vccnz .LBB79_193
; %bb.192:
	ds_load_b64 v[34:35], v37
	ds_load_b64 v[42:43], v36
	s_wait_dscnt 0x0
	v_pk_mul_f32 v[44:45], v[42:43], v[34:35] op_sel:[1,1] op_sel_hi:[0,1]
	s_delay_alu instid0(VALU_DEP_1) | instskip(SKIP_1) | instid1(VALU_DEP_2)
	v_pk_fma_f32 v[48:49], v[42:43], v[34:35], v[44:45] op_sel_hi:[1,0,1]
	v_pk_fma_f32 v[34:35], v[42:43], v[34:35], v[44:45] neg_lo:[0,0,1] neg_hi:[0,0,1]
	v_mov_b32_e32 v35, v49
	s_cbranch_execz .LBB79_194
	s_branch .LBB79_195
.LBB79_193:
                                        ; implicit-def: $vgpr34_vgpr35
.LBB79_194:
	ds_load_b64 v[34:35], v36
.LBB79_195:
	s_mov_b32 s2, exec_lo
	v_cmpx_ne_u32_e32 4, v40
	s_cbranch_execz .LBB79_199
; %bb.196:
	v_dual_mov_b32 v42, v40 :: v_dual_add_nc_u32 v39, 0x88, v32
	v_add3_u32 v41, v33, v32, 0x108
	s_mov_b32 s3, 0
.LBB79_197:                             ; =>This Inner Loop Header: Depth=1
	ds_load_b64 v[44:45], v41
	ds_load_b64 v[48:49], v39
	v_dual_add_nc_u32 v39, 8, v39 :: v_dual_add_nc_u32 v41, 8, v41
	s_wait_dscnt 0x0
	v_pk_mul_f32 v[50:51], v[48:49], v[44:45] op_sel:[1,1] op_sel_hi:[0,1]
	s_delay_alu instid0(VALU_DEP_1) | instskip(SKIP_2) | instid1(VALU_DEP_3)
	v_pk_fma_f32 v[52:53], v[48:49], v[44:45], v[50:51] op_sel_hi:[1,0,1]
	v_add_nc_u32_e32 v42, 1, v42
	v_pk_fma_f32 v[44:45], v[48:49], v[44:45], v[50:51] neg_lo:[0,0,1] neg_hi:[0,0,1]
	v_mov_b32_e32 v45, v53
	s_delay_alu instid0(VALU_DEP_3) | instskip(NEXT) | instid1(VALU_DEP_2)
	v_cmp_lt_u32_e32 vcc_lo, 3, v42
	v_pk_add_f32 v[34:35], v[34:35], v[44:45]
	s_or_b32 s3, vcc_lo, s3
	s_delay_alu instid0(SALU_CYCLE_1)
	s_and_not1_b32 exec_lo, exec_lo, s3
	s_cbranch_execnz .LBB79_197
; %bb.198:
	s_or_b32 exec_lo, exec_lo, s3
.LBB79_199:
	s_delay_alu instid0(SALU_CYCLE_1) | instskip(SKIP_4) | instid1(VALU_DEP_1)
	s_or_b32 exec_lo, exec_lo, s2
	v_mov_b32_e32 v39, 0
	ds_load_b64 v[42:43], v39 offset:40
	s_wait_dscnt 0x0
	v_pk_mul_f32 v[44:45], v[34:35], v[42:43] op_sel:[1,1] op_sel_hi:[0,1]
	v_pk_fma_f32 v[48:49], v[34:35], v[42:43], v[44:45] op_sel_hi:[1,0,1]
	v_pk_fma_f32 v[34:35], v[34:35], v[42:43], v[44:45] neg_lo:[0,0,1] neg_hi:[0,0,1]
	s_delay_alu instid0(VALU_DEP_2)
	v_mov_b32_e32 v35, v49
	ds_store_b64 v46, v[34:35] offset:40
.LBB79_200:
	s_or_b32 exec_lo, exec_lo, s0
	ds_load_b64 v[34:35], v46 offset:48
	s_mov_b32 s0, exec_lo
	s_wait_dscnt 0x0
	ds_store_b64 v36, v[34:35]
	s_wait_dscnt 0x0
	s_barrier_signal -1
	s_barrier_wait -1
	v_cmpx_gt_u32_e32 6, v40
	s_cbranch_execz .LBB79_210
; %bb.201:
	v_cmp_ne_u32_e32 vcc_lo, 1, v38
	s_cbranch_vccnz .LBB79_203
; %bb.202:
	ds_load_b64 v[34:35], v37
	ds_load_b64 v[42:43], v36
	s_wait_dscnt 0x0
	v_pk_mul_f32 v[44:45], v[42:43], v[34:35] op_sel:[1,1] op_sel_hi:[0,1]
	s_delay_alu instid0(VALU_DEP_1) | instskip(SKIP_1) | instid1(VALU_DEP_2)
	v_pk_fma_f32 v[48:49], v[42:43], v[34:35], v[44:45] op_sel_hi:[1,0,1]
	v_pk_fma_f32 v[34:35], v[42:43], v[34:35], v[44:45] neg_lo:[0,0,1] neg_hi:[0,0,1]
	v_mov_b32_e32 v35, v49
	s_cbranch_execz .LBB79_204
	s_branch .LBB79_205
.LBB79_203:
                                        ; implicit-def: $vgpr34_vgpr35
.LBB79_204:
	ds_load_b64 v[34:35], v36
.LBB79_205:
	s_mov_b32 s2, exec_lo
	v_cmpx_ne_u32_e32 5, v40
	s_cbranch_execz .LBB79_209
; %bb.206:
	v_dual_mov_b32 v42, v40 :: v_dual_add_nc_u32 v39, 0x88, v32
	v_add3_u32 v41, v33, v32, 0x108
	s_mov_b32 s3, 0
.LBB79_207:                             ; =>This Inner Loop Header: Depth=1
	ds_load_b64 v[44:45], v41
	ds_load_b64 v[48:49], v39
	v_dual_add_nc_u32 v39, 8, v39 :: v_dual_add_nc_u32 v41, 8, v41
	s_wait_dscnt 0x0
	v_pk_mul_f32 v[50:51], v[48:49], v[44:45] op_sel:[1,1] op_sel_hi:[0,1]
	s_delay_alu instid0(VALU_DEP_1) | instskip(SKIP_2) | instid1(VALU_DEP_3)
	v_pk_fma_f32 v[52:53], v[48:49], v[44:45], v[50:51] op_sel_hi:[1,0,1]
	v_add_nc_u32_e32 v42, 1, v42
	v_pk_fma_f32 v[44:45], v[48:49], v[44:45], v[50:51] neg_lo:[0,0,1] neg_hi:[0,0,1]
	v_mov_b32_e32 v45, v53
	s_delay_alu instid0(VALU_DEP_3) | instskip(NEXT) | instid1(VALU_DEP_2)
	v_cmp_lt_u32_e32 vcc_lo, 4, v42
	v_pk_add_f32 v[34:35], v[34:35], v[44:45]
	s_or_b32 s3, vcc_lo, s3
	s_delay_alu instid0(SALU_CYCLE_1)
	s_and_not1_b32 exec_lo, exec_lo, s3
	s_cbranch_execnz .LBB79_207
; %bb.208:
	s_or_b32 exec_lo, exec_lo, s3
.LBB79_209:
	s_delay_alu instid0(SALU_CYCLE_1) | instskip(SKIP_4) | instid1(VALU_DEP_1)
	s_or_b32 exec_lo, exec_lo, s2
	v_mov_b32_e32 v39, 0
	ds_load_b64 v[42:43], v39 offset:48
	s_wait_dscnt 0x0
	v_pk_mul_f32 v[44:45], v[34:35], v[42:43] op_sel:[1,1] op_sel_hi:[0,1]
	v_pk_fma_f32 v[48:49], v[34:35], v[42:43], v[44:45] op_sel_hi:[1,0,1]
	v_pk_fma_f32 v[34:35], v[34:35], v[42:43], v[44:45] neg_lo:[0,0,1] neg_hi:[0,0,1]
	s_delay_alu instid0(VALU_DEP_2)
	v_mov_b32_e32 v35, v49
	ds_store_b64 v46, v[34:35] offset:48
.LBB79_210:
	s_or_b32 exec_lo, exec_lo, s0
	ds_load_b64 v[34:35], v46 offset:56
	s_mov_b32 s0, exec_lo
	s_wait_dscnt 0x0
	ds_store_b64 v36, v[34:35]
	s_wait_dscnt 0x0
	s_barrier_signal -1
	s_barrier_wait -1
	v_cmpx_gt_u32_e32 7, v40
	s_cbranch_execz .LBB79_220
; %bb.211:
	v_cmp_ne_u32_e32 vcc_lo, 1, v38
	s_cbranch_vccnz .LBB79_213
; %bb.212:
	ds_load_b64 v[34:35], v37
	ds_load_b64 v[42:43], v36
	s_wait_dscnt 0x0
	v_pk_mul_f32 v[44:45], v[42:43], v[34:35] op_sel:[1,1] op_sel_hi:[0,1]
	s_delay_alu instid0(VALU_DEP_1) | instskip(SKIP_1) | instid1(VALU_DEP_2)
	v_pk_fma_f32 v[48:49], v[42:43], v[34:35], v[44:45] op_sel_hi:[1,0,1]
	v_pk_fma_f32 v[34:35], v[42:43], v[34:35], v[44:45] neg_lo:[0,0,1] neg_hi:[0,0,1]
	v_mov_b32_e32 v35, v49
	s_cbranch_execz .LBB79_214
	s_branch .LBB79_215
.LBB79_213:
                                        ; implicit-def: $vgpr34_vgpr35
.LBB79_214:
	ds_load_b64 v[34:35], v36
.LBB79_215:
	s_mov_b32 s2, exec_lo
	v_cmpx_ne_u32_e32 6, v40
	s_cbranch_execz .LBB79_219
; %bb.216:
	v_dual_mov_b32 v42, v40 :: v_dual_add_nc_u32 v39, 0x88, v32
	v_add3_u32 v41, v33, v32, 0x108
	s_mov_b32 s3, 0
.LBB79_217:                             ; =>This Inner Loop Header: Depth=1
	ds_load_b64 v[44:45], v41
	ds_load_b64 v[48:49], v39
	v_dual_add_nc_u32 v39, 8, v39 :: v_dual_add_nc_u32 v41, 8, v41
	s_wait_dscnt 0x0
	v_pk_mul_f32 v[50:51], v[48:49], v[44:45] op_sel:[1,1] op_sel_hi:[0,1]
	s_delay_alu instid0(VALU_DEP_1) | instskip(SKIP_2) | instid1(VALU_DEP_3)
	v_pk_fma_f32 v[52:53], v[48:49], v[44:45], v[50:51] op_sel_hi:[1,0,1]
	v_add_nc_u32_e32 v42, 1, v42
	v_pk_fma_f32 v[44:45], v[48:49], v[44:45], v[50:51] neg_lo:[0,0,1] neg_hi:[0,0,1]
	v_mov_b32_e32 v45, v53
	s_delay_alu instid0(VALU_DEP_3) | instskip(NEXT) | instid1(VALU_DEP_2)
	v_cmp_lt_u32_e32 vcc_lo, 5, v42
	v_pk_add_f32 v[34:35], v[34:35], v[44:45]
	s_or_b32 s3, vcc_lo, s3
	s_delay_alu instid0(SALU_CYCLE_1)
	s_and_not1_b32 exec_lo, exec_lo, s3
	s_cbranch_execnz .LBB79_217
; %bb.218:
	s_or_b32 exec_lo, exec_lo, s3
.LBB79_219:
	s_delay_alu instid0(SALU_CYCLE_1) | instskip(SKIP_4) | instid1(VALU_DEP_1)
	s_or_b32 exec_lo, exec_lo, s2
	v_mov_b32_e32 v39, 0
	ds_load_b64 v[42:43], v39 offset:56
	s_wait_dscnt 0x0
	v_pk_mul_f32 v[44:45], v[34:35], v[42:43] op_sel:[1,1] op_sel_hi:[0,1]
	v_pk_fma_f32 v[48:49], v[34:35], v[42:43], v[44:45] op_sel_hi:[1,0,1]
	v_pk_fma_f32 v[34:35], v[34:35], v[42:43], v[44:45] neg_lo:[0,0,1] neg_hi:[0,0,1]
	s_delay_alu instid0(VALU_DEP_2)
	v_mov_b32_e32 v35, v49
	ds_store_b64 v46, v[34:35] offset:56
.LBB79_220:
	s_or_b32 exec_lo, exec_lo, s0
	ds_load_b64 v[34:35], v46 offset:64
	s_mov_b32 s0, exec_lo
	s_wait_dscnt 0x0
	ds_store_b64 v36, v[34:35]
	s_wait_dscnt 0x0
	s_barrier_signal -1
	s_barrier_wait -1
	v_cmpx_gt_u32_e32 8, v40
	s_cbranch_execz .LBB79_230
; %bb.221:
	v_cmp_ne_u32_e32 vcc_lo, 1, v38
	s_cbranch_vccnz .LBB79_223
; %bb.222:
	ds_load_b64 v[34:35], v37
	ds_load_b64 v[42:43], v36
	s_wait_dscnt 0x0
	v_pk_mul_f32 v[44:45], v[42:43], v[34:35] op_sel:[1,1] op_sel_hi:[0,1]
	s_delay_alu instid0(VALU_DEP_1) | instskip(SKIP_1) | instid1(VALU_DEP_2)
	v_pk_fma_f32 v[48:49], v[42:43], v[34:35], v[44:45] op_sel_hi:[1,0,1]
	v_pk_fma_f32 v[34:35], v[42:43], v[34:35], v[44:45] neg_lo:[0,0,1] neg_hi:[0,0,1]
	v_mov_b32_e32 v35, v49
	s_cbranch_execz .LBB79_224
	s_branch .LBB79_225
.LBB79_223:
                                        ; implicit-def: $vgpr34_vgpr35
.LBB79_224:
	ds_load_b64 v[34:35], v36
.LBB79_225:
	s_mov_b32 s2, exec_lo
	v_cmpx_ne_u32_e32 7, v40
	s_cbranch_execz .LBB79_229
; %bb.226:
	v_dual_mov_b32 v42, v40 :: v_dual_add_nc_u32 v39, 0x88, v32
	v_add3_u32 v41, v33, v32, 0x108
	s_mov_b32 s3, 0
.LBB79_227:                             ; =>This Inner Loop Header: Depth=1
	ds_load_b64 v[44:45], v41
	ds_load_b64 v[48:49], v39
	v_dual_add_nc_u32 v39, 8, v39 :: v_dual_add_nc_u32 v41, 8, v41
	s_wait_dscnt 0x0
	v_pk_mul_f32 v[50:51], v[48:49], v[44:45] op_sel:[1,1] op_sel_hi:[0,1]
	s_delay_alu instid0(VALU_DEP_1) | instskip(SKIP_2) | instid1(VALU_DEP_3)
	v_pk_fma_f32 v[52:53], v[48:49], v[44:45], v[50:51] op_sel_hi:[1,0,1]
	v_add_nc_u32_e32 v42, 1, v42
	v_pk_fma_f32 v[44:45], v[48:49], v[44:45], v[50:51] neg_lo:[0,0,1] neg_hi:[0,0,1]
	v_mov_b32_e32 v45, v53
	s_delay_alu instid0(VALU_DEP_3) | instskip(NEXT) | instid1(VALU_DEP_2)
	v_cmp_lt_u32_e32 vcc_lo, 6, v42
	v_pk_add_f32 v[34:35], v[34:35], v[44:45]
	s_or_b32 s3, vcc_lo, s3
	s_delay_alu instid0(SALU_CYCLE_1)
	s_and_not1_b32 exec_lo, exec_lo, s3
	s_cbranch_execnz .LBB79_227
; %bb.228:
	s_or_b32 exec_lo, exec_lo, s3
.LBB79_229:
	s_delay_alu instid0(SALU_CYCLE_1) | instskip(SKIP_4) | instid1(VALU_DEP_1)
	s_or_b32 exec_lo, exec_lo, s2
	v_mov_b32_e32 v39, 0
	ds_load_b64 v[42:43], v39 offset:64
	s_wait_dscnt 0x0
	v_pk_mul_f32 v[44:45], v[34:35], v[42:43] op_sel:[1,1] op_sel_hi:[0,1]
	v_pk_fma_f32 v[48:49], v[34:35], v[42:43], v[44:45] op_sel_hi:[1,0,1]
	v_pk_fma_f32 v[34:35], v[34:35], v[42:43], v[44:45] neg_lo:[0,0,1] neg_hi:[0,0,1]
	s_delay_alu instid0(VALU_DEP_2)
	v_mov_b32_e32 v35, v49
	ds_store_b64 v46, v[34:35] offset:64
.LBB79_230:
	s_or_b32 exec_lo, exec_lo, s0
	ds_load_b64 v[34:35], v46 offset:72
	s_mov_b32 s0, exec_lo
	s_wait_dscnt 0x0
	ds_store_b64 v36, v[34:35]
	s_wait_dscnt 0x0
	s_barrier_signal -1
	s_barrier_wait -1
	v_cmpx_gt_u32_e32 9, v40
	s_cbranch_execz .LBB79_240
; %bb.231:
	v_cmp_ne_u32_e32 vcc_lo, 1, v38
	s_cbranch_vccnz .LBB79_233
; %bb.232:
	ds_load_b64 v[34:35], v37
	ds_load_b64 v[42:43], v36
	s_wait_dscnt 0x0
	v_pk_mul_f32 v[44:45], v[42:43], v[34:35] op_sel:[1,1] op_sel_hi:[0,1]
	s_delay_alu instid0(VALU_DEP_1) | instskip(SKIP_1) | instid1(VALU_DEP_2)
	v_pk_fma_f32 v[48:49], v[42:43], v[34:35], v[44:45] op_sel_hi:[1,0,1]
	v_pk_fma_f32 v[34:35], v[42:43], v[34:35], v[44:45] neg_lo:[0,0,1] neg_hi:[0,0,1]
	v_mov_b32_e32 v35, v49
	s_cbranch_execz .LBB79_234
	s_branch .LBB79_235
.LBB79_233:
                                        ; implicit-def: $vgpr34_vgpr35
.LBB79_234:
	ds_load_b64 v[34:35], v36
.LBB79_235:
	s_mov_b32 s2, exec_lo
	v_cmpx_ne_u32_e32 8, v40
	s_cbranch_execz .LBB79_239
; %bb.236:
	v_dual_mov_b32 v42, v40 :: v_dual_add_nc_u32 v39, 0x88, v32
	v_add3_u32 v41, v33, v32, 0x108
	s_mov_b32 s3, 0
.LBB79_237:                             ; =>This Inner Loop Header: Depth=1
	ds_load_b64 v[44:45], v41
	ds_load_b64 v[48:49], v39
	v_dual_add_nc_u32 v39, 8, v39 :: v_dual_add_nc_u32 v41, 8, v41
	s_wait_dscnt 0x0
	v_pk_mul_f32 v[50:51], v[48:49], v[44:45] op_sel:[1,1] op_sel_hi:[0,1]
	s_delay_alu instid0(VALU_DEP_1) | instskip(SKIP_2) | instid1(VALU_DEP_3)
	v_pk_fma_f32 v[52:53], v[48:49], v[44:45], v[50:51] op_sel_hi:[1,0,1]
	v_add_nc_u32_e32 v42, 1, v42
	v_pk_fma_f32 v[44:45], v[48:49], v[44:45], v[50:51] neg_lo:[0,0,1] neg_hi:[0,0,1]
	v_mov_b32_e32 v45, v53
	s_delay_alu instid0(VALU_DEP_3) | instskip(NEXT) | instid1(VALU_DEP_2)
	v_cmp_lt_u32_e32 vcc_lo, 7, v42
	v_pk_add_f32 v[34:35], v[34:35], v[44:45]
	s_or_b32 s3, vcc_lo, s3
	s_delay_alu instid0(SALU_CYCLE_1)
	s_and_not1_b32 exec_lo, exec_lo, s3
	s_cbranch_execnz .LBB79_237
; %bb.238:
	s_or_b32 exec_lo, exec_lo, s3
.LBB79_239:
	s_delay_alu instid0(SALU_CYCLE_1) | instskip(SKIP_4) | instid1(VALU_DEP_1)
	s_or_b32 exec_lo, exec_lo, s2
	v_mov_b32_e32 v39, 0
	ds_load_b64 v[42:43], v39 offset:72
	s_wait_dscnt 0x0
	v_pk_mul_f32 v[44:45], v[34:35], v[42:43] op_sel:[1,1] op_sel_hi:[0,1]
	v_pk_fma_f32 v[48:49], v[34:35], v[42:43], v[44:45] op_sel_hi:[1,0,1]
	v_pk_fma_f32 v[34:35], v[34:35], v[42:43], v[44:45] neg_lo:[0,0,1] neg_hi:[0,0,1]
	s_delay_alu instid0(VALU_DEP_2)
	v_mov_b32_e32 v35, v49
	ds_store_b64 v46, v[34:35] offset:72
.LBB79_240:
	s_or_b32 exec_lo, exec_lo, s0
	ds_load_b64 v[34:35], v46 offset:80
	s_mov_b32 s0, exec_lo
	s_wait_dscnt 0x0
	ds_store_b64 v36, v[34:35]
	s_wait_dscnt 0x0
	s_barrier_signal -1
	s_barrier_wait -1
	v_cmpx_gt_u32_e32 10, v40
	s_cbranch_execz .LBB79_250
; %bb.241:
	v_cmp_ne_u32_e32 vcc_lo, 1, v38
	s_cbranch_vccnz .LBB79_243
; %bb.242:
	ds_load_b64 v[34:35], v37
	ds_load_b64 v[42:43], v36
	s_wait_dscnt 0x0
	v_pk_mul_f32 v[44:45], v[42:43], v[34:35] op_sel:[1,1] op_sel_hi:[0,1]
	s_delay_alu instid0(VALU_DEP_1) | instskip(SKIP_1) | instid1(VALU_DEP_2)
	v_pk_fma_f32 v[48:49], v[42:43], v[34:35], v[44:45] op_sel_hi:[1,0,1]
	v_pk_fma_f32 v[34:35], v[42:43], v[34:35], v[44:45] neg_lo:[0,0,1] neg_hi:[0,0,1]
	v_mov_b32_e32 v35, v49
	s_cbranch_execz .LBB79_244
	s_branch .LBB79_245
.LBB79_243:
                                        ; implicit-def: $vgpr34_vgpr35
.LBB79_244:
	ds_load_b64 v[34:35], v36
.LBB79_245:
	s_mov_b32 s2, exec_lo
	v_cmpx_ne_u32_e32 9, v40
	s_cbranch_execz .LBB79_249
; %bb.246:
	v_dual_mov_b32 v42, v40 :: v_dual_add_nc_u32 v39, 0x88, v32
	v_add3_u32 v41, v33, v32, 0x108
	s_mov_b32 s3, 0
.LBB79_247:                             ; =>This Inner Loop Header: Depth=1
	ds_load_b64 v[44:45], v41
	ds_load_b64 v[48:49], v39
	v_dual_add_nc_u32 v39, 8, v39 :: v_dual_add_nc_u32 v41, 8, v41
	s_wait_dscnt 0x0
	v_pk_mul_f32 v[50:51], v[48:49], v[44:45] op_sel:[1,1] op_sel_hi:[0,1]
	s_delay_alu instid0(VALU_DEP_1) | instskip(SKIP_2) | instid1(VALU_DEP_3)
	v_pk_fma_f32 v[52:53], v[48:49], v[44:45], v[50:51] op_sel_hi:[1,0,1]
	v_add_nc_u32_e32 v42, 1, v42
	v_pk_fma_f32 v[44:45], v[48:49], v[44:45], v[50:51] neg_lo:[0,0,1] neg_hi:[0,0,1]
	v_mov_b32_e32 v45, v53
	s_delay_alu instid0(VALU_DEP_3) | instskip(NEXT) | instid1(VALU_DEP_2)
	v_cmp_lt_u32_e32 vcc_lo, 8, v42
	v_pk_add_f32 v[34:35], v[34:35], v[44:45]
	s_or_b32 s3, vcc_lo, s3
	s_delay_alu instid0(SALU_CYCLE_1)
	s_and_not1_b32 exec_lo, exec_lo, s3
	s_cbranch_execnz .LBB79_247
; %bb.248:
	s_or_b32 exec_lo, exec_lo, s3
.LBB79_249:
	s_delay_alu instid0(SALU_CYCLE_1) | instskip(SKIP_4) | instid1(VALU_DEP_1)
	s_or_b32 exec_lo, exec_lo, s2
	v_mov_b32_e32 v39, 0
	ds_load_b64 v[42:43], v39 offset:80
	s_wait_dscnt 0x0
	v_pk_mul_f32 v[44:45], v[34:35], v[42:43] op_sel:[1,1] op_sel_hi:[0,1]
	v_pk_fma_f32 v[48:49], v[34:35], v[42:43], v[44:45] op_sel_hi:[1,0,1]
	v_pk_fma_f32 v[34:35], v[34:35], v[42:43], v[44:45] neg_lo:[0,0,1] neg_hi:[0,0,1]
	s_delay_alu instid0(VALU_DEP_2)
	v_mov_b32_e32 v35, v49
	ds_store_b64 v46, v[34:35] offset:80
.LBB79_250:
	s_or_b32 exec_lo, exec_lo, s0
	ds_load_b64 v[34:35], v46 offset:88
	s_mov_b32 s0, exec_lo
	s_wait_dscnt 0x0
	ds_store_b64 v36, v[34:35]
	s_wait_dscnt 0x0
	s_barrier_signal -1
	s_barrier_wait -1
	v_cmpx_gt_u32_e32 11, v40
	s_cbranch_execz .LBB79_260
; %bb.251:
	v_cmp_ne_u32_e32 vcc_lo, 1, v38
	s_cbranch_vccnz .LBB79_253
; %bb.252:
	ds_load_b64 v[34:35], v37
	ds_load_b64 v[42:43], v36
	s_wait_dscnt 0x0
	v_pk_mul_f32 v[44:45], v[42:43], v[34:35] op_sel:[1,1] op_sel_hi:[0,1]
	s_delay_alu instid0(VALU_DEP_1) | instskip(SKIP_1) | instid1(VALU_DEP_2)
	v_pk_fma_f32 v[48:49], v[42:43], v[34:35], v[44:45] op_sel_hi:[1,0,1]
	v_pk_fma_f32 v[34:35], v[42:43], v[34:35], v[44:45] neg_lo:[0,0,1] neg_hi:[0,0,1]
	v_mov_b32_e32 v35, v49
	s_cbranch_execz .LBB79_254
	s_branch .LBB79_255
.LBB79_253:
                                        ; implicit-def: $vgpr34_vgpr35
.LBB79_254:
	ds_load_b64 v[34:35], v36
.LBB79_255:
	s_mov_b32 s2, exec_lo
	v_cmpx_ne_u32_e32 10, v40
	s_cbranch_execz .LBB79_259
; %bb.256:
	v_dual_mov_b32 v42, v40 :: v_dual_add_nc_u32 v39, 0x88, v32
	v_add3_u32 v41, v33, v32, 0x108
	s_mov_b32 s3, 0
.LBB79_257:                             ; =>This Inner Loop Header: Depth=1
	ds_load_b64 v[44:45], v41
	ds_load_b64 v[48:49], v39
	v_dual_add_nc_u32 v39, 8, v39 :: v_dual_add_nc_u32 v41, 8, v41
	s_wait_dscnt 0x0
	v_pk_mul_f32 v[50:51], v[48:49], v[44:45] op_sel:[1,1] op_sel_hi:[0,1]
	s_delay_alu instid0(VALU_DEP_1) | instskip(SKIP_2) | instid1(VALU_DEP_3)
	v_pk_fma_f32 v[52:53], v[48:49], v[44:45], v[50:51] op_sel_hi:[1,0,1]
	v_add_nc_u32_e32 v42, 1, v42
	v_pk_fma_f32 v[44:45], v[48:49], v[44:45], v[50:51] neg_lo:[0,0,1] neg_hi:[0,0,1]
	v_mov_b32_e32 v45, v53
	s_delay_alu instid0(VALU_DEP_3) | instskip(NEXT) | instid1(VALU_DEP_2)
	v_cmp_lt_u32_e32 vcc_lo, 9, v42
	v_pk_add_f32 v[34:35], v[34:35], v[44:45]
	s_or_b32 s3, vcc_lo, s3
	s_delay_alu instid0(SALU_CYCLE_1)
	s_and_not1_b32 exec_lo, exec_lo, s3
	s_cbranch_execnz .LBB79_257
; %bb.258:
	s_or_b32 exec_lo, exec_lo, s3
.LBB79_259:
	s_delay_alu instid0(SALU_CYCLE_1) | instskip(SKIP_4) | instid1(VALU_DEP_1)
	s_or_b32 exec_lo, exec_lo, s2
	v_mov_b32_e32 v39, 0
	ds_load_b64 v[42:43], v39 offset:88
	s_wait_dscnt 0x0
	v_pk_mul_f32 v[44:45], v[34:35], v[42:43] op_sel:[1,1] op_sel_hi:[0,1]
	v_pk_fma_f32 v[48:49], v[34:35], v[42:43], v[44:45] op_sel_hi:[1,0,1]
	v_pk_fma_f32 v[34:35], v[34:35], v[42:43], v[44:45] neg_lo:[0,0,1] neg_hi:[0,0,1]
	s_delay_alu instid0(VALU_DEP_2)
	v_mov_b32_e32 v35, v49
	ds_store_b64 v46, v[34:35] offset:88
.LBB79_260:
	s_or_b32 exec_lo, exec_lo, s0
	ds_load_b64 v[34:35], v46 offset:96
	s_mov_b32 s0, exec_lo
	s_wait_dscnt 0x0
	ds_store_b64 v36, v[34:35]
	s_wait_dscnt 0x0
	s_barrier_signal -1
	s_barrier_wait -1
	v_cmpx_gt_u32_e32 12, v40
	s_cbranch_execz .LBB79_270
; %bb.261:
	v_cmp_ne_u32_e32 vcc_lo, 1, v38
	s_cbranch_vccnz .LBB79_263
; %bb.262:
	ds_load_b64 v[34:35], v37
	ds_load_b64 v[42:43], v36
	s_wait_dscnt 0x0
	v_pk_mul_f32 v[44:45], v[42:43], v[34:35] op_sel:[1,1] op_sel_hi:[0,1]
	s_delay_alu instid0(VALU_DEP_1) | instskip(SKIP_1) | instid1(VALU_DEP_2)
	v_pk_fma_f32 v[48:49], v[42:43], v[34:35], v[44:45] op_sel_hi:[1,0,1]
	v_pk_fma_f32 v[34:35], v[42:43], v[34:35], v[44:45] neg_lo:[0,0,1] neg_hi:[0,0,1]
	v_mov_b32_e32 v35, v49
	s_cbranch_execz .LBB79_264
	s_branch .LBB79_265
.LBB79_263:
                                        ; implicit-def: $vgpr34_vgpr35
.LBB79_264:
	ds_load_b64 v[34:35], v36
.LBB79_265:
	s_mov_b32 s2, exec_lo
	v_cmpx_ne_u32_e32 11, v40
	s_cbranch_execz .LBB79_269
; %bb.266:
	v_dual_mov_b32 v42, v40 :: v_dual_add_nc_u32 v39, 0x88, v32
	v_add3_u32 v41, v33, v32, 0x108
	s_mov_b32 s3, 0
.LBB79_267:                             ; =>This Inner Loop Header: Depth=1
	ds_load_b64 v[44:45], v41
	ds_load_b64 v[48:49], v39
	v_dual_add_nc_u32 v39, 8, v39 :: v_dual_add_nc_u32 v41, 8, v41
	s_wait_dscnt 0x0
	v_pk_mul_f32 v[50:51], v[48:49], v[44:45] op_sel:[1,1] op_sel_hi:[0,1]
	s_delay_alu instid0(VALU_DEP_1) | instskip(SKIP_2) | instid1(VALU_DEP_3)
	v_pk_fma_f32 v[52:53], v[48:49], v[44:45], v[50:51] op_sel_hi:[1,0,1]
	v_add_nc_u32_e32 v42, 1, v42
	v_pk_fma_f32 v[44:45], v[48:49], v[44:45], v[50:51] neg_lo:[0,0,1] neg_hi:[0,0,1]
	v_mov_b32_e32 v45, v53
	s_delay_alu instid0(VALU_DEP_3) | instskip(NEXT) | instid1(VALU_DEP_2)
	v_cmp_lt_u32_e32 vcc_lo, 10, v42
	v_pk_add_f32 v[34:35], v[34:35], v[44:45]
	s_or_b32 s3, vcc_lo, s3
	s_delay_alu instid0(SALU_CYCLE_1)
	s_and_not1_b32 exec_lo, exec_lo, s3
	s_cbranch_execnz .LBB79_267
; %bb.268:
	s_or_b32 exec_lo, exec_lo, s3
.LBB79_269:
	s_delay_alu instid0(SALU_CYCLE_1) | instskip(SKIP_4) | instid1(VALU_DEP_1)
	s_or_b32 exec_lo, exec_lo, s2
	v_mov_b32_e32 v39, 0
	ds_load_b64 v[42:43], v39 offset:96
	s_wait_dscnt 0x0
	v_pk_mul_f32 v[44:45], v[34:35], v[42:43] op_sel:[1,1] op_sel_hi:[0,1]
	v_pk_fma_f32 v[48:49], v[34:35], v[42:43], v[44:45] op_sel_hi:[1,0,1]
	v_pk_fma_f32 v[34:35], v[34:35], v[42:43], v[44:45] neg_lo:[0,0,1] neg_hi:[0,0,1]
	s_delay_alu instid0(VALU_DEP_2)
	v_mov_b32_e32 v35, v49
	ds_store_b64 v46, v[34:35] offset:96
.LBB79_270:
	s_or_b32 exec_lo, exec_lo, s0
	ds_load_b64 v[34:35], v46 offset:104
	s_mov_b32 s0, exec_lo
	s_wait_dscnt 0x0
	ds_store_b64 v36, v[34:35]
	s_wait_dscnt 0x0
	s_barrier_signal -1
	s_barrier_wait -1
	v_cmpx_gt_u32_e32 13, v40
	s_cbranch_execz .LBB79_280
; %bb.271:
	v_cmp_ne_u32_e32 vcc_lo, 1, v38
	s_cbranch_vccnz .LBB79_273
; %bb.272:
	ds_load_b64 v[34:35], v37
	ds_load_b64 v[42:43], v36
	s_wait_dscnt 0x0
	v_pk_mul_f32 v[44:45], v[42:43], v[34:35] op_sel:[1,1] op_sel_hi:[0,1]
	s_delay_alu instid0(VALU_DEP_1) | instskip(SKIP_1) | instid1(VALU_DEP_2)
	v_pk_fma_f32 v[48:49], v[42:43], v[34:35], v[44:45] op_sel_hi:[1,0,1]
	v_pk_fma_f32 v[34:35], v[42:43], v[34:35], v[44:45] neg_lo:[0,0,1] neg_hi:[0,0,1]
	v_mov_b32_e32 v35, v49
	s_cbranch_execz .LBB79_274
	s_branch .LBB79_275
.LBB79_273:
                                        ; implicit-def: $vgpr34_vgpr35
.LBB79_274:
	ds_load_b64 v[34:35], v36
.LBB79_275:
	s_mov_b32 s2, exec_lo
	v_cmpx_ne_u32_e32 12, v40
	s_cbranch_execz .LBB79_279
; %bb.276:
	v_dual_mov_b32 v42, v40 :: v_dual_add_nc_u32 v39, 0x88, v32
	v_add3_u32 v41, v33, v32, 0x108
	s_mov_b32 s3, 0
.LBB79_277:                             ; =>This Inner Loop Header: Depth=1
	ds_load_b64 v[44:45], v41
	ds_load_b64 v[48:49], v39
	v_dual_add_nc_u32 v39, 8, v39 :: v_dual_add_nc_u32 v41, 8, v41
	s_wait_dscnt 0x0
	v_pk_mul_f32 v[50:51], v[48:49], v[44:45] op_sel:[1,1] op_sel_hi:[0,1]
	s_delay_alu instid0(VALU_DEP_1) | instskip(SKIP_2) | instid1(VALU_DEP_3)
	v_pk_fma_f32 v[52:53], v[48:49], v[44:45], v[50:51] op_sel_hi:[1,0,1]
	v_add_nc_u32_e32 v42, 1, v42
	v_pk_fma_f32 v[44:45], v[48:49], v[44:45], v[50:51] neg_lo:[0,0,1] neg_hi:[0,0,1]
	v_mov_b32_e32 v45, v53
	s_delay_alu instid0(VALU_DEP_3) | instskip(NEXT) | instid1(VALU_DEP_2)
	v_cmp_lt_u32_e32 vcc_lo, 11, v42
	v_pk_add_f32 v[34:35], v[34:35], v[44:45]
	s_or_b32 s3, vcc_lo, s3
	s_delay_alu instid0(SALU_CYCLE_1)
	s_and_not1_b32 exec_lo, exec_lo, s3
	s_cbranch_execnz .LBB79_277
; %bb.278:
	s_or_b32 exec_lo, exec_lo, s3
.LBB79_279:
	s_delay_alu instid0(SALU_CYCLE_1) | instskip(SKIP_4) | instid1(VALU_DEP_1)
	s_or_b32 exec_lo, exec_lo, s2
	v_mov_b32_e32 v39, 0
	ds_load_b64 v[42:43], v39 offset:104
	s_wait_dscnt 0x0
	v_pk_mul_f32 v[44:45], v[34:35], v[42:43] op_sel:[1,1] op_sel_hi:[0,1]
	v_pk_fma_f32 v[48:49], v[34:35], v[42:43], v[44:45] op_sel_hi:[1,0,1]
	v_pk_fma_f32 v[34:35], v[34:35], v[42:43], v[44:45] neg_lo:[0,0,1] neg_hi:[0,0,1]
	s_delay_alu instid0(VALU_DEP_2)
	v_mov_b32_e32 v35, v49
	ds_store_b64 v46, v[34:35] offset:104
.LBB79_280:
	s_or_b32 exec_lo, exec_lo, s0
	ds_load_b64 v[34:35], v46 offset:112
	v_cmp_gt_u32_e64 s0, 14, v40
	s_wait_dscnt 0x0
	ds_store_b64 v36, v[34:35]
	s_wait_dscnt 0x0
	s_barrier_signal -1
	s_barrier_wait -1
	s_and_saveexec_b32 s2, s0
	s_cbranch_execz .LBB79_290
; %bb.281:
	v_cmp_ne_u32_e32 vcc_lo, 1, v38
	s_cbranch_vccnz .LBB79_283
; %bb.282:
	ds_load_b64 v[34:35], v37
	ds_load_b64 v[42:43], v36
	s_wait_dscnt 0x0
	v_pk_mul_f32 v[44:45], v[42:43], v[34:35] op_sel:[1,1] op_sel_hi:[0,1]
	s_delay_alu instid0(VALU_DEP_1) | instskip(SKIP_1) | instid1(VALU_DEP_2)
	v_pk_fma_f32 v[48:49], v[42:43], v[34:35], v[44:45] op_sel_hi:[1,0,1]
	v_pk_fma_f32 v[34:35], v[42:43], v[34:35], v[44:45] neg_lo:[0,0,1] neg_hi:[0,0,1]
	v_mov_b32_e32 v35, v49
	s_cbranch_execz .LBB79_284
	s_branch .LBB79_285
.LBB79_283:
                                        ; implicit-def: $vgpr34_vgpr35
.LBB79_284:
	ds_load_b64 v[34:35], v36
.LBB79_285:
	s_mov_b32 s3, exec_lo
	v_cmpx_ne_u32_e32 13, v40
	s_cbranch_execz .LBB79_289
; %bb.286:
	v_dual_mov_b32 v42, v40 :: v_dual_add_nc_u32 v39, 0x88, v32
	v_add3_u32 v41, v33, v32, 0x108
	s_mov_b32 s4, 0
.LBB79_287:                             ; =>This Inner Loop Header: Depth=1
	ds_load_b64 v[44:45], v41
	ds_load_b64 v[48:49], v39
	v_dual_add_nc_u32 v39, 8, v39 :: v_dual_add_nc_u32 v41, 8, v41
	s_wait_dscnt 0x0
	v_pk_mul_f32 v[50:51], v[48:49], v[44:45] op_sel:[1,1] op_sel_hi:[0,1]
	s_delay_alu instid0(VALU_DEP_1) | instskip(SKIP_2) | instid1(VALU_DEP_3)
	v_pk_fma_f32 v[52:53], v[48:49], v[44:45], v[50:51] op_sel_hi:[1,0,1]
	v_add_nc_u32_e32 v42, 1, v42
	v_pk_fma_f32 v[44:45], v[48:49], v[44:45], v[50:51] neg_lo:[0,0,1] neg_hi:[0,0,1]
	v_mov_b32_e32 v45, v53
	s_delay_alu instid0(VALU_DEP_3) | instskip(NEXT) | instid1(VALU_DEP_2)
	v_cmp_lt_u32_e32 vcc_lo, 12, v42
	v_pk_add_f32 v[34:35], v[34:35], v[44:45]
	s_or_b32 s4, vcc_lo, s4
	s_delay_alu instid0(SALU_CYCLE_1)
	s_and_not1_b32 exec_lo, exec_lo, s4
	s_cbranch_execnz .LBB79_287
; %bb.288:
	s_or_b32 exec_lo, exec_lo, s4
.LBB79_289:
	s_delay_alu instid0(SALU_CYCLE_1) | instskip(SKIP_4) | instid1(VALU_DEP_1)
	s_or_b32 exec_lo, exec_lo, s3
	v_mov_b32_e32 v39, 0
	ds_load_b64 v[42:43], v39 offset:112
	s_wait_dscnt 0x0
	v_pk_mul_f32 v[44:45], v[34:35], v[42:43] op_sel:[1,1] op_sel_hi:[0,1]
	v_pk_fma_f32 v[48:49], v[34:35], v[42:43], v[44:45] op_sel_hi:[1,0,1]
	v_pk_fma_f32 v[34:35], v[34:35], v[42:43], v[44:45] neg_lo:[0,0,1] neg_hi:[0,0,1]
	s_delay_alu instid0(VALU_DEP_2)
	v_mov_b32_e32 v35, v49
	ds_store_b64 v46, v[34:35] offset:112
.LBB79_290:
	s_or_b32 exec_lo, exec_lo, s2
	ds_load_b64 v[34:35], v46 offset:120
	s_mov_b32 s2, exec_lo
                                        ; implicit-def: $vgpr47
                                        ; implicit-def: $vgpr48
	s_wait_dscnt 0x0
	ds_store_b64 v36, v[34:35]
	s_wait_dscnt 0x0
	s_barrier_signal -1
	s_barrier_wait -1
	v_cmpx_ne_u32_e32 15, v40
	s_cbranch_execz .LBB79_300
; %bb.291:
	v_cmp_ne_u32_e32 vcc_lo, 1, v38
	s_cbranch_vccnz .LBB79_293
; %bb.292:
	ds_load_b64 v[38:39], v37
	ds_load_b64 v[42:43], v36
	s_wait_dscnt 0x0
	v_dual_mul_f32 v34, v43, v39 :: v_dual_mul_f32 v35, v42, v39
	s_delay_alu instid0(VALU_DEP_1)
	v_dual_fma_f32 v34, v42, v38, -v34 :: v_dual_fmac_f32 v35, v43, v38
	s_cbranch_execz .LBB79_294
	s_branch .LBB79_295
.LBB79_293:
                                        ; implicit-def: $vgpr35
.LBB79_294:
	ds_load_b64 v[34:35], v36
.LBB79_295:
	s_and_saveexec_b32 s3, s0
	s_cbranch_execz .LBB79_299
; %bb.296:
	v_add_nc_u32_e32 v36, 0x88, v32
	v_add3_u32 v32, v33, v32, 0x108
	s_mov_b32 s0, 0
.LBB79_297:                             ; =>This Inner Loop Header: Depth=1
	ds_load_b64 v[38:39], v32
	ds_load_b64 v[42:43], v36
	s_wait_dscnt 0x0
	v_dual_mul_f32 v33, v43, v39 :: v_dual_add_nc_u32 v36, 8, v36
	v_dual_mul_f32 v37, v42, v39 :: v_dual_add_nc_u32 v40, 1, v40
	s_delay_alu instid0(VALU_DEP_2) | instskip(NEXT) | instid1(VALU_DEP_2)
	v_fma_f32 v33, v42, v38, -v33
	v_fmac_f32_e32 v37, v43, v38
	s_delay_alu instid0(VALU_DEP_3) | instskip(NEXT) | instid1(VALU_DEP_3)
	v_cmp_lt_u32_e32 vcc_lo, 13, v40
	v_dual_add_nc_u32 v32, 8, v32 :: v_dual_add_f32 v34, v34, v33
	s_delay_alu instid0(VALU_DEP_3) | instskip(SKIP_1) | instid1(SALU_CYCLE_1)
	v_add_f32_e32 v35, v35, v37
	s_or_b32 s0, vcc_lo, s0
	s_and_not1_b32 exec_lo, exec_lo, s0
	s_cbranch_execnz .LBB79_297
; %bb.298:
	s_or_b32 exec_lo, exec_lo, s0
.LBB79_299:
	s_delay_alu instid0(SALU_CYCLE_1)
	s_or_b32 exec_lo, exec_lo, s3
	v_mov_b32_e32 v32, 0
	s_or_b32 s1, s1, exec_lo
	v_add_nc_u32_e32 v48, 0x7c, v46
	ds_load_b64 v[32:33], v32 offset:120
	s_wait_dscnt 0x0
	v_dual_mul_f32 v36, v35, v33 :: v_dual_mul_f32 v47, v34, v33
	s_delay_alu instid0(VALU_DEP_1)
	v_dual_fma_f32 v33, v34, v32, -v36 :: v_dual_fmac_f32 v47, v35, v32
	ds_store_b32 v46, v33 offset:120
.LBB79_300:
	s_or_b32 exec_lo, exec_lo, s2
.LBB79_301:
	v_lshl_add_u64 v[44:45], v[4:5], 3, s[6:7]
	v_lshl_add_u64 v[42:43], v[6:7], 3, s[6:7]
	;; [unrolled: 1-line block ×14, first 2 shown]
	s_and_saveexec_b32 s0, s1
; %bb.302:
	ds_store_b32 v48, v47
; %bb.303:
	s_or_b32 exec_lo, exec_lo, s0
	ds_load_b64 v[18:19], v46
	s_wait_dscnt 0x0
	flat_store_b64 v[0:1], v[18:19]
	s_wait_xcnt 0x0
	ds_load_b64 v[0:1], v46 offset:8
	s_wait_dscnt 0x0
	flat_store_b64 v[2:3], v[0:1]
	s_wait_xcnt 0x0
	ds_load_b64 v[0:1], v46 offset:16
	;; [unrolled: 4-line block ×15, first 2 shown]
	s_wait_dscnt 0x0
	flat_store_b64 v[4:5], v[0:1]
.LBB79_304:
	s_endpgm
	.section	.rodata,"a",@progbits
	.p2align	6, 0x0
	.amdhsa_kernel _ZN9rocsolver6v33100L18trti2_kernel_smallILi16E19rocblas_complex_numIfEPKPS3_EEv13rocblas_fill_17rocblas_diagonal_T1_iil
		.amdhsa_group_segment_fixed_size 8448
		.amdhsa_private_segment_fixed_size 0
		.amdhsa_kernarg_size 32
		.amdhsa_user_sgpr_count 4
		.amdhsa_user_sgpr_dispatch_ptr 1
		.amdhsa_user_sgpr_queue_ptr 0
		.amdhsa_user_sgpr_kernarg_segment_ptr 1
		.amdhsa_user_sgpr_dispatch_id 0
		.amdhsa_user_sgpr_kernarg_preload_length 0
		.amdhsa_user_sgpr_kernarg_preload_offset 0
		.amdhsa_user_sgpr_private_segment_size 0
		.amdhsa_wavefront_size32 1
		.amdhsa_uses_dynamic_stack 0
		.amdhsa_enable_private_segment 0
		.amdhsa_system_sgpr_workgroup_id_x 1
		.amdhsa_system_sgpr_workgroup_id_y 0
		.amdhsa_system_sgpr_workgroup_id_z 0
		.amdhsa_system_sgpr_workgroup_info 0
		.amdhsa_system_vgpr_workitem_id 2
		.amdhsa_next_free_vgpr 54
		.amdhsa_next_free_sgpr 12
		.amdhsa_named_barrier_count 0
		.amdhsa_reserve_vcc 1
		.amdhsa_float_round_mode_32 0
		.amdhsa_float_round_mode_16_64 0
		.amdhsa_float_denorm_mode_32 3
		.amdhsa_float_denorm_mode_16_64 3
		.amdhsa_fp16_overflow 0
		.amdhsa_memory_ordered 1
		.amdhsa_forward_progress 1
		.amdhsa_inst_pref_size 90
		.amdhsa_round_robin_scheduling 0
		.amdhsa_exception_fp_ieee_invalid_op 0
		.amdhsa_exception_fp_denorm_src 0
		.amdhsa_exception_fp_ieee_div_zero 0
		.amdhsa_exception_fp_ieee_overflow 0
		.amdhsa_exception_fp_ieee_underflow 0
		.amdhsa_exception_fp_ieee_inexact 0
		.amdhsa_exception_int_div_zero 0
	.end_amdhsa_kernel
	.section	.text._ZN9rocsolver6v33100L18trti2_kernel_smallILi16E19rocblas_complex_numIfEPKPS3_EEv13rocblas_fill_17rocblas_diagonal_T1_iil,"axG",@progbits,_ZN9rocsolver6v33100L18trti2_kernel_smallILi16E19rocblas_complex_numIfEPKPS3_EEv13rocblas_fill_17rocblas_diagonal_T1_iil,comdat
.Lfunc_end79:
	.size	_ZN9rocsolver6v33100L18trti2_kernel_smallILi16E19rocblas_complex_numIfEPKPS3_EEv13rocblas_fill_17rocblas_diagonal_T1_iil, .Lfunc_end79-_ZN9rocsolver6v33100L18trti2_kernel_smallILi16E19rocblas_complex_numIfEPKPS3_EEv13rocblas_fill_17rocblas_diagonal_T1_iil
                                        ; -- End function
	.set _ZN9rocsolver6v33100L18trti2_kernel_smallILi16E19rocblas_complex_numIfEPKPS3_EEv13rocblas_fill_17rocblas_diagonal_T1_iil.num_vgpr, 54
	.set _ZN9rocsolver6v33100L18trti2_kernel_smallILi16E19rocblas_complex_numIfEPKPS3_EEv13rocblas_fill_17rocblas_diagonal_T1_iil.num_agpr, 0
	.set _ZN9rocsolver6v33100L18trti2_kernel_smallILi16E19rocblas_complex_numIfEPKPS3_EEv13rocblas_fill_17rocblas_diagonal_T1_iil.numbered_sgpr, 12
	.set _ZN9rocsolver6v33100L18trti2_kernel_smallILi16E19rocblas_complex_numIfEPKPS3_EEv13rocblas_fill_17rocblas_diagonal_T1_iil.num_named_barrier, 0
	.set _ZN9rocsolver6v33100L18trti2_kernel_smallILi16E19rocblas_complex_numIfEPKPS3_EEv13rocblas_fill_17rocblas_diagonal_T1_iil.private_seg_size, 0
	.set _ZN9rocsolver6v33100L18trti2_kernel_smallILi16E19rocblas_complex_numIfEPKPS3_EEv13rocblas_fill_17rocblas_diagonal_T1_iil.uses_vcc, 1
	.set _ZN9rocsolver6v33100L18trti2_kernel_smallILi16E19rocblas_complex_numIfEPKPS3_EEv13rocblas_fill_17rocblas_diagonal_T1_iil.uses_flat_scratch, 0
	.set _ZN9rocsolver6v33100L18trti2_kernel_smallILi16E19rocblas_complex_numIfEPKPS3_EEv13rocblas_fill_17rocblas_diagonal_T1_iil.has_dyn_sized_stack, 0
	.set _ZN9rocsolver6v33100L18trti2_kernel_smallILi16E19rocblas_complex_numIfEPKPS3_EEv13rocblas_fill_17rocblas_diagonal_T1_iil.has_recursion, 0
	.set _ZN9rocsolver6v33100L18trti2_kernel_smallILi16E19rocblas_complex_numIfEPKPS3_EEv13rocblas_fill_17rocblas_diagonal_T1_iil.has_indirect_call, 0
	.section	.AMDGPU.csdata,"",@progbits
; Kernel info:
; codeLenInByte = 11500
; TotalNumSgprs: 14
; NumVgprs: 54
; ScratchSize: 0
; MemoryBound: 0
; FloatMode: 240
; IeeeMode: 1
; LDSByteSize: 8448 bytes/workgroup (compile time only)
; SGPRBlocks: 0
; VGPRBlocks: 3
; NumSGPRsForWavesPerEU: 14
; NumVGPRsForWavesPerEU: 54
; NamedBarCnt: 0
; Occupancy: 10
; WaveLimiterHint : 1
; COMPUTE_PGM_RSRC2:SCRATCH_EN: 0
; COMPUTE_PGM_RSRC2:USER_SGPR: 4
; COMPUTE_PGM_RSRC2:TRAP_HANDLER: 0
; COMPUTE_PGM_RSRC2:TGID_X_EN: 1
; COMPUTE_PGM_RSRC2:TGID_Y_EN: 0
; COMPUTE_PGM_RSRC2:TGID_Z_EN: 0
; COMPUTE_PGM_RSRC2:TIDIG_COMP_CNT: 2
	.section	.text._ZN9rocsolver6v33100L18trti2_kernel_smallILi17E19rocblas_complex_numIfEPKPS3_EEv13rocblas_fill_17rocblas_diagonal_T1_iil,"axG",@progbits,_ZN9rocsolver6v33100L18trti2_kernel_smallILi17E19rocblas_complex_numIfEPKPS3_EEv13rocblas_fill_17rocblas_diagonal_T1_iil,comdat
	.globl	_ZN9rocsolver6v33100L18trti2_kernel_smallILi17E19rocblas_complex_numIfEPKPS3_EEv13rocblas_fill_17rocblas_diagonal_T1_iil ; -- Begin function _ZN9rocsolver6v33100L18trti2_kernel_smallILi17E19rocblas_complex_numIfEPKPS3_EEv13rocblas_fill_17rocblas_diagonal_T1_iil
	.p2align	8
	.type	_ZN9rocsolver6v33100L18trti2_kernel_smallILi17E19rocblas_complex_numIfEPKPS3_EEv13rocblas_fill_17rocblas_diagonal_T1_iil,@function
_ZN9rocsolver6v33100L18trti2_kernel_smallILi17E19rocblas_complex_numIfEPKPS3_EEv13rocblas_fill_17rocblas_diagonal_T1_iil: ; @_ZN9rocsolver6v33100L18trti2_kernel_smallILi17E19rocblas_complex_numIfEPKPS3_EEv13rocblas_fill_17rocblas_diagonal_T1_iil
; %bb.0:
	v_and_b32_e32 v42, 0x3ff, v0
	s_mov_b32 s4, exec_lo
	s_delay_alu instid0(VALU_DEP_1)
	v_cmpx_gt_u32_e32 17, v42
	s_cbranch_execz .LBB80_324
; %bb.1:
	s_load_b64 s[10:11], s[0:1], 0x4
	s_clause 0x1
	s_load_b64 s[8:9], s[2:3], 0x10
	s_load_b128 s[4:7], s[2:3], 0x0
	s_wait_xcnt 0x0
	s_bfe_u32 s0, ttmp6, 0x4000c
	s_and_b32 s1, ttmp6, 15
	s_add_co_i32 s0, s0, 1
	s_getreg_b32 s2, hwreg(HW_REG_IB_STS2, 6, 4)
	s_mul_i32 s0, ttmp9, s0
	v_bfe_u32 v1, v0, 10, 10
	s_add_co_i32 s0, s1, s0
	v_bfe_u32 v0, v0, 20, 10
	v_dual_mov_b32 v35, 0 :: v_dual_lshlrev_b32 v34, 3, v42
	s_wait_kmcnt 0x0
	s_lshr_b32 s10, s10, 16
	s_ashr_i32 s1, s8, 31
	s_cmp_eq_u32 s2, 0
	s_mul_i32 s10, s10, s11
	s_cselect_b32 s2, ttmp9, s0
	s_mov_b32 s0, s8
	s_ashr_i32 s3, s2, 31
	s_lshl_b64 s[0:1], s[0:1], 3
	s_lshl_b64 s[2:3], s[2:3], 3
	v_mul_u32_u24_e32 v1, s11, v1
	s_add_nc_u64 s[2:3], s[6:7], s[2:3]
	v_mul_u32_u24_e32 v2, s10, v42
	s_load_b64 s[2:3], s[2:3], 0x0
	s_delay_alu instid0(VALU_DEP_1) | instskip(NEXT) | instid1(VALU_DEP_1)
	v_add3_u32 v44, v2, v1, v0
	v_mul_lo_u32 v43, 0x88, v44
	s_delay_alu instid0(VALU_DEP_1)
	v_add_nc_u32_e32 v48, 0x120, v43
	s_wait_kmcnt 0x0
	s_add_nc_u64 s[2:3], s[2:3], s[0:1]
	s_mov_b32 s0, s9
	flat_load_b64 v[4:5], v42, s[2:3] scale_offset
	v_add_nc_u64_e32 v[0:1], s[2:3], v[34:35]
	s_ashr_i32 s1, s9, 31
	s_cmp_lg_u32 s5, 0x84
	s_cselect_b32 s5, -1, 0
	s_delay_alu instid0(SALU_CYCLE_1) | instskip(NEXT) | instid1(VALU_DEP_1)
	s_and_b32 vcc_lo, exec_lo, s5
	v_lshl_add_u64 v[2:3], s[0:1], 3, v[0:1]
	s_mov_b32 s0, -1
	s_wait_loadcnt_dscnt 0x0
	ds_store_b64 v43, v[4:5] offset:288
	flat_load_b64 v[6:7], v[2:3]
	v_add3_u32 v4, s9, s9, v42
	s_wait_loadcnt_dscnt 0x0
	ds_store_b64 v43, v[6:7] offset:296
	flat_load_b64 v[8:9], v4, s[2:3] scale_offset
	v_add_nc_u32_e32 v6, s9, v4
	s_wait_loadcnt_dscnt 0x0
	ds_store_b64 v43, v[8:9] offset:304
	flat_load_b64 v[10:11], v6, s[2:3] scale_offset
	v_add_nc_u32_e32 v8, s9, v6
	;; [unrolled: 4-line block ×14, first 2 shown]
	s_wait_loadcnt_dscnt 0x0
	ds_store_b64 v43, v[36:37] offset:408
	flat_load_b64 v[36:37], v32, s[2:3] scale_offset
	s_wait_loadcnt_dscnt 0x0
	ds_store_b64 v43, v[36:37] offset:416
	s_cbranch_vccz .LBB80_7
; %bb.2:
	v_lshl_add_u32 v5, v42, 3, v48
                                        ; implicit-def: $vgpr41
                                        ; implicit-def: $vgpr38
	ds_load_b64 v[36:37], v5
	s_wait_dscnt 0x0
	v_cmp_ngt_f32_e64 s0, |v36|, |v37|
	s_and_saveexec_b32 s1, s0
	s_delay_alu instid0(SALU_CYCLE_1)
	s_xor_b32 s0, exec_lo, s1
	s_cbranch_execz .LBB80_4
; %bb.3:
	v_div_scale_f32 v7, null, v37, v37, v36
	v_div_scale_f32 v13, vcc_lo, v36, v37, v36
	s_delay_alu instid0(VALU_DEP_2) | instskip(SKIP_1) | instid1(TRANS32_DEP_1)
	v_rcp_f32_e32 v9, v7
	v_nop
	v_fma_f32 v11, -v7, v9, 1.0
	s_delay_alu instid0(VALU_DEP_1) | instskip(NEXT) | instid1(VALU_DEP_1)
	v_fmac_f32_e32 v9, v11, v9
	v_mul_f32_e32 v11, v13, v9
	s_delay_alu instid0(VALU_DEP_1) | instskip(NEXT) | instid1(VALU_DEP_1)
	v_fma_f32 v15, -v7, v11, v13
	v_fmac_f32_e32 v11, v15, v9
	s_delay_alu instid0(VALU_DEP_1) | instskip(NEXT) | instid1(VALU_DEP_1)
	v_fma_f32 v7, -v7, v11, v13
	v_div_fmas_f32 v7, v7, v9, v11
	s_delay_alu instid0(VALU_DEP_1) | instskip(NEXT) | instid1(VALU_DEP_1)
	v_div_fixup_f32 v7, v7, v37, v36
	v_fmac_f32_e32 v37, v36, v7
	s_delay_alu instid0(VALU_DEP_1) | instskip(NEXT) | instid1(VALU_DEP_1)
	v_div_scale_f32 v9, null, v37, v37, -1.0
	v_rcp_f32_e32 v11, v9
	v_nop
	s_delay_alu instid0(TRANS32_DEP_1) | instskip(NEXT) | instid1(VALU_DEP_1)
	v_fma_f32 v13, -v9, v11, 1.0
	v_fmac_f32_e32 v11, v13, v11
	v_div_scale_f32 v13, vcc_lo, -1.0, v37, -1.0
	s_delay_alu instid0(VALU_DEP_1) | instskip(NEXT) | instid1(VALU_DEP_1)
	v_mul_f32_e32 v15, v13, v11
	v_fma_f32 v17, -v9, v15, v13
	s_delay_alu instid0(VALU_DEP_1) | instskip(NEXT) | instid1(VALU_DEP_1)
	v_fmac_f32_e32 v15, v17, v11
	v_fma_f32 v9, -v9, v15, v13
	s_delay_alu instid0(VALU_DEP_1) | instskip(NEXT) | instid1(VALU_DEP_1)
	v_div_fmas_f32 v9, v9, v11, v15
	v_div_fixup_f32 v41, v9, v37, -1.0
                                        ; implicit-def: $vgpr36_vgpr37
	s_delay_alu instid0(VALU_DEP_1) | instskip(NEXT) | instid1(VALU_DEP_1)
	v_mul_f32_e32 v38, v7, v41
	v_xor_b32_e32 v40, 0x80000000, v38
.LBB80_4:
	s_and_not1_saveexec_b32 s0, s0
	s_cbranch_execz .LBB80_6
; %bb.5:
	v_div_scale_f32 v7, null, v36, v36, v37
	v_div_scale_f32 v13, vcc_lo, v37, v36, v37
	s_delay_alu instid0(VALU_DEP_2) | instskip(SKIP_1) | instid1(TRANS32_DEP_1)
	v_rcp_f32_e32 v9, v7
	v_nop
	v_fma_f32 v11, -v7, v9, 1.0
	s_delay_alu instid0(VALU_DEP_1) | instskip(NEXT) | instid1(VALU_DEP_1)
	v_fmac_f32_e32 v9, v11, v9
	v_mul_f32_e32 v11, v13, v9
	s_delay_alu instid0(VALU_DEP_1) | instskip(NEXT) | instid1(VALU_DEP_1)
	v_fma_f32 v15, -v7, v11, v13
	v_fmac_f32_e32 v11, v15, v9
	s_delay_alu instid0(VALU_DEP_1) | instskip(NEXT) | instid1(VALU_DEP_1)
	v_fma_f32 v7, -v7, v11, v13
	v_div_fmas_f32 v7, v7, v9, v11
	s_delay_alu instid0(VALU_DEP_1) | instskip(NEXT) | instid1(VALU_DEP_1)
	v_div_fixup_f32 v7, v7, v36, v37
	v_fmac_f32_e32 v36, v37, v7
	s_delay_alu instid0(VALU_DEP_1) | instskip(SKIP_1) | instid1(VALU_DEP_2)
	v_div_scale_f32 v9, null, v36, v36, 1.0
	v_div_scale_f32 v15, vcc_lo, 1.0, v36, 1.0
	v_rcp_f32_e32 v11, v9
	v_nop
	s_delay_alu instid0(TRANS32_DEP_1) | instskip(NEXT) | instid1(VALU_DEP_1)
	v_fma_f32 v13, -v9, v11, 1.0
	v_fmac_f32_e32 v11, v13, v11
	s_delay_alu instid0(VALU_DEP_1) | instskip(NEXT) | instid1(VALU_DEP_1)
	v_mul_f32_e32 v13, v15, v11
	v_fma_f32 v17, -v9, v13, v15
	s_delay_alu instid0(VALU_DEP_1) | instskip(NEXT) | instid1(VALU_DEP_1)
	v_fmac_f32_e32 v13, v17, v11
	v_fma_f32 v9, -v9, v13, v15
	s_delay_alu instid0(VALU_DEP_1) | instskip(NEXT) | instid1(VALU_DEP_1)
	v_div_fmas_f32 v9, v9, v11, v13
	v_div_fixup_f32 v40, v9, v36, 1.0
	s_delay_alu instid0(VALU_DEP_1)
	v_xor_b32_e32 v38, 0x80000000, v40
	v_mul_f32_e64 v41, v7, -v40
.LBB80_6:
	s_or_b32 exec_lo, exec_lo, s0
	s_delay_alu instid0(VALU_DEP_1)
	v_xor_b32_e32 v39, 0x80000000, v41
	s_mov_b32 s0, 0
	ds_store_b64 v5, v[40:41]
	ds_store_b64 v34, v[38:39]
.LBB80_7:
	s_and_b32 vcc_lo, exec_lo, s0
	s_cbranch_vccz .LBB80_9
; %bb.8:
	s_mov_b64 s[0:1], 0xbf800000
	s_delay_alu instid0(SALU_CYCLE_1)
	v_mov_b64_e32 v[36:37], s[0:1]
	ds_store_b64 v34, v[36:37]
.LBB80_9:
	v_dual_ashrrev_i32 v5, 31, v4 :: v_dual_ashrrev_i32 v7, 31, v6
	v_dual_ashrrev_i32 v9, 31, v8 :: v_dual_ashrrev_i32 v11, 31, v10
	;; [unrolled: 1-line block ×7, first 2 shown]
	v_dual_ashrrev_i32 v33, 31, v32 :: v_dual_add_nc_u32 v38, v48, v34
	v_add_nc_u32_e32 v35, 0x90, v34
	s_cmp_eq_u32 s4, 0x79
	s_cbranch_scc1 .LBB80_13
; %bb.10:
	ds_load_b64 v[36:37], v48 offset:120
	v_cmp_eq_u32_e64 s0, 16, v42
	s_wait_dscnt 0x0
	ds_store_b64 v35, v[36:37]
	s_wait_dscnt 0x0
	s_barrier_signal -1
	s_barrier_wait -1
	s_and_saveexec_b32 s1, s0
	s_cbranch_execz .LBB80_17
; %bb.11:
	s_and_b32 vcc_lo, exec_lo, s5
	s_cbranch_vccz .LBB80_14
; %bb.12:
	ds_load_b64 v[36:37], v38
	ds_load_b64 v[40:41], v35
	s_wait_dscnt 0x0
	v_pk_mul_f32 v[46:47], v[40:41], v[36:37] op_sel:[1,1] op_sel_hi:[0,1]
	v_pk_mul_f32 v[50:51], v[40:41], v[36:37] op_sel_hi:[1,0]
	s_delay_alu instid0(VALU_DEP_2) | instskip(NEXT) | instid1(VALU_DEP_2)
	v_pk_fma_f32 v[36:37], v[40:41], v[36:37], v[46:47] op_sel_hi:[1,0,1]
	v_sub_f32_e32 v36, v50, v46
	s_cbranch_execz .LBB80_15
	s_branch .LBB80_16
.LBB80_13:
	s_mov_b32 s1, 0
                                        ; implicit-def: $vgpr49
                                        ; implicit-def: $vgpr50
	s_cbranch_execnz .LBB80_166
	s_branch .LBB80_321
.LBB80_14:
                                        ; implicit-def: $vgpr37
.LBB80_15:
	ds_load_b64 v[36:37], v35
.LBB80_16:
	s_wait_dscnt 0x0
	v_dual_mov_b32 v39, 0 :: v_dual_mov_b32 v46, v37
	v_mov_b32_e32 v47, v36
	ds_load_b64 v[40:41], v39 offset:120
	s_wait_dscnt 0x0
	v_pk_mul_f32 v[46:47], v[46:47], v[40:41] op_sel:[0,1]
	s_delay_alu instid0(VALU_DEP_1) | instskip(SKIP_1) | instid1(VALU_DEP_2)
	v_pk_fma_f32 v[50:51], v[36:37], v[40:41], v[46:47] op_sel_hi:[1,0,1]
	v_pk_fma_f32 v[36:37], v[36:37], v[40:41], v[46:47] neg_lo:[0,0,1] neg_hi:[0,0,1]
	v_mov_b32_e32 v37, v51
	ds_store_b64 v48, v[36:37] offset:120
.LBB80_17:
	s_or_b32 exec_lo, exec_lo, s1
	ds_load_b64 v[36:37], v48 offset:112
	v_cmp_lt_u32_e64 s1, 14, v42
	s_wait_dscnt 0x0
	ds_store_b64 v35, v[36:37]
	s_wait_dscnt 0x0
	s_barrier_signal -1
	s_barrier_wait -1
	s_and_saveexec_b32 s4, s1
	s_cbranch_execz .LBB80_25
; %bb.18:
	s_and_not1_b32 vcc_lo, exec_lo, s5
	s_cbranch_vccnz .LBB80_20
; %bb.19:
	ds_load_b64 v[36:37], v38
	ds_load_b64 v[40:41], v35
	s_wait_dscnt 0x0
	v_pk_mul_f32 v[46:47], v[40:41], v[36:37] op_sel:[1,1] op_sel_hi:[0,1]
	s_delay_alu instid0(VALU_DEP_1) | instskip(SKIP_1) | instid1(VALU_DEP_2)
	v_pk_fma_f32 v[50:51], v[40:41], v[36:37], v[46:47] op_sel_hi:[1,0,1]
	v_pk_fma_f32 v[36:37], v[40:41], v[36:37], v[46:47] neg_lo:[0,0,1] neg_hi:[0,0,1]
	v_mov_b32_e32 v37, v51
	s_cbranch_execz .LBB80_21
	s_branch .LBB80_22
.LBB80_20:
                                        ; implicit-def: $vgpr36_vgpr37
.LBB80_21:
	ds_load_b64 v[36:37], v35
.LBB80_22:
	s_and_saveexec_b32 s6, s0
	s_cbranch_execz .LBB80_24
; %bb.23:
	v_mov_b32_e32 v39, 0
	ds_load_b64 v[40:41], v48 offset:120
	ds_load_b64 v[46:47], v39 offset:264
	s_wait_dscnt 0x0
	v_pk_mul_f32 v[50:51], v[46:47], v[40:41] op_sel:[1,1] op_sel_hi:[0,1]
	s_delay_alu instid0(VALU_DEP_1) | instskip(SKIP_1) | instid1(VALU_DEP_2)
	v_pk_fma_f32 v[52:53], v[46:47], v[40:41], v[50:51] op_sel_hi:[1,0,1]
	v_pk_fma_f32 v[40:41], v[46:47], v[40:41], v[50:51] neg_lo:[0,0,1] neg_hi:[0,0,1]
	v_mov_b32_e32 v41, v53
	s_delay_alu instid0(VALU_DEP_1)
	v_pk_add_f32 v[36:37], v[36:37], v[40:41]
.LBB80_24:
	s_or_b32 exec_lo, exec_lo, s6
	v_mov_b32_e32 v39, 0
	ds_load_b64 v[40:41], v39 offset:112
	s_wait_dscnt 0x0
	v_pk_mul_f32 v[46:47], v[36:37], v[40:41] op_sel:[1,1] op_sel_hi:[0,1]
	s_delay_alu instid0(VALU_DEP_1) | instskip(SKIP_1) | instid1(VALU_DEP_2)
	v_pk_fma_f32 v[50:51], v[36:37], v[40:41], v[46:47] op_sel_hi:[1,0,1]
	v_pk_fma_f32 v[36:37], v[36:37], v[40:41], v[46:47] neg_lo:[0,0,1] neg_hi:[0,0,1]
	v_mov_b32_e32 v37, v51
	ds_store_b64 v48, v[36:37] offset:112
.LBB80_25:
	s_or_b32 exec_lo, exec_lo, s4
	ds_load_b64 v[36:37], v48 offset:104
	v_cmp_lt_u32_e64 s0, 13, v42
	s_wait_dscnt 0x0
	ds_store_b64 v35, v[36:37]
	s_wait_dscnt 0x0
	s_barrier_signal -1
	s_barrier_wait -1
	s_and_saveexec_b32 s4, s0
	s_cbranch_execz .LBB80_35
; %bb.26:
	s_and_not1_b32 vcc_lo, exec_lo, s5
	s_cbranch_vccnz .LBB80_28
; %bb.27:
	ds_load_b64 v[36:37], v38
	ds_load_b64 v[40:41], v35
	s_wait_dscnt 0x0
	v_pk_mul_f32 v[46:47], v[40:41], v[36:37] op_sel:[1,1] op_sel_hi:[0,1]
	s_delay_alu instid0(VALU_DEP_1) | instskip(SKIP_1) | instid1(VALU_DEP_2)
	v_pk_fma_f32 v[50:51], v[40:41], v[36:37], v[46:47] op_sel_hi:[1,0,1]
	v_pk_fma_f32 v[36:37], v[40:41], v[36:37], v[46:47] neg_lo:[0,0,1] neg_hi:[0,0,1]
	v_mov_b32_e32 v37, v51
	s_cbranch_execz .LBB80_29
	s_branch .LBB80_30
.LBB80_28:
                                        ; implicit-def: $vgpr36_vgpr37
.LBB80_29:
	ds_load_b64 v[36:37], v35
.LBB80_30:
	s_and_saveexec_b32 s6, s1
	s_cbranch_execz .LBB80_34
; %bb.31:
	s_movk_i32 s1, 0x88
	v_add_nc_u32_e32 v40, -14, v42
	v_mad_u32 v39, v44, s1, 0x190
	s_movk_i32 s7, 0x100
	s_mov_b32 s1, 0
.LBB80_32:                              ; =>This Inner Loop Header: Depth=1
	s_delay_alu instid0(VALU_DEP_2)
	v_dual_mov_b32 v41, s7 :: v_dual_add_nc_u32 v40, -1, v40
	s_add_co_i32 s7, s7, 8
	ds_load_b64 v[46:47], v39
	ds_load_b64 v[50:51], v41
	v_add_nc_u32_e32 v39, 8, v39
	v_cmp_eq_u32_e32 vcc_lo, 0, v40
	s_or_b32 s1, vcc_lo, s1
	s_wait_dscnt 0x0
	v_pk_mul_f32 v[52:53], v[50:51], v[46:47] op_sel:[1,1] op_sel_hi:[0,1]
	s_delay_alu instid0(VALU_DEP_1) | instskip(SKIP_1) | instid1(VALU_DEP_2)
	v_pk_fma_f32 v[54:55], v[50:51], v[46:47], v[52:53] op_sel_hi:[1,0,1]
	v_pk_fma_f32 v[46:47], v[50:51], v[46:47], v[52:53] neg_lo:[0,0,1] neg_hi:[0,0,1]
	v_mov_b32_e32 v47, v55
	s_delay_alu instid0(VALU_DEP_1)
	v_pk_add_f32 v[36:37], v[36:37], v[46:47]
	s_and_not1_b32 exec_lo, exec_lo, s1
	s_cbranch_execnz .LBB80_32
; %bb.33:
	s_or_b32 exec_lo, exec_lo, s1
.LBB80_34:
	s_delay_alu instid0(SALU_CYCLE_1) | instskip(SKIP_4) | instid1(VALU_DEP_1)
	s_or_b32 exec_lo, exec_lo, s6
	v_mov_b32_e32 v39, 0
	ds_load_b64 v[40:41], v39 offset:104
	s_wait_dscnt 0x0
	v_pk_mul_f32 v[46:47], v[36:37], v[40:41] op_sel:[1,1] op_sel_hi:[0,1]
	v_pk_fma_f32 v[50:51], v[36:37], v[40:41], v[46:47] op_sel_hi:[1,0,1]
	v_pk_fma_f32 v[36:37], v[36:37], v[40:41], v[46:47] neg_lo:[0,0,1] neg_hi:[0,0,1]
	s_delay_alu instid0(VALU_DEP_2)
	v_mov_b32_e32 v37, v51
	ds_store_b64 v48, v[36:37] offset:104
.LBB80_35:
	s_or_b32 exec_lo, exec_lo, s4
	ds_load_b64 v[36:37], v48 offset:96
	v_cmp_lt_u32_e64 s1, 12, v42
	s_wait_dscnt 0x0
	ds_store_b64 v35, v[36:37]
	s_wait_dscnt 0x0
	s_barrier_signal -1
	s_barrier_wait -1
	s_and_saveexec_b32 s4, s1
	s_cbranch_execz .LBB80_45
; %bb.36:
	s_and_not1_b32 vcc_lo, exec_lo, s5
	s_cbranch_vccnz .LBB80_38
; %bb.37:
	ds_load_b64 v[36:37], v38
	ds_load_b64 v[40:41], v35
	s_wait_dscnt 0x0
	v_pk_mul_f32 v[46:47], v[40:41], v[36:37] op_sel:[1,1] op_sel_hi:[0,1]
	s_delay_alu instid0(VALU_DEP_1) | instskip(SKIP_1) | instid1(VALU_DEP_2)
	v_pk_fma_f32 v[50:51], v[40:41], v[36:37], v[46:47] op_sel_hi:[1,0,1]
	v_pk_fma_f32 v[36:37], v[40:41], v[36:37], v[46:47] neg_lo:[0,0,1] neg_hi:[0,0,1]
	v_mov_b32_e32 v37, v51
	s_cbranch_execz .LBB80_39
	s_branch .LBB80_40
.LBB80_38:
                                        ; implicit-def: $vgpr36_vgpr37
.LBB80_39:
	ds_load_b64 v[36:37], v35
.LBB80_40:
	s_and_saveexec_b32 s6, s0
	s_cbranch_execz .LBB80_44
; %bb.41:
	s_movk_i32 s0, 0x88
	v_add_nc_u32_e32 v40, -13, v42
	v_mad_u32 v39, v44, s0, 0x188
	s_movk_i32 s7, 0xf8
	s_mov_b32 s0, 0
.LBB80_42:                              ; =>This Inner Loop Header: Depth=1
	s_delay_alu instid0(VALU_DEP_2)
	v_dual_mov_b32 v41, s7 :: v_dual_add_nc_u32 v40, -1, v40
	s_add_co_i32 s7, s7, 8
	ds_load_b64 v[46:47], v39
	ds_load_b64 v[50:51], v41
	v_add_nc_u32_e32 v39, 8, v39
	v_cmp_eq_u32_e32 vcc_lo, 0, v40
	s_or_b32 s0, vcc_lo, s0
	s_wait_dscnt 0x0
	v_pk_mul_f32 v[52:53], v[50:51], v[46:47] op_sel:[1,1] op_sel_hi:[0,1]
	s_delay_alu instid0(VALU_DEP_1) | instskip(SKIP_1) | instid1(VALU_DEP_2)
	v_pk_fma_f32 v[54:55], v[50:51], v[46:47], v[52:53] op_sel_hi:[1,0,1]
	v_pk_fma_f32 v[46:47], v[50:51], v[46:47], v[52:53] neg_lo:[0,0,1] neg_hi:[0,0,1]
	v_mov_b32_e32 v47, v55
	s_delay_alu instid0(VALU_DEP_1)
	v_pk_add_f32 v[36:37], v[36:37], v[46:47]
	s_and_not1_b32 exec_lo, exec_lo, s0
	s_cbranch_execnz .LBB80_42
; %bb.43:
	s_or_b32 exec_lo, exec_lo, s0
.LBB80_44:
	s_delay_alu instid0(SALU_CYCLE_1) | instskip(SKIP_4) | instid1(VALU_DEP_1)
	s_or_b32 exec_lo, exec_lo, s6
	v_mov_b32_e32 v39, 0
	ds_load_b64 v[40:41], v39 offset:96
	s_wait_dscnt 0x0
	v_pk_mul_f32 v[46:47], v[36:37], v[40:41] op_sel:[1,1] op_sel_hi:[0,1]
	v_pk_fma_f32 v[50:51], v[36:37], v[40:41], v[46:47] op_sel_hi:[1,0,1]
	v_pk_fma_f32 v[36:37], v[36:37], v[40:41], v[46:47] neg_lo:[0,0,1] neg_hi:[0,0,1]
	s_delay_alu instid0(VALU_DEP_2)
	v_mov_b32_e32 v37, v51
	ds_store_b64 v48, v[36:37] offset:96
.LBB80_45:
	s_or_b32 exec_lo, exec_lo, s4
	ds_load_b64 v[36:37], v48 offset:88
	v_cmp_lt_u32_e64 s0, 11, v42
	s_wait_dscnt 0x0
	ds_store_b64 v35, v[36:37]
	s_wait_dscnt 0x0
	s_barrier_signal -1
	s_barrier_wait -1
	s_and_saveexec_b32 s4, s0
	s_cbranch_execz .LBB80_55
; %bb.46:
	s_and_not1_b32 vcc_lo, exec_lo, s5
	s_cbranch_vccnz .LBB80_48
; %bb.47:
	ds_load_b64 v[36:37], v38
	ds_load_b64 v[40:41], v35
	s_wait_dscnt 0x0
	v_pk_mul_f32 v[46:47], v[40:41], v[36:37] op_sel:[1,1] op_sel_hi:[0,1]
	s_delay_alu instid0(VALU_DEP_1) | instskip(SKIP_1) | instid1(VALU_DEP_2)
	v_pk_fma_f32 v[50:51], v[40:41], v[36:37], v[46:47] op_sel_hi:[1,0,1]
	v_pk_fma_f32 v[36:37], v[40:41], v[36:37], v[46:47] neg_lo:[0,0,1] neg_hi:[0,0,1]
	v_mov_b32_e32 v37, v51
	s_cbranch_execz .LBB80_49
	s_branch .LBB80_50
.LBB80_48:
                                        ; implicit-def: $vgpr36_vgpr37
.LBB80_49:
	ds_load_b64 v[36:37], v35
.LBB80_50:
	s_and_saveexec_b32 s6, s1
	s_cbranch_execz .LBB80_54
; %bb.51:
	s_movk_i32 s1, 0x88
	v_add_nc_u32_e32 v40, -12, v42
	v_mad_u32 v39, v44, s1, 0x180
	s_movk_i32 s7, 0xf0
	s_mov_b32 s1, 0
.LBB80_52:                              ; =>This Inner Loop Header: Depth=1
	s_delay_alu instid0(VALU_DEP_2)
	v_dual_mov_b32 v41, s7 :: v_dual_add_nc_u32 v40, -1, v40
	s_add_co_i32 s7, s7, 8
	ds_load_b64 v[46:47], v39
	ds_load_b64 v[50:51], v41
	v_add_nc_u32_e32 v39, 8, v39
	v_cmp_eq_u32_e32 vcc_lo, 0, v40
	s_or_b32 s1, vcc_lo, s1
	s_wait_dscnt 0x0
	v_pk_mul_f32 v[52:53], v[50:51], v[46:47] op_sel:[1,1] op_sel_hi:[0,1]
	s_delay_alu instid0(VALU_DEP_1) | instskip(SKIP_1) | instid1(VALU_DEP_2)
	v_pk_fma_f32 v[54:55], v[50:51], v[46:47], v[52:53] op_sel_hi:[1,0,1]
	v_pk_fma_f32 v[46:47], v[50:51], v[46:47], v[52:53] neg_lo:[0,0,1] neg_hi:[0,0,1]
	v_mov_b32_e32 v47, v55
	s_delay_alu instid0(VALU_DEP_1)
	v_pk_add_f32 v[36:37], v[36:37], v[46:47]
	s_and_not1_b32 exec_lo, exec_lo, s1
	s_cbranch_execnz .LBB80_52
; %bb.53:
	s_or_b32 exec_lo, exec_lo, s1
.LBB80_54:
	s_delay_alu instid0(SALU_CYCLE_1) | instskip(SKIP_4) | instid1(VALU_DEP_1)
	s_or_b32 exec_lo, exec_lo, s6
	v_mov_b32_e32 v39, 0
	ds_load_b64 v[40:41], v39 offset:88
	s_wait_dscnt 0x0
	v_pk_mul_f32 v[46:47], v[36:37], v[40:41] op_sel:[1,1] op_sel_hi:[0,1]
	v_pk_fma_f32 v[50:51], v[36:37], v[40:41], v[46:47] op_sel_hi:[1,0,1]
	v_pk_fma_f32 v[36:37], v[36:37], v[40:41], v[46:47] neg_lo:[0,0,1] neg_hi:[0,0,1]
	s_delay_alu instid0(VALU_DEP_2)
	v_mov_b32_e32 v37, v51
	ds_store_b64 v48, v[36:37] offset:88
.LBB80_55:
	s_or_b32 exec_lo, exec_lo, s4
	ds_load_b64 v[36:37], v48 offset:80
	v_cmp_lt_u32_e64 s1, 10, v42
	s_wait_dscnt 0x0
	ds_store_b64 v35, v[36:37]
	s_wait_dscnt 0x0
	s_barrier_signal -1
	s_barrier_wait -1
	s_and_saveexec_b32 s4, s1
	s_cbranch_execz .LBB80_65
; %bb.56:
	s_and_not1_b32 vcc_lo, exec_lo, s5
	s_cbranch_vccnz .LBB80_58
; %bb.57:
	ds_load_b64 v[36:37], v38
	ds_load_b64 v[40:41], v35
	s_wait_dscnt 0x0
	v_pk_mul_f32 v[46:47], v[40:41], v[36:37] op_sel:[1,1] op_sel_hi:[0,1]
	s_delay_alu instid0(VALU_DEP_1) | instskip(SKIP_1) | instid1(VALU_DEP_2)
	v_pk_fma_f32 v[50:51], v[40:41], v[36:37], v[46:47] op_sel_hi:[1,0,1]
	v_pk_fma_f32 v[36:37], v[40:41], v[36:37], v[46:47] neg_lo:[0,0,1] neg_hi:[0,0,1]
	v_mov_b32_e32 v37, v51
	s_cbranch_execz .LBB80_59
	s_branch .LBB80_60
.LBB80_58:
                                        ; implicit-def: $vgpr36_vgpr37
.LBB80_59:
	ds_load_b64 v[36:37], v35
.LBB80_60:
	s_and_saveexec_b32 s6, s0
	s_cbranch_execz .LBB80_64
; %bb.61:
	s_movk_i32 s0, 0x88
	v_add_nc_u32_e32 v40, -11, v42
	v_mad_u32 v39, v44, s0, 0x178
	s_movk_i32 s7, 0xe8
	s_mov_b32 s0, 0
.LBB80_62:                              ; =>This Inner Loop Header: Depth=1
	s_delay_alu instid0(VALU_DEP_2)
	v_dual_mov_b32 v41, s7 :: v_dual_add_nc_u32 v40, -1, v40
	s_add_co_i32 s7, s7, 8
	ds_load_b64 v[46:47], v39
	ds_load_b64 v[50:51], v41
	v_add_nc_u32_e32 v39, 8, v39
	v_cmp_eq_u32_e32 vcc_lo, 0, v40
	s_or_b32 s0, vcc_lo, s0
	s_wait_dscnt 0x0
	v_pk_mul_f32 v[52:53], v[50:51], v[46:47] op_sel:[1,1] op_sel_hi:[0,1]
	s_delay_alu instid0(VALU_DEP_1) | instskip(SKIP_1) | instid1(VALU_DEP_2)
	v_pk_fma_f32 v[54:55], v[50:51], v[46:47], v[52:53] op_sel_hi:[1,0,1]
	v_pk_fma_f32 v[46:47], v[50:51], v[46:47], v[52:53] neg_lo:[0,0,1] neg_hi:[0,0,1]
	v_mov_b32_e32 v47, v55
	s_delay_alu instid0(VALU_DEP_1)
	v_pk_add_f32 v[36:37], v[36:37], v[46:47]
	s_and_not1_b32 exec_lo, exec_lo, s0
	s_cbranch_execnz .LBB80_62
; %bb.63:
	s_or_b32 exec_lo, exec_lo, s0
.LBB80_64:
	s_delay_alu instid0(SALU_CYCLE_1) | instskip(SKIP_4) | instid1(VALU_DEP_1)
	s_or_b32 exec_lo, exec_lo, s6
	v_mov_b32_e32 v39, 0
	ds_load_b64 v[40:41], v39 offset:80
	s_wait_dscnt 0x0
	v_pk_mul_f32 v[46:47], v[36:37], v[40:41] op_sel:[1,1] op_sel_hi:[0,1]
	v_pk_fma_f32 v[50:51], v[36:37], v[40:41], v[46:47] op_sel_hi:[1,0,1]
	v_pk_fma_f32 v[36:37], v[36:37], v[40:41], v[46:47] neg_lo:[0,0,1] neg_hi:[0,0,1]
	s_delay_alu instid0(VALU_DEP_2)
	v_mov_b32_e32 v37, v51
	ds_store_b64 v48, v[36:37] offset:80
.LBB80_65:
	s_or_b32 exec_lo, exec_lo, s4
	ds_load_b64 v[36:37], v48 offset:72
	v_cmp_lt_u32_e64 s0, 9, v42
	s_wait_dscnt 0x0
	ds_store_b64 v35, v[36:37]
	s_wait_dscnt 0x0
	s_barrier_signal -1
	s_barrier_wait -1
	s_and_saveexec_b32 s4, s0
	s_cbranch_execz .LBB80_75
; %bb.66:
	s_and_not1_b32 vcc_lo, exec_lo, s5
	s_cbranch_vccnz .LBB80_68
; %bb.67:
	ds_load_b64 v[36:37], v38
	ds_load_b64 v[40:41], v35
	s_wait_dscnt 0x0
	v_pk_mul_f32 v[46:47], v[40:41], v[36:37] op_sel:[1,1] op_sel_hi:[0,1]
	s_delay_alu instid0(VALU_DEP_1) | instskip(SKIP_1) | instid1(VALU_DEP_2)
	v_pk_fma_f32 v[50:51], v[40:41], v[36:37], v[46:47] op_sel_hi:[1,0,1]
	v_pk_fma_f32 v[36:37], v[40:41], v[36:37], v[46:47] neg_lo:[0,0,1] neg_hi:[0,0,1]
	v_mov_b32_e32 v37, v51
	s_cbranch_execz .LBB80_69
	s_branch .LBB80_70
.LBB80_68:
                                        ; implicit-def: $vgpr36_vgpr37
.LBB80_69:
	ds_load_b64 v[36:37], v35
.LBB80_70:
	s_and_saveexec_b32 s6, s1
	s_cbranch_execz .LBB80_74
; %bb.71:
	s_movk_i32 s1, 0x88
	v_add_nc_u32_e32 v40, -10, v42
	v_mad_u32 v39, v44, s1, 0x170
	s_movk_i32 s7, 0xe0
	s_mov_b32 s1, 0
.LBB80_72:                              ; =>This Inner Loop Header: Depth=1
	s_delay_alu instid0(VALU_DEP_2)
	v_dual_mov_b32 v41, s7 :: v_dual_add_nc_u32 v40, -1, v40
	s_add_co_i32 s7, s7, 8
	ds_load_b64 v[46:47], v39
	ds_load_b64 v[50:51], v41
	v_add_nc_u32_e32 v39, 8, v39
	v_cmp_eq_u32_e32 vcc_lo, 0, v40
	s_or_b32 s1, vcc_lo, s1
	s_wait_dscnt 0x0
	v_pk_mul_f32 v[52:53], v[50:51], v[46:47] op_sel:[1,1] op_sel_hi:[0,1]
	s_delay_alu instid0(VALU_DEP_1) | instskip(SKIP_1) | instid1(VALU_DEP_2)
	v_pk_fma_f32 v[54:55], v[50:51], v[46:47], v[52:53] op_sel_hi:[1,0,1]
	v_pk_fma_f32 v[46:47], v[50:51], v[46:47], v[52:53] neg_lo:[0,0,1] neg_hi:[0,0,1]
	v_mov_b32_e32 v47, v55
	s_delay_alu instid0(VALU_DEP_1)
	v_pk_add_f32 v[36:37], v[36:37], v[46:47]
	s_and_not1_b32 exec_lo, exec_lo, s1
	s_cbranch_execnz .LBB80_72
; %bb.73:
	s_or_b32 exec_lo, exec_lo, s1
.LBB80_74:
	s_delay_alu instid0(SALU_CYCLE_1) | instskip(SKIP_4) | instid1(VALU_DEP_1)
	s_or_b32 exec_lo, exec_lo, s6
	v_mov_b32_e32 v39, 0
	ds_load_b64 v[40:41], v39 offset:72
	s_wait_dscnt 0x0
	v_pk_mul_f32 v[46:47], v[36:37], v[40:41] op_sel:[1,1] op_sel_hi:[0,1]
	v_pk_fma_f32 v[50:51], v[36:37], v[40:41], v[46:47] op_sel_hi:[1,0,1]
	v_pk_fma_f32 v[36:37], v[36:37], v[40:41], v[46:47] neg_lo:[0,0,1] neg_hi:[0,0,1]
	s_delay_alu instid0(VALU_DEP_2)
	v_mov_b32_e32 v37, v51
	ds_store_b64 v48, v[36:37] offset:72
.LBB80_75:
	s_or_b32 exec_lo, exec_lo, s4
	ds_load_b64 v[36:37], v48 offset:64
	v_cmp_lt_u32_e64 s1, 8, v42
	s_wait_dscnt 0x0
	ds_store_b64 v35, v[36:37]
	s_wait_dscnt 0x0
	s_barrier_signal -1
	s_barrier_wait -1
	s_and_saveexec_b32 s4, s1
	s_cbranch_execz .LBB80_85
; %bb.76:
	s_and_not1_b32 vcc_lo, exec_lo, s5
	s_cbranch_vccnz .LBB80_78
; %bb.77:
	ds_load_b64 v[36:37], v38
	ds_load_b64 v[40:41], v35
	s_wait_dscnt 0x0
	v_pk_mul_f32 v[46:47], v[40:41], v[36:37] op_sel:[1,1] op_sel_hi:[0,1]
	s_delay_alu instid0(VALU_DEP_1) | instskip(SKIP_1) | instid1(VALU_DEP_2)
	v_pk_fma_f32 v[50:51], v[40:41], v[36:37], v[46:47] op_sel_hi:[1,0,1]
	v_pk_fma_f32 v[36:37], v[40:41], v[36:37], v[46:47] neg_lo:[0,0,1] neg_hi:[0,0,1]
	v_mov_b32_e32 v37, v51
	s_cbranch_execz .LBB80_79
	s_branch .LBB80_80
.LBB80_78:
                                        ; implicit-def: $vgpr36_vgpr37
.LBB80_79:
	ds_load_b64 v[36:37], v35
.LBB80_80:
	s_and_saveexec_b32 s6, s0
	s_cbranch_execz .LBB80_84
; %bb.81:
	s_movk_i32 s0, 0x88
	v_add_nc_u32_e32 v40, -9, v42
	v_mad_u32 v39, v44, s0, 0x168
	s_movk_i32 s7, 0xd8
	s_mov_b32 s0, 0
.LBB80_82:                              ; =>This Inner Loop Header: Depth=1
	s_delay_alu instid0(VALU_DEP_2)
	v_dual_mov_b32 v41, s7 :: v_dual_add_nc_u32 v40, -1, v40
	s_add_co_i32 s7, s7, 8
	ds_load_b64 v[46:47], v39
	ds_load_b64 v[50:51], v41
	v_add_nc_u32_e32 v39, 8, v39
	v_cmp_eq_u32_e32 vcc_lo, 0, v40
	s_or_b32 s0, vcc_lo, s0
	s_wait_dscnt 0x0
	v_pk_mul_f32 v[52:53], v[50:51], v[46:47] op_sel:[1,1] op_sel_hi:[0,1]
	s_delay_alu instid0(VALU_DEP_1) | instskip(SKIP_1) | instid1(VALU_DEP_2)
	v_pk_fma_f32 v[54:55], v[50:51], v[46:47], v[52:53] op_sel_hi:[1,0,1]
	v_pk_fma_f32 v[46:47], v[50:51], v[46:47], v[52:53] neg_lo:[0,0,1] neg_hi:[0,0,1]
	v_mov_b32_e32 v47, v55
	s_delay_alu instid0(VALU_DEP_1)
	v_pk_add_f32 v[36:37], v[36:37], v[46:47]
	s_and_not1_b32 exec_lo, exec_lo, s0
	s_cbranch_execnz .LBB80_82
; %bb.83:
	s_or_b32 exec_lo, exec_lo, s0
.LBB80_84:
	s_delay_alu instid0(SALU_CYCLE_1) | instskip(SKIP_4) | instid1(VALU_DEP_1)
	s_or_b32 exec_lo, exec_lo, s6
	v_mov_b32_e32 v39, 0
	ds_load_b64 v[40:41], v39 offset:64
	s_wait_dscnt 0x0
	v_pk_mul_f32 v[46:47], v[36:37], v[40:41] op_sel:[1,1] op_sel_hi:[0,1]
	v_pk_fma_f32 v[50:51], v[36:37], v[40:41], v[46:47] op_sel_hi:[1,0,1]
	v_pk_fma_f32 v[36:37], v[36:37], v[40:41], v[46:47] neg_lo:[0,0,1] neg_hi:[0,0,1]
	s_delay_alu instid0(VALU_DEP_2)
	v_mov_b32_e32 v37, v51
	ds_store_b64 v48, v[36:37] offset:64
.LBB80_85:
	s_or_b32 exec_lo, exec_lo, s4
	ds_load_b64 v[36:37], v48 offset:56
	v_cmp_lt_u32_e64 s0, 7, v42
	s_wait_dscnt 0x0
	ds_store_b64 v35, v[36:37]
	s_wait_dscnt 0x0
	s_barrier_signal -1
	s_barrier_wait -1
	s_and_saveexec_b32 s4, s0
	s_cbranch_execz .LBB80_95
; %bb.86:
	s_and_not1_b32 vcc_lo, exec_lo, s5
	s_cbranch_vccnz .LBB80_88
; %bb.87:
	ds_load_b64 v[36:37], v38
	ds_load_b64 v[40:41], v35
	s_wait_dscnt 0x0
	v_pk_mul_f32 v[46:47], v[40:41], v[36:37] op_sel:[1,1] op_sel_hi:[0,1]
	s_delay_alu instid0(VALU_DEP_1) | instskip(SKIP_1) | instid1(VALU_DEP_2)
	v_pk_fma_f32 v[50:51], v[40:41], v[36:37], v[46:47] op_sel_hi:[1,0,1]
	v_pk_fma_f32 v[36:37], v[40:41], v[36:37], v[46:47] neg_lo:[0,0,1] neg_hi:[0,0,1]
	v_mov_b32_e32 v37, v51
	s_cbranch_execz .LBB80_89
	s_branch .LBB80_90
.LBB80_88:
                                        ; implicit-def: $vgpr36_vgpr37
.LBB80_89:
	ds_load_b64 v[36:37], v35
.LBB80_90:
	s_and_saveexec_b32 s6, s1
	s_cbranch_execz .LBB80_94
; %bb.91:
	s_movk_i32 s1, 0x88
	v_add_nc_u32_e32 v40, -8, v42
	v_mad_u32 v39, v44, s1, 0x160
	s_movk_i32 s7, 0xd0
	s_mov_b32 s1, 0
.LBB80_92:                              ; =>This Inner Loop Header: Depth=1
	s_delay_alu instid0(VALU_DEP_2)
	v_dual_mov_b32 v41, s7 :: v_dual_add_nc_u32 v40, -1, v40
	s_add_co_i32 s7, s7, 8
	ds_load_b64 v[46:47], v39
	ds_load_b64 v[50:51], v41
	v_add_nc_u32_e32 v39, 8, v39
	v_cmp_eq_u32_e32 vcc_lo, 0, v40
	s_or_b32 s1, vcc_lo, s1
	s_wait_dscnt 0x0
	v_pk_mul_f32 v[52:53], v[50:51], v[46:47] op_sel:[1,1] op_sel_hi:[0,1]
	s_delay_alu instid0(VALU_DEP_1) | instskip(SKIP_1) | instid1(VALU_DEP_2)
	v_pk_fma_f32 v[54:55], v[50:51], v[46:47], v[52:53] op_sel_hi:[1,0,1]
	v_pk_fma_f32 v[46:47], v[50:51], v[46:47], v[52:53] neg_lo:[0,0,1] neg_hi:[0,0,1]
	v_mov_b32_e32 v47, v55
	s_delay_alu instid0(VALU_DEP_1)
	v_pk_add_f32 v[36:37], v[36:37], v[46:47]
	s_and_not1_b32 exec_lo, exec_lo, s1
	s_cbranch_execnz .LBB80_92
; %bb.93:
	s_or_b32 exec_lo, exec_lo, s1
.LBB80_94:
	s_delay_alu instid0(SALU_CYCLE_1) | instskip(SKIP_4) | instid1(VALU_DEP_1)
	s_or_b32 exec_lo, exec_lo, s6
	v_mov_b32_e32 v39, 0
	ds_load_b64 v[40:41], v39 offset:56
	s_wait_dscnt 0x0
	v_pk_mul_f32 v[46:47], v[36:37], v[40:41] op_sel:[1,1] op_sel_hi:[0,1]
	v_pk_fma_f32 v[50:51], v[36:37], v[40:41], v[46:47] op_sel_hi:[1,0,1]
	v_pk_fma_f32 v[36:37], v[36:37], v[40:41], v[46:47] neg_lo:[0,0,1] neg_hi:[0,0,1]
	s_delay_alu instid0(VALU_DEP_2)
	v_mov_b32_e32 v37, v51
	ds_store_b64 v48, v[36:37] offset:56
.LBB80_95:
	s_or_b32 exec_lo, exec_lo, s4
	ds_load_b64 v[36:37], v48 offset:48
	v_cmp_lt_u32_e64 s1, 6, v42
	s_wait_dscnt 0x0
	ds_store_b64 v35, v[36:37]
	s_wait_dscnt 0x0
	s_barrier_signal -1
	s_barrier_wait -1
	s_and_saveexec_b32 s4, s1
	s_cbranch_execz .LBB80_105
; %bb.96:
	s_and_not1_b32 vcc_lo, exec_lo, s5
	s_cbranch_vccnz .LBB80_98
; %bb.97:
	ds_load_b64 v[36:37], v38
	ds_load_b64 v[40:41], v35
	s_wait_dscnt 0x0
	v_pk_mul_f32 v[46:47], v[40:41], v[36:37] op_sel:[1,1] op_sel_hi:[0,1]
	s_delay_alu instid0(VALU_DEP_1) | instskip(SKIP_1) | instid1(VALU_DEP_2)
	v_pk_fma_f32 v[50:51], v[40:41], v[36:37], v[46:47] op_sel_hi:[1,0,1]
	v_pk_fma_f32 v[36:37], v[40:41], v[36:37], v[46:47] neg_lo:[0,0,1] neg_hi:[0,0,1]
	v_mov_b32_e32 v37, v51
	s_cbranch_execz .LBB80_99
	s_branch .LBB80_100
.LBB80_98:
                                        ; implicit-def: $vgpr36_vgpr37
.LBB80_99:
	ds_load_b64 v[36:37], v35
.LBB80_100:
	s_and_saveexec_b32 s6, s0
	s_cbranch_execz .LBB80_104
; %bb.101:
	s_movk_i32 s0, 0x88
	v_add_nc_u32_e32 v40, -7, v42
	v_mad_u32 v39, v44, s0, 0x158
	s_movk_i32 s7, 0xc8
	s_mov_b32 s0, 0
.LBB80_102:                             ; =>This Inner Loop Header: Depth=1
	s_delay_alu instid0(VALU_DEP_2)
	v_dual_mov_b32 v41, s7 :: v_dual_add_nc_u32 v40, -1, v40
	s_add_co_i32 s7, s7, 8
	ds_load_b64 v[46:47], v39
	ds_load_b64 v[50:51], v41
	v_add_nc_u32_e32 v39, 8, v39
	v_cmp_eq_u32_e32 vcc_lo, 0, v40
	s_or_b32 s0, vcc_lo, s0
	s_wait_dscnt 0x0
	v_pk_mul_f32 v[52:53], v[50:51], v[46:47] op_sel:[1,1] op_sel_hi:[0,1]
	s_delay_alu instid0(VALU_DEP_1) | instskip(SKIP_1) | instid1(VALU_DEP_2)
	v_pk_fma_f32 v[54:55], v[50:51], v[46:47], v[52:53] op_sel_hi:[1,0,1]
	v_pk_fma_f32 v[46:47], v[50:51], v[46:47], v[52:53] neg_lo:[0,0,1] neg_hi:[0,0,1]
	v_mov_b32_e32 v47, v55
	s_delay_alu instid0(VALU_DEP_1)
	v_pk_add_f32 v[36:37], v[36:37], v[46:47]
	s_and_not1_b32 exec_lo, exec_lo, s0
	s_cbranch_execnz .LBB80_102
; %bb.103:
	s_or_b32 exec_lo, exec_lo, s0
.LBB80_104:
	s_delay_alu instid0(SALU_CYCLE_1) | instskip(SKIP_4) | instid1(VALU_DEP_1)
	s_or_b32 exec_lo, exec_lo, s6
	v_mov_b32_e32 v39, 0
	ds_load_b64 v[40:41], v39 offset:48
	s_wait_dscnt 0x0
	v_pk_mul_f32 v[46:47], v[36:37], v[40:41] op_sel:[1,1] op_sel_hi:[0,1]
	v_pk_fma_f32 v[50:51], v[36:37], v[40:41], v[46:47] op_sel_hi:[1,0,1]
	v_pk_fma_f32 v[36:37], v[36:37], v[40:41], v[46:47] neg_lo:[0,0,1] neg_hi:[0,0,1]
	s_delay_alu instid0(VALU_DEP_2)
	v_mov_b32_e32 v37, v51
	ds_store_b64 v48, v[36:37] offset:48
.LBB80_105:
	s_or_b32 exec_lo, exec_lo, s4
	ds_load_b64 v[36:37], v48 offset:40
	v_cmp_lt_u32_e64 s0, 5, v42
	s_wait_dscnt 0x0
	ds_store_b64 v35, v[36:37]
	s_wait_dscnt 0x0
	s_barrier_signal -1
	s_barrier_wait -1
	s_and_saveexec_b32 s4, s0
	s_cbranch_execz .LBB80_115
; %bb.106:
	s_and_not1_b32 vcc_lo, exec_lo, s5
	s_cbranch_vccnz .LBB80_108
; %bb.107:
	ds_load_b64 v[36:37], v38
	ds_load_b64 v[40:41], v35
	s_wait_dscnt 0x0
	v_pk_mul_f32 v[46:47], v[40:41], v[36:37] op_sel:[1,1] op_sel_hi:[0,1]
	s_delay_alu instid0(VALU_DEP_1) | instskip(SKIP_1) | instid1(VALU_DEP_2)
	v_pk_fma_f32 v[50:51], v[40:41], v[36:37], v[46:47] op_sel_hi:[1,0,1]
	v_pk_fma_f32 v[36:37], v[40:41], v[36:37], v[46:47] neg_lo:[0,0,1] neg_hi:[0,0,1]
	v_mov_b32_e32 v37, v51
	s_cbranch_execz .LBB80_109
	s_branch .LBB80_110
.LBB80_108:
                                        ; implicit-def: $vgpr36_vgpr37
.LBB80_109:
	ds_load_b64 v[36:37], v35
.LBB80_110:
	s_and_saveexec_b32 s6, s1
	s_cbranch_execz .LBB80_114
; %bb.111:
	s_movk_i32 s1, 0x88
	v_add_nc_u32_e32 v40, -6, v42
	v_mad_u32 v39, v44, s1, 0x150
	s_movk_i32 s7, 0xc0
	s_mov_b32 s1, 0
.LBB80_112:                             ; =>This Inner Loop Header: Depth=1
	s_delay_alu instid0(VALU_DEP_2)
	v_dual_mov_b32 v41, s7 :: v_dual_add_nc_u32 v40, -1, v40
	s_add_co_i32 s7, s7, 8
	ds_load_b64 v[46:47], v39
	ds_load_b64 v[50:51], v41
	v_add_nc_u32_e32 v39, 8, v39
	v_cmp_eq_u32_e32 vcc_lo, 0, v40
	s_or_b32 s1, vcc_lo, s1
	s_wait_dscnt 0x0
	v_pk_mul_f32 v[52:53], v[50:51], v[46:47] op_sel:[1,1] op_sel_hi:[0,1]
	s_delay_alu instid0(VALU_DEP_1) | instskip(SKIP_1) | instid1(VALU_DEP_2)
	v_pk_fma_f32 v[54:55], v[50:51], v[46:47], v[52:53] op_sel_hi:[1,0,1]
	v_pk_fma_f32 v[46:47], v[50:51], v[46:47], v[52:53] neg_lo:[0,0,1] neg_hi:[0,0,1]
	v_mov_b32_e32 v47, v55
	s_delay_alu instid0(VALU_DEP_1)
	v_pk_add_f32 v[36:37], v[36:37], v[46:47]
	s_and_not1_b32 exec_lo, exec_lo, s1
	s_cbranch_execnz .LBB80_112
; %bb.113:
	s_or_b32 exec_lo, exec_lo, s1
.LBB80_114:
	s_delay_alu instid0(SALU_CYCLE_1) | instskip(SKIP_4) | instid1(VALU_DEP_1)
	s_or_b32 exec_lo, exec_lo, s6
	v_mov_b32_e32 v39, 0
	ds_load_b64 v[40:41], v39 offset:40
	s_wait_dscnt 0x0
	v_pk_mul_f32 v[46:47], v[36:37], v[40:41] op_sel:[1,1] op_sel_hi:[0,1]
	v_pk_fma_f32 v[50:51], v[36:37], v[40:41], v[46:47] op_sel_hi:[1,0,1]
	v_pk_fma_f32 v[36:37], v[36:37], v[40:41], v[46:47] neg_lo:[0,0,1] neg_hi:[0,0,1]
	s_delay_alu instid0(VALU_DEP_2)
	v_mov_b32_e32 v37, v51
	ds_store_b64 v48, v[36:37] offset:40
.LBB80_115:
	s_or_b32 exec_lo, exec_lo, s4
	ds_load_b64 v[36:37], v48 offset:32
	v_cmp_lt_u32_e64 s1, 4, v42
	s_wait_dscnt 0x0
	ds_store_b64 v35, v[36:37]
	s_wait_dscnt 0x0
	s_barrier_signal -1
	s_barrier_wait -1
	s_and_saveexec_b32 s4, s1
	s_cbranch_execz .LBB80_125
; %bb.116:
	s_and_not1_b32 vcc_lo, exec_lo, s5
	s_cbranch_vccnz .LBB80_118
; %bb.117:
	ds_load_b64 v[36:37], v38
	ds_load_b64 v[40:41], v35
	s_wait_dscnt 0x0
	v_pk_mul_f32 v[46:47], v[40:41], v[36:37] op_sel:[1,1] op_sel_hi:[0,1]
	s_delay_alu instid0(VALU_DEP_1) | instskip(SKIP_1) | instid1(VALU_DEP_2)
	v_pk_fma_f32 v[50:51], v[40:41], v[36:37], v[46:47] op_sel_hi:[1,0,1]
	v_pk_fma_f32 v[36:37], v[40:41], v[36:37], v[46:47] neg_lo:[0,0,1] neg_hi:[0,0,1]
	v_mov_b32_e32 v37, v51
	s_cbranch_execz .LBB80_119
	s_branch .LBB80_120
.LBB80_118:
                                        ; implicit-def: $vgpr36_vgpr37
.LBB80_119:
	ds_load_b64 v[36:37], v35
.LBB80_120:
	s_and_saveexec_b32 s6, s0
	s_cbranch_execz .LBB80_124
; %bb.121:
	s_movk_i32 s0, 0x88
	v_add_nc_u32_e32 v40, -5, v42
	v_mad_u32 v39, v44, s0, 0x148
	s_movk_i32 s7, 0xb8
	s_mov_b32 s0, 0
.LBB80_122:                             ; =>This Inner Loop Header: Depth=1
	s_delay_alu instid0(VALU_DEP_2)
	v_dual_mov_b32 v41, s7 :: v_dual_add_nc_u32 v40, -1, v40
	s_add_co_i32 s7, s7, 8
	ds_load_b64 v[46:47], v39
	ds_load_b64 v[50:51], v41
	v_add_nc_u32_e32 v39, 8, v39
	v_cmp_eq_u32_e32 vcc_lo, 0, v40
	s_or_b32 s0, vcc_lo, s0
	s_wait_dscnt 0x0
	v_pk_mul_f32 v[52:53], v[50:51], v[46:47] op_sel:[1,1] op_sel_hi:[0,1]
	s_delay_alu instid0(VALU_DEP_1) | instskip(SKIP_1) | instid1(VALU_DEP_2)
	v_pk_fma_f32 v[54:55], v[50:51], v[46:47], v[52:53] op_sel_hi:[1,0,1]
	v_pk_fma_f32 v[46:47], v[50:51], v[46:47], v[52:53] neg_lo:[0,0,1] neg_hi:[0,0,1]
	v_mov_b32_e32 v47, v55
	s_delay_alu instid0(VALU_DEP_1)
	v_pk_add_f32 v[36:37], v[36:37], v[46:47]
	s_and_not1_b32 exec_lo, exec_lo, s0
	s_cbranch_execnz .LBB80_122
; %bb.123:
	s_or_b32 exec_lo, exec_lo, s0
.LBB80_124:
	s_delay_alu instid0(SALU_CYCLE_1) | instskip(SKIP_4) | instid1(VALU_DEP_1)
	s_or_b32 exec_lo, exec_lo, s6
	v_mov_b32_e32 v39, 0
	ds_load_b64 v[40:41], v39 offset:32
	s_wait_dscnt 0x0
	v_pk_mul_f32 v[46:47], v[36:37], v[40:41] op_sel:[1,1] op_sel_hi:[0,1]
	v_pk_fma_f32 v[50:51], v[36:37], v[40:41], v[46:47] op_sel_hi:[1,0,1]
	v_pk_fma_f32 v[36:37], v[36:37], v[40:41], v[46:47] neg_lo:[0,0,1] neg_hi:[0,0,1]
	s_delay_alu instid0(VALU_DEP_2)
	v_mov_b32_e32 v37, v51
	ds_store_b64 v48, v[36:37] offset:32
.LBB80_125:
	s_or_b32 exec_lo, exec_lo, s4
	ds_load_b64 v[36:37], v48 offset:24
	v_cmp_lt_u32_e64 s0, 3, v42
	s_wait_dscnt 0x0
	ds_store_b64 v35, v[36:37]
	s_wait_dscnt 0x0
	s_barrier_signal -1
	s_barrier_wait -1
	s_and_saveexec_b32 s4, s0
	s_cbranch_execz .LBB80_135
; %bb.126:
	s_and_not1_b32 vcc_lo, exec_lo, s5
	s_cbranch_vccnz .LBB80_128
; %bb.127:
	ds_load_b64 v[36:37], v38
	ds_load_b64 v[40:41], v35
	s_wait_dscnt 0x0
	v_pk_mul_f32 v[46:47], v[40:41], v[36:37] op_sel:[1,1] op_sel_hi:[0,1]
	s_delay_alu instid0(VALU_DEP_1) | instskip(SKIP_1) | instid1(VALU_DEP_2)
	v_pk_fma_f32 v[50:51], v[40:41], v[36:37], v[46:47] op_sel_hi:[1,0,1]
	v_pk_fma_f32 v[36:37], v[40:41], v[36:37], v[46:47] neg_lo:[0,0,1] neg_hi:[0,0,1]
	v_mov_b32_e32 v37, v51
	s_cbranch_execz .LBB80_129
	s_branch .LBB80_130
.LBB80_128:
                                        ; implicit-def: $vgpr36_vgpr37
.LBB80_129:
	ds_load_b64 v[36:37], v35
.LBB80_130:
	s_and_saveexec_b32 s6, s1
	s_cbranch_execz .LBB80_134
; %bb.131:
	s_movk_i32 s1, 0x88
	v_add_nc_u32_e32 v40, -4, v42
	v_mad_u32 v39, v44, s1, 0x140
	s_movk_i32 s7, 0xb0
	s_mov_b32 s1, 0
.LBB80_132:                             ; =>This Inner Loop Header: Depth=1
	s_delay_alu instid0(VALU_DEP_2)
	v_dual_mov_b32 v41, s7 :: v_dual_add_nc_u32 v40, -1, v40
	s_add_co_i32 s7, s7, 8
	ds_load_b64 v[46:47], v39
	ds_load_b64 v[50:51], v41
	v_add_nc_u32_e32 v39, 8, v39
	v_cmp_eq_u32_e32 vcc_lo, 0, v40
	s_or_b32 s1, vcc_lo, s1
	s_wait_dscnt 0x0
	v_pk_mul_f32 v[52:53], v[50:51], v[46:47] op_sel:[1,1] op_sel_hi:[0,1]
	s_delay_alu instid0(VALU_DEP_1) | instskip(SKIP_1) | instid1(VALU_DEP_2)
	v_pk_fma_f32 v[54:55], v[50:51], v[46:47], v[52:53] op_sel_hi:[1,0,1]
	v_pk_fma_f32 v[46:47], v[50:51], v[46:47], v[52:53] neg_lo:[0,0,1] neg_hi:[0,0,1]
	v_mov_b32_e32 v47, v55
	s_delay_alu instid0(VALU_DEP_1)
	v_pk_add_f32 v[36:37], v[36:37], v[46:47]
	s_and_not1_b32 exec_lo, exec_lo, s1
	s_cbranch_execnz .LBB80_132
; %bb.133:
	s_or_b32 exec_lo, exec_lo, s1
.LBB80_134:
	s_delay_alu instid0(SALU_CYCLE_1) | instskip(SKIP_4) | instid1(VALU_DEP_1)
	s_or_b32 exec_lo, exec_lo, s6
	v_mov_b32_e32 v39, 0
	ds_load_b64 v[40:41], v39 offset:24
	s_wait_dscnt 0x0
	v_pk_mul_f32 v[46:47], v[36:37], v[40:41] op_sel:[1,1] op_sel_hi:[0,1]
	v_pk_fma_f32 v[50:51], v[36:37], v[40:41], v[46:47] op_sel_hi:[1,0,1]
	v_pk_fma_f32 v[36:37], v[36:37], v[40:41], v[46:47] neg_lo:[0,0,1] neg_hi:[0,0,1]
	s_delay_alu instid0(VALU_DEP_2)
	v_mov_b32_e32 v37, v51
	ds_store_b64 v48, v[36:37] offset:24
.LBB80_135:
	s_or_b32 exec_lo, exec_lo, s4
	ds_load_b64 v[36:37], v48 offset:16
	v_cmp_lt_u32_e64 s1, 2, v42
	s_wait_dscnt 0x0
	ds_store_b64 v35, v[36:37]
	s_wait_dscnt 0x0
	s_barrier_signal -1
	s_barrier_wait -1
	s_and_saveexec_b32 s4, s1
	s_cbranch_execz .LBB80_145
; %bb.136:
	s_and_not1_b32 vcc_lo, exec_lo, s5
	s_cbranch_vccnz .LBB80_138
; %bb.137:
	ds_load_b64 v[36:37], v38
	ds_load_b64 v[40:41], v35
	s_wait_dscnt 0x0
	v_pk_mul_f32 v[46:47], v[40:41], v[36:37] op_sel:[1,1] op_sel_hi:[0,1]
	s_delay_alu instid0(VALU_DEP_1) | instskip(SKIP_1) | instid1(VALU_DEP_2)
	v_pk_fma_f32 v[50:51], v[40:41], v[36:37], v[46:47] op_sel_hi:[1,0,1]
	v_pk_fma_f32 v[36:37], v[40:41], v[36:37], v[46:47] neg_lo:[0,0,1] neg_hi:[0,0,1]
	v_mov_b32_e32 v37, v51
	s_cbranch_execz .LBB80_139
	s_branch .LBB80_140
.LBB80_138:
                                        ; implicit-def: $vgpr36_vgpr37
.LBB80_139:
	ds_load_b64 v[36:37], v35
.LBB80_140:
	s_and_saveexec_b32 s6, s0
	s_cbranch_execz .LBB80_144
; %bb.141:
	s_movk_i32 s0, 0x88
	v_add_nc_u32_e32 v40, -3, v42
	v_mad_u32 v39, v44, s0, 0x138
	s_movk_i32 s7, 0xa8
	s_mov_b32 s0, 0
.LBB80_142:                             ; =>This Inner Loop Header: Depth=1
	s_delay_alu instid0(VALU_DEP_2)
	v_dual_mov_b32 v41, s7 :: v_dual_add_nc_u32 v40, -1, v40
	s_add_co_i32 s7, s7, 8
	ds_load_b64 v[46:47], v39
	ds_load_b64 v[50:51], v41
	v_add_nc_u32_e32 v39, 8, v39
	v_cmp_eq_u32_e32 vcc_lo, 0, v40
	s_or_b32 s0, vcc_lo, s0
	s_wait_dscnt 0x0
	v_pk_mul_f32 v[52:53], v[50:51], v[46:47] op_sel:[1,1] op_sel_hi:[0,1]
	s_delay_alu instid0(VALU_DEP_1) | instskip(SKIP_1) | instid1(VALU_DEP_2)
	v_pk_fma_f32 v[54:55], v[50:51], v[46:47], v[52:53] op_sel_hi:[1,0,1]
	v_pk_fma_f32 v[46:47], v[50:51], v[46:47], v[52:53] neg_lo:[0,0,1] neg_hi:[0,0,1]
	v_mov_b32_e32 v47, v55
	s_delay_alu instid0(VALU_DEP_1)
	v_pk_add_f32 v[36:37], v[36:37], v[46:47]
	s_and_not1_b32 exec_lo, exec_lo, s0
	s_cbranch_execnz .LBB80_142
; %bb.143:
	s_or_b32 exec_lo, exec_lo, s0
.LBB80_144:
	s_delay_alu instid0(SALU_CYCLE_1) | instskip(SKIP_4) | instid1(VALU_DEP_1)
	s_or_b32 exec_lo, exec_lo, s6
	v_mov_b32_e32 v39, 0
	ds_load_b64 v[40:41], v39 offset:16
	s_wait_dscnt 0x0
	v_pk_mul_f32 v[46:47], v[36:37], v[40:41] op_sel:[1,1] op_sel_hi:[0,1]
	v_pk_fma_f32 v[50:51], v[36:37], v[40:41], v[46:47] op_sel_hi:[1,0,1]
	v_pk_fma_f32 v[36:37], v[36:37], v[40:41], v[46:47] neg_lo:[0,0,1] neg_hi:[0,0,1]
	s_delay_alu instid0(VALU_DEP_2)
	v_mov_b32_e32 v37, v51
	ds_store_b64 v48, v[36:37] offset:16
.LBB80_145:
	s_or_b32 exec_lo, exec_lo, s4
	ds_load_b64 v[36:37], v48 offset:8
	v_cmp_lt_u32_e64 s0, 1, v42
	s_wait_dscnt 0x0
	ds_store_b64 v35, v[36:37]
	s_wait_dscnt 0x0
	s_barrier_signal -1
	s_barrier_wait -1
	s_and_saveexec_b32 s4, s0
	s_cbranch_execz .LBB80_155
; %bb.146:
	s_and_not1_b32 vcc_lo, exec_lo, s5
	s_cbranch_vccnz .LBB80_148
; %bb.147:
	ds_load_b64 v[36:37], v38
	ds_load_b64 v[40:41], v35
	s_wait_dscnt 0x0
	v_pk_mul_f32 v[46:47], v[40:41], v[36:37] op_sel:[1,1] op_sel_hi:[0,1]
	s_delay_alu instid0(VALU_DEP_1) | instskip(SKIP_1) | instid1(VALU_DEP_2)
	v_pk_fma_f32 v[50:51], v[40:41], v[36:37], v[46:47] op_sel_hi:[1,0,1]
	v_pk_fma_f32 v[36:37], v[40:41], v[36:37], v[46:47] neg_lo:[0,0,1] neg_hi:[0,0,1]
	v_mov_b32_e32 v37, v51
	s_cbranch_execz .LBB80_149
	s_branch .LBB80_150
.LBB80_148:
                                        ; implicit-def: $vgpr36_vgpr37
.LBB80_149:
	ds_load_b64 v[36:37], v35
.LBB80_150:
	s_and_saveexec_b32 s6, s1
	s_cbranch_execz .LBB80_154
; %bb.151:
	s_movk_i32 s1, 0x88
	v_add_nc_u32_e32 v40, -2, v42
	v_mad_u32 v39, v44, s1, 0x130
	s_movk_i32 s7, 0xa0
	s_mov_b32 s1, 0
.LBB80_152:                             ; =>This Inner Loop Header: Depth=1
	s_delay_alu instid0(VALU_DEP_2)
	v_dual_mov_b32 v41, s7 :: v_dual_add_nc_u32 v40, -1, v40
	s_add_co_i32 s7, s7, 8
	ds_load_b64 v[46:47], v39
	ds_load_b64 v[50:51], v41
	v_add_nc_u32_e32 v39, 8, v39
	v_cmp_eq_u32_e32 vcc_lo, 0, v40
	s_or_b32 s1, vcc_lo, s1
	s_wait_dscnt 0x0
	v_pk_mul_f32 v[52:53], v[50:51], v[46:47] op_sel:[1,1] op_sel_hi:[0,1]
	s_delay_alu instid0(VALU_DEP_1) | instskip(SKIP_1) | instid1(VALU_DEP_2)
	v_pk_fma_f32 v[54:55], v[50:51], v[46:47], v[52:53] op_sel_hi:[1,0,1]
	v_pk_fma_f32 v[46:47], v[50:51], v[46:47], v[52:53] neg_lo:[0,0,1] neg_hi:[0,0,1]
	v_mov_b32_e32 v47, v55
	s_delay_alu instid0(VALU_DEP_1)
	v_pk_add_f32 v[36:37], v[36:37], v[46:47]
	s_and_not1_b32 exec_lo, exec_lo, s1
	s_cbranch_execnz .LBB80_152
; %bb.153:
	s_or_b32 exec_lo, exec_lo, s1
.LBB80_154:
	s_delay_alu instid0(SALU_CYCLE_1) | instskip(SKIP_4) | instid1(VALU_DEP_1)
	s_or_b32 exec_lo, exec_lo, s6
	v_mov_b32_e32 v39, 0
	ds_load_b64 v[40:41], v39 offset:8
	s_wait_dscnt 0x0
	v_pk_mul_f32 v[46:47], v[36:37], v[40:41] op_sel:[1,1] op_sel_hi:[0,1]
	v_pk_fma_f32 v[50:51], v[36:37], v[40:41], v[46:47] op_sel_hi:[1,0,1]
	v_pk_fma_f32 v[36:37], v[36:37], v[40:41], v[46:47] neg_lo:[0,0,1] neg_hi:[0,0,1]
	s_delay_alu instid0(VALU_DEP_2)
	v_mov_b32_e32 v37, v51
	ds_store_b64 v48, v[36:37] offset:8
.LBB80_155:
	s_or_b32 exec_lo, exec_lo, s4
	ds_load_b64 v[36:37], v48
	s_mov_b32 s4, 0
	s_mov_b32 s1, 0
	s_mov_b32 s6, exec_lo
                                        ; implicit-def: $vgpr49
                                        ; implicit-def: $vgpr50
	s_wait_dscnt 0x0
	ds_store_b64 v35, v[36:37]
	s_wait_dscnt 0x0
	s_barrier_signal -1
	s_barrier_wait -1
	v_cmpx_ne_u32_e32 0, v42
	s_cbranch_execz .LBB80_165
; %bb.156:
	s_and_not1_b32 vcc_lo, exec_lo, s5
	s_cbranch_vccnz .LBB80_158
; %bb.157:
	ds_load_b64 v[40:41], v38
	ds_load_b64 v[46:47], v35
	s_wait_dscnt 0x0
	v_dual_mul_f32 v36, v47, v41 :: v_dual_mul_f32 v37, v46, v41
	s_delay_alu instid0(VALU_DEP_1)
	v_dual_fma_f32 v36, v46, v40, -v36 :: v_dual_fmac_f32 v37, v47, v40
	s_and_not1_b32 vcc_lo, exec_lo, s1
	s_cbranch_vccz .LBB80_159
	s_branch .LBB80_160
.LBB80_158:
                                        ; implicit-def: $vgpr36
.LBB80_159:
	ds_load_b64 v[36:37], v35
.LBB80_160:
	s_and_saveexec_b32 s1, s0
	s_cbranch_execz .LBB80_164
; %bb.161:
	s_movk_i32 s0, 0x88
	v_add_nc_u32_e32 v40, -1, v42
	v_mad_u32 v39, v44, s0, 0x128
	s_movk_i32 s7, 0x98
	s_mov_b32 s0, 0
.LBB80_162:                             ; =>This Inner Loop Header: Depth=1
	v_mov_b32_e32 v41, s7
	s_add_co_i32 s7, s7, 8
	ds_load_b64 v[44:45], v39
	ds_load_b64 v[46:47], v41
	v_dual_add_nc_u32 v40, -1, v40 :: v_dual_add_nc_u32 v39, 8, v39
	s_delay_alu instid0(VALU_DEP_1) | instskip(SKIP_3) | instid1(VALU_DEP_1)
	v_cmp_eq_u32_e32 vcc_lo, 0, v40
	s_or_b32 s0, vcc_lo, s0
	s_wait_dscnt 0x0
	v_dual_mul_f32 v41, v47, v45 :: v_dual_mul_f32 v45, v46, v45
	v_fma_f32 v41, v46, v44, -v41
	s_delay_alu instid0(VALU_DEP_1) | instskip(NEXT) | instid1(VALU_DEP_1)
	v_dual_fmac_f32 v45, v47, v44 :: v_dual_add_f32 v36, v36, v41
	v_add_f32_e32 v37, v37, v45
	s_and_not1_b32 exec_lo, exec_lo, s0
	s_cbranch_execnz .LBB80_162
; %bb.163:
	s_or_b32 exec_lo, exec_lo, s0
.LBB80_164:
	s_delay_alu instid0(SALU_CYCLE_1)
	s_or_b32 exec_lo, exec_lo, s1
	v_mov_b32_e32 v39, 0
	s_mov_b32 s1, exec_lo
	v_add_nc_u32_e32 v50, 4, v48
	ds_load_b64 v[40:41], v39
	s_wait_dscnt 0x0
	v_dual_mul_f32 v39, v37, v41 :: v_dual_mul_f32 v49, v36, v41
	s_delay_alu instid0(VALU_DEP_1)
	v_dual_fma_f32 v36, v36, v40, -v39 :: v_dual_fmac_f32 v49, v37, v40
	ds_store_b32 v48, v36
.LBB80_165:
	s_or_b32 exec_lo, exec_lo, s6
	s_delay_alu instid0(SALU_CYCLE_1)
	s_and_b32 vcc_lo, exec_lo, s4
	s_cbranch_vccz .LBB80_321
.LBB80_166:
	ds_load_b64 v[36:37], v48 offset:8
	v_cmp_eq_u32_e64 s0, 0, v42
	s_wait_dscnt 0x0
	ds_store_b64 v35, v[36:37]
	s_wait_dscnt 0x0
	s_barrier_signal -1
	s_barrier_wait -1
	s_and_saveexec_b32 s4, s0
	s_cbranch_execz .LBB80_172
; %bb.167:
	s_and_b32 vcc_lo, exec_lo, s5
	s_cbranch_vccz .LBB80_169
; %bb.168:
	ds_load_b64 v[36:37], v38
	ds_load_b64 v[40:41], v35
	s_wait_dscnt 0x0
	v_pk_mul_f32 v[44:45], v[40:41], v[36:37] op_sel:[1,1] op_sel_hi:[0,1]
	v_pk_mul_f32 v[46:47], v[40:41], v[36:37] op_sel_hi:[1,0]
	s_delay_alu instid0(VALU_DEP_2) | instskip(NEXT) | instid1(VALU_DEP_2)
	v_pk_fma_f32 v[36:37], v[40:41], v[36:37], v[44:45] op_sel_hi:[1,0,1]
	v_sub_f32_e32 v36, v46, v44
	s_cbranch_execz .LBB80_170
	s_branch .LBB80_171
.LBB80_169:
                                        ; implicit-def: $vgpr37
.LBB80_170:
	ds_load_b64 v[36:37], v35
.LBB80_171:
	s_wait_dscnt 0x0
	v_dual_mov_b32 v39, 0 :: v_dual_mov_b32 v44, v37
	v_mov_b32_e32 v45, v36
	ds_load_b64 v[40:41], v39 offset:8
	s_wait_dscnt 0x0
	v_pk_mul_f32 v[44:45], v[44:45], v[40:41] op_sel:[0,1]
	s_delay_alu instid0(VALU_DEP_1) | instskip(SKIP_1) | instid1(VALU_DEP_2)
	v_pk_fma_f32 v[46:47], v[36:37], v[40:41], v[44:45] op_sel_hi:[1,0,1]
	v_pk_fma_f32 v[36:37], v[36:37], v[40:41], v[44:45] neg_lo:[0,0,1] neg_hi:[0,0,1]
	v_mov_b32_e32 v37, v47
	ds_store_b64 v48, v[36:37] offset:8
.LBB80_172:
	s_or_b32 exec_lo, exec_lo, s4
	ds_load_b64 v[36:37], v48 offset:16
	v_cndmask_b32_e64 v39, 0, 1, s5
	s_mov_b32 s4, exec_lo
	s_wait_dscnt 0x0
	ds_store_b64 v35, v[36:37]
	s_wait_dscnt 0x0
	s_barrier_signal -1
	s_barrier_wait -1
	v_cmpx_gt_u32_e32 2, v42
	s_cbranch_execz .LBB80_180
; %bb.173:
	s_and_not1_b32 vcc_lo, exec_lo, s5
	s_cbranch_vccnz .LBB80_175
; %bb.174:
	ds_load_b64 v[36:37], v38
	ds_load_b64 v[40:41], v35
	s_wait_dscnt 0x0
	v_pk_mul_f32 v[44:45], v[40:41], v[36:37] op_sel:[1,1] op_sel_hi:[0,1]
	s_delay_alu instid0(VALU_DEP_1) | instskip(SKIP_1) | instid1(VALU_DEP_2)
	v_pk_fma_f32 v[46:47], v[40:41], v[36:37], v[44:45] op_sel_hi:[1,0,1]
	v_pk_fma_f32 v[36:37], v[40:41], v[36:37], v[44:45] neg_lo:[0,0,1] neg_hi:[0,0,1]
	v_mov_b32_e32 v37, v47
	s_cbranch_execz .LBB80_176
	s_branch .LBB80_177
.LBB80_175:
                                        ; implicit-def: $vgpr36_vgpr37
.LBB80_176:
	ds_load_b64 v[36:37], v35
.LBB80_177:
	s_and_saveexec_b32 s5, s0
	s_cbranch_execz .LBB80_179
; %bb.178:
	v_mov_b32_e32 v44, 0
	ds_load_b64 v[40:41], v48 offset:8
	ds_load_b64 v[44:45], v44 offset:152
	s_wait_dscnt 0x0
	v_pk_mul_f32 v[46:47], v[44:45], v[40:41] op_sel:[1,1] op_sel_hi:[0,1]
	s_delay_alu instid0(VALU_DEP_1) | instskip(SKIP_1) | instid1(VALU_DEP_2)
	v_pk_fma_f32 v[50:51], v[44:45], v[40:41], v[46:47] op_sel_hi:[1,0,1]
	v_pk_fma_f32 v[40:41], v[44:45], v[40:41], v[46:47] neg_lo:[0,0,1] neg_hi:[0,0,1]
	v_mov_b32_e32 v41, v51
	s_delay_alu instid0(VALU_DEP_1)
	v_pk_add_f32 v[36:37], v[36:37], v[40:41]
.LBB80_179:
	s_or_b32 exec_lo, exec_lo, s5
	v_mov_b32_e32 v40, 0
	ds_load_b64 v[40:41], v40 offset:16
	s_wait_dscnt 0x0
	v_pk_mul_f32 v[44:45], v[36:37], v[40:41] op_sel:[1,1] op_sel_hi:[0,1]
	s_delay_alu instid0(VALU_DEP_1) | instskip(SKIP_1) | instid1(VALU_DEP_2)
	v_pk_fma_f32 v[46:47], v[36:37], v[40:41], v[44:45] op_sel_hi:[1,0,1]
	v_pk_fma_f32 v[36:37], v[36:37], v[40:41], v[44:45] neg_lo:[0,0,1] neg_hi:[0,0,1]
	v_mov_b32_e32 v37, v47
	ds_store_b64 v48, v[36:37] offset:16
.LBB80_180:
	s_or_b32 exec_lo, exec_lo, s4
	ds_load_b64 v[36:37], v48 offset:24
	s_mov_b32 s4, exec_lo
	s_wait_dscnt 0x0
	ds_store_b64 v35, v[36:37]
	s_wait_dscnt 0x0
	s_barrier_signal -1
	s_barrier_wait -1
	v_cmpx_gt_u32_e32 3, v42
	s_cbranch_execz .LBB80_190
; %bb.181:
	v_cmp_ne_u32_e32 vcc_lo, 1, v39
	s_cbranch_vccnz .LBB80_183
; %bb.182:
	ds_load_b64 v[36:37], v38
	ds_load_b64 v[40:41], v35
	s_wait_dscnt 0x0
	v_pk_mul_f32 v[44:45], v[40:41], v[36:37] op_sel:[1,1] op_sel_hi:[0,1]
	s_delay_alu instid0(VALU_DEP_1) | instskip(SKIP_1) | instid1(VALU_DEP_2)
	v_pk_fma_f32 v[46:47], v[40:41], v[36:37], v[44:45] op_sel_hi:[1,0,1]
	v_pk_fma_f32 v[36:37], v[40:41], v[36:37], v[44:45] neg_lo:[0,0,1] neg_hi:[0,0,1]
	v_mov_b32_e32 v37, v47
	s_cbranch_execz .LBB80_184
	s_branch .LBB80_185
.LBB80_183:
                                        ; implicit-def: $vgpr36_vgpr37
.LBB80_184:
	ds_load_b64 v[36:37], v35
.LBB80_185:
	s_mov_b32 s5, exec_lo
	v_cmpx_ne_u32_e32 2, v42
	s_cbranch_execz .LBB80_189
; %bb.186:
	ds_load_b64 v[40:41], v38 offset:8
	ds_load_b64 v[44:45], v35 offset:8
	s_wait_dscnt 0x0
	v_pk_mul_f32 v[46:47], v[44:45], v[40:41] op_sel:[1,1] op_sel_hi:[0,1]
	s_delay_alu instid0(VALU_DEP_1) | instskip(SKIP_1) | instid1(VALU_DEP_2)
	v_pk_fma_f32 v[50:51], v[44:45], v[40:41], v[46:47] op_sel_hi:[1,0,1]
	v_pk_fma_f32 v[40:41], v[44:45], v[40:41], v[46:47] neg_lo:[0,0,1] neg_hi:[0,0,1]
	v_mov_b32_e32 v41, v51
	s_delay_alu instid0(VALU_DEP_1)
	v_pk_add_f32 v[36:37], v[36:37], v[40:41]
	s_and_saveexec_b32 s6, s0
	s_cbranch_execz .LBB80_188
; %bb.187:
	v_mov_b32_e32 v40, 0
	ds_load_b64 v[40:41], v40 offset:160
	ds_load_b64 v[44:45], v48 offset:16
	s_wait_dscnt 0x0
	v_pk_mul_f32 v[46:47], v[40:41], v[44:45] op_sel:[1,1] op_sel_hi:[0,1]
	s_delay_alu instid0(VALU_DEP_1) | instskip(SKIP_1) | instid1(VALU_DEP_2)
	v_pk_fma_f32 v[50:51], v[40:41], v[44:45], v[46:47] op_sel_hi:[1,0,1]
	v_pk_fma_f32 v[40:41], v[40:41], v[44:45], v[46:47] neg_lo:[0,0,1] neg_hi:[0,0,1]
	v_mov_b32_e32 v41, v51
	s_delay_alu instid0(VALU_DEP_1)
	v_pk_add_f32 v[36:37], v[36:37], v[40:41]
.LBB80_188:
	s_or_b32 exec_lo, exec_lo, s6
.LBB80_189:
	s_delay_alu instid0(SALU_CYCLE_1) | instskip(SKIP_4) | instid1(VALU_DEP_1)
	s_or_b32 exec_lo, exec_lo, s5
	v_mov_b32_e32 v40, 0
	ds_load_b64 v[40:41], v40 offset:24
	s_wait_dscnt 0x0
	v_pk_mul_f32 v[44:45], v[36:37], v[40:41] op_sel:[1,1] op_sel_hi:[0,1]
	v_pk_fma_f32 v[46:47], v[36:37], v[40:41], v[44:45] op_sel_hi:[1,0,1]
	v_pk_fma_f32 v[36:37], v[36:37], v[40:41], v[44:45] neg_lo:[0,0,1] neg_hi:[0,0,1]
	s_delay_alu instid0(VALU_DEP_2)
	v_mov_b32_e32 v37, v47
	ds_store_b64 v48, v[36:37] offset:24
.LBB80_190:
	s_or_b32 exec_lo, exec_lo, s4
	ds_load_b64 v[36:37], v48 offset:32
	s_mov_b32 s0, exec_lo
	s_wait_dscnt 0x0
	ds_store_b64 v35, v[36:37]
	s_wait_dscnt 0x0
	s_barrier_signal -1
	s_barrier_wait -1
	v_cmpx_gt_u32_e32 4, v42
	s_cbranch_execz .LBB80_200
; %bb.191:
	v_cmp_ne_u32_e32 vcc_lo, 1, v39
	s_cbranch_vccnz .LBB80_193
; %bb.192:
	ds_load_b64 v[36:37], v38
	ds_load_b64 v[40:41], v35
	s_wait_dscnt 0x0
	v_pk_mul_f32 v[44:45], v[40:41], v[36:37] op_sel:[1,1] op_sel_hi:[0,1]
	s_delay_alu instid0(VALU_DEP_1) | instskip(SKIP_1) | instid1(VALU_DEP_2)
	v_pk_fma_f32 v[46:47], v[40:41], v[36:37], v[44:45] op_sel_hi:[1,0,1]
	v_pk_fma_f32 v[36:37], v[40:41], v[36:37], v[44:45] neg_lo:[0,0,1] neg_hi:[0,0,1]
	v_mov_b32_e32 v37, v47
	s_cbranch_execz .LBB80_194
	s_branch .LBB80_195
.LBB80_193:
                                        ; implicit-def: $vgpr36_vgpr37
.LBB80_194:
	ds_load_b64 v[36:37], v35
.LBB80_195:
	s_mov_b32 s4, exec_lo
	v_cmpx_ne_u32_e32 3, v42
	s_cbranch_execz .LBB80_199
; %bb.196:
	v_add_nc_u32_e32 v40, 0x98, v34
	v_add3_u32 v41, v43, v34, 0x128
	v_mov_b32_e32 v44, v42
	s_mov_b32 s5, 0
.LBB80_197:                             ; =>This Inner Loop Header: Depth=1
	ds_load_b64 v[46:47], v41
	ds_load_b64 v[50:51], v40
	v_dual_add_nc_u32 v40, 8, v40 :: v_dual_add_nc_u32 v41, 8, v41
	s_wait_dscnt 0x0
	v_pk_mul_f32 v[52:53], v[50:51], v[46:47] op_sel:[1,1] op_sel_hi:[0,1]
	s_delay_alu instid0(VALU_DEP_1) | instskip(SKIP_2) | instid1(VALU_DEP_3)
	v_pk_fma_f32 v[54:55], v[50:51], v[46:47], v[52:53] op_sel_hi:[1,0,1]
	v_add_nc_u32_e32 v44, 1, v44
	v_pk_fma_f32 v[46:47], v[50:51], v[46:47], v[52:53] neg_lo:[0,0,1] neg_hi:[0,0,1]
	v_mov_b32_e32 v47, v55
	s_delay_alu instid0(VALU_DEP_3) | instskip(NEXT) | instid1(VALU_DEP_2)
	v_cmp_lt_u32_e32 vcc_lo, 2, v44
	v_pk_add_f32 v[36:37], v[36:37], v[46:47]
	s_or_b32 s5, vcc_lo, s5
	s_delay_alu instid0(SALU_CYCLE_1)
	s_and_not1_b32 exec_lo, exec_lo, s5
	s_cbranch_execnz .LBB80_197
; %bb.198:
	s_or_b32 exec_lo, exec_lo, s5
.LBB80_199:
	s_delay_alu instid0(SALU_CYCLE_1) | instskip(SKIP_4) | instid1(VALU_DEP_1)
	s_or_b32 exec_lo, exec_lo, s4
	v_mov_b32_e32 v40, 0
	ds_load_b64 v[40:41], v40 offset:32
	s_wait_dscnt 0x0
	v_pk_mul_f32 v[44:45], v[36:37], v[40:41] op_sel:[1,1] op_sel_hi:[0,1]
	v_pk_fma_f32 v[46:47], v[36:37], v[40:41], v[44:45] op_sel_hi:[1,0,1]
	v_pk_fma_f32 v[36:37], v[36:37], v[40:41], v[44:45] neg_lo:[0,0,1] neg_hi:[0,0,1]
	s_delay_alu instid0(VALU_DEP_2)
	v_mov_b32_e32 v37, v47
	ds_store_b64 v48, v[36:37] offset:32
.LBB80_200:
	s_or_b32 exec_lo, exec_lo, s0
	ds_load_b64 v[36:37], v48 offset:40
	s_mov_b32 s0, exec_lo
	s_wait_dscnt 0x0
	ds_store_b64 v35, v[36:37]
	s_wait_dscnt 0x0
	s_barrier_signal -1
	s_barrier_wait -1
	v_cmpx_gt_u32_e32 5, v42
	s_cbranch_execz .LBB80_210
; %bb.201:
	v_cmp_ne_u32_e32 vcc_lo, 1, v39
	s_cbranch_vccnz .LBB80_203
; %bb.202:
	ds_load_b64 v[36:37], v38
	ds_load_b64 v[40:41], v35
	s_wait_dscnt 0x0
	v_pk_mul_f32 v[44:45], v[40:41], v[36:37] op_sel:[1,1] op_sel_hi:[0,1]
	s_delay_alu instid0(VALU_DEP_1) | instskip(SKIP_1) | instid1(VALU_DEP_2)
	v_pk_fma_f32 v[46:47], v[40:41], v[36:37], v[44:45] op_sel_hi:[1,0,1]
	v_pk_fma_f32 v[36:37], v[40:41], v[36:37], v[44:45] neg_lo:[0,0,1] neg_hi:[0,0,1]
	v_mov_b32_e32 v37, v47
	s_cbranch_execz .LBB80_204
	s_branch .LBB80_205
.LBB80_203:
                                        ; implicit-def: $vgpr36_vgpr37
.LBB80_204:
	ds_load_b64 v[36:37], v35
.LBB80_205:
	s_mov_b32 s4, exec_lo
	v_cmpx_ne_u32_e32 4, v42
	s_cbranch_execz .LBB80_209
; %bb.206:
	v_add_nc_u32_e32 v40, 0x98, v34
	v_add3_u32 v41, v43, v34, 0x128
	v_mov_b32_e32 v44, v42
	s_mov_b32 s5, 0
.LBB80_207:                             ; =>This Inner Loop Header: Depth=1
	ds_load_b64 v[46:47], v41
	ds_load_b64 v[50:51], v40
	v_dual_add_nc_u32 v40, 8, v40 :: v_dual_add_nc_u32 v41, 8, v41
	s_wait_dscnt 0x0
	v_pk_mul_f32 v[52:53], v[50:51], v[46:47] op_sel:[1,1] op_sel_hi:[0,1]
	s_delay_alu instid0(VALU_DEP_1) | instskip(SKIP_2) | instid1(VALU_DEP_3)
	v_pk_fma_f32 v[54:55], v[50:51], v[46:47], v[52:53] op_sel_hi:[1,0,1]
	v_add_nc_u32_e32 v44, 1, v44
	v_pk_fma_f32 v[46:47], v[50:51], v[46:47], v[52:53] neg_lo:[0,0,1] neg_hi:[0,0,1]
	v_mov_b32_e32 v47, v55
	s_delay_alu instid0(VALU_DEP_3) | instskip(NEXT) | instid1(VALU_DEP_2)
	v_cmp_lt_u32_e32 vcc_lo, 3, v44
	v_pk_add_f32 v[36:37], v[36:37], v[46:47]
	s_or_b32 s5, vcc_lo, s5
	s_delay_alu instid0(SALU_CYCLE_1)
	s_and_not1_b32 exec_lo, exec_lo, s5
	s_cbranch_execnz .LBB80_207
; %bb.208:
	s_or_b32 exec_lo, exec_lo, s5
.LBB80_209:
	s_delay_alu instid0(SALU_CYCLE_1) | instskip(SKIP_4) | instid1(VALU_DEP_1)
	s_or_b32 exec_lo, exec_lo, s4
	v_mov_b32_e32 v40, 0
	ds_load_b64 v[40:41], v40 offset:40
	s_wait_dscnt 0x0
	v_pk_mul_f32 v[44:45], v[36:37], v[40:41] op_sel:[1,1] op_sel_hi:[0,1]
	v_pk_fma_f32 v[46:47], v[36:37], v[40:41], v[44:45] op_sel_hi:[1,0,1]
	v_pk_fma_f32 v[36:37], v[36:37], v[40:41], v[44:45] neg_lo:[0,0,1] neg_hi:[0,0,1]
	s_delay_alu instid0(VALU_DEP_2)
	v_mov_b32_e32 v37, v47
	ds_store_b64 v48, v[36:37] offset:40
.LBB80_210:
	s_or_b32 exec_lo, exec_lo, s0
	ds_load_b64 v[36:37], v48 offset:48
	s_mov_b32 s0, exec_lo
	s_wait_dscnt 0x0
	ds_store_b64 v35, v[36:37]
	s_wait_dscnt 0x0
	s_barrier_signal -1
	s_barrier_wait -1
	v_cmpx_gt_u32_e32 6, v42
	s_cbranch_execz .LBB80_220
; %bb.211:
	v_cmp_ne_u32_e32 vcc_lo, 1, v39
	s_cbranch_vccnz .LBB80_213
; %bb.212:
	ds_load_b64 v[36:37], v38
	ds_load_b64 v[40:41], v35
	s_wait_dscnt 0x0
	v_pk_mul_f32 v[44:45], v[40:41], v[36:37] op_sel:[1,1] op_sel_hi:[0,1]
	s_delay_alu instid0(VALU_DEP_1) | instskip(SKIP_1) | instid1(VALU_DEP_2)
	v_pk_fma_f32 v[46:47], v[40:41], v[36:37], v[44:45] op_sel_hi:[1,0,1]
	v_pk_fma_f32 v[36:37], v[40:41], v[36:37], v[44:45] neg_lo:[0,0,1] neg_hi:[0,0,1]
	v_mov_b32_e32 v37, v47
	s_cbranch_execz .LBB80_214
	s_branch .LBB80_215
.LBB80_213:
                                        ; implicit-def: $vgpr36_vgpr37
.LBB80_214:
	ds_load_b64 v[36:37], v35
.LBB80_215:
	s_mov_b32 s4, exec_lo
	v_cmpx_ne_u32_e32 5, v42
	s_cbranch_execz .LBB80_219
; %bb.216:
	v_add_nc_u32_e32 v40, 0x98, v34
	v_add3_u32 v41, v43, v34, 0x128
	v_mov_b32_e32 v44, v42
	s_mov_b32 s5, 0
.LBB80_217:                             ; =>This Inner Loop Header: Depth=1
	ds_load_b64 v[46:47], v41
	ds_load_b64 v[50:51], v40
	v_dual_add_nc_u32 v40, 8, v40 :: v_dual_add_nc_u32 v41, 8, v41
	s_wait_dscnt 0x0
	v_pk_mul_f32 v[52:53], v[50:51], v[46:47] op_sel:[1,1] op_sel_hi:[0,1]
	s_delay_alu instid0(VALU_DEP_1) | instskip(SKIP_2) | instid1(VALU_DEP_3)
	v_pk_fma_f32 v[54:55], v[50:51], v[46:47], v[52:53] op_sel_hi:[1,0,1]
	v_add_nc_u32_e32 v44, 1, v44
	v_pk_fma_f32 v[46:47], v[50:51], v[46:47], v[52:53] neg_lo:[0,0,1] neg_hi:[0,0,1]
	v_mov_b32_e32 v47, v55
	s_delay_alu instid0(VALU_DEP_3) | instskip(NEXT) | instid1(VALU_DEP_2)
	v_cmp_lt_u32_e32 vcc_lo, 4, v44
	v_pk_add_f32 v[36:37], v[36:37], v[46:47]
	s_or_b32 s5, vcc_lo, s5
	s_delay_alu instid0(SALU_CYCLE_1)
	s_and_not1_b32 exec_lo, exec_lo, s5
	s_cbranch_execnz .LBB80_217
; %bb.218:
	s_or_b32 exec_lo, exec_lo, s5
.LBB80_219:
	s_delay_alu instid0(SALU_CYCLE_1) | instskip(SKIP_4) | instid1(VALU_DEP_1)
	s_or_b32 exec_lo, exec_lo, s4
	v_mov_b32_e32 v40, 0
	ds_load_b64 v[40:41], v40 offset:48
	s_wait_dscnt 0x0
	v_pk_mul_f32 v[44:45], v[36:37], v[40:41] op_sel:[1,1] op_sel_hi:[0,1]
	v_pk_fma_f32 v[46:47], v[36:37], v[40:41], v[44:45] op_sel_hi:[1,0,1]
	v_pk_fma_f32 v[36:37], v[36:37], v[40:41], v[44:45] neg_lo:[0,0,1] neg_hi:[0,0,1]
	s_delay_alu instid0(VALU_DEP_2)
	v_mov_b32_e32 v37, v47
	ds_store_b64 v48, v[36:37] offset:48
.LBB80_220:
	s_or_b32 exec_lo, exec_lo, s0
	ds_load_b64 v[36:37], v48 offset:56
	s_mov_b32 s0, exec_lo
	s_wait_dscnt 0x0
	ds_store_b64 v35, v[36:37]
	s_wait_dscnt 0x0
	s_barrier_signal -1
	s_barrier_wait -1
	v_cmpx_gt_u32_e32 7, v42
	s_cbranch_execz .LBB80_230
; %bb.221:
	v_cmp_ne_u32_e32 vcc_lo, 1, v39
	s_cbranch_vccnz .LBB80_223
; %bb.222:
	ds_load_b64 v[36:37], v38
	ds_load_b64 v[40:41], v35
	s_wait_dscnt 0x0
	v_pk_mul_f32 v[44:45], v[40:41], v[36:37] op_sel:[1,1] op_sel_hi:[0,1]
	s_delay_alu instid0(VALU_DEP_1) | instskip(SKIP_1) | instid1(VALU_DEP_2)
	v_pk_fma_f32 v[46:47], v[40:41], v[36:37], v[44:45] op_sel_hi:[1,0,1]
	v_pk_fma_f32 v[36:37], v[40:41], v[36:37], v[44:45] neg_lo:[0,0,1] neg_hi:[0,0,1]
	v_mov_b32_e32 v37, v47
	s_cbranch_execz .LBB80_224
	s_branch .LBB80_225
.LBB80_223:
                                        ; implicit-def: $vgpr36_vgpr37
.LBB80_224:
	ds_load_b64 v[36:37], v35
.LBB80_225:
	s_mov_b32 s4, exec_lo
	v_cmpx_ne_u32_e32 6, v42
	s_cbranch_execz .LBB80_229
; %bb.226:
	v_add_nc_u32_e32 v40, 0x98, v34
	v_add3_u32 v41, v43, v34, 0x128
	v_mov_b32_e32 v44, v42
	s_mov_b32 s5, 0
.LBB80_227:                             ; =>This Inner Loop Header: Depth=1
	ds_load_b64 v[46:47], v41
	ds_load_b64 v[50:51], v40
	v_dual_add_nc_u32 v40, 8, v40 :: v_dual_add_nc_u32 v41, 8, v41
	s_wait_dscnt 0x0
	v_pk_mul_f32 v[52:53], v[50:51], v[46:47] op_sel:[1,1] op_sel_hi:[0,1]
	s_delay_alu instid0(VALU_DEP_1) | instskip(SKIP_2) | instid1(VALU_DEP_3)
	v_pk_fma_f32 v[54:55], v[50:51], v[46:47], v[52:53] op_sel_hi:[1,0,1]
	v_add_nc_u32_e32 v44, 1, v44
	v_pk_fma_f32 v[46:47], v[50:51], v[46:47], v[52:53] neg_lo:[0,0,1] neg_hi:[0,0,1]
	v_mov_b32_e32 v47, v55
	s_delay_alu instid0(VALU_DEP_3) | instskip(NEXT) | instid1(VALU_DEP_2)
	v_cmp_lt_u32_e32 vcc_lo, 5, v44
	v_pk_add_f32 v[36:37], v[36:37], v[46:47]
	s_or_b32 s5, vcc_lo, s5
	s_delay_alu instid0(SALU_CYCLE_1)
	s_and_not1_b32 exec_lo, exec_lo, s5
	s_cbranch_execnz .LBB80_227
; %bb.228:
	s_or_b32 exec_lo, exec_lo, s5
.LBB80_229:
	s_delay_alu instid0(SALU_CYCLE_1) | instskip(SKIP_4) | instid1(VALU_DEP_1)
	s_or_b32 exec_lo, exec_lo, s4
	v_mov_b32_e32 v40, 0
	ds_load_b64 v[40:41], v40 offset:56
	s_wait_dscnt 0x0
	v_pk_mul_f32 v[44:45], v[36:37], v[40:41] op_sel:[1,1] op_sel_hi:[0,1]
	v_pk_fma_f32 v[46:47], v[36:37], v[40:41], v[44:45] op_sel_hi:[1,0,1]
	v_pk_fma_f32 v[36:37], v[36:37], v[40:41], v[44:45] neg_lo:[0,0,1] neg_hi:[0,0,1]
	s_delay_alu instid0(VALU_DEP_2)
	v_mov_b32_e32 v37, v47
	ds_store_b64 v48, v[36:37] offset:56
.LBB80_230:
	s_or_b32 exec_lo, exec_lo, s0
	ds_load_b64 v[36:37], v48 offset:64
	s_mov_b32 s0, exec_lo
	s_wait_dscnt 0x0
	ds_store_b64 v35, v[36:37]
	s_wait_dscnt 0x0
	s_barrier_signal -1
	s_barrier_wait -1
	v_cmpx_gt_u32_e32 8, v42
	s_cbranch_execz .LBB80_240
; %bb.231:
	v_cmp_ne_u32_e32 vcc_lo, 1, v39
	s_cbranch_vccnz .LBB80_233
; %bb.232:
	ds_load_b64 v[36:37], v38
	ds_load_b64 v[40:41], v35
	s_wait_dscnt 0x0
	v_pk_mul_f32 v[44:45], v[40:41], v[36:37] op_sel:[1,1] op_sel_hi:[0,1]
	s_delay_alu instid0(VALU_DEP_1) | instskip(SKIP_1) | instid1(VALU_DEP_2)
	v_pk_fma_f32 v[46:47], v[40:41], v[36:37], v[44:45] op_sel_hi:[1,0,1]
	v_pk_fma_f32 v[36:37], v[40:41], v[36:37], v[44:45] neg_lo:[0,0,1] neg_hi:[0,0,1]
	v_mov_b32_e32 v37, v47
	s_cbranch_execz .LBB80_234
	s_branch .LBB80_235
.LBB80_233:
                                        ; implicit-def: $vgpr36_vgpr37
.LBB80_234:
	ds_load_b64 v[36:37], v35
.LBB80_235:
	s_mov_b32 s4, exec_lo
	v_cmpx_ne_u32_e32 7, v42
	s_cbranch_execz .LBB80_239
; %bb.236:
	v_add_nc_u32_e32 v40, 0x98, v34
	v_add3_u32 v41, v43, v34, 0x128
	v_mov_b32_e32 v44, v42
	s_mov_b32 s5, 0
.LBB80_237:                             ; =>This Inner Loop Header: Depth=1
	ds_load_b64 v[46:47], v41
	ds_load_b64 v[50:51], v40
	v_dual_add_nc_u32 v40, 8, v40 :: v_dual_add_nc_u32 v41, 8, v41
	s_wait_dscnt 0x0
	v_pk_mul_f32 v[52:53], v[50:51], v[46:47] op_sel:[1,1] op_sel_hi:[0,1]
	s_delay_alu instid0(VALU_DEP_1) | instskip(SKIP_2) | instid1(VALU_DEP_3)
	v_pk_fma_f32 v[54:55], v[50:51], v[46:47], v[52:53] op_sel_hi:[1,0,1]
	v_add_nc_u32_e32 v44, 1, v44
	v_pk_fma_f32 v[46:47], v[50:51], v[46:47], v[52:53] neg_lo:[0,0,1] neg_hi:[0,0,1]
	v_mov_b32_e32 v47, v55
	s_delay_alu instid0(VALU_DEP_3) | instskip(NEXT) | instid1(VALU_DEP_2)
	v_cmp_lt_u32_e32 vcc_lo, 6, v44
	v_pk_add_f32 v[36:37], v[36:37], v[46:47]
	s_or_b32 s5, vcc_lo, s5
	s_delay_alu instid0(SALU_CYCLE_1)
	s_and_not1_b32 exec_lo, exec_lo, s5
	s_cbranch_execnz .LBB80_237
; %bb.238:
	s_or_b32 exec_lo, exec_lo, s5
.LBB80_239:
	s_delay_alu instid0(SALU_CYCLE_1) | instskip(SKIP_4) | instid1(VALU_DEP_1)
	s_or_b32 exec_lo, exec_lo, s4
	v_mov_b32_e32 v40, 0
	ds_load_b64 v[40:41], v40 offset:64
	s_wait_dscnt 0x0
	v_pk_mul_f32 v[44:45], v[36:37], v[40:41] op_sel:[1,1] op_sel_hi:[0,1]
	v_pk_fma_f32 v[46:47], v[36:37], v[40:41], v[44:45] op_sel_hi:[1,0,1]
	v_pk_fma_f32 v[36:37], v[36:37], v[40:41], v[44:45] neg_lo:[0,0,1] neg_hi:[0,0,1]
	s_delay_alu instid0(VALU_DEP_2)
	v_mov_b32_e32 v37, v47
	ds_store_b64 v48, v[36:37] offset:64
.LBB80_240:
	s_or_b32 exec_lo, exec_lo, s0
	ds_load_b64 v[36:37], v48 offset:72
	s_mov_b32 s0, exec_lo
	s_wait_dscnt 0x0
	ds_store_b64 v35, v[36:37]
	s_wait_dscnt 0x0
	s_barrier_signal -1
	s_barrier_wait -1
	v_cmpx_gt_u32_e32 9, v42
	s_cbranch_execz .LBB80_250
; %bb.241:
	v_cmp_ne_u32_e32 vcc_lo, 1, v39
	s_cbranch_vccnz .LBB80_243
; %bb.242:
	ds_load_b64 v[36:37], v38
	ds_load_b64 v[40:41], v35
	s_wait_dscnt 0x0
	v_pk_mul_f32 v[44:45], v[40:41], v[36:37] op_sel:[1,1] op_sel_hi:[0,1]
	s_delay_alu instid0(VALU_DEP_1) | instskip(SKIP_1) | instid1(VALU_DEP_2)
	v_pk_fma_f32 v[46:47], v[40:41], v[36:37], v[44:45] op_sel_hi:[1,0,1]
	v_pk_fma_f32 v[36:37], v[40:41], v[36:37], v[44:45] neg_lo:[0,0,1] neg_hi:[0,0,1]
	v_mov_b32_e32 v37, v47
	s_cbranch_execz .LBB80_244
	s_branch .LBB80_245
.LBB80_243:
                                        ; implicit-def: $vgpr36_vgpr37
.LBB80_244:
	ds_load_b64 v[36:37], v35
.LBB80_245:
	s_mov_b32 s4, exec_lo
	v_cmpx_ne_u32_e32 8, v42
	s_cbranch_execz .LBB80_249
; %bb.246:
	v_add_nc_u32_e32 v40, 0x98, v34
	v_add3_u32 v41, v43, v34, 0x128
	v_mov_b32_e32 v44, v42
	s_mov_b32 s5, 0
.LBB80_247:                             ; =>This Inner Loop Header: Depth=1
	ds_load_b64 v[46:47], v41
	ds_load_b64 v[50:51], v40
	v_dual_add_nc_u32 v40, 8, v40 :: v_dual_add_nc_u32 v41, 8, v41
	s_wait_dscnt 0x0
	v_pk_mul_f32 v[52:53], v[50:51], v[46:47] op_sel:[1,1] op_sel_hi:[0,1]
	s_delay_alu instid0(VALU_DEP_1) | instskip(SKIP_2) | instid1(VALU_DEP_3)
	v_pk_fma_f32 v[54:55], v[50:51], v[46:47], v[52:53] op_sel_hi:[1,0,1]
	v_add_nc_u32_e32 v44, 1, v44
	v_pk_fma_f32 v[46:47], v[50:51], v[46:47], v[52:53] neg_lo:[0,0,1] neg_hi:[0,0,1]
	v_mov_b32_e32 v47, v55
	s_delay_alu instid0(VALU_DEP_3) | instskip(NEXT) | instid1(VALU_DEP_2)
	v_cmp_lt_u32_e32 vcc_lo, 7, v44
	v_pk_add_f32 v[36:37], v[36:37], v[46:47]
	s_or_b32 s5, vcc_lo, s5
	s_delay_alu instid0(SALU_CYCLE_1)
	s_and_not1_b32 exec_lo, exec_lo, s5
	s_cbranch_execnz .LBB80_247
; %bb.248:
	s_or_b32 exec_lo, exec_lo, s5
.LBB80_249:
	s_delay_alu instid0(SALU_CYCLE_1) | instskip(SKIP_4) | instid1(VALU_DEP_1)
	s_or_b32 exec_lo, exec_lo, s4
	v_mov_b32_e32 v40, 0
	ds_load_b64 v[40:41], v40 offset:72
	s_wait_dscnt 0x0
	v_pk_mul_f32 v[44:45], v[36:37], v[40:41] op_sel:[1,1] op_sel_hi:[0,1]
	v_pk_fma_f32 v[46:47], v[36:37], v[40:41], v[44:45] op_sel_hi:[1,0,1]
	v_pk_fma_f32 v[36:37], v[36:37], v[40:41], v[44:45] neg_lo:[0,0,1] neg_hi:[0,0,1]
	s_delay_alu instid0(VALU_DEP_2)
	v_mov_b32_e32 v37, v47
	ds_store_b64 v48, v[36:37] offset:72
.LBB80_250:
	s_or_b32 exec_lo, exec_lo, s0
	ds_load_b64 v[36:37], v48 offset:80
	s_mov_b32 s0, exec_lo
	s_wait_dscnt 0x0
	ds_store_b64 v35, v[36:37]
	s_wait_dscnt 0x0
	s_barrier_signal -1
	s_barrier_wait -1
	v_cmpx_gt_u32_e32 10, v42
	s_cbranch_execz .LBB80_260
; %bb.251:
	v_cmp_ne_u32_e32 vcc_lo, 1, v39
	s_cbranch_vccnz .LBB80_253
; %bb.252:
	ds_load_b64 v[36:37], v38
	ds_load_b64 v[40:41], v35
	s_wait_dscnt 0x0
	v_pk_mul_f32 v[44:45], v[40:41], v[36:37] op_sel:[1,1] op_sel_hi:[0,1]
	s_delay_alu instid0(VALU_DEP_1) | instskip(SKIP_1) | instid1(VALU_DEP_2)
	v_pk_fma_f32 v[46:47], v[40:41], v[36:37], v[44:45] op_sel_hi:[1,0,1]
	v_pk_fma_f32 v[36:37], v[40:41], v[36:37], v[44:45] neg_lo:[0,0,1] neg_hi:[0,0,1]
	v_mov_b32_e32 v37, v47
	s_cbranch_execz .LBB80_254
	s_branch .LBB80_255
.LBB80_253:
                                        ; implicit-def: $vgpr36_vgpr37
.LBB80_254:
	ds_load_b64 v[36:37], v35
.LBB80_255:
	s_mov_b32 s4, exec_lo
	v_cmpx_ne_u32_e32 9, v42
	s_cbranch_execz .LBB80_259
; %bb.256:
	v_add_nc_u32_e32 v40, 0x98, v34
	v_add3_u32 v41, v43, v34, 0x128
	v_mov_b32_e32 v44, v42
	s_mov_b32 s5, 0
.LBB80_257:                             ; =>This Inner Loop Header: Depth=1
	ds_load_b64 v[46:47], v41
	ds_load_b64 v[50:51], v40
	v_dual_add_nc_u32 v40, 8, v40 :: v_dual_add_nc_u32 v41, 8, v41
	s_wait_dscnt 0x0
	v_pk_mul_f32 v[52:53], v[50:51], v[46:47] op_sel:[1,1] op_sel_hi:[0,1]
	s_delay_alu instid0(VALU_DEP_1) | instskip(SKIP_2) | instid1(VALU_DEP_3)
	v_pk_fma_f32 v[54:55], v[50:51], v[46:47], v[52:53] op_sel_hi:[1,0,1]
	v_add_nc_u32_e32 v44, 1, v44
	v_pk_fma_f32 v[46:47], v[50:51], v[46:47], v[52:53] neg_lo:[0,0,1] neg_hi:[0,0,1]
	v_mov_b32_e32 v47, v55
	s_delay_alu instid0(VALU_DEP_3) | instskip(NEXT) | instid1(VALU_DEP_2)
	v_cmp_lt_u32_e32 vcc_lo, 8, v44
	v_pk_add_f32 v[36:37], v[36:37], v[46:47]
	s_or_b32 s5, vcc_lo, s5
	s_delay_alu instid0(SALU_CYCLE_1)
	s_and_not1_b32 exec_lo, exec_lo, s5
	s_cbranch_execnz .LBB80_257
; %bb.258:
	s_or_b32 exec_lo, exec_lo, s5
.LBB80_259:
	s_delay_alu instid0(SALU_CYCLE_1) | instskip(SKIP_4) | instid1(VALU_DEP_1)
	s_or_b32 exec_lo, exec_lo, s4
	v_mov_b32_e32 v40, 0
	ds_load_b64 v[40:41], v40 offset:80
	s_wait_dscnt 0x0
	v_pk_mul_f32 v[44:45], v[36:37], v[40:41] op_sel:[1,1] op_sel_hi:[0,1]
	v_pk_fma_f32 v[46:47], v[36:37], v[40:41], v[44:45] op_sel_hi:[1,0,1]
	v_pk_fma_f32 v[36:37], v[36:37], v[40:41], v[44:45] neg_lo:[0,0,1] neg_hi:[0,0,1]
	s_delay_alu instid0(VALU_DEP_2)
	v_mov_b32_e32 v37, v47
	ds_store_b64 v48, v[36:37] offset:80
.LBB80_260:
	s_or_b32 exec_lo, exec_lo, s0
	ds_load_b64 v[36:37], v48 offset:88
	s_mov_b32 s0, exec_lo
	s_wait_dscnt 0x0
	ds_store_b64 v35, v[36:37]
	s_wait_dscnt 0x0
	s_barrier_signal -1
	s_barrier_wait -1
	v_cmpx_gt_u32_e32 11, v42
	s_cbranch_execz .LBB80_270
; %bb.261:
	v_cmp_ne_u32_e32 vcc_lo, 1, v39
	s_cbranch_vccnz .LBB80_263
; %bb.262:
	ds_load_b64 v[36:37], v38
	ds_load_b64 v[40:41], v35
	s_wait_dscnt 0x0
	v_pk_mul_f32 v[44:45], v[40:41], v[36:37] op_sel:[1,1] op_sel_hi:[0,1]
	s_delay_alu instid0(VALU_DEP_1) | instskip(SKIP_1) | instid1(VALU_DEP_2)
	v_pk_fma_f32 v[46:47], v[40:41], v[36:37], v[44:45] op_sel_hi:[1,0,1]
	v_pk_fma_f32 v[36:37], v[40:41], v[36:37], v[44:45] neg_lo:[0,0,1] neg_hi:[0,0,1]
	v_mov_b32_e32 v37, v47
	s_cbranch_execz .LBB80_264
	s_branch .LBB80_265
.LBB80_263:
                                        ; implicit-def: $vgpr36_vgpr37
.LBB80_264:
	ds_load_b64 v[36:37], v35
.LBB80_265:
	s_mov_b32 s4, exec_lo
	v_cmpx_ne_u32_e32 10, v42
	s_cbranch_execz .LBB80_269
; %bb.266:
	v_add_nc_u32_e32 v40, 0x98, v34
	v_add3_u32 v41, v43, v34, 0x128
	v_mov_b32_e32 v44, v42
	s_mov_b32 s5, 0
.LBB80_267:                             ; =>This Inner Loop Header: Depth=1
	ds_load_b64 v[46:47], v41
	ds_load_b64 v[50:51], v40
	v_dual_add_nc_u32 v40, 8, v40 :: v_dual_add_nc_u32 v41, 8, v41
	s_wait_dscnt 0x0
	v_pk_mul_f32 v[52:53], v[50:51], v[46:47] op_sel:[1,1] op_sel_hi:[0,1]
	s_delay_alu instid0(VALU_DEP_1) | instskip(SKIP_2) | instid1(VALU_DEP_3)
	v_pk_fma_f32 v[54:55], v[50:51], v[46:47], v[52:53] op_sel_hi:[1,0,1]
	v_add_nc_u32_e32 v44, 1, v44
	v_pk_fma_f32 v[46:47], v[50:51], v[46:47], v[52:53] neg_lo:[0,0,1] neg_hi:[0,0,1]
	v_mov_b32_e32 v47, v55
	s_delay_alu instid0(VALU_DEP_3) | instskip(NEXT) | instid1(VALU_DEP_2)
	v_cmp_lt_u32_e32 vcc_lo, 9, v44
	v_pk_add_f32 v[36:37], v[36:37], v[46:47]
	s_or_b32 s5, vcc_lo, s5
	s_delay_alu instid0(SALU_CYCLE_1)
	s_and_not1_b32 exec_lo, exec_lo, s5
	s_cbranch_execnz .LBB80_267
; %bb.268:
	s_or_b32 exec_lo, exec_lo, s5
.LBB80_269:
	s_delay_alu instid0(SALU_CYCLE_1) | instskip(SKIP_4) | instid1(VALU_DEP_1)
	s_or_b32 exec_lo, exec_lo, s4
	v_mov_b32_e32 v40, 0
	ds_load_b64 v[40:41], v40 offset:88
	s_wait_dscnt 0x0
	v_pk_mul_f32 v[44:45], v[36:37], v[40:41] op_sel:[1,1] op_sel_hi:[0,1]
	v_pk_fma_f32 v[46:47], v[36:37], v[40:41], v[44:45] op_sel_hi:[1,0,1]
	v_pk_fma_f32 v[36:37], v[36:37], v[40:41], v[44:45] neg_lo:[0,0,1] neg_hi:[0,0,1]
	s_delay_alu instid0(VALU_DEP_2)
	v_mov_b32_e32 v37, v47
	ds_store_b64 v48, v[36:37] offset:88
.LBB80_270:
	s_or_b32 exec_lo, exec_lo, s0
	ds_load_b64 v[36:37], v48 offset:96
	s_mov_b32 s0, exec_lo
	s_wait_dscnt 0x0
	ds_store_b64 v35, v[36:37]
	s_wait_dscnt 0x0
	s_barrier_signal -1
	s_barrier_wait -1
	v_cmpx_gt_u32_e32 12, v42
	s_cbranch_execz .LBB80_280
; %bb.271:
	v_cmp_ne_u32_e32 vcc_lo, 1, v39
	s_cbranch_vccnz .LBB80_273
; %bb.272:
	ds_load_b64 v[36:37], v38
	ds_load_b64 v[40:41], v35
	s_wait_dscnt 0x0
	v_pk_mul_f32 v[44:45], v[40:41], v[36:37] op_sel:[1,1] op_sel_hi:[0,1]
	s_delay_alu instid0(VALU_DEP_1) | instskip(SKIP_1) | instid1(VALU_DEP_2)
	v_pk_fma_f32 v[46:47], v[40:41], v[36:37], v[44:45] op_sel_hi:[1,0,1]
	v_pk_fma_f32 v[36:37], v[40:41], v[36:37], v[44:45] neg_lo:[0,0,1] neg_hi:[0,0,1]
	v_mov_b32_e32 v37, v47
	s_cbranch_execz .LBB80_274
	s_branch .LBB80_275
.LBB80_273:
                                        ; implicit-def: $vgpr36_vgpr37
.LBB80_274:
	ds_load_b64 v[36:37], v35
.LBB80_275:
	s_mov_b32 s4, exec_lo
	v_cmpx_ne_u32_e32 11, v42
	s_cbranch_execz .LBB80_279
; %bb.276:
	v_add_nc_u32_e32 v40, 0x98, v34
	v_add3_u32 v41, v43, v34, 0x128
	v_mov_b32_e32 v44, v42
	s_mov_b32 s5, 0
.LBB80_277:                             ; =>This Inner Loop Header: Depth=1
	ds_load_b64 v[46:47], v41
	ds_load_b64 v[50:51], v40
	v_dual_add_nc_u32 v40, 8, v40 :: v_dual_add_nc_u32 v41, 8, v41
	s_wait_dscnt 0x0
	v_pk_mul_f32 v[52:53], v[50:51], v[46:47] op_sel:[1,1] op_sel_hi:[0,1]
	s_delay_alu instid0(VALU_DEP_1) | instskip(SKIP_2) | instid1(VALU_DEP_3)
	v_pk_fma_f32 v[54:55], v[50:51], v[46:47], v[52:53] op_sel_hi:[1,0,1]
	v_add_nc_u32_e32 v44, 1, v44
	v_pk_fma_f32 v[46:47], v[50:51], v[46:47], v[52:53] neg_lo:[0,0,1] neg_hi:[0,0,1]
	v_mov_b32_e32 v47, v55
	s_delay_alu instid0(VALU_DEP_3) | instskip(NEXT) | instid1(VALU_DEP_2)
	v_cmp_lt_u32_e32 vcc_lo, 10, v44
	v_pk_add_f32 v[36:37], v[36:37], v[46:47]
	s_or_b32 s5, vcc_lo, s5
	s_delay_alu instid0(SALU_CYCLE_1)
	s_and_not1_b32 exec_lo, exec_lo, s5
	s_cbranch_execnz .LBB80_277
; %bb.278:
	s_or_b32 exec_lo, exec_lo, s5
.LBB80_279:
	s_delay_alu instid0(SALU_CYCLE_1) | instskip(SKIP_4) | instid1(VALU_DEP_1)
	s_or_b32 exec_lo, exec_lo, s4
	v_mov_b32_e32 v40, 0
	ds_load_b64 v[40:41], v40 offset:96
	s_wait_dscnt 0x0
	v_pk_mul_f32 v[44:45], v[36:37], v[40:41] op_sel:[1,1] op_sel_hi:[0,1]
	v_pk_fma_f32 v[46:47], v[36:37], v[40:41], v[44:45] op_sel_hi:[1,0,1]
	v_pk_fma_f32 v[36:37], v[36:37], v[40:41], v[44:45] neg_lo:[0,0,1] neg_hi:[0,0,1]
	s_delay_alu instid0(VALU_DEP_2)
	v_mov_b32_e32 v37, v47
	ds_store_b64 v48, v[36:37] offset:96
.LBB80_280:
	s_or_b32 exec_lo, exec_lo, s0
	ds_load_b64 v[36:37], v48 offset:104
	s_mov_b32 s0, exec_lo
	s_wait_dscnt 0x0
	ds_store_b64 v35, v[36:37]
	s_wait_dscnt 0x0
	s_barrier_signal -1
	s_barrier_wait -1
	v_cmpx_gt_u32_e32 13, v42
	s_cbranch_execz .LBB80_290
; %bb.281:
	v_cmp_ne_u32_e32 vcc_lo, 1, v39
	s_cbranch_vccnz .LBB80_283
; %bb.282:
	ds_load_b64 v[36:37], v38
	ds_load_b64 v[40:41], v35
	s_wait_dscnt 0x0
	v_pk_mul_f32 v[44:45], v[40:41], v[36:37] op_sel:[1,1] op_sel_hi:[0,1]
	s_delay_alu instid0(VALU_DEP_1) | instskip(SKIP_1) | instid1(VALU_DEP_2)
	v_pk_fma_f32 v[46:47], v[40:41], v[36:37], v[44:45] op_sel_hi:[1,0,1]
	v_pk_fma_f32 v[36:37], v[40:41], v[36:37], v[44:45] neg_lo:[0,0,1] neg_hi:[0,0,1]
	v_mov_b32_e32 v37, v47
	s_cbranch_execz .LBB80_284
	s_branch .LBB80_285
.LBB80_283:
                                        ; implicit-def: $vgpr36_vgpr37
.LBB80_284:
	ds_load_b64 v[36:37], v35
.LBB80_285:
	s_mov_b32 s4, exec_lo
	v_cmpx_ne_u32_e32 12, v42
	s_cbranch_execz .LBB80_289
; %bb.286:
	v_add_nc_u32_e32 v40, 0x98, v34
	v_add3_u32 v41, v43, v34, 0x128
	v_mov_b32_e32 v44, v42
	s_mov_b32 s5, 0
.LBB80_287:                             ; =>This Inner Loop Header: Depth=1
	ds_load_b64 v[46:47], v41
	ds_load_b64 v[50:51], v40
	v_dual_add_nc_u32 v40, 8, v40 :: v_dual_add_nc_u32 v41, 8, v41
	s_wait_dscnt 0x0
	v_pk_mul_f32 v[52:53], v[50:51], v[46:47] op_sel:[1,1] op_sel_hi:[0,1]
	s_delay_alu instid0(VALU_DEP_1) | instskip(SKIP_2) | instid1(VALU_DEP_3)
	v_pk_fma_f32 v[54:55], v[50:51], v[46:47], v[52:53] op_sel_hi:[1,0,1]
	v_add_nc_u32_e32 v44, 1, v44
	v_pk_fma_f32 v[46:47], v[50:51], v[46:47], v[52:53] neg_lo:[0,0,1] neg_hi:[0,0,1]
	v_mov_b32_e32 v47, v55
	s_delay_alu instid0(VALU_DEP_3) | instskip(NEXT) | instid1(VALU_DEP_2)
	v_cmp_lt_u32_e32 vcc_lo, 11, v44
	v_pk_add_f32 v[36:37], v[36:37], v[46:47]
	s_or_b32 s5, vcc_lo, s5
	s_delay_alu instid0(SALU_CYCLE_1)
	s_and_not1_b32 exec_lo, exec_lo, s5
	s_cbranch_execnz .LBB80_287
; %bb.288:
	s_or_b32 exec_lo, exec_lo, s5
.LBB80_289:
	s_delay_alu instid0(SALU_CYCLE_1) | instskip(SKIP_4) | instid1(VALU_DEP_1)
	s_or_b32 exec_lo, exec_lo, s4
	v_mov_b32_e32 v40, 0
	ds_load_b64 v[40:41], v40 offset:104
	s_wait_dscnt 0x0
	v_pk_mul_f32 v[44:45], v[36:37], v[40:41] op_sel:[1,1] op_sel_hi:[0,1]
	v_pk_fma_f32 v[46:47], v[36:37], v[40:41], v[44:45] op_sel_hi:[1,0,1]
	v_pk_fma_f32 v[36:37], v[36:37], v[40:41], v[44:45] neg_lo:[0,0,1] neg_hi:[0,0,1]
	s_delay_alu instid0(VALU_DEP_2)
	v_mov_b32_e32 v37, v47
	ds_store_b64 v48, v[36:37] offset:104
.LBB80_290:
	s_or_b32 exec_lo, exec_lo, s0
	ds_load_b64 v[36:37], v48 offset:112
	s_mov_b32 s0, exec_lo
	s_wait_dscnt 0x0
	ds_store_b64 v35, v[36:37]
	s_wait_dscnt 0x0
	s_barrier_signal -1
	s_barrier_wait -1
	v_cmpx_gt_u32_e32 14, v42
	s_cbranch_execz .LBB80_300
; %bb.291:
	v_cmp_ne_u32_e32 vcc_lo, 1, v39
	s_cbranch_vccnz .LBB80_293
; %bb.292:
	ds_load_b64 v[36:37], v38
	ds_load_b64 v[40:41], v35
	s_wait_dscnt 0x0
	v_pk_mul_f32 v[44:45], v[40:41], v[36:37] op_sel:[1,1] op_sel_hi:[0,1]
	s_delay_alu instid0(VALU_DEP_1) | instskip(SKIP_1) | instid1(VALU_DEP_2)
	v_pk_fma_f32 v[46:47], v[40:41], v[36:37], v[44:45] op_sel_hi:[1,0,1]
	v_pk_fma_f32 v[36:37], v[40:41], v[36:37], v[44:45] neg_lo:[0,0,1] neg_hi:[0,0,1]
	v_mov_b32_e32 v37, v47
	s_cbranch_execz .LBB80_294
	s_branch .LBB80_295
.LBB80_293:
                                        ; implicit-def: $vgpr36_vgpr37
.LBB80_294:
	ds_load_b64 v[36:37], v35
.LBB80_295:
	s_mov_b32 s4, exec_lo
	v_cmpx_ne_u32_e32 13, v42
	s_cbranch_execz .LBB80_299
; %bb.296:
	v_add_nc_u32_e32 v40, 0x98, v34
	v_add3_u32 v41, v43, v34, 0x128
	v_mov_b32_e32 v44, v42
	s_mov_b32 s5, 0
.LBB80_297:                             ; =>This Inner Loop Header: Depth=1
	ds_load_b64 v[46:47], v41
	ds_load_b64 v[50:51], v40
	v_dual_add_nc_u32 v40, 8, v40 :: v_dual_add_nc_u32 v41, 8, v41
	s_wait_dscnt 0x0
	v_pk_mul_f32 v[52:53], v[50:51], v[46:47] op_sel:[1,1] op_sel_hi:[0,1]
	s_delay_alu instid0(VALU_DEP_1) | instskip(SKIP_2) | instid1(VALU_DEP_3)
	v_pk_fma_f32 v[54:55], v[50:51], v[46:47], v[52:53] op_sel_hi:[1,0,1]
	v_add_nc_u32_e32 v44, 1, v44
	v_pk_fma_f32 v[46:47], v[50:51], v[46:47], v[52:53] neg_lo:[0,0,1] neg_hi:[0,0,1]
	v_mov_b32_e32 v47, v55
	s_delay_alu instid0(VALU_DEP_3) | instskip(NEXT) | instid1(VALU_DEP_2)
	v_cmp_lt_u32_e32 vcc_lo, 12, v44
	v_pk_add_f32 v[36:37], v[36:37], v[46:47]
	s_or_b32 s5, vcc_lo, s5
	s_delay_alu instid0(SALU_CYCLE_1)
	s_and_not1_b32 exec_lo, exec_lo, s5
	s_cbranch_execnz .LBB80_297
; %bb.298:
	s_or_b32 exec_lo, exec_lo, s5
.LBB80_299:
	s_delay_alu instid0(SALU_CYCLE_1) | instskip(SKIP_4) | instid1(VALU_DEP_1)
	s_or_b32 exec_lo, exec_lo, s4
	v_mov_b32_e32 v40, 0
	ds_load_b64 v[40:41], v40 offset:112
	s_wait_dscnt 0x0
	v_pk_mul_f32 v[44:45], v[36:37], v[40:41] op_sel:[1,1] op_sel_hi:[0,1]
	v_pk_fma_f32 v[46:47], v[36:37], v[40:41], v[44:45] op_sel_hi:[1,0,1]
	v_pk_fma_f32 v[36:37], v[36:37], v[40:41], v[44:45] neg_lo:[0,0,1] neg_hi:[0,0,1]
	s_delay_alu instid0(VALU_DEP_2)
	v_mov_b32_e32 v37, v47
	ds_store_b64 v48, v[36:37] offset:112
.LBB80_300:
	s_or_b32 exec_lo, exec_lo, s0
	ds_load_b64 v[36:37], v48 offset:120
	v_cmp_gt_u32_e64 s0, 15, v42
	s_wait_dscnt 0x0
	ds_store_b64 v35, v[36:37]
	s_wait_dscnt 0x0
	s_barrier_signal -1
	s_barrier_wait -1
	s_and_saveexec_b32 s4, s0
	s_cbranch_execz .LBB80_310
; %bb.301:
	v_cmp_ne_u32_e32 vcc_lo, 1, v39
	s_cbranch_vccnz .LBB80_303
; %bb.302:
	ds_load_b64 v[36:37], v38
	ds_load_b64 v[40:41], v35
	s_wait_dscnt 0x0
	v_pk_mul_f32 v[44:45], v[40:41], v[36:37] op_sel:[1,1] op_sel_hi:[0,1]
	s_delay_alu instid0(VALU_DEP_1) | instskip(SKIP_1) | instid1(VALU_DEP_2)
	v_pk_fma_f32 v[46:47], v[40:41], v[36:37], v[44:45] op_sel_hi:[1,0,1]
	v_pk_fma_f32 v[36:37], v[40:41], v[36:37], v[44:45] neg_lo:[0,0,1] neg_hi:[0,0,1]
	v_mov_b32_e32 v37, v47
	s_cbranch_execz .LBB80_304
	s_branch .LBB80_305
.LBB80_303:
                                        ; implicit-def: $vgpr36_vgpr37
.LBB80_304:
	ds_load_b64 v[36:37], v35
.LBB80_305:
	s_mov_b32 s5, exec_lo
	v_cmpx_ne_u32_e32 14, v42
	s_cbranch_execz .LBB80_309
; %bb.306:
	v_add_nc_u32_e32 v40, 0x98, v34
	v_add3_u32 v41, v43, v34, 0x128
	v_mov_b32_e32 v44, v42
	s_mov_b32 s6, 0
.LBB80_307:                             ; =>This Inner Loop Header: Depth=1
	ds_load_b64 v[46:47], v41
	ds_load_b64 v[50:51], v40
	v_dual_add_nc_u32 v40, 8, v40 :: v_dual_add_nc_u32 v41, 8, v41
	s_wait_dscnt 0x0
	v_pk_mul_f32 v[52:53], v[50:51], v[46:47] op_sel:[1,1] op_sel_hi:[0,1]
	s_delay_alu instid0(VALU_DEP_1) | instskip(SKIP_2) | instid1(VALU_DEP_3)
	v_pk_fma_f32 v[54:55], v[50:51], v[46:47], v[52:53] op_sel_hi:[1,0,1]
	v_add_nc_u32_e32 v44, 1, v44
	v_pk_fma_f32 v[46:47], v[50:51], v[46:47], v[52:53] neg_lo:[0,0,1] neg_hi:[0,0,1]
	v_mov_b32_e32 v47, v55
	s_delay_alu instid0(VALU_DEP_3) | instskip(NEXT) | instid1(VALU_DEP_2)
	v_cmp_lt_u32_e32 vcc_lo, 13, v44
	v_pk_add_f32 v[36:37], v[36:37], v[46:47]
	s_or_b32 s6, vcc_lo, s6
	s_delay_alu instid0(SALU_CYCLE_1)
	s_and_not1_b32 exec_lo, exec_lo, s6
	s_cbranch_execnz .LBB80_307
; %bb.308:
	s_or_b32 exec_lo, exec_lo, s6
.LBB80_309:
	s_delay_alu instid0(SALU_CYCLE_1) | instskip(SKIP_4) | instid1(VALU_DEP_1)
	s_or_b32 exec_lo, exec_lo, s5
	v_mov_b32_e32 v40, 0
	ds_load_b64 v[40:41], v40 offset:120
	s_wait_dscnt 0x0
	v_pk_mul_f32 v[44:45], v[36:37], v[40:41] op_sel:[1,1] op_sel_hi:[0,1]
	v_pk_fma_f32 v[46:47], v[36:37], v[40:41], v[44:45] op_sel_hi:[1,0,1]
	v_pk_fma_f32 v[36:37], v[36:37], v[40:41], v[44:45] neg_lo:[0,0,1] neg_hi:[0,0,1]
	s_delay_alu instid0(VALU_DEP_2)
	v_mov_b32_e32 v37, v47
	ds_store_b64 v48, v[36:37] offset:120
.LBB80_310:
	s_or_b32 exec_lo, exec_lo, s4
	ds_load_b64 v[36:37], v48 offset:128
	s_mov_b32 s4, exec_lo
                                        ; implicit-def: $vgpr49
                                        ; implicit-def: $vgpr50
	s_wait_dscnt 0x0
	ds_store_b64 v35, v[36:37]
	s_wait_dscnt 0x0
	s_barrier_signal -1
	s_barrier_wait -1
	v_cmpx_ne_u32_e32 16, v42
	s_cbranch_execz .LBB80_320
; %bb.311:
	v_cmp_ne_u32_e32 vcc_lo, 1, v39
	s_cbranch_vccnz .LBB80_313
; %bb.312:
	ds_load_b64 v[38:39], v38
	ds_load_b64 v[40:41], v35
	s_wait_dscnt 0x0
	v_dual_mul_f32 v36, v41, v39 :: v_dual_mul_f32 v37, v40, v39
	s_delay_alu instid0(VALU_DEP_1)
	v_dual_fma_f32 v36, v40, v38, -v36 :: v_dual_fmac_f32 v37, v41, v38
	s_cbranch_execz .LBB80_314
	s_branch .LBB80_315
.LBB80_313:
                                        ; implicit-def: $vgpr37
.LBB80_314:
	ds_load_b64 v[36:37], v35
.LBB80_315:
	s_and_saveexec_b32 s5, s0
	s_cbranch_execz .LBB80_319
; %bb.316:
	v_add_nc_u32_e32 v35, 0x98, v34
	v_add3_u32 v34, v43, v34, 0x128
	s_mov_b32 s0, 0
.LBB80_317:                             ; =>This Inner Loop Header: Depth=1
	ds_load_b64 v[38:39], v34
	ds_load_b64 v[40:41], v35
	v_dual_add_nc_u32 v42, 1, v42 :: v_dual_add_nc_u32 v35, 8, v35
	v_add_nc_u32_e32 v34, 8, v34
	s_delay_alu instid0(VALU_DEP_2) | instskip(SKIP_3) | instid1(VALU_DEP_1)
	v_cmp_lt_u32_e32 vcc_lo, 14, v42
	s_or_b32 s0, vcc_lo, s0
	s_wait_dscnt 0x0
	v_dual_mul_f32 v43, v41, v39 :: v_dual_mul_f32 v39, v40, v39
	v_fmac_f32_e32 v39, v41, v38
	s_delay_alu instid0(VALU_DEP_1) | instskip(NEXT) | instid1(VALU_DEP_1)
	v_dual_fma_f32 v40, v40, v38, -v43 :: v_dual_add_f32 v37, v37, v39
	v_add_f32_e32 v36, v36, v40
	s_and_not1_b32 exec_lo, exec_lo, s0
	s_cbranch_execnz .LBB80_317
; %bb.318:
	s_or_b32 exec_lo, exec_lo, s0
.LBB80_319:
	s_delay_alu instid0(SALU_CYCLE_1)
	s_or_b32 exec_lo, exec_lo, s5
	v_mov_b32_e32 v34, 0
	s_or_b32 s1, s1, exec_lo
	v_add_nc_u32_e32 v50, 0x84, v48
	ds_load_b64 v[34:35], v34 offset:128
	s_wait_dscnt 0x0
	v_dual_mul_f32 v38, v37, v35 :: v_dual_mul_f32 v49, v36, v35
	s_delay_alu instid0(VALU_DEP_1)
	v_dual_fma_f32 v35, v36, v34, -v38 :: v_dual_fmac_f32 v49, v37, v34
	ds_store_b32 v48, v35 offset:128
.LBB80_320:
	s_or_b32 exec_lo, exec_lo, s4
.LBB80_321:
	v_lshl_add_u64 v[46:47], v[4:5], 3, s[2:3]
	v_lshl_add_u64 v[44:45], v[6:7], 3, s[2:3]
	;; [unrolled: 1-line block ×15, first 2 shown]
	s_and_saveexec_b32 s0, s1
; %bb.322:
	ds_store_b32 v50, v49
; %bb.323:
	s_or_b32 exec_lo, exec_lo, s0
	ds_load_b64 v[20:21], v48
	s_wait_dscnt 0x0
	flat_store_b64 v[0:1], v[20:21]
	s_wait_xcnt 0x0
	ds_load_b64 v[0:1], v48 offset:8
	s_wait_dscnt 0x0
	flat_store_b64 v[2:3], v[0:1]
	s_wait_xcnt 0x0
	ds_load_b64 v[0:1], v48 offset:16
	;; [unrolled: 4-line block ×16, first 2 shown]
	s_wait_dscnt 0x0
	flat_store_b64 v[4:5], v[0:1]
.LBB80_324:
	s_endpgm
	.section	.rodata,"a",@progbits
	.p2align	6, 0x0
	.amdhsa_kernel _ZN9rocsolver6v33100L18trti2_kernel_smallILi17E19rocblas_complex_numIfEPKPS3_EEv13rocblas_fill_17rocblas_diagonal_T1_iil
		.amdhsa_group_segment_fixed_size 8992
		.amdhsa_private_segment_fixed_size 0
		.amdhsa_kernarg_size 32
		.amdhsa_user_sgpr_count 4
		.amdhsa_user_sgpr_dispatch_ptr 1
		.amdhsa_user_sgpr_queue_ptr 0
		.amdhsa_user_sgpr_kernarg_segment_ptr 1
		.amdhsa_user_sgpr_dispatch_id 0
		.amdhsa_user_sgpr_kernarg_preload_length 0
		.amdhsa_user_sgpr_kernarg_preload_offset 0
		.amdhsa_user_sgpr_private_segment_size 0
		.amdhsa_wavefront_size32 1
		.amdhsa_uses_dynamic_stack 0
		.amdhsa_enable_private_segment 0
		.amdhsa_system_sgpr_workgroup_id_x 1
		.amdhsa_system_sgpr_workgroup_id_y 0
		.amdhsa_system_sgpr_workgroup_id_z 0
		.amdhsa_system_sgpr_workgroup_info 0
		.amdhsa_system_vgpr_workitem_id 2
		.amdhsa_next_free_vgpr 56
		.amdhsa_next_free_sgpr 12
		.amdhsa_named_barrier_count 0
		.amdhsa_reserve_vcc 1
		.amdhsa_float_round_mode_32 0
		.amdhsa_float_round_mode_16_64 0
		.amdhsa_float_denorm_mode_32 3
		.amdhsa_float_denorm_mode_16_64 3
		.amdhsa_fp16_overflow 0
		.amdhsa_memory_ordered 1
		.amdhsa_forward_progress 1
		.amdhsa_inst_pref_size 96
		.amdhsa_round_robin_scheduling 0
		.amdhsa_exception_fp_ieee_invalid_op 0
		.amdhsa_exception_fp_denorm_src 0
		.amdhsa_exception_fp_ieee_div_zero 0
		.amdhsa_exception_fp_ieee_overflow 0
		.amdhsa_exception_fp_ieee_underflow 0
		.amdhsa_exception_fp_ieee_inexact 0
		.amdhsa_exception_int_div_zero 0
	.end_amdhsa_kernel
	.section	.text._ZN9rocsolver6v33100L18trti2_kernel_smallILi17E19rocblas_complex_numIfEPKPS3_EEv13rocblas_fill_17rocblas_diagonal_T1_iil,"axG",@progbits,_ZN9rocsolver6v33100L18trti2_kernel_smallILi17E19rocblas_complex_numIfEPKPS3_EEv13rocblas_fill_17rocblas_diagonal_T1_iil,comdat
.Lfunc_end80:
	.size	_ZN9rocsolver6v33100L18trti2_kernel_smallILi17E19rocblas_complex_numIfEPKPS3_EEv13rocblas_fill_17rocblas_diagonal_T1_iil, .Lfunc_end80-_ZN9rocsolver6v33100L18trti2_kernel_smallILi17E19rocblas_complex_numIfEPKPS3_EEv13rocblas_fill_17rocblas_diagonal_T1_iil
                                        ; -- End function
	.set _ZN9rocsolver6v33100L18trti2_kernel_smallILi17E19rocblas_complex_numIfEPKPS3_EEv13rocblas_fill_17rocblas_diagonal_T1_iil.num_vgpr, 56
	.set _ZN9rocsolver6v33100L18trti2_kernel_smallILi17E19rocblas_complex_numIfEPKPS3_EEv13rocblas_fill_17rocblas_diagonal_T1_iil.num_agpr, 0
	.set _ZN9rocsolver6v33100L18trti2_kernel_smallILi17E19rocblas_complex_numIfEPKPS3_EEv13rocblas_fill_17rocblas_diagonal_T1_iil.numbered_sgpr, 12
	.set _ZN9rocsolver6v33100L18trti2_kernel_smallILi17E19rocblas_complex_numIfEPKPS3_EEv13rocblas_fill_17rocblas_diagonal_T1_iil.num_named_barrier, 0
	.set _ZN9rocsolver6v33100L18trti2_kernel_smallILi17E19rocblas_complex_numIfEPKPS3_EEv13rocblas_fill_17rocblas_diagonal_T1_iil.private_seg_size, 0
	.set _ZN9rocsolver6v33100L18trti2_kernel_smallILi17E19rocblas_complex_numIfEPKPS3_EEv13rocblas_fill_17rocblas_diagonal_T1_iil.uses_vcc, 1
	.set _ZN9rocsolver6v33100L18trti2_kernel_smallILi17E19rocblas_complex_numIfEPKPS3_EEv13rocblas_fill_17rocblas_diagonal_T1_iil.uses_flat_scratch, 0
	.set _ZN9rocsolver6v33100L18trti2_kernel_smallILi17E19rocblas_complex_numIfEPKPS3_EEv13rocblas_fill_17rocblas_diagonal_T1_iil.has_dyn_sized_stack, 0
	.set _ZN9rocsolver6v33100L18trti2_kernel_smallILi17E19rocblas_complex_numIfEPKPS3_EEv13rocblas_fill_17rocblas_diagonal_T1_iil.has_recursion, 0
	.set _ZN9rocsolver6v33100L18trti2_kernel_smallILi17E19rocblas_complex_numIfEPKPS3_EEv13rocblas_fill_17rocblas_diagonal_T1_iil.has_indirect_call, 0
	.section	.AMDGPU.csdata,"",@progbits
; Kernel info:
; codeLenInByte = 12248
; TotalNumSgprs: 14
; NumVgprs: 56
; ScratchSize: 0
; MemoryBound: 0
; FloatMode: 240
; IeeeMode: 1
; LDSByteSize: 8992 bytes/workgroup (compile time only)
; SGPRBlocks: 0
; VGPRBlocks: 3
; NumSGPRsForWavesPerEU: 14
; NumVGPRsForWavesPerEU: 56
; NamedBarCnt: 0
; Occupancy: 9
; WaveLimiterHint : 1
; COMPUTE_PGM_RSRC2:SCRATCH_EN: 0
; COMPUTE_PGM_RSRC2:USER_SGPR: 4
; COMPUTE_PGM_RSRC2:TRAP_HANDLER: 0
; COMPUTE_PGM_RSRC2:TGID_X_EN: 1
; COMPUTE_PGM_RSRC2:TGID_Y_EN: 0
; COMPUTE_PGM_RSRC2:TGID_Z_EN: 0
; COMPUTE_PGM_RSRC2:TIDIG_COMP_CNT: 2
	.section	.text._ZN9rocsolver6v33100L18trti2_kernel_smallILi18E19rocblas_complex_numIfEPKPS3_EEv13rocblas_fill_17rocblas_diagonal_T1_iil,"axG",@progbits,_ZN9rocsolver6v33100L18trti2_kernel_smallILi18E19rocblas_complex_numIfEPKPS3_EEv13rocblas_fill_17rocblas_diagonal_T1_iil,comdat
	.globl	_ZN9rocsolver6v33100L18trti2_kernel_smallILi18E19rocblas_complex_numIfEPKPS3_EEv13rocblas_fill_17rocblas_diagonal_T1_iil ; -- Begin function _ZN9rocsolver6v33100L18trti2_kernel_smallILi18E19rocblas_complex_numIfEPKPS3_EEv13rocblas_fill_17rocblas_diagonal_T1_iil
	.p2align	8
	.type	_ZN9rocsolver6v33100L18trti2_kernel_smallILi18E19rocblas_complex_numIfEPKPS3_EEv13rocblas_fill_17rocblas_diagonal_T1_iil,@function
_ZN9rocsolver6v33100L18trti2_kernel_smallILi18E19rocblas_complex_numIfEPKPS3_EEv13rocblas_fill_17rocblas_diagonal_T1_iil: ; @_ZN9rocsolver6v33100L18trti2_kernel_smallILi18E19rocblas_complex_numIfEPKPS3_EEv13rocblas_fill_17rocblas_diagonal_T1_iil
; %bb.0:
	v_and_b32_e32 v44, 0x3ff, v0
	s_mov_b32 s4, exec_lo
	s_delay_alu instid0(VALU_DEP_1)
	v_cmpx_gt_u32_e32 18, v44
	s_cbranch_execz .LBB81_344
; %bb.1:
	s_load_b64 s[10:11], s[0:1], 0x4
	s_clause 0x1
	s_load_b64 s[8:9], s[2:3], 0x10
	s_load_b128 s[4:7], s[2:3], 0x0
	s_wait_xcnt 0x0
	s_bfe_u32 s0, ttmp6, 0x4000c
	s_and_b32 s1, ttmp6, 15
	s_add_co_i32 s0, s0, 1
	s_getreg_b32 s2, hwreg(HW_REG_IB_STS2, 6, 4)
	s_mul_i32 s0, ttmp9, s0
	v_bfe_u32 v1, v0, 10, 10
	s_add_co_i32 s0, s1, s0
	v_bfe_u32 v0, v0, 20, 10
	v_dual_mov_b32 v37, 0 :: v_dual_lshlrev_b32 v36, 3, v44
	s_wait_kmcnt 0x0
	s_lshr_b32 s10, s10, 16
	s_ashr_i32 s1, s8, 31
	s_cmp_eq_u32 s2, 0
	s_mul_i32 s10, s10, s11
	s_cselect_b32 s2, ttmp9, s0
	s_mov_b32 s0, s8
	s_ashr_i32 s3, s2, 31
	s_lshl_b64 s[0:1], s[0:1], 3
	s_lshl_b64 s[2:3], s[2:3], 3
	v_mul_u32_u24_e32 v1, s11, v1
	s_add_nc_u64 s[2:3], s[6:7], s[2:3]
	v_mul_u32_u24_e32 v2, s10, v44
	s_load_b64 s[2:3], s[2:3], 0x0
	s_delay_alu instid0(VALU_DEP_1) | instskip(NEXT) | instid1(VALU_DEP_1)
	v_add3_u32 v46, v2, v1, v0
	v_mul_lo_u32 v45, 0x90, v46
	s_delay_alu instid0(VALU_DEP_1)
	v_add_nc_u32_e32 v52, 0x120, v45
	s_wait_kmcnt 0x0
	s_add_nc_u64 s[6:7], s[2:3], s[0:1]
	s_mov_b32 s0, s9
	flat_load_b64 v[4:5], v44, s[6:7] scale_offset
	v_add_nc_u64_e32 v[0:1], s[6:7], v[36:37]
	s_ashr_i32 s1, s9, 31
	s_cmp_lg_u32 s5, 0x84
	s_cselect_b32 s3, -1, 0
	s_delay_alu instid0(SALU_CYCLE_1) | instskip(NEXT) | instid1(VALU_DEP_1)
	s_and_b32 vcc_lo, exec_lo, s3
	v_lshl_add_u64 v[2:3], s[0:1], 3, v[0:1]
	s_mov_b32 s0, -1
	s_wait_loadcnt_dscnt 0x0
	ds_store_b64 v45, v[4:5] offset:288
	flat_load_b64 v[6:7], v[2:3]
	v_add3_u32 v4, s9, s9, v44
	s_wait_loadcnt_dscnt 0x0
	ds_store_b64 v45, v[6:7] offset:296
	flat_load_b64 v[8:9], v4, s[6:7] scale_offset
	v_add_nc_u32_e32 v6, s9, v4
	s_wait_loadcnt_dscnt 0x0
	ds_store_b64 v45, v[8:9] offset:304
	flat_load_b64 v[10:11], v6, s[6:7] scale_offset
	v_add_nc_u32_e32 v8, s9, v6
	s_wait_loadcnt_dscnt 0x0
	ds_store_b64 v45, v[10:11] offset:312
	flat_load_b64 v[12:13], v8, s[6:7] scale_offset
	v_add_nc_u32_e32 v10, s9, v8
	s_wait_loadcnt_dscnt 0x0
	ds_store_b64 v45, v[12:13] offset:320
	flat_load_b64 v[14:15], v10, s[6:7] scale_offset
	v_add_nc_u32_e32 v12, s9, v10
	s_wait_loadcnt_dscnt 0x0
	ds_store_b64 v45, v[14:15] offset:328
	flat_load_b64 v[16:17], v12, s[6:7] scale_offset
	v_add_nc_u32_e32 v14, s9, v12
	s_wait_loadcnt_dscnt 0x0
	ds_store_b64 v45, v[16:17] offset:336
	flat_load_b64 v[18:19], v14, s[6:7] scale_offset
	v_add_nc_u32_e32 v16, s9, v14
	s_wait_loadcnt_dscnt 0x0
	ds_store_b64 v45, v[18:19] offset:344
	flat_load_b64 v[20:21], v16, s[6:7] scale_offset
	v_add_nc_u32_e32 v18, s9, v16
	s_wait_loadcnt_dscnt 0x0
	ds_store_b64 v45, v[20:21] offset:352
	flat_load_b64 v[22:23], v18, s[6:7] scale_offset
	v_add_nc_u32_e32 v20, s9, v18
	s_wait_loadcnt_dscnt 0x0
	ds_store_b64 v45, v[22:23] offset:360
	flat_load_b64 v[24:25], v20, s[6:7] scale_offset
	v_add_nc_u32_e32 v22, s9, v20
	s_wait_loadcnt_dscnt 0x0
	ds_store_b64 v45, v[24:25] offset:368
	flat_load_b64 v[26:27], v22, s[6:7] scale_offset
	v_add_nc_u32_e32 v24, s9, v22
	s_wait_loadcnt_dscnt 0x0
	ds_store_b64 v45, v[26:27] offset:376
	flat_load_b64 v[28:29], v24, s[6:7] scale_offset
	v_add_nc_u32_e32 v26, s9, v24
	s_wait_loadcnt_dscnt 0x0
	ds_store_b64 v45, v[28:29] offset:384
	flat_load_b64 v[30:31], v26, s[6:7] scale_offset
	v_add_nc_u32_e32 v28, s9, v26
	s_wait_loadcnt_dscnt 0x0
	ds_store_b64 v45, v[30:31] offset:392
	flat_load_b64 v[32:33], v28, s[6:7] scale_offset
	v_add_nc_u32_e32 v30, s9, v28
	s_wait_loadcnt_dscnt 0x0
	ds_store_b64 v45, v[32:33] offset:400
	flat_load_b64 v[34:35], v30, s[6:7] scale_offset
	v_add_nc_u32_e32 v32, s9, v30
	s_wait_loadcnt_dscnt 0x0
	ds_store_b64 v45, v[34:35] offset:408
	flat_load_b64 v[38:39], v32, s[6:7] scale_offset
	v_add_nc_u32_e32 v34, s9, v32
	s_wait_loadcnt_dscnt 0x0
	ds_store_b64 v45, v[38:39] offset:416
	flat_load_b64 v[38:39], v34, s[6:7] scale_offset
	s_wait_loadcnt_dscnt 0x0
	ds_store_b64 v45, v[38:39] offset:424
	s_cbranch_vccz .LBB81_7
; %bb.2:
	v_lshl_add_u32 v5, v44, 3, v52
                                        ; implicit-def: $vgpr43
                                        ; implicit-def: $vgpr40
	ds_load_b64 v[38:39], v5
	s_wait_dscnt 0x0
	v_cmp_ngt_f32_e64 s0, |v38|, |v39|
	s_and_saveexec_b32 s1, s0
	s_delay_alu instid0(SALU_CYCLE_1)
	s_xor_b32 s0, exec_lo, s1
	s_cbranch_execz .LBB81_4
; %bb.3:
	v_div_scale_f32 v7, null, v39, v39, v38
	v_div_scale_f32 v13, vcc_lo, v38, v39, v38
	s_delay_alu instid0(VALU_DEP_2) | instskip(SKIP_1) | instid1(TRANS32_DEP_1)
	v_rcp_f32_e32 v9, v7
	v_nop
	v_fma_f32 v11, -v7, v9, 1.0
	s_delay_alu instid0(VALU_DEP_1) | instskip(NEXT) | instid1(VALU_DEP_1)
	v_fmac_f32_e32 v9, v11, v9
	v_mul_f32_e32 v11, v13, v9
	s_delay_alu instid0(VALU_DEP_1) | instskip(NEXT) | instid1(VALU_DEP_1)
	v_fma_f32 v15, -v7, v11, v13
	v_fmac_f32_e32 v11, v15, v9
	s_delay_alu instid0(VALU_DEP_1) | instskip(NEXT) | instid1(VALU_DEP_1)
	v_fma_f32 v7, -v7, v11, v13
	v_div_fmas_f32 v7, v7, v9, v11
	s_delay_alu instid0(VALU_DEP_1) | instskip(NEXT) | instid1(VALU_DEP_1)
	v_div_fixup_f32 v7, v7, v39, v38
	v_fmac_f32_e32 v39, v38, v7
	s_delay_alu instid0(VALU_DEP_1) | instskip(NEXT) | instid1(VALU_DEP_1)
	v_div_scale_f32 v9, null, v39, v39, -1.0
	v_rcp_f32_e32 v11, v9
	v_nop
	s_delay_alu instid0(TRANS32_DEP_1) | instskip(NEXT) | instid1(VALU_DEP_1)
	v_fma_f32 v13, -v9, v11, 1.0
	v_fmac_f32_e32 v11, v13, v11
	v_div_scale_f32 v13, vcc_lo, -1.0, v39, -1.0
	s_delay_alu instid0(VALU_DEP_1) | instskip(NEXT) | instid1(VALU_DEP_1)
	v_mul_f32_e32 v15, v13, v11
	v_fma_f32 v17, -v9, v15, v13
	s_delay_alu instid0(VALU_DEP_1) | instskip(NEXT) | instid1(VALU_DEP_1)
	v_fmac_f32_e32 v15, v17, v11
	v_fma_f32 v9, -v9, v15, v13
	s_delay_alu instid0(VALU_DEP_1) | instskip(NEXT) | instid1(VALU_DEP_1)
	v_div_fmas_f32 v9, v9, v11, v15
	v_div_fixup_f32 v43, v9, v39, -1.0
                                        ; implicit-def: $vgpr38_vgpr39
	s_delay_alu instid0(VALU_DEP_1) | instskip(NEXT) | instid1(VALU_DEP_1)
	v_mul_f32_e32 v40, v7, v43
	v_xor_b32_e32 v42, 0x80000000, v40
.LBB81_4:
	s_and_not1_saveexec_b32 s0, s0
	s_cbranch_execz .LBB81_6
; %bb.5:
	v_div_scale_f32 v7, null, v38, v38, v39
	v_div_scale_f32 v13, vcc_lo, v39, v38, v39
	s_delay_alu instid0(VALU_DEP_2) | instskip(SKIP_1) | instid1(TRANS32_DEP_1)
	v_rcp_f32_e32 v9, v7
	v_nop
	v_fma_f32 v11, -v7, v9, 1.0
	s_delay_alu instid0(VALU_DEP_1) | instskip(NEXT) | instid1(VALU_DEP_1)
	v_fmac_f32_e32 v9, v11, v9
	v_mul_f32_e32 v11, v13, v9
	s_delay_alu instid0(VALU_DEP_1) | instskip(NEXT) | instid1(VALU_DEP_1)
	v_fma_f32 v15, -v7, v11, v13
	v_fmac_f32_e32 v11, v15, v9
	s_delay_alu instid0(VALU_DEP_1) | instskip(NEXT) | instid1(VALU_DEP_1)
	v_fma_f32 v7, -v7, v11, v13
	v_div_fmas_f32 v7, v7, v9, v11
	s_delay_alu instid0(VALU_DEP_1) | instskip(NEXT) | instid1(VALU_DEP_1)
	v_div_fixup_f32 v7, v7, v38, v39
	v_fmac_f32_e32 v38, v39, v7
	s_delay_alu instid0(VALU_DEP_1) | instskip(SKIP_1) | instid1(VALU_DEP_2)
	v_div_scale_f32 v9, null, v38, v38, 1.0
	v_div_scale_f32 v15, vcc_lo, 1.0, v38, 1.0
	v_rcp_f32_e32 v11, v9
	v_nop
	s_delay_alu instid0(TRANS32_DEP_1) | instskip(NEXT) | instid1(VALU_DEP_1)
	v_fma_f32 v13, -v9, v11, 1.0
	v_fmac_f32_e32 v11, v13, v11
	s_delay_alu instid0(VALU_DEP_1) | instskip(NEXT) | instid1(VALU_DEP_1)
	v_mul_f32_e32 v13, v15, v11
	v_fma_f32 v17, -v9, v13, v15
	s_delay_alu instid0(VALU_DEP_1) | instskip(NEXT) | instid1(VALU_DEP_1)
	v_fmac_f32_e32 v13, v17, v11
	v_fma_f32 v9, -v9, v13, v15
	s_delay_alu instid0(VALU_DEP_1) | instskip(NEXT) | instid1(VALU_DEP_1)
	v_div_fmas_f32 v9, v9, v11, v13
	v_div_fixup_f32 v42, v9, v38, 1.0
	s_delay_alu instid0(VALU_DEP_1)
	v_xor_b32_e32 v40, 0x80000000, v42
	v_mul_f32_e64 v43, v7, -v42
.LBB81_6:
	s_or_b32 exec_lo, exec_lo, s0
	s_delay_alu instid0(VALU_DEP_1)
	v_xor_b32_e32 v41, 0x80000000, v43
	s_mov_b32 s0, 0
	ds_store_b64 v5, v[42:43]
	ds_store_b64 v36, v[40:41]
.LBB81_7:
	s_and_b32 vcc_lo, exec_lo, s0
	s_cbranch_vccz .LBB81_9
; %bb.8:
	s_mov_b64 s[0:1], 0xbf800000
	s_delay_alu instid0(SALU_CYCLE_1)
	v_mov_b64_e32 v[38:39], s[0:1]
	ds_store_b64 v36, v[38:39]
.LBB81_9:
	v_dual_ashrrev_i32 v5, 31, v4 :: v_dual_ashrrev_i32 v7, 31, v6
	v_dual_ashrrev_i32 v9, 31, v8 :: v_dual_ashrrev_i32 v11, 31, v10
	;; [unrolled: 1-line block ×8, first 2 shown]
	v_add_nc_u32_e32 v37, 0x90, v36
	v_add_nc_u32_e32 v40, v52, v36
	s_cmp_eq_u32 s4, 0x79
	s_cbranch_scc1 .LBB81_13
; %bb.10:
	ds_load_b64 v[38:39], v52 offset:128
	v_cmp_eq_u32_e64 s0, 17, v44
	s_wait_dscnt 0x0
	ds_store_b64 v37, v[38:39]
	s_wait_dscnt 0x0
	s_barrier_signal -1
	s_barrier_wait -1
	s_and_saveexec_b32 s1, s0
	s_cbranch_execz .LBB81_17
; %bb.11:
	s_and_b32 vcc_lo, exec_lo, s3
	s_cbranch_vccz .LBB81_14
; %bb.12:
	ds_load_b64 v[38:39], v40
	ds_load_b64 v[42:43], v37
	s_wait_dscnt 0x0
	v_pk_mul_f32 v[48:49], v[42:43], v[38:39] op_sel:[1,1] op_sel_hi:[0,1]
	v_pk_mul_f32 v[50:51], v[42:43], v[38:39] op_sel_hi:[1,0]
	s_delay_alu instid0(VALU_DEP_2) | instskip(NEXT) | instid1(VALU_DEP_2)
	v_pk_fma_f32 v[38:39], v[42:43], v[38:39], v[48:49] op_sel_hi:[1,0,1]
	v_sub_f32_e32 v38, v50, v48
	s_cbranch_execz .LBB81_15
	s_branch .LBB81_16
.LBB81_13:
	s_mov_b32 s1, 0
                                        ; implicit-def: $vgpr53
                                        ; implicit-def: $vgpr54
	s_cbranch_execnz .LBB81_176
	s_branch .LBB81_341
.LBB81_14:
                                        ; implicit-def: $vgpr39
.LBB81_15:
	ds_load_b64 v[38:39], v37
.LBB81_16:
	s_wait_dscnt 0x0
	v_dual_mov_b32 v41, 0 :: v_dual_mov_b32 v48, v39
	v_mov_b32_e32 v49, v38
	ds_load_b64 v[42:43], v41 offset:128
	s_wait_dscnt 0x0
	v_pk_mul_f32 v[48:49], v[48:49], v[42:43] op_sel:[0,1]
	s_delay_alu instid0(VALU_DEP_1) | instskip(SKIP_1) | instid1(VALU_DEP_2)
	v_pk_fma_f32 v[50:51], v[38:39], v[42:43], v[48:49] op_sel_hi:[1,0,1]
	v_pk_fma_f32 v[38:39], v[38:39], v[42:43], v[48:49] neg_lo:[0,0,1] neg_hi:[0,0,1]
	v_mov_b32_e32 v39, v51
	ds_store_b64 v52, v[38:39] offset:128
.LBB81_17:
	s_or_b32 exec_lo, exec_lo, s1
	ds_load_b64 v[38:39], v52 offset:120
	v_cmp_lt_u32_e64 s1, 15, v44
	s_wait_dscnt 0x0
	ds_store_b64 v37, v[38:39]
	s_wait_dscnt 0x0
	s_barrier_signal -1
	s_barrier_wait -1
	s_and_saveexec_b32 s2, s1
	s_cbranch_execz .LBB81_25
; %bb.18:
	s_and_not1_b32 vcc_lo, exec_lo, s3
	s_cbranch_vccnz .LBB81_20
; %bb.19:
	ds_load_b64 v[38:39], v40
	ds_load_b64 v[42:43], v37
	s_wait_dscnt 0x0
	v_pk_mul_f32 v[48:49], v[42:43], v[38:39] op_sel:[1,1] op_sel_hi:[0,1]
	s_delay_alu instid0(VALU_DEP_1) | instskip(SKIP_1) | instid1(VALU_DEP_2)
	v_pk_fma_f32 v[50:51], v[42:43], v[38:39], v[48:49] op_sel_hi:[1,0,1]
	v_pk_fma_f32 v[38:39], v[42:43], v[38:39], v[48:49] neg_lo:[0,0,1] neg_hi:[0,0,1]
	v_mov_b32_e32 v39, v51
	s_cbranch_execz .LBB81_21
	s_branch .LBB81_22
.LBB81_20:
                                        ; implicit-def: $vgpr38_vgpr39
.LBB81_21:
	ds_load_b64 v[38:39], v37
.LBB81_22:
	s_and_saveexec_b32 s4, s0
	s_cbranch_execz .LBB81_24
; %bb.23:
	v_mov_b32_e32 v41, 0
	ds_load_b64 v[42:43], v52 offset:128
	ds_load_b64 v[48:49], v41 offset:272
	s_wait_dscnt 0x0
	v_pk_mul_f32 v[50:51], v[48:49], v[42:43] op_sel:[1,1] op_sel_hi:[0,1]
	s_delay_alu instid0(VALU_DEP_1) | instskip(SKIP_1) | instid1(VALU_DEP_2)
	v_pk_fma_f32 v[54:55], v[48:49], v[42:43], v[50:51] op_sel_hi:[1,0,1]
	v_pk_fma_f32 v[42:43], v[48:49], v[42:43], v[50:51] neg_lo:[0,0,1] neg_hi:[0,0,1]
	v_mov_b32_e32 v43, v55
	s_delay_alu instid0(VALU_DEP_1)
	v_pk_add_f32 v[38:39], v[38:39], v[42:43]
.LBB81_24:
	s_or_b32 exec_lo, exec_lo, s4
	v_mov_b32_e32 v41, 0
	ds_load_b64 v[42:43], v41 offset:120
	s_wait_dscnt 0x0
	v_pk_mul_f32 v[48:49], v[38:39], v[42:43] op_sel:[1,1] op_sel_hi:[0,1]
	s_delay_alu instid0(VALU_DEP_1) | instskip(SKIP_1) | instid1(VALU_DEP_2)
	v_pk_fma_f32 v[50:51], v[38:39], v[42:43], v[48:49] op_sel_hi:[1,0,1]
	v_pk_fma_f32 v[38:39], v[38:39], v[42:43], v[48:49] neg_lo:[0,0,1] neg_hi:[0,0,1]
	v_mov_b32_e32 v39, v51
	ds_store_b64 v52, v[38:39] offset:120
.LBB81_25:
	s_or_b32 exec_lo, exec_lo, s2
	ds_load_b64 v[38:39], v52 offset:112
	v_cmp_lt_u32_e64 s0, 14, v44
	s_wait_dscnt 0x0
	ds_store_b64 v37, v[38:39]
	s_wait_dscnt 0x0
	s_barrier_signal -1
	s_barrier_wait -1
	s_and_saveexec_b32 s2, s0
	s_cbranch_execz .LBB81_35
; %bb.26:
	s_and_not1_b32 vcc_lo, exec_lo, s3
	s_cbranch_vccnz .LBB81_28
; %bb.27:
	ds_load_b64 v[38:39], v40
	ds_load_b64 v[42:43], v37
	s_wait_dscnt 0x0
	v_pk_mul_f32 v[48:49], v[42:43], v[38:39] op_sel:[1,1] op_sel_hi:[0,1]
	s_delay_alu instid0(VALU_DEP_1) | instskip(SKIP_1) | instid1(VALU_DEP_2)
	v_pk_fma_f32 v[50:51], v[42:43], v[38:39], v[48:49] op_sel_hi:[1,0,1]
	v_pk_fma_f32 v[38:39], v[42:43], v[38:39], v[48:49] neg_lo:[0,0,1] neg_hi:[0,0,1]
	v_mov_b32_e32 v39, v51
	s_cbranch_execz .LBB81_29
	s_branch .LBB81_30
.LBB81_28:
                                        ; implicit-def: $vgpr38_vgpr39
.LBB81_29:
	ds_load_b64 v[38:39], v37
.LBB81_30:
	s_and_saveexec_b32 s4, s1
	s_cbranch_execz .LBB81_34
; %bb.31:
	s_movk_i32 s1, 0x90
	v_add_nc_u32_e32 v42, -15, v44
	v_mad_u32 v41, v46, s1, 0x198
	s_movk_i32 s5, 0x108
	s_mov_b32 s1, 0
.LBB81_32:                              ; =>This Inner Loop Header: Depth=1
	s_delay_alu instid0(VALU_DEP_2)
	v_dual_mov_b32 v43, s5 :: v_dual_add_nc_u32 v42, -1, v42
	s_add_co_i32 s5, s5, 8
	ds_load_b64 v[48:49], v41
	ds_load_b64 v[50:51], v43
	v_add_nc_u32_e32 v41, 8, v41
	v_cmp_eq_u32_e32 vcc_lo, 0, v42
	s_or_b32 s1, vcc_lo, s1
	s_wait_dscnt 0x0
	v_pk_mul_f32 v[54:55], v[50:51], v[48:49] op_sel:[1,1] op_sel_hi:[0,1]
	s_delay_alu instid0(VALU_DEP_1) | instskip(SKIP_1) | instid1(VALU_DEP_2)
	v_pk_fma_f32 v[56:57], v[50:51], v[48:49], v[54:55] op_sel_hi:[1,0,1]
	v_pk_fma_f32 v[48:49], v[50:51], v[48:49], v[54:55] neg_lo:[0,0,1] neg_hi:[0,0,1]
	v_mov_b32_e32 v49, v57
	s_delay_alu instid0(VALU_DEP_1)
	v_pk_add_f32 v[38:39], v[38:39], v[48:49]
	s_and_not1_b32 exec_lo, exec_lo, s1
	s_cbranch_execnz .LBB81_32
; %bb.33:
	s_or_b32 exec_lo, exec_lo, s1
.LBB81_34:
	s_delay_alu instid0(SALU_CYCLE_1) | instskip(SKIP_4) | instid1(VALU_DEP_1)
	s_or_b32 exec_lo, exec_lo, s4
	v_mov_b32_e32 v41, 0
	ds_load_b64 v[42:43], v41 offset:112
	s_wait_dscnt 0x0
	v_pk_mul_f32 v[48:49], v[38:39], v[42:43] op_sel:[1,1] op_sel_hi:[0,1]
	v_pk_fma_f32 v[50:51], v[38:39], v[42:43], v[48:49] op_sel_hi:[1,0,1]
	v_pk_fma_f32 v[38:39], v[38:39], v[42:43], v[48:49] neg_lo:[0,0,1] neg_hi:[0,0,1]
	s_delay_alu instid0(VALU_DEP_2)
	v_mov_b32_e32 v39, v51
	ds_store_b64 v52, v[38:39] offset:112
.LBB81_35:
	s_or_b32 exec_lo, exec_lo, s2
	ds_load_b64 v[38:39], v52 offset:104
	v_cmp_lt_u32_e64 s1, 13, v44
	s_wait_dscnt 0x0
	ds_store_b64 v37, v[38:39]
	s_wait_dscnt 0x0
	s_barrier_signal -1
	s_barrier_wait -1
	s_and_saveexec_b32 s2, s1
	s_cbranch_execz .LBB81_45
; %bb.36:
	s_and_not1_b32 vcc_lo, exec_lo, s3
	s_cbranch_vccnz .LBB81_38
; %bb.37:
	ds_load_b64 v[38:39], v40
	ds_load_b64 v[42:43], v37
	s_wait_dscnt 0x0
	v_pk_mul_f32 v[48:49], v[42:43], v[38:39] op_sel:[1,1] op_sel_hi:[0,1]
	s_delay_alu instid0(VALU_DEP_1) | instskip(SKIP_1) | instid1(VALU_DEP_2)
	v_pk_fma_f32 v[50:51], v[42:43], v[38:39], v[48:49] op_sel_hi:[1,0,1]
	v_pk_fma_f32 v[38:39], v[42:43], v[38:39], v[48:49] neg_lo:[0,0,1] neg_hi:[0,0,1]
	v_mov_b32_e32 v39, v51
	s_cbranch_execz .LBB81_39
	s_branch .LBB81_40
.LBB81_38:
                                        ; implicit-def: $vgpr38_vgpr39
.LBB81_39:
	ds_load_b64 v[38:39], v37
.LBB81_40:
	s_and_saveexec_b32 s4, s0
	s_cbranch_execz .LBB81_44
; %bb.41:
	s_movk_i32 s0, 0x90
	v_add_nc_u32_e32 v42, -14, v44
	v_mad_u32 v41, v46, s0, 0x190
	s_movk_i32 s5, 0x100
	s_mov_b32 s0, 0
.LBB81_42:                              ; =>This Inner Loop Header: Depth=1
	s_delay_alu instid0(VALU_DEP_2)
	v_dual_mov_b32 v43, s5 :: v_dual_add_nc_u32 v42, -1, v42
	s_add_co_i32 s5, s5, 8
	ds_load_b64 v[48:49], v41
	ds_load_b64 v[50:51], v43
	v_add_nc_u32_e32 v41, 8, v41
	v_cmp_eq_u32_e32 vcc_lo, 0, v42
	s_or_b32 s0, vcc_lo, s0
	s_wait_dscnt 0x0
	v_pk_mul_f32 v[54:55], v[50:51], v[48:49] op_sel:[1,1] op_sel_hi:[0,1]
	s_delay_alu instid0(VALU_DEP_1) | instskip(SKIP_1) | instid1(VALU_DEP_2)
	v_pk_fma_f32 v[56:57], v[50:51], v[48:49], v[54:55] op_sel_hi:[1,0,1]
	v_pk_fma_f32 v[48:49], v[50:51], v[48:49], v[54:55] neg_lo:[0,0,1] neg_hi:[0,0,1]
	v_mov_b32_e32 v49, v57
	s_delay_alu instid0(VALU_DEP_1)
	v_pk_add_f32 v[38:39], v[38:39], v[48:49]
	s_and_not1_b32 exec_lo, exec_lo, s0
	s_cbranch_execnz .LBB81_42
; %bb.43:
	s_or_b32 exec_lo, exec_lo, s0
.LBB81_44:
	s_delay_alu instid0(SALU_CYCLE_1) | instskip(SKIP_4) | instid1(VALU_DEP_1)
	s_or_b32 exec_lo, exec_lo, s4
	v_mov_b32_e32 v41, 0
	ds_load_b64 v[42:43], v41 offset:104
	s_wait_dscnt 0x0
	v_pk_mul_f32 v[48:49], v[38:39], v[42:43] op_sel:[1,1] op_sel_hi:[0,1]
	v_pk_fma_f32 v[50:51], v[38:39], v[42:43], v[48:49] op_sel_hi:[1,0,1]
	v_pk_fma_f32 v[38:39], v[38:39], v[42:43], v[48:49] neg_lo:[0,0,1] neg_hi:[0,0,1]
	s_delay_alu instid0(VALU_DEP_2)
	v_mov_b32_e32 v39, v51
	ds_store_b64 v52, v[38:39] offset:104
.LBB81_45:
	s_or_b32 exec_lo, exec_lo, s2
	ds_load_b64 v[38:39], v52 offset:96
	v_cmp_lt_u32_e64 s0, 12, v44
	s_wait_dscnt 0x0
	ds_store_b64 v37, v[38:39]
	s_wait_dscnt 0x0
	s_barrier_signal -1
	s_barrier_wait -1
	s_and_saveexec_b32 s2, s0
	s_cbranch_execz .LBB81_55
; %bb.46:
	s_and_not1_b32 vcc_lo, exec_lo, s3
	s_cbranch_vccnz .LBB81_48
; %bb.47:
	ds_load_b64 v[38:39], v40
	ds_load_b64 v[42:43], v37
	s_wait_dscnt 0x0
	v_pk_mul_f32 v[48:49], v[42:43], v[38:39] op_sel:[1,1] op_sel_hi:[0,1]
	s_delay_alu instid0(VALU_DEP_1) | instskip(SKIP_1) | instid1(VALU_DEP_2)
	v_pk_fma_f32 v[50:51], v[42:43], v[38:39], v[48:49] op_sel_hi:[1,0,1]
	v_pk_fma_f32 v[38:39], v[42:43], v[38:39], v[48:49] neg_lo:[0,0,1] neg_hi:[0,0,1]
	v_mov_b32_e32 v39, v51
	s_cbranch_execz .LBB81_49
	s_branch .LBB81_50
.LBB81_48:
                                        ; implicit-def: $vgpr38_vgpr39
.LBB81_49:
	ds_load_b64 v[38:39], v37
.LBB81_50:
	s_and_saveexec_b32 s4, s1
	s_cbranch_execz .LBB81_54
; %bb.51:
	s_movk_i32 s1, 0x90
	v_add_nc_u32_e32 v42, -13, v44
	v_mad_u32 v41, v46, s1, 0x188
	s_movk_i32 s5, 0xf8
	s_mov_b32 s1, 0
.LBB81_52:                              ; =>This Inner Loop Header: Depth=1
	s_delay_alu instid0(VALU_DEP_2)
	v_dual_mov_b32 v43, s5 :: v_dual_add_nc_u32 v42, -1, v42
	s_add_co_i32 s5, s5, 8
	ds_load_b64 v[48:49], v41
	ds_load_b64 v[50:51], v43
	v_add_nc_u32_e32 v41, 8, v41
	v_cmp_eq_u32_e32 vcc_lo, 0, v42
	s_or_b32 s1, vcc_lo, s1
	s_wait_dscnt 0x0
	v_pk_mul_f32 v[54:55], v[50:51], v[48:49] op_sel:[1,1] op_sel_hi:[0,1]
	s_delay_alu instid0(VALU_DEP_1) | instskip(SKIP_1) | instid1(VALU_DEP_2)
	v_pk_fma_f32 v[56:57], v[50:51], v[48:49], v[54:55] op_sel_hi:[1,0,1]
	v_pk_fma_f32 v[48:49], v[50:51], v[48:49], v[54:55] neg_lo:[0,0,1] neg_hi:[0,0,1]
	v_mov_b32_e32 v49, v57
	s_delay_alu instid0(VALU_DEP_1)
	v_pk_add_f32 v[38:39], v[38:39], v[48:49]
	s_and_not1_b32 exec_lo, exec_lo, s1
	s_cbranch_execnz .LBB81_52
; %bb.53:
	s_or_b32 exec_lo, exec_lo, s1
.LBB81_54:
	s_delay_alu instid0(SALU_CYCLE_1) | instskip(SKIP_4) | instid1(VALU_DEP_1)
	s_or_b32 exec_lo, exec_lo, s4
	v_mov_b32_e32 v41, 0
	ds_load_b64 v[42:43], v41 offset:96
	s_wait_dscnt 0x0
	v_pk_mul_f32 v[48:49], v[38:39], v[42:43] op_sel:[1,1] op_sel_hi:[0,1]
	v_pk_fma_f32 v[50:51], v[38:39], v[42:43], v[48:49] op_sel_hi:[1,0,1]
	v_pk_fma_f32 v[38:39], v[38:39], v[42:43], v[48:49] neg_lo:[0,0,1] neg_hi:[0,0,1]
	s_delay_alu instid0(VALU_DEP_2)
	v_mov_b32_e32 v39, v51
	ds_store_b64 v52, v[38:39] offset:96
.LBB81_55:
	s_or_b32 exec_lo, exec_lo, s2
	ds_load_b64 v[38:39], v52 offset:88
	v_cmp_lt_u32_e64 s1, 11, v44
	s_wait_dscnt 0x0
	ds_store_b64 v37, v[38:39]
	s_wait_dscnt 0x0
	s_barrier_signal -1
	s_barrier_wait -1
	s_and_saveexec_b32 s2, s1
	s_cbranch_execz .LBB81_65
; %bb.56:
	s_and_not1_b32 vcc_lo, exec_lo, s3
	s_cbranch_vccnz .LBB81_58
; %bb.57:
	ds_load_b64 v[38:39], v40
	ds_load_b64 v[42:43], v37
	s_wait_dscnt 0x0
	v_pk_mul_f32 v[48:49], v[42:43], v[38:39] op_sel:[1,1] op_sel_hi:[0,1]
	s_delay_alu instid0(VALU_DEP_1) | instskip(SKIP_1) | instid1(VALU_DEP_2)
	v_pk_fma_f32 v[50:51], v[42:43], v[38:39], v[48:49] op_sel_hi:[1,0,1]
	v_pk_fma_f32 v[38:39], v[42:43], v[38:39], v[48:49] neg_lo:[0,0,1] neg_hi:[0,0,1]
	v_mov_b32_e32 v39, v51
	s_cbranch_execz .LBB81_59
	s_branch .LBB81_60
.LBB81_58:
                                        ; implicit-def: $vgpr38_vgpr39
.LBB81_59:
	ds_load_b64 v[38:39], v37
.LBB81_60:
	s_and_saveexec_b32 s4, s0
	s_cbranch_execz .LBB81_64
; %bb.61:
	s_movk_i32 s0, 0x90
	v_add_nc_u32_e32 v42, -12, v44
	v_mad_u32 v41, v46, s0, 0x180
	s_movk_i32 s5, 0xf0
	s_mov_b32 s0, 0
.LBB81_62:                              ; =>This Inner Loop Header: Depth=1
	s_delay_alu instid0(VALU_DEP_2)
	v_dual_mov_b32 v43, s5 :: v_dual_add_nc_u32 v42, -1, v42
	s_add_co_i32 s5, s5, 8
	ds_load_b64 v[48:49], v41
	ds_load_b64 v[50:51], v43
	v_add_nc_u32_e32 v41, 8, v41
	v_cmp_eq_u32_e32 vcc_lo, 0, v42
	s_or_b32 s0, vcc_lo, s0
	s_wait_dscnt 0x0
	v_pk_mul_f32 v[54:55], v[50:51], v[48:49] op_sel:[1,1] op_sel_hi:[0,1]
	s_delay_alu instid0(VALU_DEP_1) | instskip(SKIP_1) | instid1(VALU_DEP_2)
	v_pk_fma_f32 v[56:57], v[50:51], v[48:49], v[54:55] op_sel_hi:[1,0,1]
	v_pk_fma_f32 v[48:49], v[50:51], v[48:49], v[54:55] neg_lo:[0,0,1] neg_hi:[0,0,1]
	v_mov_b32_e32 v49, v57
	s_delay_alu instid0(VALU_DEP_1)
	v_pk_add_f32 v[38:39], v[38:39], v[48:49]
	s_and_not1_b32 exec_lo, exec_lo, s0
	s_cbranch_execnz .LBB81_62
; %bb.63:
	s_or_b32 exec_lo, exec_lo, s0
.LBB81_64:
	s_delay_alu instid0(SALU_CYCLE_1) | instskip(SKIP_4) | instid1(VALU_DEP_1)
	s_or_b32 exec_lo, exec_lo, s4
	v_mov_b32_e32 v41, 0
	ds_load_b64 v[42:43], v41 offset:88
	s_wait_dscnt 0x0
	v_pk_mul_f32 v[48:49], v[38:39], v[42:43] op_sel:[1,1] op_sel_hi:[0,1]
	v_pk_fma_f32 v[50:51], v[38:39], v[42:43], v[48:49] op_sel_hi:[1,0,1]
	v_pk_fma_f32 v[38:39], v[38:39], v[42:43], v[48:49] neg_lo:[0,0,1] neg_hi:[0,0,1]
	s_delay_alu instid0(VALU_DEP_2)
	v_mov_b32_e32 v39, v51
	ds_store_b64 v52, v[38:39] offset:88
.LBB81_65:
	s_or_b32 exec_lo, exec_lo, s2
	ds_load_b64 v[38:39], v52 offset:80
	v_cmp_lt_u32_e64 s0, 10, v44
	s_wait_dscnt 0x0
	ds_store_b64 v37, v[38:39]
	s_wait_dscnt 0x0
	s_barrier_signal -1
	s_barrier_wait -1
	s_and_saveexec_b32 s2, s0
	s_cbranch_execz .LBB81_75
; %bb.66:
	s_and_not1_b32 vcc_lo, exec_lo, s3
	s_cbranch_vccnz .LBB81_68
; %bb.67:
	ds_load_b64 v[38:39], v40
	ds_load_b64 v[42:43], v37
	s_wait_dscnt 0x0
	v_pk_mul_f32 v[48:49], v[42:43], v[38:39] op_sel:[1,1] op_sel_hi:[0,1]
	s_delay_alu instid0(VALU_DEP_1) | instskip(SKIP_1) | instid1(VALU_DEP_2)
	v_pk_fma_f32 v[50:51], v[42:43], v[38:39], v[48:49] op_sel_hi:[1,0,1]
	v_pk_fma_f32 v[38:39], v[42:43], v[38:39], v[48:49] neg_lo:[0,0,1] neg_hi:[0,0,1]
	v_mov_b32_e32 v39, v51
	s_cbranch_execz .LBB81_69
	s_branch .LBB81_70
.LBB81_68:
                                        ; implicit-def: $vgpr38_vgpr39
.LBB81_69:
	ds_load_b64 v[38:39], v37
.LBB81_70:
	s_and_saveexec_b32 s4, s1
	s_cbranch_execz .LBB81_74
; %bb.71:
	s_movk_i32 s1, 0x90
	v_add_nc_u32_e32 v42, -11, v44
	v_mad_u32 v41, v46, s1, 0x178
	s_movk_i32 s5, 0xe8
	s_mov_b32 s1, 0
.LBB81_72:                              ; =>This Inner Loop Header: Depth=1
	s_delay_alu instid0(VALU_DEP_2)
	v_dual_mov_b32 v43, s5 :: v_dual_add_nc_u32 v42, -1, v42
	s_add_co_i32 s5, s5, 8
	ds_load_b64 v[48:49], v41
	ds_load_b64 v[50:51], v43
	v_add_nc_u32_e32 v41, 8, v41
	v_cmp_eq_u32_e32 vcc_lo, 0, v42
	s_or_b32 s1, vcc_lo, s1
	s_wait_dscnt 0x0
	v_pk_mul_f32 v[54:55], v[50:51], v[48:49] op_sel:[1,1] op_sel_hi:[0,1]
	s_delay_alu instid0(VALU_DEP_1) | instskip(SKIP_1) | instid1(VALU_DEP_2)
	v_pk_fma_f32 v[56:57], v[50:51], v[48:49], v[54:55] op_sel_hi:[1,0,1]
	v_pk_fma_f32 v[48:49], v[50:51], v[48:49], v[54:55] neg_lo:[0,0,1] neg_hi:[0,0,1]
	v_mov_b32_e32 v49, v57
	s_delay_alu instid0(VALU_DEP_1)
	v_pk_add_f32 v[38:39], v[38:39], v[48:49]
	s_and_not1_b32 exec_lo, exec_lo, s1
	s_cbranch_execnz .LBB81_72
; %bb.73:
	s_or_b32 exec_lo, exec_lo, s1
.LBB81_74:
	s_delay_alu instid0(SALU_CYCLE_1) | instskip(SKIP_4) | instid1(VALU_DEP_1)
	s_or_b32 exec_lo, exec_lo, s4
	v_mov_b32_e32 v41, 0
	ds_load_b64 v[42:43], v41 offset:80
	s_wait_dscnt 0x0
	v_pk_mul_f32 v[48:49], v[38:39], v[42:43] op_sel:[1,1] op_sel_hi:[0,1]
	v_pk_fma_f32 v[50:51], v[38:39], v[42:43], v[48:49] op_sel_hi:[1,0,1]
	v_pk_fma_f32 v[38:39], v[38:39], v[42:43], v[48:49] neg_lo:[0,0,1] neg_hi:[0,0,1]
	s_delay_alu instid0(VALU_DEP_2)
	v_mov_b32_e32 v39, v51
	ds_store_b64 v52, v[38:39] offset:80
.LBB81_75:
	s_or_b32 exec_lo, exec_lo, s2
	ds_load_b64 v[38:39], v52 offset:72
	v_cmp_lt_u32_e64 s1, 9, v44
	s_wait_dscnt 0x0
	ds_store_b64 v37, v[38:39]
	s_wait_dscnt 0x0
	s_barrier_signal -1
	s_barrier_wait -1
	s_and_saveexec_b32 s2, s1
	s_cbranch_execz .LBB81_85
; %bb.76:
	s_and_not1_b32 vcc_lo, exec_lo, s3
	s_cbranch_vccnz .LBB81_78
; %bb.77:
	ds_load_b64 v[38:39], v40
	ds_load_b64 v[42:43], v37
	s_wait_dscnt 0x0
	v_pk_mul_f32 v[48:49], v[42:43], v[38:39] op_sel:[1,1] op_sel_hi:[0,1]
	s_delay_alu instid0(VALU_DEP_1) | instskip(SKIP_1) | instid1(VALU_DEP_2)
	v_pk_fma_f32 v[50:51], v[42:43], v[38:39], v[48:49] op_sel_hi:[1,0,1]
	v_pk_fma_f32 v[38:39], v[42:43], v[38:39], v[48:49] neg_lo:[0,0,1] neg_hi:[0,0,1]
	v_mov_b32_e32 v39, v51
	s_cbranch_execz .LBB81_79
	s_branch .LBB81_80
.LBB81_78:
                                        ; implicit-def: $vgpr38_vgpr39
.LBB81_79:
	ds_load_b64 v[38:39], v37
.LBB81_80:
	s_and_saveexec_b32 s4, s0
	s_cbranch_execz .LBB81_84
; %bb.81:
	s_movk_i32 s0, 0x90
	v_add_nc_u32_e32 v42, -10, v44
	v_mad_u32 v41, v46, s0, 0x170
	s_movk_i32 s5, 0xe0
	s_mov_b32 s0, 0
.LBB81_82:                              ; =>This Inner Loop Header: Depth=1
	s_delay_alu instid0(VALU_DEP_2)
	v_dual_mov_b32 v43, s5 :: v_dual_add_nc_u32 v42, -1, v42
	s_add_co_i32 s5, s5, 8
	ds_load_b64 v[48:49], v41
	ds_load_b64 v[50:51], v43
	v_add_nc_u32_e32 v41, 8, v41
	v_cmp_eq_u32_e32 vcc_lo, 0, v42
	s_or_b32 s0, vcc_lo, s0
	s_wait_dscnt 0x0
	v_pk_mul_f32 v[54:55], v[50:51], v[48:49] op_sel:[1,1] op_sel_hi:[0,1]
	s_delay_alu instid0(VALU_DEP_1) | instskip(SKIP_1) | instid1(VALU_DEP_2)
	v_pk_fma_f32 v[56:57], v[50:51], v[48:49], v[54:55] op_sel_hi:[1,0,1]
	v_pk_fma_f32 v[48:49], v[50:51], v[48:49], v[54:55] neg_lo:[0,0,1] neg_hi:[0,0,1]
	v_mov_b32_e32 v49, v57
	s_delay_alu instid0(VALU_DEP_1)
	v_pk_add_f32 v[38:39], v[38:39], v[48:49]
	s_and_not1_b32 exec_lo, exec_lo, s0
	s_cbranch_execnz .LBB81_82
; %bb.83:
	s_or_b32 exec_lo, exec_lo, s0
.LBB81_84:
	s_delay_alu instid0(SALU_CYCLE_1) | instskip(SKIP_4) | instid1(VALU_DEP_1)
	s_or_b32 exec_lo, exec_lo, s4
	v_mov_b32_e32 v41, 0
	ds_load_b64 v[42:43], v41 offset:72
	s_wait_dscnt 0x0
	v_pk_mul_f32 v[48:49], v[38:39], v[42:43] op_sel:[1,1] op_sel_hi:[0,1]
	v_pk_fma_f32 v[50:51], v[38:39], v[42:43], v[48:49] op_sel_hi:[1,0,1]
	v_pk_fma_f32 v[38:39], v[38:39], v[42:43], v[48:49] neg_lo:[0,0,1] neg_hi:[0,0,1]
	s_delay_alu instid0(VALU_DEP_2)
	v_mov_b32_e32 v39, v51
	ds_store_b64 v52, v[38:39] offset:72
.LBB81_85:
	s_or_b32 exec_lo, exec_lo, s2
	ds_load_b64 v[38:39], v52 offset:64
	v_cmp_lt_u32_e64 s0, 8, v44
	s_wait_dscnt 0x0
	ds_store_b64 v37, v[38:39]
	s_wait_dscnt 0x0
	s_barrier_signal -1
	s_barrier_wait -1
	s_and_saveexec_b32 s2, s0
	s_cbranch_execz .LBB81_95
; %bb.86:
	s_and_not1_b32 vcc_lo, exec_lo, s3
	s_cbranch_vccnz .LBB81_88
; %bb.87:
	ds_load_b64 v[38:39], v40
	ds_load_b64 v[42:43], v37
	s_wait_dscnt 0x0
	v_pk_mul_f32 v[48:49], v[42:43], v[38:39] op_sel:[1,1] op_sel_hi:[0,1]
	s_delay_alu instid0(VALU_DEP_1) | instskip(SKIP_1) | instid1(VALU_DEP_2)
	v_pk_fma_f32 v[50:51], v[42:43], v[38:39], v[48:49] op_sel_hi:[1,0,1]
	v_pk_fma_f32 v[38:39], v[42:43], v[38:39], v[48:49] neg_lo:[0,0,1] neg_hi:[0,0,1]
	v_mov_b32_e32 v39, v51
	s_cbranch_execz .LBB81_89
	s_branch .LBB81_90
.LBB81_88:
                                        ; implicit-def: $vgpr38_vgpr39
.LBB81_89:
	ds_load_b64 v[38:39], v37
.LBB81_90:
	s_and_saveexec_b32 s4, s1
	s_cbranch_execz .LBB81_94
; %bb.91:
	s_movk_i32 s1, 0x90
	v_add_nc_u32_e32 v42, -9, v44
	v_mad_u32 v41, v46, s1, 0x168
	s_movk_i32 s5, 0xd8
	s_mov_b32 s1, 0
.LBB81_92:                              ; =>This Inner Loop Header: Depth=1
	s_delay_alu instid0(VALU_DEP_2)
	v_dual_mov_b32 v43, s5 :: v_dual_add_nc_u32 v42, -1, v42
	s_add_co_i32 s5, s5, 8
	ds_load_b64 v[48:49], v41
	ds_load_b64 v[50:51], v43
	v_add_nc_u32_e32 v41, 8, v41
	v_cmp_eq_u32_e32 vcc_lo, 0, v42
	s_or_b32 s1, vcc_lo, s1
	s_wait_dscnt 0x0
	v_pk_mul_f32 v[54:55], v[50:51], v[48:49] op_sel:[1,1] op_sel_hi:[0,1]
	s_delay_alu instid0(VALU_DEP_1) | instskip(SKIP_1) | instid1(VALU_DEP_2)
	v_pk_fma_f32 v[56:57], v[50:51], v[48:49], v[54:55] op_sel_hi:[1,0,1]
	v_pk_fma_f32 v[48:49], v[50:51], v[48:49], v[54:55] neg_lo:[0,0,1] neg_hi:[0,0,1]
	v_mov_b32_e32 v49, v57
	s_delay_alu instid0(VALU_DEP_1)
	v_pk_add_f32 v[38:39], v[38:39], v[48:49]
	s_and_not1_b32 exec_lo, exec_lo, s1
	s_cbranch_execnz .LBB81_92
; %bb.93:
	s_or_b32 exec_lo, exec_lo, s1
.LBB81_94:
	s_delay_alu instid0(SALU_CYCLE_1) | instskip(SKIP_4) | instid1(VALU_DEP_1)
	s_or_b32 exec_lo, exec_lo, s4
	v_mov_b32_e32 v41, 0
	ds_load_b64 v[42:43], v41 offset:64
	s_wait_dscnt 0x0
	v_pk_mul_f32 v[48:49], v[38:39], v[42:43] op_sel:[1,1] op_sel_hi:[0,1]
	v_pk_fma_f32 v[50:51], v[38:39], v[42:43], v[48:49] op_sel_hi:[1,0,1]
	v_pk_fma_f32 v[38:39], v[38:39], v[42:43], v[48:49] neg_lo:[0,0,1] neg_hi:[0,0,1]
	s_delay_alu instid0(VALU_DEP_2)
	v_mov_b32_e32 v39, v51
	ds_store_b64 v52, v[38:39] offset:64
.LBB81_95:
	s_or_b32 exec_lo, exec_lo, s2
	ds_load_b64 v[38:39], v52 offset:56
	v_cmp_lt_u32_e64 s1, 7, v44
	s_wait_dscnt 0x0
	ds_store_b64 v37, v[38:39]
	s_wait_dscnt 0x0
	s_barrier_signal -1
	s_barrier_wait -1
	s_and_saveexec_b32 s2, s1
	s_cbranch_execz .LBB81_105
; %bb.96:
	s_and_not1_b32 vcc_lo, exec_lo, s3
	s_cbranch_vccnz .LBB81_98
; %bb.97:
	ds_load_b64 v[38:39], v40
	ds_load_b64 v[42:43], v37
	s_wait_dscnt 0x0
	v_pk_mul_f32 v[48:49], v[42:43], v[38:39] op_sel:[1,1] op_sel_hi:[0,1]
	s_delay_alu instid0(VALU_DEP_1) | instskip(SKIP_1) | instid1(VALU_DEP_2)
	v_pk_fma_f32 v[50:51], v[42:43], v[38:39], v[48:49] op_sel_hi:[1,0,1]
	v_pk_fma_f32 v[38:39], v[42:43], v[38:39], v[48:49] neg_lo:[0,0,1] neg_hi:[0,0,1]
	v_mov_b32_e32 v39, v51
	s_cbranch_execz .LBB81_99
	s_branch .LBB81_100
.LBB81_98:
                                        ; implicit-def: $vgpr38_vgpr39
.LBB81_99:
	ds_load_b64 v[38:39], v37
.LBB81_100:
	s_and_saveexec_b32 s4, s0
	s_cbranch_execz .LBB81_104
; %bb.101:
	s_movk_i32 s0, 0x90
	v_add_nc_u32_e32 v42, -8, v44
	v_mad_u32 v41, v46, s0, 0x160
	s_movk_i32 s5, 0xd0
	s_mov_b32 s0, 0
.LBB81_102:                             ; =>This Inner Loop Header: Depth=1
	s_delay_alu instid0(VALU_DEP_2)
	v_dual_mov_b32 v43, s5 :: v_dual_add_nc_u32 v42, -1, v42
	s_add_co_i32 s5, s5, 8
	ds_load_b64 v[48:49], v41
	ds_load_b64 v[50:51], v43
	v_add_nc_u32_e32 v41, 8, v41
	v_cmp_eq_u32_e32 vcc_lo, 0, v42
	s_or_b32 s0, vcc_lo, s0
	s_wait_dscnt 0x0
	v_pk_mul_f32 v[54:55], v[50:51], v[48:49] op_sel:[1,1] op_sel_hi:[0,1]
	s_delay_alu instid0(VALU_DEP_1) | instskip(SKIP_1) | instid1(VALU_DEP_2)
	v_pk_fma_f32 v[56:57], v[50:51], v[48:49], v[54:55] op_sel_hi:[1,0,1]
	v_pk_fma_f32 v[48:49], v[50:51], v[48:49], v[54:55] neg_lo:[0,0,1] neg_hi:[0,0,1]
	v_mov_b32_e32 v49, v57
	s_delay_alu instid0(VALU_DEP_1)
	v_pk_add_f32 v[38:39], v[38:39], v[48:49]
	s_and_not1_b32 exec_lo, exec_lo, s0
	s_cbranch_execnz .LBB81_102
; %bb.103:
	s_or_b32 exec_lo, exec_lo, s0
.LBB81_104:
	s_delay_alu instid0(SALU_CYCLE_1) | instskip(SKIP_4) | instid1(VALU_DEP_1)
	s_or_b32 exec_lo, exec_lo, s4
	v_mov_b32_e32 v41, 0
	ds_load_b64 v[42:43], v41 offset:56
	s_wait_dscnt 0x0
	v_pk_mul_f32 v[48:49], v[38:39], v[42:43] op_sel:[1,1] op_sel_hi:[0,1]
	v_pk_fma_f32 v[50:51], v[38:39], v[42:43], v[48:49] op_sel_hi:[1,0,1]
	v_pk_fma_f32 v[38:39], v[38:39], v[42:43], v[48:49] neg_lo:[0,0,1] neg_hi:[0,0,1]
	s_delay_alu instid0(VALU_DEP_2)
	v_mov_b32_e32 v39, v51
	ds_store_b64 v52, v[38:39] offset:56
.LBB81_105:
	s_or_b32 exec_lo, exec_lo, s2
	ds_load_b64 v[38:39], v52 offset:48
	v_cmp_lt_u32_e64 s0, 6, v44
	s_wait_dscnt 0x0
	ds_store_b64 v37, v[38:39]
	s_wait_dscnt 0x0
	s_barrier_signal -1
	s_barrier_wait -1
	s_and_saveexec_b32 s2, s0
	s_cbranch_execz .LBB81_115
; %bb.106:
	s_and_not1_b32 vcc_lo, exec_lo, s3
	s_cbranch_vccnz .LBB81_108
; %bb.107:
	ds_load_b64 v[38:39], v40
	ds_load_b64 v[42:43], v37
	s_wait_dscnt 0x0
	v_pk_mul_f32 v[48:49], v[42:43], v[38:39] op_sel:[1,1] op_sel_hi:[0,1]
	s_delay_alu instid0(VALU_DEP_1) | instskip(SKIP_1) | instid1(VALU_DEP_2)
	v_pk_fma_f32 v[50:51], v[42:43], v[38:39], v[48:49] op_sel_hi:[1,0,1]
	v_pk_fma_f32 v[38:39], v[42:43], v[38:39], v[48:49] neg_lo:[0,0,1] neg_hi:[0,0,1]
	v_mov_b32_e32 v39, v51
	s_cbranch_execz .LBB81_109
	s_branch .LBB81_110
.LBB81_108:
                                        ; implicit-def: $vgpr38_vgpr39
.LBB81_109:
	ds_load_b64 v[38:39], v37
.LBB81_110:
	s_and_saveexec_b32 s4, s1
	s_cbranch_execz .LBB81_114
; %bb.111:
	s_movk_i32 s1, 0x90
	v_add_nc_u32_e32 v42, -7, v44
	v_mad_u32 v41, v46, s1, 0x158
	s_movk_i32 s5, 0xc8
	s_mov_b32 s1, 0
.LBB81_112:                             ; =>This Inner Loop Header: Depth=1
	s_delay_alu instid0(VALU_DEP_2)
	v_dual_mov_b32 v43, s5 :: v_dual_add_nc_u32 v42, -1, v42
	s_add_co_i32 s5, s5, 8
	ds_load_b64 v[48:49], v41
	ds_load_b64 v[50:51], v43
	v_add_nc_u32_e32 v41, 8, v41
	v_cmp_eq_u32_e32 vcc_lo, 0, v42
	s_or_b32 s1, vcc_lo, s1
	s_wait_dscnt 0x0
	v_pk_mul_f32 v[54:55], v[50:51], v[48:49] op_sel:[1,1] op_sel_hi:[0,1]
	s_delay_alu instid0(VALU_DEP_1) | instskip(SKIP_1) | instid1(VALU_DEP_2)
	v_pk_fma_f32 v[56:57], v[50:51], v[48:49], v[54:55] op_sel_hi:[1,0,1]
	v_pk_fma_f32 v[48:49], v[50:51], v[48:49], v[54:55] neg_lo:[0,0,1] neg_hi:[0,0,1]
	v_mov_b32_e32 v49, v57
	s_delay_alu instid0(VALU_DEP_1)
	v_pk_add_f32 v[38:39], v[38:39], v[48:49]
	s_and_not1_b32 exec_lo, exec_lo, s1
	s_cbranch_execnz .LBB81_112
; %bb.113:
	s_or_b32 exec_lo, exec_lo, s1
.LBB81_114:
	s_delay_alu instid0(SALU_CYCLE_1) | instskip(SKIP_4) | instid1(VALU_DEP_1)
	s_or_b32 exec_lo, exec_lo, s4
	v_mov_b32_e32 v41, 0
	ds_load_b64 v[42:43], v41 offset:48
	s_wait_dscnt 0x0
	v_pk_mul_f32 v[48:49], v[38:39], v[42:43] op_sel:[1,1] op_sel_hi:[0,1]
	v_pk_fma_f32 v[50:51], v[38:39], v[42:43], v[48:49] op_sel_hi:[1,0,1]
	v_pk_fma_f32 v[38:39], v[38:39], v[42:43], v[48:49] neg_lo:[0,0,1] neg_hi:[0,0,1]
	s_delay_alu instid0(VALU_DEP_2)
	v_mov_b32_e32 v39, v51
	ds_store_b64 v52, v[38:39] offset:48
.LBB81_115:
	s_or_b32 exec_lo, exec_lo, s2
	ds_load_b64 v[38:39], v52 offset:40
	v_cmp_lt_u32_e64 s1, 5, v44
	s_wait_dscnt 0x0
	ds_store_b64 v37, v[38:39]
	s_wait_dscnt 0x0
	s_barrier_signal -1
	s_barrier_wait -1
	s_and_saveexec_b32 s2, s1
	s_cbranch_execz .LBB81_125
; %bb.116:
	s_and_not1_b32 vcc_lo, exec_lo, s3
	s_cbranch_vccnz .LBB81_118
; %bb.117:
	ds_load_b64 v[38:39], v40
	ds_load_b64 v[42:43], v37
	s_wait_dscnt 0x0
	v_pk_mul_f32 v[48:49], v[42:43], v[38:39] op_sel:[1,1] op_sel_hi:[0,1]
	s_delay_alu instid0(VALU_DEP_1) | instskip(SKIP_1) | instid1(VALU_DEP_2)
	v_pk_fma_f32 v[50:51], v[42:43], v[38:39], v[48:49] op_sel_hi:[1,0,1]
	v_pk_fma_f32 v[38:39], v[42:43], v[38:39], v[48:49] neg_lo:[0,0,1] neg_hi:[0,0,1]
	v_mov_b32_e32 v39, v51
	s_cbranch_execz .LBB81_119
	s_branch .LBB81_120
.LBB81_118:
                                        ; implicit-def: $vgpr38_vgpr39
.LBB81_119:
	ds_load_b64 v[38:39], v37
.LBB81_120:
	s_and_saveexec_b32 s4, s0
	s_cbranch_execz .LBB81_124
; %bb.121:
	s_movk_i32 s0, 0x90
	v_add_nc_u32_e32 v42, -6, v44
	v_mad_u32 v41, v46, s0, 0x150
	s_movk_i32 s5, 0xc0
	s_mov_b32 s0, 0
.LBB81_122:                             ; =>This Inner Loop Header: Depth=1
	s_delay_alu instid0(VALU_DEP_2)
	v_dual_mov_b32 v43, s5 :: v_dual_add_nc_u32 v42, -1, v42
	s_add_co_i32 s5, s5, 8
	ds_load_b64 v[48:49], v41
	ds_load_b64 v[50:51], v43
	v_add_nc_u32_e32 v41, 8, v41
	v_cmp_eq_u32_e32 vcc_lo, 0, v42
	s_or_b32 s0, vcc_lo, s0
	s_wait_dscnt 0x0
	v_pk_mul_f32 v[54:55], v[50:51], v[48:49] op_sel:[1,1] op_sel_hi:[0,1]
	s_delay_alu instid0(VALU_DEP_1) | instskip(SKIP_1) | instid1(VALU_DEP_2)
	v_pk_fma_f32 v[56:57], v[50:51], v[48:49], v[54:55] op_sel_hi:[1,0,1]
	v_pk_fma_f32 v[48:49], v[50:51], v[48:49], v[54:55] neg_lo:[0,0,1] neg_hi:[0,0,1]
	v_mov_b32_e32 v49, v57
	s_delay_alu instid0(VALU_DEP_1)
	v_pk_add_f32 v[38:39], v[38:39], v[48:49]
	s_and_not1_b32 exec_lo, exec_lo, s0
	s_cbranch_execnz .LBB81_122
; %bb.123:
	s_or_b32 exec_lo, exec_lo, s0
.LBB81_124:
	s_delay_alu instid0(SALU_CYCLE_1) | instskip(SKIP_4) | instid1(VALU_DEP_1)
	s_or_b32 exec_lo, exec_lo, s4
	v_mov_b32_e32 v41, 0
	ds_load_b64 v[42:43], v41 offset:40
	s_wait_dscnt 0x0
	v_pk_mul_f32 v[48:49], v[38:39], v[42:43] op_sel:[1,1] op_sel_hi:[0,1]
	v_pk_fma_f32 v[50:51], v[38:39], v[42:43], v[48:49] op_sel_hi:[1,0,1]
	v_pk_fma_f32 v[38:39], v[38:39], v[42:43], v[48:49] neg_lo:[0,0,1] neg_hi:[0,0,1]
	s_delay_alu instid0(VALU_DEP_2)
	v_mov_b32_e32 v39, v51
	ds_store_b64 v52, v[38:39] offset:40
.LBB81_125:
	s_or_b32 exec_lo, exec_lo, s2
	ds_load_b64 v[38:39], v52 offset:32
	v_cmp_lt_u32_e64 s0, 4, v44
	s_wait_dscnt 0x0
	ds_store_b64 v37, v[38:39]
	s_wait_dscnt 0x0
	s_barrier_signal -1
	s_barrier_wait -1
	s_and_saveexec_b32 s2, s0
	s_cbranch_execz .LBB81_135
; %bb.126:
	s_and_not1_b32 vcc_lo, exec_lo, s3
	s_cbranch_vccnz .LBB81_128
; %bb.127:
	ds_load_b64 v[38:39], v40
	ds_load_b64 v[42:43], v37
	s_wait_dscnt 0x0
	v_pk_mul_f32 v[48:49], v[42:43], v[38:39] op_sel:[1,1] op_sel_hi:[0,1]
	s_delay_alu instid0(VALU_DEP_1) | instskip(SKIP_1) | instid1(VALU_DEP_2)
	v_pk_fma_f32 v[50:51], v[42:43], v[38:39], v[48:49] op_sel_hi:[1,0,1]
	v_pk_fma_f32 v[38:39], v[42:43], v[38:39], v[48:49] neg_lo:[0,0,1] neg_hi:[0,0,1]
	v_mov_b32_e32 v39, v51
	s_cbranch_execz .LBB81_129
	s_branch .LBB81_130
.LBB81_128:
                                        ; implicit-def: $vgpr38_vgpr39
.LBB81_129:
	ds_load_b64 v[38:39], v37
.LBB81_130:
	s_and_saveexec_b32 s4, s1
	s_cbranch_execz .LBB81_134
; %bb.131:
	s_movk_i32 s1, 0x90
	v_add_nc_u32_e32 v42, -5, v44
	v_mad_u32 v41, v46, s1, 0x148
	s_movk_i32 s5, 0xb8
	s_mov_b32 s1, 0
.LBB81_132:                             ; =>This Inner Loop Header: Depth=1
	s_delay_alu instid0(VALU_DEP_2)
	v_dual_mov_b32 v43, s5 :: v_dual_add_nc_u32 v42, -1, v42
	s_add_co_i32 s5, s5, 8
	ds_load_b64 v[48:49], v41
	ds_load_b64 v[50:51], v43
	v_add_nc_u32_e32 v41, 8, v41
	v_cmp_eq_u32_e32 vcc_lo, 0, v42
	s_or_b32 s1, vcc_lo, s1
	s_wait_dscnt 0x0
	v_pk_mul_f32 v[54:55], v[50:51], v[48:49] op_sel:[1,1] op_sel_hi:[0,1]
	s_delay_alu instid0(VALU_DEP_1) | instskip(SKIP_1) | instid1(VALU_DEP_2)
	v_pk_fma_f32 v[56:57], v[50:51], v[48:49], v[54:55] op_sel_hi:[1,0,1]
	v_pk_fma_f32 v[48:49], v[50:51], v[48:49], v[54:55] neg_lo:[0,0,1] neg_hi:[0,0,1]
	v_mov_b32_e32 v49, v57
	s_delay_alu instid0(VALU_DEP_1)
	v_pk_add_f32 v[38:39], v[38:39], v[48:49]
	s_and_not1_b32 exec_lo, exec_lo, s1
	s_cbranch_execnz .LBB81_132
; %bb.133:
	s_or_b32 exec_lo, exec_lo, s1
.LBB81_134:
	s_delay_alu instid0(SALU_CYCLE_1) | instskip(SKIP_4) | instid1(VALU_DEP_1)
	s_or_b32 exec_lo, exec_lo, s4
	v_mov_b32_e32 v41, 0
	ds_load_b64 v[42:43], v41 offset:32
	s_wait_dscnt 0x0
	v_pk_mul_f32 v[48:49], v[38:39], v[42:43] op_sel:[1,1] op_sel_hi:[0,1]
	v_pk_fma_f32 v[50:51], v[38:39], v[42:43], v[48:49] op_sel_hi:[1,0,1]
	v_pk_fma_f32 v[38:39], v[38:39], v[42:43], v[48:49] neg_lo:[0,0,1] neg_hi:[0,0,1]
	s_delay_alu instid0(VALU_DEP_2)
	v_mov_b32_e32 v39, v51
	ds_store_b64 v52, v[38:39] offset:32
.LBB81_135:
	s_or_b32 exec_lo, exec_lo, s2
	ds_load_b64 v[38:39], v52 offset:24
	v_cmp_lt_u32_e64 s1, 3, v44
	s_wait_dscnt 0x0
	ds_store_b64 v37, v[38:39]
	s_wait_dscnt 0x0
	s_barrier_signal -1
	s_barrier_wait -1
	s_and_saveexec_b32 s2, s1
	s_cbranch_execz .LBB81_145
; %bb.136:
	s_and_not1_b32 vcc_lo, exec_lo, s3
	s_cbranch_vccnz .LBB81_138
; %bb.137:
	ds_load_b64 v[38:39], v40
	ds_load_b64 v[42:43], v37
	s_wait_dscnt 0x0
	v_pk_mul_f32 v[48:49], v[42:43], v[38:39] op_sel:[1,1] op_sel_hi:[0,1]
	s_delay_alu instid0(VALU_DEP_1) | instskip(SKIP_1) | instid1(VALU_DEP_2)
	v_pk_fma_f32 v[50:51], v[42:43], v[38:39], v[48:49] op_sel_hi:[1,0,1]
	v_pk_fma_f32 v[38:39], v[42:43], v[38:39], v[48:49] neg_lo:[0,0,1] neg_hi:[0,0,1]
	v_mov_b32_e32 v39, v51
	s_cbranch_execz .LBB81_139
	s_branch .LBB81_140
.LBB81_138:
                                        ; implicit-def: $vgpr38_vgpr39
.LBB81_139:
	ds_load_b64 v[38:39], v37
.LBB81_140:
	s_and_saveexec_b32 s4, s0
	s_cbranch_execz .LBB81_144
; %bb.141:
	s_movk_i32 s0, 0x90
	v_add_nc_u32_e32 v42, -4, v44
	v_mad_u32 v41, v46, s0, 0x140
	s_movk_i32 s5, 0xb0
	s_mov_b32 s0, 0
.LBB81_142:                             ; =>This Inner Loop Header: Depth=1
	s_delay_alu instid0(VALU_DEP_2)
	v_dual_mov_b32 v43, s5 :: v_dual_add_nc_u32 v42, -1, v42
	s_add_co_i32 s5, s5, 8
	ds_load_b64 v[48:49], v41
	ds_load_b64 v[50:51], v43
	v_add_nc_u32_e32 v41, 8, v41
	v_cmp_eq_u32_e32 vcc_lo, 0, v42
	s_or_b32 s0, vcc_lo, s0
	s_wait_dscnt 0x0
	v_pk_mul_f32 v[54:55], v[50:51], v[48:49] op_sel:[1,1] op_sel_hi:[0,1]
	s_delay_alu instid0(VALU_DEP_1) | instskip(SKIP_1) | instid1(VALU_DEP_2)
	v_pk_fma_f32 v[56:57], v[50:51], v[48:49], v[54:55] op_sel_hi:[1,0,1]
	v_pk_fma_f32 v[48:49], v[50:51], v[48:49], v[54:55] neg_lo:[0,0,1] neg_hi:[0,0,1]
	v_mov_b32_e32 v49, v57
	s_delay_alu instid0(VALU_DEP_1)
	v_pk_add_f32 v[38:39], v[38:39], v[48:49]
	s_and_not1_b32 exec_lo, exec_lo, s0
	s_cbranch_execnz .LBB81_142
; %bb.143:
	s_or_b32 exec_lo, exec_lo, s0
.LBB81_144:
	s_delay_alu instid0(SALU_CYCLE_1) | instskip(SKIP_4) | instid1(VALU_DEP_1)
	s_or_b32 exec_lo, exec_lo, s4
	v_mov_b32_e32 v41, 0
	ds_load_b64 v[42:43], v41 offset:24
	s_wait_dscnt 0x0
	v_pk_mul_f32 v[48:49], v[38:39], v[42:43] op_sel:[1,1] op_sel_hi:[0,1]
	v_pk_fma_f32 v[50:51], v[38:39], v[42:43], v[48:49] op_sel_hi:[1,0,1]
	v_pk_fma_f32 v[38:39], v[38:39], v[42:43], v[48:49] neg_lo:[0,0,1] neg_hi:[0,0,1]
	s_delay_alu instid0(VALU_DEP_2)
	v_mov_b32_e32 v39, v51
	ds_store_b64 v52, v[38:39] offset:24
.LBB81_145:
	s_or_b32 exec_lo, exec_lo, s2
	ds_load_b64 v[38:39], v52 offset:16
	v_cmp_lt_u32_e64 s2, 2, v44
	s_wait_dscnt 0x0
	ds_store_b64 v37, v[38:39]
	s_wait_dscnt 0x0
	s_barrier_signal -1
	s_barrier_wait -1
	s_and_saveexec_b32 s0, s2
	s_cbranch_execz .LBB81_155
; %bb.146:
	s_and_not1_b32 vcc_lo, exec_lo, s3
	s_cbranch_vccnz .LBB81_148
; %bb.147:
	ds_load_b64 v[38:39], v40
	ds_load_b64 v[42:43], v37
	s_wait_dscnt 0x0
	v_pk_mul_f32 v[48:49], v[42:43], v[38:39] op_sel:[1,1] op_sel_hi:[0,1]
	s_delay_alu instid0(VALU_DEP_1) | instskip(SKIP_1) | instid1(VALU_DEP_2)
	v_pk_fma_f32 v[50:51], v[42:43], v[38:39], v[48:49] op_sel_hi:[1,0,1]
	v_pk_fma_f32 v[38:39], v[42:43], v[38:39], v[48:49] neg_lo:[0,0,1] neg_hi:[0,0,1]
	v_mov_b32_e32 v39, v51
	s_cbranch_execz .LBB81_149
	s_branch .LBB81_150
.LBB81_148:
                                        ; implicit-def: $vgpr38_vgpr39
.LBB81_149:
	ds_load_b64 v[38:39], v37
.LBB81_150:
	s_and_saveexec_b32 s4, s1
	s_cbranch_execz .LBB81_154
; %bb.151:
	s_movk_i32 s1, 0x90
	v_add_nc_u32_e32 v42, -3, v44
	v_mad_u32 v41, v46, s1, 0x138
	s_movk_i32 s5, 0xa8
	s_mov_b32 s1, 0
.LBB81_152:                             ; =>This Inner Loop Header: Depth=1
	s_delay_alu instid0(VALU_DEP_2)
	v_dual_mov_b32 v43, s5 :: v_dual_add_nc_u32 v42, -1, v42
	s_add_co_i32 s5, s5, 8
	ds_load_b64 v[48:49], v41
	ds_load_b64 v[50:51], v43
	v_add_nc_u32_e32 v41, 8, v41
	v_cmp_eq_u32_e32 vcc_lo, 0, v42
	s_or_b32 s1, vcc_lo, s1
	s_wait_dscnt 0x0
	v_pk_mul_f32 v[54:55], v[50:51], v[48:49] op_sel:[1,1] op_sel_hi:[0,1]
	s_delay_alu instid0(VALU_DEP_1) | instskip(SKIP_1) | instid1(VALU_DEP_2)
	v_pk_fma_f32 v[56:57], v[50:51], v[48:49], v[54:55] op_sel_hi:[1,0,1]
	v_pk_fma_f32 v[48:49], v[50:51], v[48:49], v[54:55] neg_lo:[0,0,1] neg_hi:[0,0,1]
	v_mov_b32_e32 v49, v57
	s_delay_alu instid0(VALU_DEP_1)
	v_pk_add_f32 v[38:39], v[38:39], v[48:49]
	s_and_not1_b32 exec_lo, exec_lo, s1
	s_cbranch_execnz .LBB81_152
; %bb.153:
	s_or_b32 exec_lo, exec_lo, s1
.LBB81_154:
	s_delay_alu instid0(SALU_CYCLE_1) | instskip(SKIP_4) | instid1(VALU_DEP_1)
	s_or_b32 exec_lo, exec_lo, s4
	v_mov_b32_e32 v41, 0
	ds_load_b64 v[42:43], v41 offset:16
	s_wait_dscnt 0x0
	v_pk_mul_f32 v[48:49], v[38:39], v[42:43] op_sel:[1,1] op_sel_hi:[0,1]
	v_pk_fma_f32 v[50:51], v[38:39], v[42:43], v[48:49] op_sel_hi:[1,0,1]
	v_pk_fma_f32 v[38:39], v[38:39], v[42:43], v[48:49] neg_lo:[0,0,1] neg_hi:[0,0,1]
	s_delay_alu instid0(VALU_DEP_2)
	v_mov_b32_e32 v39, v51
	ds_store_b64 v52, v[38:39] offset:16
.LBB81_155:
	s_or_b32 exec_lo, exec_lo, s0
	ds_load_b64 v[38:39], v52 offset:8
	v_cmp_lt_u32_e64 s0, 1, v44
	s_wait_dscnt 0x0
	ds_store_b64 v37, v[38:39]
	s_wait_dscnt 0x0
	s_barrier_signal -1
	s_barrier_wait -1
	s_and_saveexec_b32 s1, s0
	s_cbranch_execz .LBB81_165
; %bb.156:
	s_and_not1_b32 vcc_lo, exec_lo, s3
	s_cbranch_vccnz .LBB81_158
; %bb.157:
	ds_load_b64 v[38:39], v40
	ds_load_b64 v[42:43], v37
	s_wait_dscnt 0x0
	v_pk_mul_f32 v[48:49], v[42:43], v[38:39] op_sel:[1,1] op_sel_hi:[0,1]
	s_delay_alu instid0(VALU_DEP_1) | instskip(SKIP_1) | instid1(VALU_DEP_2)
	v_pk_fma_f32 v[50:51], v[42:43], v[38:39], v[48:49] op_sel_hi:[1,0,1]
	v_pk_fma_f32 v[38:39], v[42:43], v[38:39], v[48:49] neg_lo:[0,0,1] neg_hi:[0,0,1]
	v_mov_b32_e32 v39, v51
	s_cbranch_execz .LBB81_159
	s_branch .LBB81_160
.LBB81_158:
                                        ; implicit-def: $vgpr38_vgpr39
.LBB81_159:
	ds_load_b64 v[38:39], v37
.LBB81_160:
	s_and_saveexec_b32 s4, s2
	s_cbranch_execz .LBB81_164
; %bb.161:
	s_movk_i32 s2, 0x90
	v_add_nc_u32_e32 v42, -2, v44
	v_mad_u32 v41, v46, s2, 0x130
	s_movk_i32 s5, 0xa0
	s_mov_b32 s2, 0
.LBB81_162:                             ; =>This Inner Loop Header: Depth=1
	s_delay_alu instid0(VALU_DEP_2)
	v_dual_mov_b32 v43, s5 :: v_dual_add_nc_u32 v42, -1, v42
	s_add_co_i32 s5, s5, 8
	ds_load_b64 v[48:49], v41
	ds_load_b64 v[50:51], v43
	v_add_nc_u32_e32 v41, 8, v41
	v_cmp_eq_u32_e32 vcc_lo, 0, v42
	s_or_b32 s2, vcc_lo, s2
	s_wait_dscnt 0x0
	v_pk_mul_f32 v[54:55], v[50:51], v[48:49] op_sel:[1,1] op_sel_hi:[0,1]
	s_delay_alu instid0(VALU_DEP_1) | instskip(SKIP_1) | instid1(VALU_DEP_2)
	v_pk_fma_f32 v[56:57], v[50:51], v[48:49], v[54:55] op_sel_hi:[1,0,1]
	v_pk_fma_f32 v[48:49], v[50:51], v[48:49], v[54:55] neg_lo:[0,0,1] neg_hi:[0,0,1]
	v_mov_b32_e32 v49, v57
	s_delay_alu instid0(VALU_DEP_1)
	v_pk_add_f32 v[38:39], v[38:39], v[48:49]
	s_and_not1_b32 exec_lo, exec_lo, s2
	s_cbranch_execnz .LBB81_162
; %bb.163:
	s_or_b32 exec_lo, exec_lo, s2
.LBB81_164:
	s_delay_alu instid0(SALU_CYCLE_1) | instskip(SKIP_4) | instid1(VALU_DEP_1)
	s_or_b32 exec_lo, exec_lo, s4
	v_mov_b32_e32 v41, 0
	ds_load_b64 v[42:43], v41 offset:8
	s_wait_dscnt 0x0
	v_pk_mul_f32 v[48:49], v[38:39], v[42:43] op_sel:[1,1] op_sel_hi:[0,1]
	v_pk_fma_f32 v[50:51], v[38:39], v[42:43], v[48:49] op_sel_hi:[1,0,1]
	v_pk_fma_f32 v[38:39], v[38:39], v[42:43], v[48:49] neg_lo:[0,0,1] neg_hi:[0,0,1]
	s_delay_alu instid0(VALU_DEP_2)
	v_mov_b32_e32 v39, v51
	ds_store_b64 v52, v[38:39] offset:8
.LBB81_165:
	s_or_b32 exec_lo, exec_lo, s1
	ds_load_b64 v[38:39], v52
	s_mov_b32 s2, 0
	s_mov_b32 s1, 0
	s_mov_b32 s4, exec_lo
                                        ; implicit-def: $vgpr53
                                        ; implicit-def: $vgpr54
	s_wait_dscnt 0x0
	ds_store_b64 v37, v[38:39]
	s_wait_dscnt 0x0
	s_barrier_signal -1
	s_barrier_wait -1
	v_cmpx_ne_u32_e32 0, v44
	s_cbranch_execz .LBB81_175
; %bb.166:
	s_and_not1_b32 vcc_lo, exec_lo, s3
	s_cbranch_vccnz .LBB81_168
; %bb.167:
	ds_load_b64 v[42:43], v40
	ds_load_b64 v[48:49], v37
	s_wait_dscnt 0x0
	v_dual_mul_f32 v38, v49, v43 :: v_dual_mul_f32 v39, v48, v43
	s_delay_alu instid0(VALU_DEP_1)
	v_dual_fma_f32 v38, v48, v42, -v38 :: v_dual_fmac_f32 v39, v49, v42
	s_and_not1_b32 vcc_lo, exec_lo, s1
	s_cbranch_vccz .LBB81_169
	s_branch .LBB81_170
.LBB81_168:
                                        ; implicit-def: $vgpr38
.LBB81_169:
	ds_load_b64 v[38:39], v37
.LBB81_170:
	s_and_saveexec_b32 s1, s0
	s_cbranch_execz .LBB81_174
; %bb.171:
	s_movk_i32 s0, 0x90
	v_add_nc_u32_e32 v42, -1, v44
	v_mad_u32 v41, v46, s0, 0x128
	s_movk_i32 s5, 0x98
	s_mov_b32 s0, 0
.LBB81_172:                             ; =>This Inner Loop Header: Depth=1
	v_mov_b32_e32 v43, s5
	s_add_co_i32 s5, s5, 8
	ds_load_b64 v[46:47], v41
	ds_load_b64 v[48:49], v43
	v_dual_add_nc_u32 v42, -1, v42 :: v_dual_add_nc_u32 v41, 8, v41
	s_delay_alu instid0(VALU_DEP_1) | instskip(SKIP_3) | instid1(VALU_DEP_1)
	v_cmp_eq_u32_e32 vcc_lo, 0, v42
	s_or_b32 s0, vcc_lo, s0
	s_wait_dscnt 0x0
	v_dual_mul_f32 v43, v49, v47 :: v_dual_mul_f32 v47, v48, v47
	v_fma_f32 v43, v48, v46, -v43
	s_delay_alu instid0(VALU_DEP_1) | instskip(NEXT) | instid1(VALU_DEP_1)
	v_dual_fmac_f32 v47, v49, v46 :: v_dual_add_f32 v38, v38, v43
	v_add_f32_e32 v39, v39, v47
	s_and_not1_b32 exec_lo, exec_lo, s0
	s_cbranch_execnz .LBB81_172
; %bb.173:
	s_or_b32 exec_lo, exec_lo, s0
.LBB81_174:
	s_delay_alu instid0(SALU_CYCLE_1)
	s_or_b32 exec_lo, exec_lo, s1
	v_mov_b32_e32 v41, 0
	s_mov_b32 s1, exec_lo
	v_add_nc_u32_e32 v54, 4, v52
	ds_load_b64 v[42:43], v41
	s_wait_dscnt 0x0
	v_dual_mul_f32 v41, v39, v43 :: v_dual_mul_f32 v53, v38, v43
	s_delay_alu instid0(VALU_DEP_1) | instskip(NEXT) | instid1(VALU_DEP_2)
	v_fma_f32 v38, v38, v42, -v41
	v_fmac_f32_e32 v53, v39, v42
	ds_store_b32 v52, v38
.LBB81_175:
	s_or_b32 exec_lo, exec_lo, s4
	s_delay_alu instid0(SALU_CYCLE_1)
	s_and_b32 vcc_lo, exec_lo, s2
	s_cbranch_vccz .LBB81_341
.LBB81_176:
	ds_load_b64 v[38:39], v52 offset:8
	v_cmp_eq_u32_e64 s0, 0, v44
	s_wait_dscnt 0x0
	ds_store_b64 v37, v[38:39]
	s_wait_dscnt 0x0
	s_barrier_signal -1
	s_barrier_wait -1
	s_and_saveexec_b32 s2, s0
	s_cbranch_execz .LBB81_182
; %bb.177:
	s_and_b32 vcc_lo, exec_lo, s3
	s_cbranch_vccz .LBB81_179
; %bb.178:
	ds_load_b64 v[38:39], v40
	ds_load_b64 v[42:43], v37
	s_wait_dscnt 0x0
	v_pk_mul_f32 v[46:47], v[42:43], v[38:39] op_sel:[1,1] op_sel_hi:[0,1]
	v_pk_mul_f32 v[48:49], v[42:43], v[38:39] op_sel_hi:[1,0]
	s_delay_alu instid0(VALU_DEP_2) | instskip(NEXT) | instid1(VALU_DEP_2)
	v_pk_fma_f32 v[38:39], v[42:43], v[38:39], v[46:47] op_sel_hi:[1,0,1]
	v_sub_f32_e32 v38, v48, v46
	s_cbranch_execz .LBB81_180
	s_branch .LBB81_181
.LBB81_179:
                                        ; implicit-def: $vgpr39
.LBB81_180:
	ds_load_b64 v[38:39], v37
.LBB81_181:
	s_wait_dscnt 0x0
	v_dual_mov_b32 v41, 0 :: v_dual_mov_b32 v46, v39
	v_mov_b32_e32 v47, v38
	ds_load_b64 v[42:43], v41 offset:8
	s_wait_dscnt 0x0
	v_pk_mul_f32 v[46:47], v[46:47], v[42:43] op_sel:[0,1]
	s_delay_alu instid0(VALU_DEP_1) | instskip(SKIP_1) | instid1(VALU_DEP_2)
	v_pk_fma_f32 v[48:49], v[38:39], v[42:43], v[46:47] op_sel_hi:[1,0,1]
	v_pk_fma_f32 v[38:39], v[38:39], v[42:43], v[46:47] neg_lo:[0,0,1] neg_hi:[0,0,1]
	v_mov_b32_e32 v39, v49
	ds_store_b64 v52, v[38:39] offset:8
.LBB81_182:
	s_or_b32 exec_lo, exec_lo, s2
	ds_load_b64 v[38:39], v52 offset:16
	v_cndmask_b32_e64 v41, 0, 1, s3
	s_mov_b32 s2, exec_lo
	s_wait_dscnt 0x0
	ds_store_b64 v37, v[38:39]
	s_wait_dscnt 0x0
	s_barrier_signal -1
	s_barrier_wait -1
	v_cmpx_gt_u32_e32 2, v44
	s_cbranch_execz .LBB81_190
; %bb.183:
	s_and_not1_b32 vcc_lo, exec_lo, s3
	s_cbranch_vccnz .LBB81_185
; %bb.184:
	ds_load_b64 v[38:39], v40
	ds_load_b64 v[42:43], v37
	s_wait_dscnt 0x0
	v_pk_mul_f32 v[46:47], v[42:43], v[38:39] op_sel:[1,1] op_sel_hi:[0,1]
	s_delay_alu instid0(VALU_DEP_1) | instskip(SKIP_1) | instid1(VALU_DEP_2)
	v_pk_fma_f32 v[48:49], v[42:43], v[38:39], v[46:47] op_sel_hi:[1,0,1]
	v_pk_fma_f32 v[38:39], v[42:43], v[38:39], v[46:47] neg_lo:[0,0,1] neg_hi:[0,0,1]
	v_mov_b32_e32 v39, v49
	s_cbranch_execz .LBB81_186
	s_branch .LBB81_187
.LBB81_185:
                                        ; implicit-def: $vgpr38_vgpr39
.LBB81_186:
	ds_load_b64 v[38:39], v37
.LBB81_187:
	s_and_saveexec_b32 s3, s0
	s_cbranch_execz .LBB81_189
; %bb.188:
	v_mov_b32_e32 v46, 0
	ds_load_b64 v[42:43], v52 offset:8
	ds_load_b64 v[46:47], v46 offset:152
	s_wait_dscnt 0x0
	v_pk_mul_f32 v[48:49], v[46:47], v[42:43] op_sel:[1,1] op_sel_hi:[0,1]
	s_delay_alu instid0(VALU_DEP_1) | instskip(SKIP_1) | instid1(VALU_DEP_2)
	v_pk_fma_f32 v[50:51], v[46:47], v[42:43], v[48:49] op_sel_hi:[1,0,1]
	v_pk_fma_f32 v[42:43], v[46:47], v[42:43], v[48:49] neg_lo:[0,0,1] neg_hi:[0,0,1]
	v_mov_b32_e32 v43, v51
	s_delay_alu instid0(VALU_DEP_1)
	v_pk_add_f32 v[38:39], v[38:39], v[42:43]
.LBB81_189:
	s_or_b32 exec_lo, exec_lo, s3
	v_mov_b32_e32 v42, 0
	ds_load_b64 v[42:43], v42 offset:16
	s_wait_dscnt 0x0
	v_pk_mul_f32 v[46:47], v[38:39], v[42:43] op_sel:[1,1] op_sel_hi:[0,1]
	s_delay_alu instid0(VALU_DEP_1) | instskip(SKIP_1) | instid1(VALU_DEP_2)
	v_pk_fma_f32 v[48:49], v[38:39], v[42:43], v[46:47] op_sel_hi:[1,0,1]
	v_pk_fma_f32 v[38:39], v[38:39], v[42:43], v[46:47] neg_lo:[0,0,1] neg_hi:[0,0,1]
	v_mov_b32_e32 v39, v49
	ds_store_b64 v52, v[38:39] offset:16
.LBB81_190:
	s_or_b32 exec_lo, exec_lo, s2
	ds_load_b64 v[38:39], v52 offset:24
	s_mov_b32 s2, exec_lo
	s_wait_dscnt 0x0
	ds_store_b64 v37, v[38:39]
	s_wait_dscnt 0x0
	s_barrier_signal -1
	s_barrier_wait -1
	v_cmpx_gt_u32_e32 3, v44
	s_cbranch_execz .LBB81_200
; %bb.191:
	v_cmp_ne_u32_e32 vcc_lo, 1, v41
	s_cbranch_vccnz .LBB81_193
; %bb.192:
	ds_load_b64 v[38:39], v40
	ds_load_b64 v[42:43], v37
	s_wait_dscnt 0x0
	v_pk_mul_f32 v[46:47], v[42:43], v[38:39] op_sel:[1,1] op_sel_hi:[0,1]
	s_delay_alu instid0(VALU_DEP_1) | instskip(SKIP_1) | instid1(VALU_DEP_2)
	v_pk_fma_f32 v[48:49], v[42:43], v[38:39], v[46:47] op_sel_hi:[1,0,1]
	v_pk_fma_f32 v[38:39], v[42:43], v[38:39], v[46:47] neg_lo:[0,0,1] neg_hi:[0,0,1]
	v_mov_b32_e32 v39, v49
	s_cbranch_execz .LBB81_194
	s_branch .LBB81_195
.LBB81_193:
                                        ; implicit-def: $vgpr38_vgpr39
.LBB81_194:
	ds_load_b64 v[38:39], v37
.LBB81_195:
	s_mov_b32 s3, exec_lo
	v_cmpx_ne_u32_e32 2, v44
	s_cbranch_execz .LBB81_199
; %bb.196:
	ds_load_b64 v[42:43], v40 offset:8
	ds_load_b64 v[46:47], v37 offset:8
	s_wait_dscnt 0x0
	v_pk_mul_f32 v[48:49], v[46:47], v[42:43] op_sel:[1,1] op_sel_hi:[0,1]
	s_delay_alu instid0(VALU_DEP_1) | instskip(SKIP_1) | instid1(VALU_DEP_2)
	v_pk_fma_f32 v[50:51], v[46:47], v[42:43], v[48:49] op_sel_hi:[1,0,1]
	v_pk_fma_f32 v[42:43], v[46:47], v[42:43], v[48:49] neg_lo:[0,0,1] neg_hi:[0,0,1]
	v_mov_b32_e32 v43, v51
	s_delay_alu instid0(VALU_DEP_1)
	v_pk_add_f32 v[38:39], v[38:39], v[42:43]
	s_and_saveexec_b32 s4, s0
	s_cbranch_execz .LBB81_198
; %bb.197:
	v_mov_b32_e32 v42, 0
	ds_load_b64 v[42:43], v42 offset:160
	ds_load_b64 v[46:47], v52 offset:16
	s_wait_dscnt 0x0
	v_pk_mul_f32 v[48:49], v[42:43], v[46:47] op_sel:[1,1] op_sel_hi:[0,1]
	s_delay_alu instid0(VALU_DEP_1) | instskip(SKIP_1) | instid1(VALU_DEP_2)
	v_pk_fma_f32 v[50:51], v[42:43], v[46:47], v[48:49] op_sel_hi:[1,0,1]
	v_pk_fma_f32 v[42:43], v[42:43], v[46:47], v[48:49] neg_lo:[0,0,1] neg_hi:[0,0,1]
	v_mov_b32_e32 v43, v51
	s_delay_alu instid0(VALU_DEP_1)
	v_pk_add_f32 v[38:39], v[38:39], v[42:43]
.LBB81_198:
	s_or_b32 exec_lo, exec_lo, s4
.LBB81_199:
	s_delay_alu instid0(SALU_CYCLE_1) | instskip(SKIP_4) | instid1(VALU_DEP_1)
	s_or_b32 exec_lo, exec_lo, s3
	v_mov_b32_e32 v42, 0
	ds_load_b64 v[42:43], v42 offset:24
	s_wait_dscnt 0x0
	v_pk_mul_f32 v[46:47], v[38:39], v[42:43] op_sel:[1,1] op_sel_hi:[0,1]
	v_pk_fma_f32 v[48:49], v[38:39], v[42:43], v[46:47] op_sel_hi:[1,0,1]
	v_pk_fma_f32 v[38:39], v[38:39], v[42:43], v[46:47] neg_lo:[0,0,1] neg_hi:[0,0,1]
	s_delay_alu instid0(VALU_DEP_2)
	v_mov_b32_e32 v39, v49
	ds_store_b64 v52, v[38:39] offset:24
.LBB81_200:
	s_or_b32 exec_lo, exec_lo, s2
	ds_load_b64 v[38:39], v52 offset:32
	s_mov_b32 s0, exec_lo
	s_wait_dscnt 0x0
	ds_store_b64 v37, v[38:39]
	s_wait_dscnt 0x0
	s_barrier_signal -1
	s_barrier_wait -1
	v_cmpx_gt_u32_e32 4, v44
	s_cbranch_execz .LBB81_210
; %bb.201:
	v_cmp_ne_u32_e32 vcc_lo, 1, v41
	s_cbranch_vccnz .LBB81_203
; %bb.202:
	ds_load_b64 v[38:39], v40
	ds_load_b64 v[42:43], v37
	s_wait_dscnt 0x0
	v_pk_mul_f32 v[46:47], v[42:43], v[38:39] op_sel:[1,1] op_sel_hi:[0,1]
	s_delay_alu instid0(VALU_DEP_1) | instskip(SKIP_1) | instid1(VALU_DEP_2)
	v_pk_fma_f32 v[48:49], v[42:43], v[38:39], v[46:47] op_sel_hi:[1,0,1]
	v_pk_fma_f32 v[38:39], v[42:43], v[38:39], v[46:47] neg_lo:[0,0,1] neg_hi:[0,0,1]
	v_mov_b32_e32 v39, v49
	s_cbranch_execz .LBB81_204
	s_branch .LBB81_205
.LBB81_203:
                                        ; implicit-def: $vgpr38_vgpr39
.LBB81_204:
	ds_load_b64 v[38:39], v37
.LBB81_205:
	s_mov_b32 s2, exec_lo
	v_cmpx_ne_u32_e32 3, v44
	s_cbranch_execz .LBB81_209
; %bb.206:
	v_add_nc_u32_e32 v42, 0x98, v36
	v_add3_u32 v43, v45, v36, 0x128
	v_mov_b32_e32 v46, v44
	s_mov_b32 s3, 0
.LBB81_207:                             ; =>This Inner Loop Header: Depth=1
	ds_load_b64 v[48:49], v43
	ds_load_b64 v[50:51], v42
	v_dual_add_nc_u32 v42, 8, v42 :: v_dual_add_nc_u32 v43, 8, v43
	s_wait_dscnt 0x0
	v_pk_mul_f32 v[54:55], v[50:51], v[48:49] op_sel:[1,1] op_sel_hi:[0,1]
	s_delay_alu instid0(VALU_DEP_1) | instskip(SKIP_2) | instid1(VALU_DEP_3)
	v_pk_fma_f32 v[56:57], v[50:51], v[48:49], v[54:55] op_sel_hi:[1,0,1]
	v_add_nc_u32_e32 v46, 1, v46
	v_pk_fma_f32 v[48:49], v[50:51], v[48:49], v[54:55] neg_lo:[0,0,1] neg_hi:[0,0,1]
	v_mov_b32_e32 v49, v57
	s_delay_alu instid0(VALU_DEP_3) | instskip(NEXT) | instid1(VALU_DEP_2)
	v_cmp_lt_u32_e32 vcc_lo, 2, v46
	v_pk_add_f32 v[38:39], v[38:39], v[48:49]
	s_or_b32 s3, vcc_lo, s3
	s_delay_alu instid0(SALU_CYCLE_1)
	s_and_not1_b32 exec_lo, exec_lo, s3
	s_cbranch_execnz .LBB81_207
; %bb.208:
	s_or_b32 exec_lo, exec_lo, s3
.LBB81_209:
	s_delay_alu instid0(SALU_CYCLE_1) | instskip(SKIP_4) | instid1(VALU_DEP_1)
	s_or_b32 exec_lo, exec_lo, s2
	v_mov_b32_e32 v42, 0
	ds_load_b64 v[42:43], v42 offset:32
	s_wait_dscnt 0x0
	v_pk_mul_f32 v[46:47], v[38:39], v[42:43] op_sel:[1,1] op_sel_hi:[0,1]
	v_pk_fma_f32 v[48:49], v[38:39], v[42:43], v[46:47] op_sel_hi:[1,0,1]
	v_pk_fma_f32 v[38:39], v[38:39], v[42:43], v[46:47] neg_lo:[0,0,1] neg_hi:[0,0,1]
	s_delay_alu instid0(VALU_DEP_2)
	v_mov_b32_e32 v39, v49
	ds_store_b64 v52, v[38:39] offset:32
.LBB81_210:
	s_or_b32 exec_lo, exec_lo, s0
	ds_load_b64 v[38:39], v52 offset:40
	s_mov_b32 s0, exec_lo
	s_wait_dscnt 0x0
	ds_store_b64 v37, v[38:39]
	s_wait_dscnt 0x0
	s_barrier_signal -1
	s_barrier_wait -1
	v_cmpx_gt_u32_e32 5, v44
	s_cbranch_execz .LBB81_220
; %bb.211:
	v_cmp_ne_u32_e32 vcc_lo, 1, v41
	s_cbranch_vccnz .LBB81_213
; %bb.212:
	ds_load_b64 v[38:39], v40
	ds_load_b64 v[42:43], v37
	s_wait_dscnt 0x0
	v_pk_mul_f32 v[46:47], v[42:43], v[38:39] op_sel:[1,1] op_sel_hi:[0,1]
	s_delay_alu instid0(VALU_DEP_1) | instskip(SKIP_1) | instid1(VALU_DEP_2)
	v_pk_fma_f32 v[48:49], v[42:43], v[38:39], v[46:47] op_sel_hi:[1,0,1]
	v_pk_fma_f32 v[38:39], v[42:43], v[38:39], v[46:47] neg_lo:[0,0,1] neg_hi:[0,0,1]
	v_mov_b32_e32 v39, v49
	s_cbranch_execz .LBB81_214
	s_branch .LBB81_215
.LBB81_213:
                                        ; implicit-def: $vgpr38_vgpr39
.LBB81_214:
	ds_load_b64 v[38:39], v37
.LBB81_215:
	s_mov_b32 s2, exec_lo
	v_cmpx_ne_u32_e32 4, v44
	s_cbranch_execz .LBB81_219
; %bb.216:
	v_add_nc_u32_e32 v42, 0x98, v36
	v_add3_u32 v43, v45, v36, 0x128
	v_mov_b32_e32 v46, v44
	s_mov_b32 s3, 0
.LBB81_217:                             ; =>This Inner Loop Header: Depth=1
	ds_load_b64 v[48:49], v43
	ds_load_b64 v[50:51], v42
	v_dual_add_nc_u32 v42, 8, v42 :: v_dual_add_nc_u32 v43, 8, v43
	s_wait_dscnt 0x0
	v_pk_mul_f32 v[54:55], v[50:51], v[48:49] op_sel:[1,1] op_sel_hi:[0,1]
	s_delay_alu instid0(VALU_DEP_1) | instskip(SKIP_2) | instid1(VALU_DEP_3)
	v_pk_fma_f32 v[56:57], v[50:51], v[48:49], v[54:55] op_sel_hi:[1,0,1]
	v_add_nc_u32_e32 v46, 1, v46
	v_pk_fma_f32 v[48:49], v[50:51], v[48:49], v[54:55] neg_lo:[0,0,1] neg_hi:[0,0,1]
	v_mov_b32_e32 v49, v57
	s_delay_alu instid0(VALU_DEP_3) | instskip(NEXT) | instid1(VALU_DEP_2)
	v_cmp_lt_u32_e32 vcc_lo, 3, v46
	v_pk_add_f32 v[38:39], v[38:39], v[48:49]
	s_or_b32 s3, vcc_lo, s3
	s_delay_alu instid0(SALU_CYCLE_1)
	s_and_not1_b32 exec_lo, exec_lo, s3
	s_cbranch_execnz .LBB81_217
; %bb.218:
	s_or_b32 exec_lo, exec_lo, s3
.LBB81_219:
	s_delay_alu instid0(SALU_CYCLE_1) | instskip(SKIP_4) | instid1(VALU_DEP_1)
	s_or_b32 exec_lo, exec_lo, s2
	v_mov_b32_e32 v42, 0
	ds_load_b64 v[42:43], v42 offset:40
	s_wait_dscnt 0x0
	v_pk_mul_f32 v[46:47], v[38:39], v[42:43] op_sel:[1,1] op_sel_hi:[0,1]
	v_pk_fma_f32 v[48:49], v[38:39], v[42:43], v[46:47] op_sel_hi:[1,0,1]
	v_pk_fma_f32 v[38:39], v[38:39], v[42:43], v[46:47] neg_lo:[0,0,1] neg_hi:[0,0,1]
	s_delay_alu instid0(VALU_DEP_2)
	v_mov_b32_e32 v39, v49
	ds_store_b64 v52, v[38:39] offset:40
.LBB81_220:
	s_or_b32 exec_lo, exec_lo, s0
	ds_load_b64 v[38:39], v52 offset:48
	s_mov_b32 s0, exec_lo
	s_wait_dscnt 0x0
	ds_store_b64 v37, v[38:39]
	s_wait_dscnt 0x0
	s_barrier_signal -1
	s_barrier_wait -1
	v_cmpx_gt_u32_e32 6, v44
	s_cbranch_execz .LBB81_230
; %bb.221:
	v_cmp_ne_u32_e32 vcc_lo, 1, v41
	s_cbranch_vccnz .LBB81_223
; %bb.222:
	ds_load_b64 v[38:39], v40
	ds_load_b64 v[42:43], v37
	s_wait_dscnt 0x0
	v_pk_mul_f32 v[46:47], v[42:43], v[38:39] op_sel:[1,1] op_sel_hi:[0,1]
	s_delay_alu instid0(VALU_DEP_1) | instskip(SKIP_1) | instid1(VALU_DEP_2)
	v_pk_fma_f32 v[48:49], v[42:43], v[38:39], v[46:47] op_sel_hi:[1,0,1]
	v_pk_fma_f32 v[38:39], v[42:43], v[38:39], v[46:47] neg_lo:[0,0,1] neg_hi:[0,0,1]
	v_mov_b32_e32 v39, v49
	s_cbranch_execz .LBB81_224
	s_branch .LBB81_225
.LBB81_223:
                                        ; implicit-def: $vgpr38_vgpr39
.LBB81_224:
	ds_load_b64 v[38:39], v37
.LBB81_225:
	s_mov_b32 s2, exec_lo
	v_cmpx_ne_u32_e32 5, v44
	s_cbranch_execz .LBB81_229
; %bb.226:
	v_add_nc_u32_e32 v42, 0x98, v36
	v_add3_u32 v43, v45, v36, 0x128
	v_mov_b32_e32 v46, v44
	s_mov_b32 s3, 0
.LBB81_227:                             ; =>This Inner Loop Header: Depth=1
	ds_load_b64 v[48:49], v43
	ds_load_b64 v[50:51], v42
	v_dual_add_nc_u32 v42, 8, v42 :: v_dual_add_nc_u32 v43, 8, v43
	s_wait_dscnt 0x0
	v_pk_mul_f32 v[54:55], v[50:51], v[48:49] op_sel:[1,1] op_sel_hi:[0,1]
	s_delay_alu instid0(VALU_DEP_1) | instskip(SKIP_2) | instid1(VALU_DEP_3)
	v_pk_fma_f32 v[56:57], v[50:51], v[48:49], v[54:55] op_sel_hi:[1,0,1]
	v_add_nc_u32_e32 v46, 1, v46
	v_pk_fma_f32 v[48:49], v[50:51], v[48:49], v[54:55] neg_lo:[0,0,1] neg_hi:[0,0,1]
	v_mov_b32_e32 v49, v57
	s_delay_alu instid0(VALU_DEP_3) | instskip(NEXT) | instid1(VALU_DEP_2)
	v_cmp_lt_u32_e32 vcc_lo, 4, v46
	v_pk_add_f32 v[38:39], v[38:39], v[48:49]
	s_or_b32 s3, vcc_lo, s3
	s_delay_alu instid0(SALU_CYCLE_1)
	s_and_not1_b32 exec_lo, exec_lo, s3
	s_cbranch_execnz .LBB81_227
; %bb.228:
	s_or_b32 exec_lo, exec_lo, s3
.LBB81_229:
	s_delay_alu instid0(SALU_CYCLE_1) | instskip(SKIP_4) | instid1(VALU_DEP_1)
	s_or_b32 exec_lo, exec_lo, s2
	v_mov_b32_e32 v42, 0
	ds_load_b64 v[42:43], v42 offset:48
	s_wait_dscnt 0x0
	v_pk_mul_f32 v[46:47], v[38:39], v[42:43] op_sel:[1,1] op_sel_hi:[0,1]
	v_pk_fma_f32 v[48:49], v[38:39], v[42:43], v[46:47] op_sel_hi:[1,0,1]
	v_pk_fma_f32 v[38:39], v[38:39], v[42:43], v[46:47] neg_lo:[0,0,1] neg_hi:[0,0,1]
	s_delay_alu instid0(VALU_DEP_2)
	v_mov_b32_e32 v39, v49
	ds_store_b64 v52, v[38:39] offset:48
.LBB81_230:
	s_or_b32 exec_lo, exec_lo, s0
	ds_load_b64 v[38:39], v52 offset:56
	s_mov_b32 s0, exec_lo
	s_wait_dscnt 0x0
	ds_store_b64 v37, v[38:39]
	s_wait_dscnt 0x0
	s_barrier_signal -1
	s_barrier_wait -1
	v_cmpx_gt_u32_e32 7, v44
	s_cbranch_execz .LBB81_240
; %bb.231:
	v_cmp_ne_u32_e32 vcc_lo, 1, v41
	s_cbranch_vccnz .LBB81_233
; %bb.232:
	ds_load_b64 v[38:39], v40
	ds_load_b64 v[42:43], v37
	s_wait_dscnt 0x0
	v_pk_mul_f32 v[46:47], v[42:43], v[38:39] op_sel:[1,1] op_sel_hi:[0,1]
	s_delay_alu instid0(VALU_DEP_1) | instskip(SKIP_1) | instid1(VALU_DEP_2)
	v_pk_fma_f32 v[48:49], v[42:43], v[38:39], v[46:47] op_sel_hi:[1,0,1]
	v_pk_fma_f32 v[38:39], v[42:43], v[38:39], v[46:47] neg_lo:[0,0,1] neg_hi:[0,0,1]
	v_mov_b32_e32 v39, v49
	s_cbranch_execz .LBB81_234
	s_branch .LBB81_235
.LBB81_233:
                                        ; implicit-def: $vgpr38_vgpr39
.LBB81_234:
	ds_load_b64 v[38:39], v37
.LBB81_235:
	s_mov_b32 s2, exec_lo
	v_cmpx_ne_u32_e32 6, v44
	s_cbranch_execz .LBB81_239
; %bb.236:
	v_add_nc_u32_e32 v42, 0x98, v36
	v_add3_u32 v43, v45, v36, 0x128
	v_mov_b32_e32 v46, v44
	s_mov_b32 s3, 0
.LBB81_237:                             ; =>This Inner Loop Header: Depth=1
	ds_load_b64 v[48:49], v43
	ds_load_b64 v[50:51], v42
	v_dual_add_nc_u32 v42, 8, v42 :: v_dual_add_nc_u32 v43, 8, v43
	s_wait_dscnt 0x0
	v_pk_mul_f32 v[54:55], v[50:51], v[48:49] op_sel:[1,1] op_sel_hi:[0,1]
	s_delay_alu instid0(VALU_DEP_1) | instskip(SKIP_2) | instid1(VALU_DEP_3)
	v_pk_fma_f32 v[56:57], v[50:51], v[48:49], v[54:55] op_sel_hi:[1,0,1]
	v_add_nc_u32_e32 v46, 1, v46
	v_pk_fma_f32 v[48:49], v[50:51], v[48:49], v[54:55] neg_lo:[0,0,1] neg_hi:[0,0,1]
	v_mov_b32_e32 v49, v57
	s_delay_alu instid0(VALU_DEP_3) | instskip(NEXT) | instid1(VALU_DEP_2)
	v_cmp_lt_u32_e32 vcc_lo, 5, v46
	v_pk_add_f32 v[38:39], v[38:39], v[48:49]
	s_or_b32 s3, vcc_lo, s3
	s_delay_alu instid0(SALU_CYCLE_1)
	s_and_not1_b32 exec_lo, exec_lo, s3
	s_cbranch_execnz .LBB81_237
; %bb.238:
	s_or_b32 exec_lo, exec_lo, s3
.LBB81_239:
	s_delay_alu instid0(SALU_CYCLE_1) | instskip(SKIP_4) | instid1(VALU_DEP_1)
	s_or_b32 exec_lo, exec_lo, s2
	v_mov_b32_e32 v42, 0
	ds_load_b64 v[42:43], v42 offset:56
	s_wait_dscnt 0x0
	v_pk_mul_f32 v[46:47], v[38:39], v[42:43] op_sel:[1,1] op_sel_hi:[0,1]
	v_pk_fma_f32 v[48:49], v[38:39], v[42:43], v[46:47] op_sel_hi:[1,0,1]
	v_pk_fma_f32 v[38:39], v[38:39], v[42:43], v[46:47] neg_lo:[0,0,1] neg_hi:[0,0,1]
	s_delay_alu instid0(VALU_DEP_2)
	v_mov_b32_e32 v39, v49
	ds_store_b64 v52, v[38:39] offset:56
.LBB81_240:
	s_or_b32 exec_lo, exec_lo, s0
	ds_load_b64 v[38:39], v52 offset:64
	s_mov_b32 s0, exec_lo
	s_wait_dscnt 0x0
	ds_store_b64 v37, v[38:39]
	s_wait_dscnt 0x0
	s_barrier_signal -1
	s_barrier_wait -1
	v_cmpx_gt_u32_e32 8, v44
	s_cbranch_execz .LBB81_250
; %bb.241:
	v_cmp_ne_u32_e32 vcc_lo, 1, v41
	s_cbranch_vccnz .LBB81_243
; %bb.242:
	ds_load_b64 v[38:39], v40
	ds_load_b64 v[42:43], v37
	s_wait_dscnt 0x0
	v_pk_mul_f32 v[46:47], v[42:43], v[38:39] op_sel:[1,1] op_sel_hi:[0,1]
	s_delay_alu instid0(VALU_DEP_1) | instskip(SKIP_1) | instid1(VALU_DEP_2)
	v_pk_fma_f32 v[48:49], v[42:43], v[38:39], v[46:47] op_sel_hi:[1,0,1]
	v_pk_fma_f32 v[38:39], v[42:43], v[38:39], v[46:47] neg_lo:[0,0,1] neg_hi:[0,0,1]
	v_mov_b32_e32 v39, v49
	s_cbranch_execz .LBB81_244
	s_branch .LBB81_245
.LBB81_243:
                                        ; implicit-def: $vgpr38_vgpr39
.LBB81_244:
	ds_load_b64 v[38:39], v37
.LBB81_245:
	s_mov_b32 s2, exec_lo
	v_cmpx_ne_u32_e32 7, v44
	s_cbranch_execz .LBB81_249
; %bb.246:
	v_add_nc_u32_e32 v42, 0x98, v36
	v_add3_u32 v43, v45, v36, 0x128
	v_mov_b32_e32 v46, v44
	s_mov_b32 s3, 0
.LBB81_247:                             ; =>This Inner Loop Header: Depth=1
	ds_load_b64 v[48:49], v43
	ds_load_b64 v[50:51], v42
	v_dual_add_nc_u32 v42, 8, v42 :: v_dual_add_nc_u32 v43, 8, v43
	s_wait_dscnt 0x0
	v_pk_mul_f32 v[54:55], v[50:51], v[48:49] op_sel:[1,1] op_sel_hi:[0,1]
	s_delay_alu instid0(VALU_DEP_1) | instskip(SKIP_2) | instid1(VALU_DEP_3)
	v_pk_fma_f32 v[56:57], v[50:51], v[48:49], v[54:55] op_sel_hi:[1,0,1]
	v_add_nc_u32_e32 v46, 1, v46
	v_pk_fma_f32 v[48:49], v[50:51], v[48:49], v[54:55] neg_lo:[0,0,1] neg_hi:[0,0,1]
	v_mov_b32_e32 v49, v57
	s_delay_alu instid0(VALU_DEP_3) | instskip(NEXT) | instid1(VALU_DEP_2)
	v_cmp_lt_u32_e32 vcc_lo, 6, v46
	v_pk_add_f32 v[38:39], v[38:39], v[48:49]
	s_or_b32 s3, vcc_lo, s3
	s_delay_alu instid0(SALU_CYCLE_1)
	s_and_not1_b32 exec_lo, exec_lo, s3
	s_cbranch_execnz .LBB81_247
; %bb.248:
	s_or_b32 exec_lo, exec_lo, s3
.LBB81_249:
	s_delay_alu instid0(SALU_CYCLE_1) | instskip(SKIP_4) | instid1(VALU_DEP_1)
	s_or_b32 exec_lo, exec_lo, s2
	v_mov_b32_e32 v42, 0
	ds_load_b64 v[42:43], v42 offset:64
	s_wait_dscnt 0x0
	v_pk_mul_f32 v[46:47], v[38:39], v[42:43] op_sel:[1,1] op_sel_hi:[0,1]
	v_pk_fma_f32 v[48:49], v[38:39], v[42:43], v[46:47] op_sel_hi:[1,0,1]
	v_pk_fma_f32 v[38:39], v[38:39], v[42:43], v[46:47] neg_lo:[0,0,1] neg_hi:[0,0,1]
	s_delay_alu instid0(VALU_DEP_2)
	v_mov_b32_e32 v39, v49
	ds_store_b64 v52, v[38:39] offset:64
.LBB81_250:
	s_or_b32 exec_lo, exec_lo, s0
	ds_load_b64 v[38:39], v52 offset:72
	s_mov_b32 s0, exec_lo
	s_wait_dscnt 0x0
	ds_store_b64 v37, v[38:39]
	s_wait_dscnt 0x0
	s_barrier_signal -1
	s_barrier_wait -1
	v_cmpx_gt_u32_e32 9, v44
	s_cbranch_execz .LBB81_260
; %bb.251:
	v_cmp_ne_u32_e32 vcc_lo, 1, v41
	s_cbranch_vccnz .LBB81_253
; %bb.252:
	ds_load_b64 v[38:39], v40
	ds_load_b64 v[42:43], v37
	s_wait_dscnt 0x0
	v_pk_mul_f32 v[46:47], v[42:43], v[38:39] op_sel:[1,1] op_sel_hi:[0,1]
	s_delay_alu instid0(VALU_DEP_1) | instskip(SKIP_1) | instid1(VALU_DEP_2)
	v_pk_fma_f32 v[48:49], v[42:43], v[38:39], v[46:47] op_sel_hi:[1,0,1]
	v_pk_fma_f32 v[38:39], v[42:43], v[38:39], v[46:47] neg_lo:[0,0,1] neg_hi:[0,0,1]
	v_mov_b32_e32 v39, v49
	s_cbranch_execz .LBB81_254
	s_branch .LBB81_255
.LBB81_253:
                                        ; implicit-def: $vgpr38_vgpr39
.LBB81_254:
	ds_load_b64 v[38:39], v37
.LBB81_255:
	s_mov_b32 s2, exec_lo
	v_cmpx_ne_u32_e32 8, v44
	s_cbranch_execz .LBB81_259
; %bb.256:
	v_add_nc_u32_e32 v42, 0x98, v36
	v_add3_u32 v43, v45, v36, 0x128
	v_mov_b32_e32 v46, v44
	s_mov_b32 s3, 0
.LBB81_257:                             ; =>This Inner Loop Header: Depth=1
	ds_load_b64 v[48:49], v43
	ds_load_b64 v[50:51], v42
	v_dual_add_nc_u32 v42, 8, v42 :: v_dual_add_nc_u32 v43, 8, v43
	s_wait_dscnt 0x0
	v_pk_mul_f32 v[54:55], v[50:51], v[48:49] op_sel:[1,1] op_sel_hi:[0,1]
	s_delay_alu instid0(VALU_DEP_1) | instskip(SKIP_2) | instid1(VALU_DEP_3)
	v_pk_fma_f32 v[56:57], v[50:51], v[48:49], v[54:55] op_sel_hi:[1,0,1]
	v_add_nc_u32_e32 v46, 1, v46
	v_pk_fma_f32 v[48:49], v[50:51], v[48:49], v[54:55] neg_lo:[0,0,1] neg_hi:[0,0,1]
	v_mov_b32_e32 v49, v57
	s_delay_alu instid0(VALU_DEP_3) | instskip(NEXT) | instid1(VALU_DEP_2)
	v_cmp_lt_u32_e32 vcc_lo, 7, v46
	v_pk_add_f32 v[38:39], v[38:39], v[48:49]
	s_or_b32 s3, vcc_lo, s3
	s_delay_alu instid0(SALU_CYCLE_1)
	s_and_not1_b32 exec_lo, exec_lo, s3
	s_cbranch_execnz .LBB81_257
; %bb.258:
	s_or_b32 exec_lo, exec_lo, s3
.LBB81_259:
	s_delay_alu instid0(SALU_CYCLE_1) | instskip(SKIP_4) | instid1(VALU_DEP_1)
	s_or_b32 exec_lo, exec_lo, s2
	v_mov_b32_e32 v42, 0
	ds_load_b64 v[42:43], v42 offset:72
	s_wait_dscnt 0x0
	v_pk_mul_f32 v[46:47], v[38:39], v[42:43] op_sel:[1,1] op_sel_hi:[0,1]
	v_pk_fma_f32 v[48:49], v[38:39], v[42:43], v[46:47] op_sel_hi:[1,0,1]
	v_pk_fma_f32 v[38:39], v[38:39], v[42:43], v[46:47] neg_lo:[0,0,1] neg_hi:[0,0,1]
	s_delay_alu instid0(VALU_DEP_2)
	v_mov_b32_e32 v39, v49
	ds_store_b64 v52, v[38:39] offset:72
.LBB81_260:
	s_or_b32 exec_lo, exec_lo, s0
	ds_load_b64 v[38:39], v52 offset:80
	s_mov_b32 s0, exec_lo
	s_wait_dscnt 0x0
	ds_store_b64 v37, v[38:39]
	s_wait_dscnt 0x0
	s_barrier_signal -1
	s_barrier_wait -1
	v_cmpx_gt_u32_e32 10, v44
	s_cbranch_execz .LBB81_270
; %bb.261:
	v_cmp_ne_u32_e32 vcc_lo, 1, v41
	s_cbranch_vccnz .LBB81_263
; %bb.262:
	ds_load_b64 v[38:39], v40
	ds_load_b64 v[42:43], v37
	s_wait_dscnt 0x0
	v_pk_mul_f32 v[46:47], v[42:43], v[38:39] op_sel:[1,1] op_sel_hi:[0,1]
	s_delay_alu instid0(VALU_DEP_1) | instskip(SKIP_1) | instid1(VALU_DEP_2)
	v_pk_fma_f32 v[48:49], v[42:43], v[38:39], v[46:47] op_sel_hi:[1,0,1]
	v_pk_fma_f32 v[38:39], v[42:43], v[38:39], v[46:47] neg_lo:[0,0,1] neg_hi:[0,0,1]
	v_mov_b32_e32 v39, v49
	s_cbranch_execz .LBB81_264
	s_branch .LBB81_265
.LBB81_263:
                                        ; implicit-def: $vgpr38_vgpr39
.LBB81_264:
	ds_load_b64 v[38:39], v37
.LBB81_265:
	s_mov_b32 s2, exec_lo
	v_cmpx_ne_u32_e32 9, v44
	s_cbranch_execz .LBB81_269
; %bb.266:
	v_add_nc_u32_e32 v42, 0x98, v36
	v_add3_u32 v43, v45, v36, 0x128
	v_mov_b32_e32 v46, v44
	s_mov_b32 s3, 0
.LBB81_267:                             ; =>This Inner Loop Header: Depth=1
	ds_load_b64 v[48:49], v43
	ds_load_b64 v[50:51], v42
	v_dual_add_nc_u32 v42, 8, v42 :: v_dual_add_nc_u32 v43, 8, v43
	s_wait_dscnt 0x0
	v_pk_mul_f32 v[54:55], v[50:51], v[48:49] op_sel:[1,1] op_sel_hi:[0,1]
	s_delay_alu instid0(VALU_DEP_1) | instskip(SKIP_2) | instid1(VALU_DEP_3)
	v_pk_fma_f32 v[56:57], v[50:51], v[48:49], v[54:55] op_sel_hi:[1,0,1]
	v_add_nc_u32_e32 v46, 1, v46
	v_pk_fma_f32 v[48:49], v[50:51], v[48:49], v[54:55] neg_lo:[0,0,1] neg_hi:[0,0,1]
	v_mov_b32_e32 v49, v57
	s_delay_alu instid0(VALU_DEP_3) | instskip(NEXT) | instid1(VALU_DEP_2)
	v_cmp_lt_u32_e32 vcc_lo, 8, v46
	v_pk_add_f32 v[38:39], v[38:39], v[48:49]
	s_or_b32 s3, vcc_lo, s3
	s_delay_alu instid0(SALU_CYCLE_1)
	s_and_not1_b32 exec_lo, exec_lo, s3
	s_cbranch_execnz .LBB81_267
; %bb.268:
	s_or_b32 exec_lo, exec_lo, s3
.LBB81_269:
	s_delay_alu instid0(SALU_CYCLE_1) | instskip(SKIP_4) | instid1(VALU_DEP_1)
	s_or_b32 exec_lo, exec_lo, s2
	v_mov_b32_e32 v42, 0
	ds_load_b64 v[42:43], v42 offset:80
	s_wait_dscnt 0x0
	v_pk_mul_f32 v[46:47], v[38:39], v[42:43] op_sel:[1,1] op_sel_hi:[0,1]
	v_pk_fma_f32 v[48:49], v[38:39], v[42:43], v[46:47] op_sel_hi:[1,0,1]
	v_pk_fma_f32 v[38:39], v[38:39], v[42:43], v[46:47] neg_lo:[0,0,1] neg_hi:[0,0,1]
	s_delay_alu instid0(VALU_DEP_2)
	v_mov_b32_e32 v39, v49
	ds_store_b64 v52, v[38:39] offset:80
.LBB81_270:
	s_or_b32 exec_lo, exec_lo, s0
	ds_load_b64 v[38:39], v52 offset:88
	s_mov_b32 s0, exec_lo
	s_wait_dscnt 0x0
	ds_store_b64 v37, v[38:39]
	s_wait_dscnt 0x0
	s_barrier_signal -1
	s_barrier_wait -1
	v_cmpx_gt_u32_e32 11, v44
	s_cbranch_execz .LBB81_280
; %bb.271:
	v_cmp_ne_u32_e32 vcc_lo, 1, v41
	s_cbranch_vccnz .LBB81_273
; %bb.272:
	ds_load_b64 v[38:39], v40
	ds_load_b64 v[42:43], v37
	s_wait_dscnt 0x0
	v_pk_mul_f32 v[46:47], v[42:43], v[38:39] op_sel:[1,1] op_sel_hi:[0,1]
	s_delay_alu instid0(VALU_DEP_1) | instskip(SKIP_1) | instid1(VALU_DEP_2)
	v_pk_fma_f32 v[48:49], v[42:43], v[38:39], v[46:47] op_sel_hi:[1,0,1]
	v_pk_fma_f32 v[38:39], v[42:43], v[38:39], v[46:47] neg_lo:[0,0,1] neg_hi:[0,0,1]
	v_mov_b32_e32 v39, v49
	s_cbranch_execz .LBB81_274
	s_branch .LBB81_275
.LBB81_273:
                                        ; implicit-def: $vgpr38_vgpr39
.LBB81_274:
	ds_load_b64 v[38:39], v37
.LBB81_275:
	s_mov_b32 s2, exec_lo
	v_cmpx_ne_u32_e32 10, v44
	s_cbranch_execz .LBB81_279
; %bb.276:
	v_add_nc_u32_e32 v42, 0x98, v36
	v_add3_u32 v43, v45, v36, 0x128
	v_mov_b32_e32 v46, v44
	s_mov_b32 s3, 0
.LBB81_277:                             ; =>This Inner Loop Header: Depth=1
	ds_load_b64 v[48:49], v43
	ds_load_b64 v[50:51], v42
	v_dual_add_nc_u32 v42, 8, v42 :: v_dual_add_nc_u32 v43, 8, v43
	s_wait_dscnt 0x0
	v_pk_mul_f32 v[54:55], v[50:51], v[48:49] op_sel:[1,1] op_sel_hi:[0,1]
	s_delay_alu instid0(VALU_DEP_1) | instskip(SKIP_2) | instid1(VALU_DEP_3)
	v_pk_fma_f32 v[56:57], v[50:51], v[48:49], v[54:55] op_sel_hi:[1,0,1]
	v_add_nc_u32_e32 v46, 1, v46
	v_pk_fma_f32 v[48:49], v[50:51], v[48:49], v[54:55] neg_lo:[0,0,1] neg_hi:[0,0,1]
	v_mov_b32_e32 v49, v57
	s_delay_alu instid0(VALU_DEP_3) | instskip(NEXT) | instid1(VALU_DEP_2)
	v_cmp_lt_u32_e32 vcc_lo, 9, v46
	v_pk_add_f32 v[38:39], v[38:39], v[48:49]
	s_or_b32 s3, vcc_lo, s3
	s_delay_alu instid0(SALU_CYCLE_1)
	s_and_not1_b32 exec_lo, exec_lo, s3
	s_cbranch_execnz .LBB81_277
; %bb.278:
	s_or_b32 exec_lo, exec_lo, s3
.LBB81_279:
	s_delay_alu instid0(SALU_CYCLE_1) | instskip(SKIP_4) | instid1(VALU_DEP_1)
	s_or_b32 exec_lo, exec_lo, s2
	v_mov_b32_e32 v42, 0
	ds_load_b64 v[42:43], v42 offset:88
	s_wait_dscnt 0x0
	v_pk_mul_f32 v[46:47], v[38:39], v[42:43] op_sel:[1,1] op_sel_hi:[0,1]
	v_pk_fma_f32 v[48:49], v[38:39], v[42:43], v[46:47] op_sel_hi:[1,0,1]
	v_pk_fma_f32 v[38:39], v[38:39], v[42:43], v[46:47] neg_lo:[0,0,1] neg_hi:[0,0,1]
	s_delay_alu instid0(VALU_DEP_2)
	v_mov_b32_e32 v39, v49
	ds_store_b64 v52, v[38:39] offset:88
.LBB81_280:
	s_or_b32 exec_lo, exec_lo, s0
	ds_load_b64 v[38:39], v52 offset:96
	s_mov_b32 s0, exec_lo
	s_wait_dscnt 0x0
	ds_store_b64 v37, v[38:39]
	s_wait_dscnt 0x0
	s_barrier_signal -1
	s_barrier_wait -1
	v_cmpx_gt_u32_e32 12, v44
	s_cbranch_execz .LBB81_290
; %bb.281:
	v_cmp_ne_u32_e32 vcc_lo, 1, v41
	s_cbranch_vccnz .LBB81_283
; %bb.282:
	ds_load_b64 v[38:39], v40
	ds_load_b64 v[42:43], v37
	s_wait_dscnt 0x0
	v_pk_mul_f32 v[46:47], v[42:43], v[38:39] op_sel:[1,1] op_sel_hi:[0,1]
	s_delay_alu instid0(VALU_DEP_1) | instskip(SKIP_1) | instid1(VALU_DEP_2)
	v_pk_fma_f32 v[48:49], v[42:43], v[38:39], v[46:47] op_sel_hi:[1,0,1]
	v_pk_fma_f32 v[38:39], v[42:43], v[38:39], v[46:47] neg_lo:[0,0,1] neg_hi:[0,0,1]
	v_mov_b32_e32 v39, v49
	s_cbranch_execz .LBB81_284
	s_branch .LBB81_285
.LBB81_283:
                                        ; implicit-def: $vgpr38_vgpr39
.LBB81_284:
	ds_load_b64 v[38:39], v37
.LBB81_285:
	s_mov_b32 s2, exec_lo
	v_cmpx_ne_u32_e32 11, v44
	s_cbranch_execz .LBB81_289
; %bb.286:
	v_add_nc_u32_e32 v42, 0x98, v36
	v_add3_u32 v43, v45, v36, 0x128
	v_mov_b32_e32 v46, v44
	s_mov_b32 s3, 0
.LBB81_287:                             ; =>This Inner Loop Header: Depth=1
	ds_load_b64 v[48:49], v43
	ds_load_b64 v[50:51], v42
	v_dual_add_nc_u32 v42, 8, v42 :: v_dual_add_nc_u32 v43, 8, v43
	s_wait_dscnt 0x0
	v_pk_mul_f32 v[54:55], v[50:51], v[48:49] op_sel:[1,1] op_sel_hi:[0,1]
	s_delay_alu instid0(VALU_DEP_1) | instskip(SKIP_2) | instid1(VALU_DEP_3)
	v_pk_fma_f32 v[56:57], v[50:51], v[48:49], v[54:55] op_sel_hi:[1,0,1]
	v_add_nc_u32_e32 v46, 1, v46
	v_pk_fma_f32 v[48:49], v[50:51], v[48:49], v[54:55] neg_lo:[0,0,1] neg_hi:[0,0,1]
	v_mov_b32_e32 v49, v57
	s_delay_alu instid0(VALU_DEP_3) | instskip(NEXT) | instid1(VALU_DEP_2)
	v_cmp_lt_u32_e32 vcc_lo, 10, v46
	v_pk_add_f32 v[38:39], v[38:39], v[48:49]
	s_or_b32 s3, vcc_lo, s3
	s_delay_alu instid0(SALU_CYCLE_1)
	s_and_not1_b32 exec_lo, exec_lo, s3
	s_cbranch_execnz .LBB81_287
; %bb.288:
	s_or_b32 exec_lo, exec_lo, s3
.LBB81_289:
	s_delay_alu instid0(SALU_CYCLE_1) | instskip(SKIP_4) | instid1(VALU_DEP_1)
	s_or_b32 exec_lo, exec_lo, s2
	v_mov_b32_e32 v42, 0
	ds_load_b64 v[42:43], v42 offset:96
	s_wait_dscnt 0x0
	v_pk_mul_f32 v[46:47], v[38:39], v[42:43] op_sel:[1,1] op_sel_hi:[0,1]
	v_pk_fma_f32 v[48:49], v[38:39], v[42:43], v[46:47] op_sel_hi:[1,0,1]
	v_pk_fma_f32 v[38:39], v[38:39], v[42:43], v[46:47] neg_lo:[0,0,1] neg_hi:[0,0,1]
	s_delay_alu instid0(VALU_DEP_2)
	v_mov_b32_e32 v39, v49
	ds_store_b64 v52, v[38:39] offset:96
.LBB81_290:
	s_or_b32 exec_lo, exec_lo, s0
	ds_load_b64 v[38:39], v52 offset:104
	s_mov_b32 s0, exec_lo
	s_wait_dscnt 0x0
	ds_store_b64 v37, v[38:39]
	s_wait_dscnt 0x0
	s_barrier_signal -1
	s_barrier_wait -1
	v_cmpx_gt_u32_e32 13, v44
	s_cbranch_execz .LBB81_300
; %bb.291:
	v_cmp_ne_u32_e32 vcc_lo, 1, v41
	s_cbranch_vccnz .LBB81_293
; %bb.292:
	ds_load_b64 v[38:39], v40
	ds_load_b64 v[42:43], v37
	s_wait_dscnt 0x0
	v_pk_mul_f32 v[46:47], v[42:43], v[38:39] op_sel:[1,1] op_sel_hi:[0,1]
	s_delay_alu instid0(VALU_DEP_1) | instskip(SKIP_1) | instid1(VALU_DEP_2)
	v_pk_fma_f32 v[48:49], v[42:43], v[38:39], v[46:47] op_sel_hi:[1,0,1]
	v_pk_fma_f32 v[38:39], v[42:43], v[38:39], v[46:47] neg_lo:[0,0,1] neg_hi:[0,0,1]
	v_mov_b32_e32 v39, v49
	s_cbranch_execz .LBB81_294
	s_branch .LBB81_295
.LBB81_293:
                                        ; implicit-def: $vgpr38_vgpr39
.LBB81_294:
	ds_load_b64 v[38:39], v37
.LBB81_295:
	s_mov_b32 s2, exec_lo
	v_cmpx_ne_u32_e32 12, v44
	s_cbranch_execz .LBB81_299
; %bb.296:
	v_add_nc_u32_e32 v42, 0x98, v36
	v_add3_u32 v43, v45, v36, 0x128
	v_mov_b32_e32 v46, v44
	s_mov_b32 s3, 0
.LBB81_297:                             ; =>This Inner Loop Header: Depth=1
	ds_load_b64 v[48:49], v43
	ds_load_b64 v[50:51], v42
	v_dual_add_nc_u32 v42, 8, v42 :: v_dual_add_nc_u32 v43, 8, v43
	s_wait_dscnt 0x0
	v_pk_mul_f32 v[54:55], v[50:51], v[48:49] op_sel:[1,1] op_sel_hi:[0,1]
	s_delay_alu instid0(VALU_DEP_1) | instskip(SKIP_2) | instid1(VALU_DEP_3)
	v_pk_fma_f32 v[56:57], v[50:51], v[48:49], v[54:55] op_sel_hi:[1,0,1]
	v_add_nc_u32_e32 v46, 1, v46
	v_pk_fma_f32 v[48:49], v[50:51], v[48:49], v[54:55] neg_lo:[0,0,1] neg_hi:[0,0,1]
	v_mov_b32_e32 v49, v57
	s_delay_alu instid0(VALU_DEP_3) | instskip(NEXT) | instid1(VALU_DEP_2)
	v_cmp_lt_u32_e32 vcc_lo, 11, v46
	v_pk_add_f32 v[38:39], v[38:39], v[48:49]
	s_or_b32 s3, vcc_lo, s3
	s_delay_alu instid0(SALU_CYCLE_1)
	s_and_not1_b32 exec_lo, exec_lo, s3
	s_cbranch_execnz .LBB81_297
; %bb.298:
	s_or_b32 exec_lo, exec_lo, s3
.LBB81_299:
	s_delay_alu instid0(SALU_CYCLE_1) | instskip(SKIP_4) | instid1(VALU_DEP_1)
	s_or_b32 exec_lo, exec_lo, s2
	v_mov_b32_e32 v42, 0
	ds_load_b64 v[42:43], v42 offset:104
	s_wait_dscnt 0x0
	v_pk_mul_f32 v[46:47], v[38:39], v[42:43] op_sel:[1,1] op_sel_hi:[0,1]
	v_pk_fma_f32 v[48:49], v[38:39], v[42:43], v[46:47] op_sel_hi:[1,0,1]
	v_pk_fma_f32 v[38:39], v[38:39], v[42:43], v[46:47] neg_lo:[0,0,1] neg_hi:[0,0,1]
	s_delay_alu instid0(VALU_DEP_2)
	v_mov_b32_e32 v39, v49
	ds_store_b64 v52, v[38:39] offset:104
.LBB81_300:
	s_or_b32 exec_lo, exec_lo, s0
	ds_load_b64 v[38:39], v52 offset:112
	s_mov_b32 s0, exec_lo
	s_wait_dscnt 0x0
	ds_store_b64 v37, v[38:39]
	s_wait_dscnt 0x0
	s_barrier_signal -1
	s_barrier_wait -1
	v_cmpx_gt_u32_e32 14, v44
	s_cbranch_execz .LBB81_310
; %bb.301:
	v_cmp_ne_u32_e32 vcc_lo, 1, v41
	s_cbranch_vccnz .LBB81_303
; %bb.302:
	ds_load_b64 v[38:39], v40
	ds_load_b64 v[42:43], v37
	s_wait_dscnt 0x0
	v_pk_mul_f32 v[46:47], v[42:43], v[38:39] op_sel:[1,1] op_sel_hi:[0,1]
	s_delay_alu instid0(VALU_DEP_1) | instskip(SKIP_1) | instid1(VALU_DEP_2)
	v_pk_fma_f32 v[48:49], v[42:43], v[38:39], v[46:47] op_sel_hi:[1,0,1]
	v_pk_fma_f32 v[38:39], v[42:43], v[38:39], v[46:47] neg_lo:[0,0,1] neg_hi:[0,0,1]
	v_mov_b32_e32 v39, v49
	s_cbranch_execz .LBB81_304
	s_branch .LBB81_305
.LBB81_303:
                                        ; implicit-def: $vgpr38_vgpr39
.LBB81_304:
	ds_load_b64 v[38:39], v37
.LBB81_305:
	s_mov_b32 s2, exec_lo
	v_cmpx_ne_u32_e32 13, v44
	s_cbranch_execz .LBB81_309
; %bb.306:
	v_add_nc_u32_e32 v42, 0x98, v36
	v_add3_u32 v43, v45, v36, 0x128
	v_mov_b32_e32 v46, v44
	s_mov_b32 s3, 0
.LBB81_307:                             ; =>This Inner Loop Header: Depth=1
	ds_load_b64 v[48:49], v43
	ds_load_b64 v[50:51], v42
	v_dual_add_nc_u32 v42, 8, v42 :: v_dual_add_nc_u32 v43, 8, v43
	s_wait_dscnt 0x0
	v_pk_mul_f32 v[54:55], v[50:51], v[48:49] op_sel:[1,1] op_sel_hi:[0,1]
	s_delay_alu instid0(VALU_DEP_1) | instskip(SKIP_2) | instid1(VALU_DEP_3)
	v_pk_fma_f32 v[56:57], v[50:51], v[48:49], v[54:55] op_sel_hi:[1,0,1]
	v_add_nc_u32_e32 v46, 1, v46
	v_pk_fma_f32 v[48:49], v[50:51], v[48:49], v[54:55] neg_lo:[0,0,1] neg_hi:[0,0,1]
	v_mov_b32_e32 v49, v57
	s_delay_alu instid0(VALU_DEP_3) | instskip(NEXT) | instid1(VALU_DEP_2)
	v_cmp_lt_u32_e32 vcc_lo, 12, v46
	v_pk_add_f32 v[38:39], v[38:39], v[48:49]
	s_or_b32 s3, vcc_lo, s3
	s_delay_alu instid0(SALU_CYCLE_1)
	s_and_not1_b32 exec_lo, exec_lo, s3
	s_cbranch_execnz .LBB81_307
; %bb.308:
	s_or_b32 exec_lo, exec_lo, s3
.LBB81_309:
	s_delay_alu instid0(SALU_CYCLE_1) | instskip(SKIP_4) | instid1(VALU_DEP_1)
	s_or_b32 exec_lo, exec_lo, s2
	v_mov_b32_e32 v42, 0
	ds_load_b64 v[42:43], v42 offset:112
	s_wait_dscnt 0x0
	v_pk_mul_f32 v[46:47], v[38:39], v[42:43] op_sel:[1,1] op_sel_hi:[0,1]
	v_pk_fma_f32 v[48:49], v[38:39], v[42:43], v[46:47] op_sel_hi:[1,0,1]
	v_pk_fma_f32 v[38:39], v[38:39], v[42:43], v[46:47] neg_lo:[0,0,1] neg_hi:[0,0,1]
	s_delay_alu instid0(VALU_DEP_2)
	v_mov_b32_e32 v39, v49
	ds_store_b64 v52, v[38:39] offset:112
.LBB81_310:
	s_or_b32 exec_lo, exec_lo, s0
	ds_load_b64 v[38:39], v52 offset:120
	s_mov_b32 s0, exec_lo
	s_wait_dscnt 0x0
	ds_store_b64 v37, v[38:39]
	s_wait_dscnt 0x0
	s_barrier_signal -1
	s_barrier_wait -1
	v_cmpx_gt_u32_e32 15, v44
	s_cbranch_execz .LBB81_320
; %bb.311:
	v_cmp_ne_u32_e32 vcc_lo, 1, v41
	s_cbranch_vccnz .LBB81_313
; %bb.312:
	ds_load_b64 v[38:39], v40
	ds_load_b64 v[42:43], v37
	s_wait_dscnt 0x0
	v_pk_mul_f32 v[46:47], v[42:43], v[38:39] op_sel:[1,1] op_sel_hi:[0,1]
	s_delay_alu instid0(VALU_DEP_1) | instskip(SKIP_1) | instid1(VALU_DEP_2)
	v_pk_fma_f32 v[48:49], v[42:43], v[38:39], v[46:47] op_sel_hi:[1,0,1]
	v_pk_fma_f32 v[38:39], v[42:43], v[38:39], v[46:47] neg_lo:[0,0,1] neg_hi:[0,0,1]
	v_mov_b32_e32 v39, v49
	s_cbranch_execz .LBB81_314
	s_branch .LBB81_315
.LBB81_313:
                                        ; implicit-def: $vgpr38_vgpr39
.LBB81_314:
	ds_load_b64 v[38:39], v37
.LBB81_315:
	s_mov_b32 s2, exec_lo
	v_cmpx_ne_u32_e32 14, v44
	s_cbranch_execz .LBB81_319
; %bb.316:
	v_add_nc_u32_e32 v42, 0x98, v36
	v_add3_u32 v43, v45, v36, 0x128
	v_mov_b32_e32 v46, v44
	s_mov_b32 s3, 0
.LBB81_317:                             ; =>This Inner Loop Header: Depth=1
	ds_load_b64 v[48:49], v43
	ds_load_b64 v[50:51], v42
	v_dual_add_nc_u32 v42, 8, v42 :: v_dual_add_nc_u32 v43, 8, v43
	s_wait_dscnt 0x0
	v_pk_mul_f32 v[54:55], v[50:51], v[48:49] op_sel:[1,1] op_sel_hi:[0,1]
	s_delay_alu instid0(VALU_DEP_1) | instskip(SKIP_2) | instid1(VALU_DEP_3)
	v_pk_fma_f32 v[56:57], v[50:51], v[48:49], v[54:55] op_sel_hi:[1,0,1]
	v_add_nc_u32_e32 v46, 1, v46
	v_pk_fma_f32 v[48:49], v[50:51], v[48:49], v[54:55] neg_lo:[0,0,1] neg_hi:[0,0,1]
	v_mov_b32_e32 v49, v57
	s_delay_alu instid0(VALU_DEP_3) | instskip(NEXT) | instid1(VALU_DEP_2)
	v_cmp_lt_u32_e32 vcc_lo, 13, v46
	v_pk_add_f32 v[38:39], v[38:39], v[48:49]
	s_or_b32 s3, vcc_lo, s3
	s_delay_alu instid0(SALU_CYCLE_1)
	s_and_not1_b32 exec_lo, exec_lo, s3
	s_cbranch_execnz .LBB81_317
; %bb.318:
	s_or_b32 exec_lo, exec_lo, s3
.LBB81_319:
	s_delay_alu instid0(SALU_CYCLE_1) | instskip(SKIP_4) | instid1(VALU_DEP_1)
	s_or_b32 exec_lo, exec_lo, s2
	v_mov_b32_e32 v42, 0
	ds_load_b64 v[42:43], v42 offset:120
	s_wait_dscnt 0x0
	v_pk_mul_f32 v[46:47], v[38:39], v[42:43] op_sel:[1,1] op_sel_hi:[0,1]
	v_pk_fma_f32 v[48:49], v[38:39], v[42:43], v[46:47] op_sel_hi:[1,0,1]
	v_pk_fma_f32 v[38:39], v[38:39], v[42:43], v[46:47] neg_lo:[0,0,1] neg_hi:[0,0,1]
	s_delay_alu instid0(VALU_DEP_2)
	v_mov_b32_e32 v39, v49
	ds_store_b64 v52, v[38:39] offset:120
.LBB81_320:
	s_or_b32 exec_lo, exec_lo, s0
	ds_load_b64 v[38:39], v52 offset:128
	v_cmp_gt_u32_e64 s0, 16, v44
	s_wait_dscnt 0x0
	ds_store_b64 v37, v[38:39]
	s_wait_dscnt 0x0
	s_barrier_signal -1
	s_barrier_wait -1
	s_and_saveexec_b32 s2, s0
	s_cbranch_execz .LBB81_330
; %bb.321:
	v_cmp_ne_u32_e32 vcc_lo, 1, v41
	s_cbranch_vccnz .LBB81_323
; %bb.322:
	ds_load_b64 v[38:39], v40
	ds_load_b64 v[42:43], v37
	s_wait_dscnt 0x0
	v_pk_mul_f32 v[46:47], v[42:43], v[38:39] op_sel:[1,1] op_sel_hi:[0,1]
	s_delay_alu instid0(VALU_DEP_1) | instskip(SKIP_1) | instid1(VALU_DEP_2)
	v_pk_fma_f32 v[48:49], v[42:43], v[38:39], v[46:47] op_sel_hi:[1,0,1]
	v_pk_fma_f32 v[38:39], v[42:43], v[38:39], v[46:47] neg_lo:[0,0,1] neg_hi:[0,0,1]
	v_mov_b32_e32 v39, v49
	s_cbranch_execz .LBB81_324
	s_branch .LBB81_325
.LBB81_323:
                                        ; implicit-def: $vgpr38_vgpr39
.LBB81_324:
	ds_load_b64 v[38:39], v37
.LBB81_325:
	s_mov_b32 s3, exec_lo
	v_cmpx_ne_u32_e32 15, v44
	s_cbranch_execz .LBB81_329
; %bb.326:
	v_add_nc_u32_e32 v42, 0x98, v36
	v_add3_u32 v43, v45, v36, 0x128
	v_mov_b32_e32 v46, v44
	s_mov_b32 s4, 0
.LBB81_327:                             ; =>This Inner Loop Header: Depth=1
	ds_load_b64 v[48:49], v43
	ds_load_b64 v[50:51], v42
	v_dual_add_nc_u32 v42, 8, v42 :: v_dual_add_nc_u32 v43, 8, v43
	s_wait_dscnt 0x0
	v_pk_mul_f32 v[54:55], v[50:51], v[48:49] op_sel:[1,1] op_sel_hi:[0,1]
	s_delay_alu instid0(VALU_DEP_1) | instskip(SKIP_2) | instid1(VALU_DEP_3)
	v_pk_fma_f32 v[56:57], v[50:51], v[48:49], v[54:55] op_sel_hi:[1,0,1]
	v_add_nc_u32_e32 v46, 1, v46
	v_pk_fma_f32 v[48:49], v[50:51], v[48:49], v[54:55] neg_lo:[0,0,1] neg_hi:[0,0,1]
	v_mov_b32_e32 v49, v57
	s_delay_alu instid0(VALU_DEP_3) | instskip(NEXT) | instid1(VALU_DEP_2)
	v_cmp_lt_u32_e32 vcc_lo, 14, v46
	v_pk_add_f32 v[38:39], v[38:39], v[48:49]
	s_or_b32 s4, vcc_lo, s4
	s_delay_alu instid0(SALU_CYCLE_1)
	s_and_not1_b32 exec_lo, exec_lo, s4
	s_cbranch_execnz .LBB81_327
; %bb.328:
	s_or_b32 exec_lo, exec_lo, s4
.LBB81_329:
	s_delay_alu instid0(SALU_CYCLE_1) | instskip(SKIP_4) | instid1(VALU_DEP_1)
	s_or_b32 exec_lo, exec_lo, s3
	v_mov_b32_e32 v42, 0
	ds_load_b64 v[42:43], v42 offset:128
	s_wait_dscnt 0x0
	v_pk_mul_f32 v[46:47], v[38:39], v[42:43] op_sel:[1,1] op_sel_hi:[0,1]
	v_pk_fma_f32 v[48:49], v[38:39], v[42:43], v[46:47] op_sel_hi:[1,0,1]
	v_pk_fma_f32 v[38:39], v[38:39], v[42:43], v[46:47] neg_lo:[0,0,1] neg_hi:[0,0,1]
	s_delay_alu instid0(VALU_DEP_2)
	v_mov_b32_e32 v39, v49
	ds_store_b64 v52, v[38:39] offset:128
.LBB81_330:
	s_or_b32 exec_lo, exec_lo, s2
	ds_load_b64 v[38:39], v52 offset:136
	s_mov_b32 s2, exec_lo
                                        ; implicit-def: $vgpr53
                                        ; implicit-def: $vgpr54
	s_wait_dscnt 0x0
	ds_store_b64 v37, v[38:39]
	s_wait_dscnt 0x0
	s_barrier_signal -1
	s_barrier_wait -1
	v_cmpx_ne_u32_e32 17, v44
	s_cbranch_execz .LBB81_340
; %bb.331:
	v_cmp_ne_u32_e32 vcc_lo, 1, v41
	s_cbranch_vccnz .LBB81_333
; %bb.332:
	ds_load_b64 v[40:41], v40
	ds_load_b64 v[42:43], v37
	s_wait_dscnt 0x0
	v_dual_mul_f32 v38, v43, v41 :: v_dual_mul_f32 v39, v42, v41
	s_delay_alu instid0(VALU_DEP_1)
	v_dual_fma_f32 v38, v42, v40, -v38 :: v_dual_fmac_f32 v39, v43, v40
	s_cbranch_execz .LBB81_334
	s_branch .LBB81_335
.LBB81_333:
                                        ; implicit-def: $vgpr39
.LBB81_334:
	ds_load_b64 v[38:39], v37
.LBB81_335:
	s_and_saveexec_b32 s3, s0
	s_cbranch_execz .LBB81_339
; %bb.336:
	v_add_nc_u32_e32 v37, 0x98, v36
	v_add3_u32 v36, v45, v36, 0x128
	s_mov_b32 s0, 0
.LBB81_337:                             ; =>This Inner Loop Header: Depth=1
	ds_load_b64 v[40:41], v36
	ds_load_b64 v[42:43], v37
	v_dual_add_nc_u32 v44, 1, v44 :: v_dual_add_nc_u32 v37, 8, v37
	v_add_nc_u32_e32 v36, 8, v36
	s_delay_alu instid0(VALU_DEP_2) | instskip(SKIP_3) | instid1(VALU_DEP_1)
	v_cmp_lt_u32_e32 vcc_lo, 15, v44
	s_or_b32 s0, vcc_lo, s0
	s_wait_dscnt 0x0
	v_dual_mul_f32 v45, v43, v41 :: v_dual_mul_f32 v41, v42, v41
	v_fmac_f32_e32 v41, v43, v40
	s_delay_alu instid0(VALU_DEP_1) | instskip(NEXT) | instid1(VALU_DEP_1)
	v_dual_fma_f32 v42, v42, v40, -v45 :: v_dual_add_f32 v39, v39, v41
	v_add_f32_e32 v38, v38, v42
	s_and_not1_b32 exec_lo, exec_lo, s0
	s_cbranch_execnz .LBB81_337
; %bb.338:
	s_or_b32 exec_lo, exec_lo, s0
.LBB81_339:
	s_delay_alu instid0(SALU_CYCLE_1)
	s_or_b32 exec_lo, exec_lo, s3
	v_mov_b32_e32 v36, 0
	s_or_b32 s1, s1, exec_lo
	v_add_nc_u32_e32 v54, 0x8c, v52
	ds_load_b64 v[36:37], v36 offset:136
	s_wait_dscnt 0x0
	v_dual_mul_f32 v40, v39, v37 :: v_dual_mul_f32 v53, v38, v37
	s_delay_alu instid0(VALU_DEP_1)
	v_dual_fma_f32 v37, v38, v36, -v40 :: v_dual_fmac_f32 v53, v39, v36
	ds_store_b32 v52, v37 offset:136
.LBB81_340:
	s_or_b32 exec_lo, exec_lo, s2
.LBB81_341:
	v_lshl_add_u64 v[50:51], v[4:5], 3, s[6:7]
	v_lshl_add_u64 v[48:49], v[6:7], 3, s[6:7]
	;; [unrolled: 1-line block ×16, first 2 shown]
	s_and_saveexec_b32 s0, s1
; %bb.342:
	ds_store_b32 v54, v53
; %bb.343:
	s_or_b32 exec_lo, exec_lo, s0
	ds_load_b64 v[20:21], v52
	s_wait_dscnt 0x0
	flat_store_b64 v[0:1], v[20:21]
	s_wait_xcnt 0x0
	ds_load_b64 v[0:1], v52 offset:8
	s_wait_dscnt 0x0
	flat_store_b64 v[2:3], v[0:1]
	s_wait_xcnt 0x0
	ds_load_b64 v[0:1], v52 offset:16
	;; [unrolled: 4-line block ×17, first 2 shown]
	s_wait_dscnt 0x0
	flat_store_b64 v[4:5], v[0:1]
.LBB81_344:
	s_endpgm
	.section	.rodata,"a",@progbits
	.p2align	6, 0x0
	.amdhsa_kernel _ZN9rocsolver6v33100L18trti2_kernel_smallILi18E19rocblas_complex_numIfEPKPS3_EEv13rocblas_fill_17rocblas_diagonal_T1_iil
		.amdhsa_group_segment_fixed_size 9504
		.amdhsa_private_segment_fixed_size 0
		.amdhsa_kernarg_size 32
		.amdhsa_user_sgpr_count 4
		.amdhsa_user_sgpr_dispatch_ptr 1
		.amdhsa_user_sgpr_queue_ptr 0
		.amdhsa_user_sgpr_kernarg_segment_ptr 1
		.amdhsa_user_sgpr_dispatch_id 0
		.amdhsa_user_sgpr_kernarg_preload_length 0
		.amdhsa_user_sgpr_kernarg_preload_offset 0
		.amdhsa_user_sgpr_private_segment_size 0
		.amdhsa_wavefront_size32 1
		.amdhsa_uses_dynamic_stack 0
		.amdhsa_enable_private_segment 0
		.amdhsa_system_sgpr_workgroup_id_x 1
		.amdhsa_system_sgpr_workgroup_id_y 0
		.amdhsa_system_sgpr_workgroup_id_z 0
		.amdhsa_system_sgpr_workgroup_info 0
		.amdhsa_system_vgpr_workitem_id 2
		.amdhsa_next_free_vgpr 58
		.amdhsa_next_free_sgpr 12
		.amdhsa_named_barrier_count 0
		.amdhsa_reserve_vcc 1
		.amdhsa_float_round_mode_32 0
		.amdhsa_float_round_mode_16_64 0
		.amdhsa_float_denorm_mode_32 3
		.amdhsa_float_denorm_mode_16_64 3
		.amdhsa_fp16_overflow 0
		.amdhsa_memory_ordered 1
		.amdhsa_forward_progress 1
		.amdhsa_inst_pref_size 102
		.amdhsa_round_robin_scheduling 0
		.amdhsa_exception_fp_ieee_invalid_op 0
		.amdhsa_exception_fp_denorm_src 0
		.amdhsa_exception_fp_ieee_div_zero 0
		.amdhsa_exception_fp_ieee_overflow 0
		.amdhsa_exception_fp_ieee_underflow 0
		.amdhsa_exception_fp_ieee_inexact 0
		.amdhsa_exception_int_div_zero 0
	.end_amdhsa_kernel
	.section	.text._ZN9rocsolver6v33100L18trti2_kernel_smallILi18E19rocblas_complex_numIfEPKPS3_EEv13rocblas_fill_17rocblas_diagonal_T1_iil,"axG",@progbits,_ZN9rocsolver6v33100L18trti2_kernel_smallILi18E19rocblas_complex_numIfEPKPS3_EEv13rocblas_fill_17rocblas_diagonal_T1_iil,comdat
.Lfunc_end81:
	.size	_ZN9rocsolver6v33100L18trti2_kernel_smallILi18E19rocblas_complex_numIfEPKPS3_EEv13rocblas_fill_17rocblas_diagonal_T1_iil, .Lfunc_end81-_ZN9rocsolver6v33100L18trti2_kernel_smallILi18E19rocblas_complex_numIfEPKPS3_EEv13rocblas_fill_17rocblas_diagonal_T1_iil
                                        ; -- End function
	.set _ZN9rocsolver6v33100L18trti2_kernel_smallILi18E19rocblas_complex_numIfEPKPS3_EEv13rocblas_fill_17rocblas_diagonal_T1_iil.num_vgpr, 58
	.set _ZN9rocsolver6v33100L18trti2_kernel_smallILi18E19rocblas_complex_numIfEPKPS3_EEv13rocblas_fill_17rocblas_diagonal_T1_iil.num_agpr, 0
	.set _ZN9rocsolver6v33100L18trti2_kernel_smallILi18E19rocblas_complex_numIfEPKPS3_EEv13rocblas_fill_17rocblas_diagonal_T1_iil.numbered_sgpr, 12
	.set _ZN9rocsolver6v33100L18trti2_kernel_smallILi18E19rocblas_complex_numIfEPKPS3_EEv13rocblas_fill_17rocblas_diagonal_T1_iil.num_named_barrier, 0
	.set _ZN9rocsolver6v33100L18trti2_kernel_smallILi18E19rocblas_complex_numIfEPKPS3_EEv13rocblas_fill_17rocblas_diagonal_T1_iil.private_seg_size, 0
	.set _ZN9rocsolver6v33100L18trti2_kernel_smallILi18E19rocblas_complex_numIfEPKPS3_EEv13rocblas_fill_17rocblas_diagonal_T1_iil.uses_vcc, 1
	.set _ZN9rocsolver6v33100L18trti2_kernel_smallILi18E19rocblas_complex_numIfEPKPS3_EEv13rocblas_fill_17rocblas_diagonal_T1_iil.uses_flat_scratch, 0
	.set _ZN9rocsolver6v33100L18trti2_kernel_smallILi18E19rocblas_complex_numIfEPKPS3_EEv13rocblas_fill_17rocblas_diagonal_T1_iil.has_dyn_sized_stack, 0
	.set _ZN9rocsolver6v33100L18trti2_kernel_smallILi18E19rocblas_complex_numIfEPKPS3_EEv13rocblas_fill_17rocblas_diagonal_T1_iil.has_recursion, 0
	.set _ZN9rocsolver6v33100L18trti2_kernel_smallILi18E19rocblas_complex_numIfEPKPS3_EEv13rocblas_fill_17rocblas_diagonal_T1_iil.has_indirect_call, 0
	.section	.AMDGPU.csdata,"",@progbits
; Kernel info:
; codeLenInByte = 12980
; TotalNumSgprs: 14
; NumVgprs: 58
; ScratchSize: 0
; MemoryBound: 0
; FloatMode: 240
; IeeeMode: 1
; LDSByteSize: 9504 bytes/workgroup (compile time only)
; SGPRBlocks: 0
; VGPRBlocks: 3
; NumSGPRsForWavesPerEU: 14
; NumVGPRsForWavesPerEU: 58
; NamedBarCnt: 0
; Occupancy: 9
; WaveLimiterHint : 1
; COMPUTE_PGM_RSRC2:SCRATCH_EN: 0
; COMPUTE_PGM_RSRC2:USER_SGPR: 4
; COMPUTE_PGM_RSRC2:TRAP_HANDLER: 0
; COMPUTE_PGM_RSRC2:TGID_X_EN: 1
; COMPUTE_PGM_RSRC2:TGID_Y_EN: 0
; COMPUTE_PGM_RSRC2:TGID_Z_EN: 0
; COMPUTE_PGM_RSRC2:TIDIG_COMP_CNT: 2
	.section	.text._ZN9rocsolver6v33100L18trti2_kernel_smallILi19E19rocblas_complex_numIfEPKPS3_EEv13rocblas_fill_17rocblas_diagonal_T1_iil,"axG",@progbits,_ZN9rocsolver6v33100L18trti2_kernel_smallILi19E19rocblas_complex_numIfEPKPS3_EEv13rocblas_fill_17rocblas_diagonal_T1_iil,comdat
	.globl	_ZN9rocsolver6v33100L18trti2_kernel_smallILi19E19rocblas_complex_numIfEPKPS3_EEv13rocblas_fill_17rocblas_diagonal_T1_iil ; -- Begin function _ZN9rocsolver6v33100L18trti2_kernel_smallILi19E19rocblas_complex_numIfEPKPS3_EEv13rocblas_fill_17rocblas_diagonal_T1_iil
	.p2align	8
	.type	_ZN9rocsolver6v33100L18trti2_kernel_smallILi19E19rocblas_complex_numIfEPKPS3_EEv13rocblas_fill_17rocblas_diagonal_T1_iil,@function
_ZN9rocsolver6v33100L18trti2_kernel_smallILi19E19rocblas_complex_numIfEPKPS3_EEv13rocblas_fill_17rocblas_diagonal_T1_iil: ; @_ZN9rocsolver6v33100L18trti2_kernel_smallILi19E19rocblas_complex_numIfEPKPS3_EEv13rocblas_fill_17rocblas_diagonal_T1_iil
; %bb.0:
	v_and_b32_e32 v46, 0x3ff, v0
	s_mov_b32 s4, exec_lo
	s_delay_alu instid0(VALU_DEP_1)
	v_cmpx_gt_u32_e32 19, v46
	s_cbranch_execz .LBB82_364
; %bb.1:
	s_load_b64 s[10:11], s[0:1], 0x4
	s_clause 0x1
	s_load_b64 s[8:9], s[2:3], 0x10
	s_load_b128 s[4:7], s[2:3], 0x0
	s_wait_xcnt 0x0
	s_bfe_u32 s0, ttmp6, 0x4000c
	s_and_b32 s1, ttmp6, 15
	s_add_co_i32 s0, s0, 1
	s_getreg_b32 s2, hwreg(HW_REG_IB_STS2, 6, 4)
	s_mul_i32 s0, ttmp9, s0
	v_bfe_u32 v1, v0, 10, 10
	s_add_co_i32 s0, s1, s0
	v_bfe_u32 v0, v0, 20, 10
	v_dual_mov_b32 v39, 0 :: v_dual_lshlrev_b32 v38, 3, v46
	s_wait_kmcnt 0x0
	s_lshr_b32 s10, s10, 16
	s_ashr_i32 s1, s8, 31
	s_cmp_eq_u32 s2, 0
	s_mul_i32 s10, s10, s11
	s_cselect_b32 s2, ttmp9, s0
	s_mov_b32 s0, s8
	s_ashr_i32 s3, s2, 31
	s_lshl_b64 s[0:1], s[0:1], 3
	s_lshl_b64 s[2:3], s[2:3], 3
	v_mul_u32_u24_e32 v1, s11, v1
	s_add_nc_u64 s[2:3], s[6:7], s[2:3]
	v_mul_u32_u24_e32 v2, s10, v46
	s_load_b64 s[2:3], s[2:3], 0x0
	s_delay_alu instid0(VALU_DEP_1) | instskip(NEXT) | instid1(VALU_DEP_1)
	v_add3_u32 v48, v2, v1, v0
	v_mul_lo_u32 v47, 0x98, v48
	s_delay_alu instid0(VALU_DEP_1)
	v_add_nc_u32_e32 v54, 0x140, v47
	s_wait_kmcnt 0x0
	s_add_nc_u64 s[2:3], s[2:3], s[0:1]
	s_mov_b32 s0, s9
	flat_load_b64 v[4:5], v46, s[2:3] scale_offset
	v_add_nc_u64_e32 v[0:1], s[2:3], v[38:39]
	s_ashr_i32 s1, s9, 31
	s_cmp_lg_u32 s5, 0x84
	s_cselect_b32 s5, -1, 0
	s_delay_alu instid0(SALU_CYCLE_1) | instskip(NEXT) | instid1(VALU_DEP_1)
	s_and_b32 vcc_lo, exec_lo, s5
	v_lshl_add_u64 v[2:3], s[0:1], 3, v[0:1]
	s_mov_b32 s0, -1
	s_wait_loadcnt_dscnt 0x0
	ds_store_b64 v47, v[4:5] offset:320
	flat_load_b64 v[6:7], v[2:3]
	v_add3_u32 v4, s9, s9, v46
	s_wait_loadcnt_dscnt 0x0
	ds_store_b64 v47, v[6:7] offset:328
	flat_load_b64 v[8:9], v4, s[2:3] scale_offset
	v_add_nc_u32_e32 v6, s9, v4
	s_wait_loadcnt_dscnt 0x0
	ds_store_b64 v47, v[8:9] offset:336
	flat_load_b64 v[10:11], v6, s[2:3] scale_offset
	v_add_nc_u32_e32 v8, s9, v6
	;; [unrolled: 4-line block ×16, first 2 shown]
	s_wait_loadcnt_dscnt 0x0
	ds_store_b64 v47, v[40:41] offset:456
	flat_load_b64 v[40:41], v36, s[2:3] scale_offset
	s_wait_loadcnt_dscnt 0x0
	ds_store_b64 v47, v[40:41] offset:464
	s_cbranch_vccz .LBB82_7
; %bb.2:
	v_lshl_add_u32 v5, v46, 3, v54
                                        ; implicit-def: $vgpr45
                                        ; implicit-def: $vgpr42
	ds_load_b64 v[40:41], v5
	s_wait_dscnt 0x0
	v_cmp_ngt_f32_e64 s0, |v40|, |v41|
	s_and_saveexec_b32 s1, s0
	s_delay_alu instid0(SALU_CYCLE_1)
	s_xor_b32 s0, exec_lo, s1
	s_cbranch_execz .LBB82_4
; %bb.3:
	v_div_scale_f32 v7, null, v41, v41, v40
	v_div_scale_f32 v13, vcc_lo, v40, v41, v40
	s_delay_alu instid0(VALU_DEP_2) | instskip(SKIP_1) | instid1(TRANS32_DEP_1)
	v_rcp_f32_e32 v9, v7
	v_nop
	v_fma_f32 v11, -v7, v9, 1.0
	s_delay_alu instid0(VALU_DEP_1) | instskip(NEXT) | instid1(VALU_DEP_1)
	v_fmac_f32_e32 v9, v11, v9
	v_mul_f32_e32 v11, v13, v9
	s_delay_alu instid0(VALU_DEP_1) | instskip(NEXT) | instid1(VALU_DEP_1)
	v_fma_f32 v15, -v7, v11, v13
	v_fmac_f32_e32 v11, v15, v9
	s_delay_alu instid0(VALU_DEP_1) | instskip(NEXT) | instid1(VALU_DEP_1)
	v_fma_f32 v7, -v7, v11, v13
	v_div_fmas_f32 v7, v7, v9, v11
	s_delay_alu instid0(VALU_DEP_1) | instskip(NEXT) | instid1(VALU_DEP_1)
	v_div_fixup_f32 v7, v7, v41, v40
	v_fmac_f32_e32 v41, v40, v7
	s_delay_alu instid0(VALU_DEP_1) | instskip(NEXT) | instid1(VALU_DEP_1)
	v_div_scale_f32 v9, null, v41, v41, -1.0
	v_rcp_f32_e32 v11, v9
	v_nop
	s_delay_alu instid0(TRANS32_DEP_1) | instskip(NEXT) | instid1(VALU_DEP_1)
	v_fma_f32 v13, -v9, v11, 1.0
	v_fmac_f32_e32 v11, v13, v11
	v_div_scale_f32 v13, vcc_lo, -1.0, v41, -1.0
	s_delay_alu instid0(VALU_DEP_1) | instskip(NEXT) | instid1(VALU_DEP_1)
	v_mul_f32_e32 v15, v13, v11
	v_fma_f32 v17, -v9, v15, v13
	s_delay_alu instid0(VALU_DEP_1) | instskip(NEXT) | instid1(VALU_DEP_1)
	v_fmac_f32_e32 v15, v17, v11
	v_fma_f32 v9, -v9, v15, v13
	s_delay_alu instid0(VALU_DEP_1) | instskip(NEXT) | instid1(VALU_DEP_1)
	v_div_fmas_f32 v9, v9, v11, v15
	v_div_fixup_f32 v45, v9, v41, -1.0
                                        ; implicit-def: $vgpr40_vgpr41
	s_delay_alu instid0(VALU_DEP_1) | instskip(NEXT) | instid1(VALU_DEP_1)
	v_mul_f32_e32 v42, v7, v45
	v_xor_b32_e32 v44, 0x80000000, v42
.LBB82_4:
	s_and_not1_saveexec_b32 s0, s0
	s_cbranch_execz .LBB82_6
; %bb.5:
	v_div_scale_f32 v7, null, v40, v40, v41
	v_div_scale_f32 v13, vcc_lo, v41, v40, v41
	s_delay_alu instid0(VALU_DEP_2) | instskip(SKIP_1) | instid1(TRANS32_DEP_1)
	v_rcp_f32_e32 v9, v7
	v_nop
	v_fma_f32 v11, -v7, v9, 1.0
	s_delay_alu instid0(VALU_DEP_1) | instskip(NEXT) | instid1(VALU_DEP_1)
	v_fmac_f32_e32 v9, v11, v9
	v_mul_f32_e32 v11, v13, v9
	s_delay_alu instid0(VALU_DEP_1) | instskip(NEXT) | instid1(VALU_DEP_1)
	v_fma_f32 v15, -v7, v11, v13
	v_fmac_f32_e32 v11, v15, v9
	s_delay_alu instid0(VALU_DEP_1) | instskip(NEXT) | instid1(VALU_DEP_1)
	v_fma_f32 v7, -v7, v11, v13
	v_div_fmas_f32 v7, v7, v9, v11
	s_delay_alu instid0(VALU_DEP_1) | instskip(NEXT) | instid1(VALU_DEP_1)
	v_div_fixup_f32 v7, v7, v40, v41
	v_fmac_f32_e32 v40, v41, v7
	s_delay_alu instid0(VALU_DEP_1) | instskip(SKIP_1) | instid1(VALU_DEP_2)
	v_div_scale_f32 v9, null, v40, v40, 1.0
	v_div_scale_f32 v15, vcc_lo, 1.0, v40, 1.0
	v_rcp_f32_e32 v11, v9
	v_nop
	s_delay_alu instid0(TRANS32_DEP_1) | instskip(NEXT) | instid1(VALU_DEP_1)
	v_fma_f32 v13, -v9, v11, 1.0
	v_fmac_f32_e32 v11, v13, v11
	s_delay_alu instid0(VALU_DEP_1) | instskip(NEXT) | instid1(VALU_DEP_1)
	v_mul_f32_e32 v13, v15, v11
	v_fma_f32 v17, -v9, v13, v15
	s_delay_alu instid0(VALU_DEP_1) | instskip(NEXT) | instid1(VALU_DEP_1)
	v_fmac_f32_e32 v13, v17, v11
	v_fma_f32 v9, -v9, v13, v15
	s_delay_alu instid0(VALU_DEP_1) | instskip(NEXT) | instid1(VALU_DEP_1)
	v_div_fmas_f32 v9, v9, v11, v13
	v_div_fixup_f32 v44, v9, v40, 1.0
	s_delay_alu instid0(VALU_DEP_1)
	v_xor_b32_e32 v42, 0x80000000, v44
	v_mul_f32_e64 v45, v7, -v44
.LBB82_6:
	s_or_b32 exec_lo, exec_lo, s0
	s_delay_alu instid0(VALU_DEP_1)
	v_xor_b32_e32 v43, 0x80000000, v45
	s_mov_b32 s0, 0
	ds_store_b64 v5, v[44:45]
	ds_store_b64 v38, v[42:43]
.LBB82_7:
	s_and_b32 vcc_lo, exec_lo, s0
	s_cbranch_vccz .LBB82_9
; %bb.8:
	s_mov_b64 s[0:1], 0xbf800000
	s_delay_alu instid0(SALU_CYCLE_1)
	v_mov_b64_e32 v[40:41], s[0:1]
	ds_store_b64 v38, v[40:41]
.LBB82_9:
	v_dual_ashrrev_i32 v5, 31, v4 :: v_dual_ashrrev_i32 v7, 31, v6
	v_dual_ashrrev_i32 v9, 31, v8 :: v_dual_ashrrev_i32 v11, 31, v10
	v_dual_ashrrev_i32 v13, 31, v12 :: v_dual_ashrrev_i32 v15, 31, v14
	v_dual_ashrrev_i32 v17, 31, v16 :: v_dual_ashrrev_i32 v19, 31, v18
	v_dual_ashrrev_i32 v21, 31, v20 :: v_dual_ashrrev_i32 v23, 31, v22
	v_dual_ashrrev_i32 v25, 31, v24 :: v_dual_ashrrev_i32 v27, 31, v26
	v_dual_ashrrev_i32 v29, 31, v28 :: v_dual_ashrrev_i32 v31, 31, v30
	v_dual_ashrrev_i32 v33, 31, v32 :: v_dual_ashrrev_i32 v35, 31, v34
	v_dual_ashrrev_i32 v37, 31, v36 :: v_dual_add_nc_u32 v42, v54, v38
	v_add_nc_u32_e32 v39, 0xa0, v38
	s_cmp_eq_u32 s4, 0x79
	s_cbranch_scc1 .LBB82_13
; %bb.10:
	ds_load_b64 v[40:41], v54 offset:136
	v_cmp_eq_u32_e64 s0, 18, v46
	s_wait_dscnt 0x0
	ds_store_b64 v39, v[40:41]
	s_wait_dscnt 0x0
	s_barrier_signal -1
	s_barrier_wait -1
	s_and_saveexec_b32 s1, s0
	s_cbranch_execz .LBB82_17
; %bb.11:
	s_and_b32 vcc_lo, exec_lo, s5
	s_cbranch_vccz .LBB82_14
; %bb.12:
	ds_load_b64 v[40:41], v42
	ds_load_b64 v[44:45], v39
	s_wait_dscnt 0x0
	v_pk_mul_f32 v[50:51], v[44:45], v[40:41] op_sel:[1,1] op_sel_hi:[0,1]
	v_pk_mul_f32 v[52:53], v[44:45], v[40:41] op_sel_hi:[1,0]
	s_delay_alu instid0(VALU_DEP_2) | instskip(NEXT) | instid1(VALU_DEP_2)
	v_pk_fma_f32 v[40:41], v[44:45], v[40:41], v[50:51] op_sel_hi:[1,0,1]
	v_sub_f32_e32 v40, v52, v50
	s_cbranch_execz .LBB82_15
	s_branch .LBB82_16
.LBB82_13:
	s_mov_b32 s1, 0
                                        ; implicit-def: $vgpr55
                                        ; implicit-def: $vgpr56
	s_cbranch_execnz .LBB82_186
	s_branch .LBB82_361
.LBB82_14:
                                        ; implicit-def: $vgpr41
.LBB82_15:
	ds_load_b64 v[40:41], v39
.LBB82_16:
	s_wait_dscnt 0x0
	v_dual_mov_b32 v43, 0 :: v_dual_mov_b32 v50, v41
	v_mov_b32_e32 v51, v40
	ds_load_b64 v[44:45], v43 offset:136
	s_wait_dscnt 0x0
	v_pk_mul_f32 v[50:51], v[50:51], v[44:45] op_sel:[0,1]
	s_delay_alu instid0(VALU_DEP_1) | instskip(SKIP_1) | instid1(VALU_DEP_2)
	v_pk_fma_f32 v[52:53], v[40:41], v[44:45], v[50:51] op_sel_hi:[1,0,1]
	v_pk_fma_f32 v[40:41], v[40:41], v[44:45], v[50:51] neg_lo:[0,0,1] neg_hi:[0,0,1]
	v_mov_b32_e32 v41, v53
	ds_store_b64 v54, v[40:41] offset:136
.LBB82_17:
	s_or_b32 exec_lo, exec_lo, s1
	ds_load_b64 v[40:41], v54 offset:128
	v_cmp_lt_u32_e64 s1, 16, v46
	s_wait_dscnt 0x0
	ds_store_b64 v39, v[40:41]
	s_wait_dscnt 0x0
	s_barrier_signal -1
	s_barrier_wait -1
	s_and_saveexec_b32 s4, s1
	s_cbranch_execz .LBB82_25
; %bb.18:
	s_and_not1_b32 vcc_lo, exec_lo, s5
	s_cbranch_vccnz .LBB82_20
; %bb.19:
	ds_load_b64 v[40:41], v42
	ds_load_b64 v[44:45], v39
	s_wait_dscnt 0x0
	v_pk_mul_f32 v[50:51], v[44:45], v[40:41] op_sel:[1,1] op_sel_hi:[0,1]
	s_delay_alu instid0(VALU_DEP_1) | instskip(SKIP_1) | instid1(VALU_DEP_2)
	v_pk_fma_f32 v[52:53], v[44:45], v[40:41], v[50:51] op_sel_hi:[1,0,1]
	v_pk_fma_f32 v[40:41], v[44:45], v[40:41], v[50:51] neg_lo:[0,0,1] neg_hi:[0,0,1]
	v_mov_b32_e32 v41, v53
	s_cbranch_execz .LBB82_21
	s_branch .LBB82_22
.LBB82_20:
                                        ; implicit-def: $vgpr40_vgpr41
.LBB82_21:
	ds_load_b64 v[40:41], v39
.LBB82_22:
	s_and_saveexec_b32 s6, s0
	s_cbranch_execz .LBB82_24
; %bb.23:
	v_mov_b32_e32 v43, 0
	ds_load_b64 v[44:45], v54 offset:136
	ds_load_b64 v[50:51], v43 offset:296
	s_wait_dscnt 0x0
	v_pk_mul_f32 v[52:53], v[50:51], v[44:45] op_sel:[1,1] op_sel_hi:[0,1]
	s_delay_alu instid0(VALU_DEP_1) | instskip(SKIP_1) | instid1(VALU_DEP_2)
	v_pk_fma_f32 v[56:57], v[50:51], v[44:45], v[52:53] op_sel_hi:[1,0,1]
	v_pk_fma_f32 v[44:45], v[50:51], v[44:45], v[52:53] neg_lo:[0,0,1] neg_hi:[0,0,1]
	v_mov_b32_e32 v45, v57
	s_delay_alu instid0(VALU_DEP_1)
	v_pk_add_f32 v[40:41], v[40:41], v[44:45]
.LBB82_24:
	s_or_b32 exec_lo, exec_lo, s6
	v_mov_b32_e32 v43, 0
	ds_load_b64 v[44:45], v43 offset:128
	s_wait_dscnt 0x0
	v_pk_mul_f32 v[50:51], v[40:41], v[44:45] op_sel:[1,1] op_sel_hi:[0,1]
	s_delay_alu instid0(VALU_DEP_1) | instskip(SKIP_1) | instid1(VALU_DEP_2)
	v_pk_fma_f32 v[52:53], v[40:41], v[44:45], v[50:51] op_sel_hi:[1,0,1]
	v_pk_fma_f32 v[40:41], v[40:41], v[44:45], v[50:51] neg_lo:[0,0,1] neg_hi:[0,0,1]
	v_mov_b32_e32 v41, v53
	ds_store_b64 v54, v[40:41] offset:128
.LBB82_25:
	s_or_b32 exec_lo, exec_lo, s4
	ds_load_b64 v[40:41], v54 offset:120
	v_cmp_lt_u32_e64 s0, 15, v46
	s_wait_dscnt 0x0
	ds_store_b64 v39, v[40:41]
	s_wait_dscnt 0x0
	s_barrier_signal -1
	s_barrier_wait -1
	s_and_saveexec_b32 s4, s0
	s_cbranch_execz .LBB82_35
; %bb.26:
	s_and_not1_b32 vcc_lo, exec_lo, s5
	s_cbranch_vccnz .LBB82_28
; %bb.27:
	ds_load_b64 v[40:41], v42
	ds_load_b64 v[44:45], v39
	s_wait_dscnt 0x0
	v_pk_mul_f32 v[50:51], v[44:45], v[40:41] op_sel:[1,1] op_sel_hi:[0,1]
	s_delay_alu instid0(VALU_DEP_1) | instskip(SKIP_1) | instid1(VALU_DEP_2)
	v_pk_fma_f32 v[52:53], v[44:45], v[40:41], v[50:51] op_sel_hi:[1,0,1]
	v_pk_fma_f32 v[40:41], v[44:45], v[40:41], v[50:51] neg_lo:[0,0,1] neg_hi:[0,0,1]
	v_mov_b32_e32 v41, v53
	s_cbranch_execz .LBB82_29
	s_branch .LBB82_30
.LBB82_28:
                                        ; implicit-def: $vgpr40_vgpr41
.LBB82_29:
	ds_load_b64 v[40:41], v39
.LBB82_30:
	s_and_saveexec_b32 s6, s1
	s_cbranch_execz .LBB82_34
; %bb.31:
	s_movk_i32 s1, 0x98
	v_add_nc_u32_e32 v44, -16, v46
	v_mad_u32 v43, v48, s1, 0x1c0
	s_movk_i32 s7, 0x120
	s_mov_b32 s1, 0
.LBB82_32:                              ; =>This Inner Loop Header: Depth=1
	s_delay_alu instid0(VALU_DEP_2)
	v_dual_mov_b32 v45, s7 :: v_dual_add_nc_u32 v44, -1, v44
	s_add_co_i32 s7, s7, 8
	ds_load_b64 v[50:51], v43
	ds_load_b64 v[52:53], v45
	v_add_nc_u32_e32 v43, 8, v43
	v_cmp_eq_u32_e32 vcc_lo, 0, v44
	s_or_b32 s1, vcc_lo, s1
	s_wait_dscnt 0x0
	v_pk_mul_f32 v[56:57], v[52:53], v[50:51] op_sel:[1,1] op_sel_hi:[0,1]
	s_delay_alu instid0(VALU_DEP_1) | instskip(SKIP_1) | instid1(VALU_DEP_2)
	v_pk_fma_f32 v[58:59], v[52:53], v[50:51], v[56:57] op_sel_hi:[1,0,1]
	v_pk_fma_f32 v[50:51], v[52:53], v[50:51], v[56:57] neg_lo:[0,0,1] neg_hi:[0,0,1]
	v_mov_b32_e32 v51, v59
	s_delay_alu instid0(VALU_DEP_1)
	v_pk_add_f32 v[40:41], v[40:41], v[50:51]
	s_and_not1_b32 exec_lo, exec_lo, s1
	s_cbranch_execnz .LBB82_32
; %bb.33:
	s_or_b32 exec_lo, exec_lo, s1
.LBB82_34:
	s_delay_alu instid0(SALU_CYCLE_1) | instskip(SKIP_4) | instid1(VALU_DEP_1)
	s_or_b32 exec_lo, exec_lo, s6
	v_mov_b32_e32 v43, 0
	ds_load_b64 v[44:45], v43 offset:120
	s_wait_dscnt 0x0
	v_pk_mul_f32 v[50:51], v[40:41], v[44:45] op_sel:[1,1] op_sel_hi:[0,1]
	v_pk_fma_f32 v[52:53], v[40:41], v[44:45], v[50:51] op_sel_hi:[1,0,1]
	v_pk_fma_f32 v[40:41], v[40:41], v[44:45], v[50:51] neg_lo:[0,0,1] neg_hi:[0,0,1]
	s_delay_alu instid0(VALU_DEP_2)
	v_mov_b32_e32 v41, v53
	ds_store_b64 v54, v[40:41] offset:120
.LBB82_35:
	s_or_b32 exec_lo, exec_lo, s4
	ds_load_b64 v[40:41], v54 offset:112
	v_cmp_lt_u32_e64 s1, 14, v46
	s_wait_dscnt 0x0
	ds_store_b64 v39, v[40:41]
	s_wait_dscnt 0x0
	s_barrier_signal -1
	s_barrier_wait -1
	s_and_saveexec_b32 s4, s1
	s_cbranch_execz .LBB82_45
; %bb.36:
	s_and_not1_b32 vcc_lo, exec_lo, s5
	s_cbranch_vccnz .LBB82_38
; %bb.37:
	ds_load_b64 v[40:41], v42
	ds_load_b64 v[44:45], v39
	s_wait_dscnt 0x0
	v_pk_mul_f32 v[50:51], v[44:45], v[40:41] op_sel:[1,1] op_sel_hi:[0,1]
	s_delay_alu instid0(VALU_DEP_1) | instskip(SKIP_1) | instid1(VALU_DEP_2)
	v_pk_fma_f32 v[52:53], v[44:45], v[40:41], v[50:51] op_sel_hi:[1,0,1]
	v_pk_fma_f32 v[40:41], v[44:45], v[40:41], v[50:51] neg_lo:[0,0,1] neg_hi:[0,0,1]
	v_mov_b32_e32 v41, v53
	s_cbranch_execz .LBB82_39
	s_branch .LBB82_40
.LBB82_38:
                                        ; implicit-def: $vgpr40_vgpr41
.LBB82_39:
	ds_load_b64 v[40:41], v39
.LBB82_40:
	s_and_saveexec_b32 s6, s0
	s_cbranch_execz .LBB82_44
; %bb.41:
	s_movk_i32 s0, 0x98
	v_add_nc_u32_e32 v44, -15, v46
	v_mad_u32 v43, v48, s0, 0x1b8
	s_movk_i32 s7, 0x118
	s_mov_b32 s0, 0
.LBB82_42:                              ; =>This Inner Loop Header: Depth=1
	s_delay_alu instid0(VALU_DEP_2)
	v_dual_mov_b32 v45, s7 :: v_dual_add_nc_u32 v44, -1, v44
	s_add_co_i32 s7, s7, 8
	ds_load_b64 v[50:51], v43
	ds_load_b64 v[52:53], v45
	v_add_nc_u32_e32 v43, 8, v43
	v_cmp_eq_u32_e32 vcc_lo, 0, v44
	s_or_b32 s0, vcc_lo, s0
	s_wait_dscnt 0x0
	v_pk_mul_f32 v[56:57], v[52:53], v[50:51] op_sel:[1,1] op_sel_hi:[0,1]
	s_delay_alu instid0(VALU_DEP_1) | instskip(SKIP_1) | instid1(VALU_DEP_2)
	v_pk_fma_f32 v[58:59], v[52:53], v[50:51], v[56:57] op_sel_hi:[1,0,1]
	v_pk_fma_f32 v[50:51], v[52:53], v[50:51], v[56:57] neg_lo:[0,0,1] neg_hi:[0,0,1]
	v_mov_b32_e32 v51, v59
	s_delay_alu instid0(VALU_DEP_1)
	v_pk_add_f32 v[40:41], v[40:41], v[50:51]
	s_and_not1_b32 exec_lo, exec_lo, s0
	s_cbranch_execnz .LBB82_42
; %bb.43:
	s_or_b32 exec_lo, exec_lo, s0
.LBB82_44:
	s_delay_alu instid0(SALU_CYCLE_1) | instskip(SKIP_4) | instid1(VALU_DEP_1)
	s_or_b32 exec_lo, exec_lo, s6
	v_mov_b32_e32 v43, 0
	ds_load_b64 v[44:45], v43 offset:112
	s_wait_dscnt 0x0
	v_pk_mul_f32 v[50:51], v[40:41], v[44:45] op_sel:[1,1] op_sel_hi:[0,1]
	v_pk_fma_f32 v[52:53], v[40:41], v[44:45], v[50:51] op_sel_hi:[1,0,1]
	v_pk_fma_f32 v[40:41], v[40:41], v[44:45], v[50:51] neg_lo:[0,0,1] neg_hi:[0,0,1]
	s_delay_alu instid0(VALU_DEP_2)
	v_mov_b32_e32 v41, v53
	ds_store_b64 v54, v[40:41] offset:112
.LBB82_45:
	s_or_b32 exec_lo, exec_lo, s4
	ds_load_b64 v[40:41], v54 offset:104
	v_cmp_lt_u32_e64 s0, 13, v46
	s_wait_dscnt 0x0
	ds_store_b64 v39, v[40:41]
	s_wait_dscnt 0x0
	s_barrier_signal -1
	s_barrier_wait -1
	s_and_saveexec_b32 s4, s0
	s_cbranch_execz .LBB82_55
; %bb.46:
	s_and_not1_b32 vcc_lo, exec_lo, s5
	s_cbranch_vccnz .LBB82_48
; %bb.47:
	ds_load_b64 v[40:41], v42
	ds_load_b64 v[44:45], v39
	s_wait_dscnt 0x0
	v_pk_mul_f32 v[50:51], v[44:45], v[40:41] op_sel:[1,1] op_sel_hi:[0,1]
	s_delay_alu instid0(VALU_DEP_1) | instskip(SKIP_1) | instid1(VALU_DEP_2)
	v_pk_fma_f32 v[52:53], v[44:45], v[40:41], v[50:51] op_sel_hi:[1,0,1]
	v_pk_fma_f32 v[40:41], v[44:45], v[40:41], v[50:51] neg_lo:[0,0,1] neg_hi:[0,0,1]
	v_mov_b32_e32 v41, v53
	s_cbranch_execz .LBB82_49
	s_branch .LBB82_50
.LBB82_48:
                                        ; implicit-def: $vgpr40_vgpr41
.LBB82_49:
	ds_load_b64 v[40:41], v39
.LBB82_50:
	s_and_saveexec_b32 s6, s1
	s_cbranch_execz .LBB82_54
; %bb.51:
	s_movk_i32 s1, 0x98
	v_add_nc_u32_e32 v44, -14, v46
	v_mad_u32 v43, v48, s1, 0x1b0
	s_movk_i32 s7, 0x110
	s_mov_b32 s1, 0
.LBB82_52:                              ; =>This Inner Loop Header: Depth=1
	s_delay_alu instid0(VALU_DEP_2)
	v_dual_mov_b32 v45, s7 :: v_dual_add_nc_u32 v44, -1, v44
	s_add_co_i32 s7, s7, 8
	ds_load_b64 v[50:51], v43
	ds_load_b64 v[52:53], v45
	v_add_nc_u32_e32 v43, 8, v43
	v_cmp_eq_u32_e32 vcc_lo, 0, v44
	s_or_b32 s1, vcc_lo, s1
	s_wait_dscnt 0x0
	v_pk_mul_f32 v[56:57], v[52:53], v[50:51] op_sel:[1,1] op_sel_hi:[0,1]
	s_delay_alu instid0(VALU_DEP_1) | instskip(SKIP_1) | instid1(VALU_DEP_2)
	v_pk_fma_f32 v[58:59], v[52:53], v[50:51], v[56:57] op_sel_hi:[1,0,1]
	v_pk_fma_f32 v[50:51], v[52:53], v[50:51], v[56:57] neg_lo:[0,0,1] neg_hi:[0,0,1]
	v_mov_b32_e32 v51, v59
	s_delay_alu instid0(VALU_DEP_1)
	v_pk_add_f32 v[40:41], v[40:41], v[50:51]
	s_and_not1_b32 exec_lo, exec_lo, s1
	s_cbranch_execnz .LBB82_52
; %bb.53:
	s_or_b32 exec_lo, exec_lo, s1
.LBB82_54:
	s_delay_alu instid0(SALU_CYCLE_1) | instskip(SKIP_4) | instid1(VALU_DEP_1)
	s_or_b32 exec_lo, exec_lo, s6
	v_mov_b32_e32 v43, 0
	ds_load_b64 v[44:45], v43 offset:104
	s_wait_dscnt 0x0
	v_pk_mul_f32 v[50:51], v[40:41], v[44:45] op_sel:[1,1] op_sel_hi:[0,1]
	v_pk_fma_f32 v[52:53], v[40:41], v[44:45], v[50:51] op_sel_hi:[1,0,1]
	v_pk_fma_f32 v[40:41], v[40:41], v[44:45], v[50:51] neg_lo:[0,0,1] neg_hi:[0,0,1]
	s_delay_alu instid0(VALU_DEP_2)
	v_mov_b32_e32 v41, v53
	ds_store_b64 v54, v[40:41] offset:104
.LBB82_55:
	s_or_b32 exec_lo, exec_lo, s4
	ds_load_b64 v[40:41], v54 offset:96
	v_cmp_lt_u32_e64 s1, 12, v46
	s_wait_dscnt 0x0
	ds_store_b64 v39, v[40:41]
	s_wait_dscnt 0x0
	s_barrier_signal -1
	s_barrier_wait -1
	s_and_saveexec_b32 s4, s1
	s_cbranch_execz .LBB82_65
; %bb.56:
	s_and_not1_b32 vcc_lo, exec_lo, s5
	s_cbranch_vccnz .LBB82_58
; %bb.57:
	ds_load_b64 v[40:41], v42
	ds_load_b64 v[44:45], v39
	s_wait_dscnt 0x0
	v_pk_mul_f32 v[50:51], v[44:45], v[40:41] op_sel:[1,1] op_sel_hi:[0,1]
	s_delay_alu instid0(VALU_DEP_1) | instskip(SKIP_1) | instid1(VALU_DEP_2)
	v_pk_fma_f32 v[52:53], v[44:45], v[40:41], v[50:51] op_sel_hi:[1,0,1]
	v_pk_fma_f32 v[40:41], v[44:45], v[40:41], v[50:51] neg_lo:[0,0,1] neg_hi:[0,0,1]
	v_mov_b32_e32 v41, v53
	s_cbranch_execz .LBB82_59
	s_branch .LBB82_60
.LBB82_58:
                                        ; implicit-def: $vgpr40_vgpr41
.LBB82_59:
	ds_load_b64 v[40:41], v39
.LBB82_60:
	s_and_saveexec_b32 s6, s0
	s_cbranch_execz .LBB82_64
; %bb.61:
	s_movk_i32 s0, 0x98
	v_add_nc_u32_e32 v44, -13, v46
	v_mad_u32 v43, v48, s0, 0x1a8
	s_movk_i32 s7, 0x108
	s_mov_b32 s0, 0
.LBB82_62:                              ; =>This Inner Loop Header: Depth=1
	s_delay_alu instid0(VALU_DEP_2)
	v_dual_mov_b32 v45, s7 :: v_dual_add_nc_u32 v44, -1, v44
	s_add_co_i32 s7, s7, 8
	ds_load_b64 v[50:51], v43
	ds_load_b64 v[52:53], v45
	v_add_nc_u32_e32 v43, 8, v43
	v_cmp_eq_u32_e32 vcc_lo, 0, v44
	s_or_b32 s0, vcc_lo, s0
	s_wait_dscnt 0x0
	v_pk_mul_f32 v[56:57], v[52:53], v[50:51] op_sel:[1,1] op_sel_hi:[0,1]
	s_delay_alu instid0(VALU_DEP_1) | instskip(SKIP_1) | instid1(VALU_DEP_2)
	v_pk_fma_f32 v[58:59], v[52:53], v[50:51], v[56:57] op_sel_hi:[1,0,1]
	v_pk_fma_f32 v[50:51], v[52:53], v[50:51], v[56:57] neg_lo:[0,0,1] neg_hi:[0,0,1]
	v_mov_b32_e32 v51, v59
	s_delay_alu instid0(VALU_DEP_1)
	v_pk_add_f32 v[40:41], v[40:41], v[50:51]
	s_and_not1_b32 exec_lo, exec_lo, s0
	s_cbranch_execnz .LBB82_62
; %bb.63:
	s_or_b32 exec_lo, exec_lo, s0
.LBB82_64:
	s_delay_alu instid0(SALU_CYCLE_1) | instskip(SKIP_4) | instid1(VALU_DEP_1)
	s_or_b32 exec_lo, exec_lo, s6
	v_mov_b32_e32 v43, 0
	ds_load_b64 v[44:45], v43 offset:96
	s_wait_dscnt 0x0
	v_pk_mul_f32 v[50:51], v[40:41], v[44:45] op_sel:[1,1] op_sel_hi:[0,1]
	v_pk_fma_f32 v[52:53], v[40:41], v[44:45], v[50:51] op_sel_hi:[1,0,1]
	v_pk_fma_f32 v[40:41], v[40:41], v[44:45], v[50:51] neg_lo:[0,0,1] neg_hi:[0,0,1]
	s_delay_alu instid0(VALU_DEP_2)
	v_mov_b32_e32 v41, v53
	ds_store_b64 v54, v[40:41] offset:96
.LBB82_65:
	s_or_b32 exec_lo, exec_lo, s4
	ds_load_b64 v[40:41], v54 offset:88
	v_cmp_lt_u32_e64 s0, 11, v46
	s_wait_dscnt 0x0
	ds_store_b64 v39, v[40:41]
	s_wait_dscnt 0x0
	s_barrier_signal -1
	s_barrier_wait -1
	s_and_saveexec_b32 s4, s0
	s_cbranch_execz .LBB82_75
; %bb.66:
	s_and_not1_b32 vcc_lo, exec_lo, s5
	s_cbranch_vccnz .LBB82_68
; %bb.67:
	ds_load_b64 v[40:41], v42
	ds_load_b64 v[44:45], v39
	s_wait_dscnt 0x0
	v_pk_mul_f32 v[50:51], v[44:45], v[40:41] op_sel:[1,1] op_sel_hi:[0,1]
	s_delay_alu instid0(VALU_DEP_1) | instskip(SKIP_1) | instid1(VALU_DEP_2)
	v_pk_fma_f32 v[52:53], v[44:45], v[40:41], v[50:51] op_sel_hi:[1,0,1]
	v_pk_fma_f32 v[40:41], v[44:45], v[40:41], v[50:51] neg_lo:[0,0,1] neg_hi:[0,0,1]
	v_mov_b32_e32 v41, v53
	s_cbranch_execz .LBB82_69
	s_branch .LBB82_70
.LBB82_68:
                                        ; implicit-def: $vgpr40_vgpr41
.LBB82_69:
	ds_load_b64 v[40:41], v39
.LBB82_70:
	s_and_saveexec_b32 s6, s1
	s_cbranch_execz .LBB82_74
; %bb.71:
	s_movk_i32 s1, 0x98
	v_add_nc_u32_e32 v44, -12, v46
	v_mad_u32 v43, v48, s1, 0x1a0
	s_movk_i32 s7, 0x100
	s_mov_b32 s1, 0
.LBB82_72:                              ; =>This Inner Loop Header: Depth=1
	s_delay_alu instid0(VALU_DEP_2)
	v_dual_mov_b32 v45, s7 :: v_dual_add_nc_u32 v44, -1, v44
	s_add_co_i32 s7, s7, 8
	ds_load_b64 v[50:51], v43
	ds_load_b64 v[52:53], v45
	v_add_nc_u32_e32 v43, 8, v43
	v_cmp_eq_u32_e32 vcc_lo, 0, v44
	s_or_b32 s1, vcc_lo, s1
	s_wait_dscnt 0x0
	v_pk_mul_f32 v[56:57], v[52:53], v[50:51] op_sel:[1,1] op_sel_hi:[0,1]
	s_delay_alu instid0(VALU_DEP_1) | instskip(SKIP_1) | instid1(VALU_DEP_2)
	v_pk_fma_f32 v[58:59], v[52:53], v[50:51], v[56:57] op_sel_hi:[1,0,1]
	v_pk_fma_f32 v[50:51], v[52:53], v[50:51], v[56:57] neg_lo:[0,0,1] neg_hi:[0,0,1]
	v_mov_b32_e32 v51, v59
	s_delay_alu instid0(VALU_DEP_1)
	v_pk_add_f32 v[40:41], v[40:41], v[50:51]
	s_and_not1_b32 exec_lo, exec_lo, s1
	s_cbranch_execnz .LBB82_72
; %bb.73:
	s_or_b32 exec_lo, exec_lo, s1
.LBB82_74:
	s_delay_alu instid0(SALU_CYCLE_1) | instskip(SKIP_4) | instid1(VALU_DEP_1)
	s_or_b32 exec_lo, exec_lo, s6
	v_mov_b32_e32 v43, 0
	ds_load_b64 v[44:45], v43 offset:88
	s_wait_dscnt 0x0
	v_pk_mul_f32 v[50:51], v[40:41], v[44:45] op_sel:[1,1] op_sel_hi:[0,1]
	v_pk_fma_f32 v[52:53], v[40:41], v[44:45], v[50:51] op_sel_hi:[1,0,1]
	v_pk_fma_f32 v[40:41], v[40:41], v[44:45], v[50:51] neg_lo:[0,0,1] neg_hi:[0,0,1]
	s_delay_alu instid0(VALU_DEP_2)
	v_mov_b32_e32 v41, v53
	ds_store_b64 v54, v[40:41] offset:88
.LBB82_75:
	s_or_b32 exec_lo, exec_lo, s4
	ds_load_b64 v[40:41], v54 offset:80
	v_cmp_lt_u32_e64 s1, 10, v46
	s_wait_dscnt 0x0
	ds_store_b64 v39, v[40:41]
	s_wait_dscnt 0x0
	s_barrier_signal -1
	s_barrier_wait -1
	s_and_saveexec_b32 s4, s1
	s_cbranch_execz .LBB82_85
; %bb.76:
	s_and_not1_b32 vcc_lo, exec_lo, s5
	s_cbranch_vccnz .LBB82_78
; %bb.77:
	ds_load_b64 v[40:41], v42
	ds_load_b64 v[44:45], v39
	s_wait_dscnt 0x0
	v_pk_mul_f32 v[50:51], v[44:45], v[40:41] op_sel:[1,1] op_sel_hi:[0,1]
	s_delay_alu instid0(VALU_DEP_1) | instskip(SKIP_1) | instid1(VALU_DEP_2)
	v_pk_fma_f32 v[52:53], v[44:45], v[40:41], v[50:51] op_sel_hi:[1,0,1]
	v_pk_fma_f32 v[40:41], v[44:45], v[40:41], v[50:51] neg_lo:[0,0,1] neg_hi:[0,0,1]
	v_mov_b32_e32 v41, v53
	s_cbranch_execz .LBB82_79
	s_branch .LBB82_80
.LBB82_78:
                                        ; implicit-def: $vgpr40_vgpr41
.LBB82_79:
	ds_load_b64 v[40:41], v39
.LBB82_80:
	s_and_saveexec_b32 s6, s0
	s_cbranch_execz .LBB82_84
; %bb.81:
	s_movk_i32 s0, 0x98
	v_add_nc_u32_e32 v44, -11, v46
	v_mad_u32 v43, v48, s0, 0x198
	s_movk_i32 s7, 0xf8
	s_mov_b32 s0, 0
.LBB82_82:                              ; =>This Inner Loop Header: Depth=1
	s_delay_alu instid0(VALU_DEP_2)
	v_dual_mov_b32 v45, s7 :: v_dual_add_nc_u32 v44, -1, v44
	s_add_co_i32 s7, s7, 8
	ds_load_b64 v[50:51], v43
	ds_load_b64 v[52:53], v45
	v_add_nc_u32_e32 v43, 8, v43
	v_cmp_eq_u32_e32 vcc_lo, 0, v44
	s_or_b32 s0, vcc_lo, s0
	s_wait_dscnt 0x0
	v_pk_mul_f32 v[56:57], v[52:53], v[50:51] op_sel:[1,1] op_sel_hi:[0,1]
	s_delay_alu instid0(VALU_DEP_1) | instskip(SKIP_1) | instid1(VALU_DEP_2)
	v_pk_fma_f32 v[58:59], v[52:53], v[50:51], v[56:57] op_sel_hi:[1,0,1]
	v_pk_fma_f32 v[50:51], v[52:53], v[50:51], v[56:57] neg_lo:[0,0,1] neg_hi:[0,0,1]
	v_mov_b32_e32 v51, v59
	s_delay_alu instid0(VALU_DEP_1)
	v_pk_add_f32 v[40:41], v[40:41], v[50:51]
	s_and_not1_b32 exec_lo, exec_lo, s0
	s_cbranch_execnz .LBB82_82
; %bb.83:
	s_or_b32 exec_lo, exec_lo, s0
.LBB82_84:
	s_delay_alu instid0(SALU_CYCLE_1) | instskip(SKIP_4) | instid1(VALU_DEP_1)
	s_or_b32 exec_lo, exec_lo, s6
	v_mov_b32_e32 v43, 0
	ds_load_b64 v[44:45], v43 offset:80
	s_wait_dscnt 0x0
	v_pk_mul_f32 v[50:51], v[40:41], v[44:45] op_sel:[1,1] op_sel_hi:[0,1]
	v_pk_fma_f32 v[52:53], v[40:41], v[44:45], v[50:51] op_sel_hi:[1,0,1]
	v_pk_fma_f32 v[40:41], v[40:41], v[44:45], v[50:51] neg_lo:[0,0,1] neg_hi:[0,0,1]
	s_delay_alu instid0(VALU_DEP_2)
	v_mov_b32_e32 v41, v53
	ds_store_b64 v54, v[40:41] offset:80
.LBB82_85:
	s_or_b32 exec_lo, exec_lo, s4
	ds_load_b64 v[40:41], v54 offset:72
	v_cmp_lt_u32_e64 s0, 9, v46
	s_wait_dscnt 0x0
	ds_store_b64 v39, v[40:41]
	s_wait_dscnt 0x0
	s_barrier_signal -1
	s_barrier_wait -1
	s_and_saveexec_b32 s4, s0
	s_cbranch_execz .LBB82_95
; %bb.86:
	s_and_not1_b32 vcc_lo, exec_lo, s5
	s_cbranch_vccnz .LBB82_88
; %bb.87:
	ds_load_b64 v[40:41], v42
	ds_load_b64 v[44:45], v39
	s_wait_dscnt 0x0
	v_pk_mul_f32 v[50:51], v[44:45], v[40:41] op_sel:[1,1] op_sel_hi:[0,1]
	s_delay_alu instid0(VALU_DEP_1) | instskip(SKIP_1) | instid1(VALU_DEP_2)
	v_pk_fma_f32 v[52:53], v[44:45], v[40:41], v[50:51] op_sel_hi:[1,0,1]
	v_pk_fma_f32 v[40:41], v[44:45], v[40:41], v[50:51] neg_lo:[0,0,1] neg_hi:[0,0,1]
	v_mov_b32_e32 v41, v53
	s_cbranch_execz .LBB82_89
	s_branch .LBB82_90
.LBB82_88:
                                        ; implicit-def: $vgpr40_vgpr41
.LBB82_89:
	ds_load_b64 v[40:41], v39
.LBB82_90:
	s_and_saveexec_b32 s6, s1
	s_cbranch_execz .LBB82_94
; %bb.91:
	s_movk_i32 s1, 0x98
	v_add_nc_u32_e32 v44, -10, v46
	v_mad_u32 v43, v48, s1, 0x190
	s_movk_i32 s7, 0xf0
	s_mov_b32 s1, 0
.LBB82_92:                              ; =>This Inner Loop Header: Depth=1
	s_delay_alu instid0(VALU_DEP_2)
	v_dual_mov_b32 v45, s7 :: v_dual_add_nc_u32 v44, -1, v44
	s_add_co_i32 s7, s7, 8
	ds_load_b64 v[50:51], v43
	ds_load_b64 v[52:53], v45
	v_add_nc_u32_e32 v43, 8, v43
	v_cmp_eq_u32_e32 vcc_lo, 0, v44
	s_or_b32 s1, vcc_lo, s1
	s_wait_dscnt 0x0
	v_pk_mul_f32 v[56:57], v[52:53], v[50:51] op_sel:[1,1] op_sel_hi:[0,1]
	s_delay_alu instid0(VALU_DEP_1) | instskip(SKIP_1) | instid1(VALU_DEP_2)
	v_pk_fma_f32 v[58:59], v[52:53], v[50:51], v[56:57] op_sel_hi:[1,0,1]
	v_pk_fma_f32 v[50:51], v[52:53], v[50:51], v[56:57] neg_lo:[0,0,1] neg_hi:[0,0,1]
	v_mov_b32_e32 v51, v59
	s_delay_alu instid0(VALU_DEP_1)
	v_pk_add_f32 v[40:41], v[40:41], v[50:51]
	s_and_not1_b32 exec_lo, exec_lo, s1
	s_cbranch_execnz .LBB82_92
; %bb.93:
	s_or_b32 exec_lo, exec_lo, s1
.LBB82_94:
	s_delay_alu instid0(SALU_CYCLE_1) | instskip(SKIP_4) | instid1(VALU_DEP_1)
	s_or_b32 exec_lo, exec_lo, s6
	v_mov_b32_e32 v43, 0
	ds_load_b64 v[44:45], v43 offset:72
	s_wait_dscnt 0x0
	v_pk_mul_f32 v[50:51], v[40:41], v[44:45] op_sel:[1,1] op_sel_hi:[0,1]
	v_pk_fma_f32 v[52:53], v[40:41], v[44:45], v[50:51] op_sel_hi:[1,0,1]
	v_pk_fma_f32 v[40:41], v[40:41], v[44:45], v[50:51] neg_lo:[0,0,1] neg_hi:[0,0,1]
	s_delay_alu instid0(VALU_DEP_2)
	v_mov_b32_e32 v41, v53
	ds_store_b64 v54, v[40:41] offset:72
.LBB82_95:
	s_or_b32 exec_lo, exec_lo, s4
	ds_load_b64 v[40:41], v54 offset:64
	v_cmp_lt_u32_e64 s1, 8, v46
	s_wait_dscnt 0x0
	ds_store_b64 v39, v[40:41]
	s_wait_dscnt 0x0
	s_barrier_signal -1
	s_barrier_wait -1
	s_and_saveexec_b32 s4, s1
	s_cbranch_execz .LBB82_105
; %bb.96:
	s_and_not1_b32 vcc_lo, exec_lo, s5
	s_cbranch_vccnz .LBB82_98
; %bb.97:
	ds_load_b64 v[40:41], v42
	ds_load_b64 v[44:45], v39
	s_wait_dscnt 0x0
	v_pk_mul_f32 v[50:51], v[44:45], v[40:41] op_sel:[1,1] op_sel_hi:[0,1]
	s_delay_alu instid0(VALU_DEP_1) | instskip(SKIP_1) | instid1(VALU_DEP_2)
	v_pk_fma_f32 v[52:53], v[44:45], v[40:41], v[50:51] op_sel_hi:[1,0,1]
	v_pk_fma_f32 v[40:41], v[44:45], v[40:41], v[50:51] neg_lo:[0,0,1] neg_hi:[0,0,1]
	v_mov_b32_e32 v41, v53
	s_cbranch_execz .LBB82_99
	s_branch .LBB82_100
.LBB82_98:
                                        ; implicit-def: $vgpr40_vgpr41
.LBB82_99:
	ds_load_b64 v[40:41], v39
.LBB82_100:
	s_and_saveexec_b32 s6, s0
	s_cbranch_execz .LBB82_104
; %bb.101:
	s_movk_i32 s0, 0x98
	v_add_nc_u32_e32 v44, -9, v46
	v_mad_u32 v43, v48, s0, 0x188
	s_movk_i32 s7, 0xe8
	s_mov_b32 s0, 0
.LBB82_102:                             ; =>This Inner Loop Header: Depth=1
	s_delay_alu instid0(VALU_DEP_2)
	v_dual_mov_b32 v45, s7 :: v_dual_add_nc_u32 v44, -1, v44
	s_add_co_i32 s7, s7, 8
	ds_load_b64 v[50:51], v43
	ds_load_b64 v[52:53], v45
	v_add_nc_u32_e32 v43, 8, v43
	v_cmp_eq_u32_e32 vcc_lo, 0, v44
	s_or_b32 s0, vcc_lo, s0
	s_wait_dscnt 0x0
	v_pk_mul_f32 v[56:57], v[52:53], v[50:51] op_sel:[1,1] op_sel_hi:[0,1]
	s_delay_alu instid0(VALU_DEP_1) | instskip(SKIP_1) | instid1(VALU_DEP_2)
	v_pk_fma_f32 v[58:59], v[52:53], v[50:51], v[56:57] op_sel_hi:[1,0,1]
	v_pk_fma_f32 v[50:51], v[52:53], v[50:51], v[56:57] neg_lo:[0,0,1] neg_hi:[0,0,1]
	v_mov_b32_e32 v51, v59
	s_delay_alu instid0(VALU_DEP_1)
	v_pk_add_f32 v[40:41], v[40:41], v[50:51]
	s_and_not1_b32 exec_lo, exec_lo, s0
	s_cbranch_execnz .LBB82_102
; %bb.103:
	s_or_b32 exec_lo, exec_lo, s0
.LBB82_104:
	s_delay_alu instid0(SALU_CYCLE_1) | instskip(SKIP_4) | instid1(VALU_DEP_1)
	s_or_b32 exec_lo, exec_lo, s6
	v_mov_b32_e32 v43, 0
	ds_load_b64 v[44:45], v43 offset:64
	s_wait_dscnt 0x0
	v_pk_mul_f32 v[50:51], v[40:41], v[44:45] op_sel:[1,1] op_sel_hi:[0,1]
	v_pk_fma_f32 v[52:53], v[40:41], v[44:45], v[50:51] op_sel_hi:[1,0,1]
	v_pk_fma_f32 v[40:41], v[40:41], v[44:45], v[50:51] neg_lo:[0,0,1] neg_hi:[0,0,1]
	s_delay_alu instid0(VALU_DEP_2)
	v_mov_b32_e32 v41, v53
	ds_store_b64 v54, v[40:41] offset:64
.LBB82_105:
	s_or_b32 exec_lo, exec_lo, s4
	ds_load_b64 v[40:41], v54 offset:56
	v_cmp_lt_u32_e64 s0, 7, v46
	s_wait_dscnt 0x0
	ds_store_b64 v39, v[40:41]
	s_wait_dscnt 0x0
	s_barrier_signal -1
	s_barrier_wait -1
	s_and_saveexec_b32 s4, s0
	s_cbranch_execz .LBB82_115
; %bb.106:
	s_and_not1_b32 vcc_lo, exec_lo, s5
	s_cbranch_vccnz .LBB82_108
; %bb.107:
	ds_load_b64 v[40:41], v42
	ds_load_b64 v[44:45], v39
	s_wait_dscnt 0x0
	v_pk_mul_f32 v[50:51], v[44:45], v[40:41] op_sel:[1,1] op_sel_hi:[0,1]
	s_delay_alu instid0(VALU_DEP_1) | instskip(SKIP_1) | instid1(VALU_DEP_2)
	v_pk_fma_f32 v[52:53], v[44:45], v[40:41], v[50:51] op_sel_hi:[1,0,1]
	v_pk_fma_f32 v[40:41], v[44:45], v[40:41], v[50:51] neg_lo:[0,0,1] neg_hi:[0,0,1]
	v_mov_b32_e32 v41, v53
	s_cbranch_execz .LBB82_109
	s_branch .LBB82_110
.LBB82_108:
                                        ; implicit-def: $vgpr40_vgpr41
.LBB82_109:
	ds_load_b64 v[40:41], v39
.LBB82_110:
	s_and_saveexec_b32 s6, s1
	s_cbranch_execz .LBB82_114
; %bb.111:
	s_movk_i32 s1, 0x98
	v_add_nc_u32_e32 v44, -8, v46
	v_mad_u32 v43, v48, s1, 0x180
	s_movk_i32 s7, 0xe0
	s_mov_b32 s1, 0
.LBB82_112:                             ; =>This Inner Loop Header: Depth=1
	s_delay_alu instid0(VALU_DEP_2)
	v_dual_mov_b32 v45, s7 :: v_dual_add_nc_u32 v44, -1, v44
	s_add_co_i32 s7, s7, 8
	ds_load_b64 v[50:51], v43
	ds_load_b64 v[52:53], v45
	v_add_nc_u32_e32 v43, 8, v43
	v_cmp_eq_u32_e32 vcc_lo, 0, v44
	s_or_b32 s1, vcc_lo, s1
	s_wait_dscnt 0x0
	v_pk_mul_f32 v[56:57], v[52:53], v[50:51] op_sel:[1,1] op_sel_hi:[0,1]
	s_delay_alu instid0(VALU_DEP_1) | instskip(SKIP_1) | instid1(VALU_DEP_2)
	v_pk_fma_f32 v[58:59], v[52:53], v[50:51], v[56:57] op_sel_hi:[1,0,1]
	v_pk_fma_f32 v[50:51], v[52:53], v[50:51], v[56:57] neg_lo:[0,0,1] neg_hi:[0,0,1]
	v_mov_b32_e32 v51, v59
	s_delay_alu instid0(VALU_DEP_1)
	v_pk_add_f32 v[40:41], v[40:41], v[50:51]
	s_and_not1_b32 exec_lo, exec_lo, s1
	s_cbranch_execnz .LBB82_112
; %bb.113:
	s_or_b32 exec_lo, exec_lo, s1
.LBB82_114:
	s_delay_alu instid0(SALU_CYCLE_1) | instskip(SKIP_4) | instid1(VALU_DEP_1)
	s_or_b32 exec_lo, exec_lo, s6
	v_mov_b32_e32 v43, 0
	ds_load_b64 v[44:45], v43 offset:56
	s_wait_dscnt 0x0
	v_pk_mul_f32 v[50:51], v[40:41], v[44:45] op_sel:[1,1] op_sel_hi:[0,1]
	v_pk_fma_f32 v[52:53], v[40:41], v[44:45], v[50:51] op_sel_hi:[1,0,1]
	v_pk_fma_f32 v[40:41], v[40:41], v[44:45], v[50:51] neg_lo:[0,0,1] neg_hi:[0,0,1]
	s_delay_alu instid0(VALU_DEP_2)
	v_mov_b32_e32 v41, v53
	ds_store_b64 v54, v[40:41] offset:56
.LBB82_115:
	s_or_b32 exec_lo, exec_lo, s4
	ds_load_b64 v[40:41], v54 offset:48
	v_cmp_lt_u32_e64 s1, 6, v46
	s_wait_dscnt 0x0
	ds_store_b64 v39, v[40:41]
	s_wait_dscnt 0x0
	s_barrier_signal -1
	s_barrier_wait -1
	s_and_saveexec_b32 s4, s1
	s_cbranch_execz .LBB82_125
; %bb.116:
	s_and_not1_b32 vcc_lo, exec_lo, s5
	s_cbranch_vccnz .LBB82_118
; %bb.117:
	ds_load_b64 v[40:41], v42
	ds_load_b64 v[44:45], v39
	s_wait_dscnt 0x0
	v_pk_mul_f32 v[50:51], v[44:45], v[40:41] op_sel:[1,1] op_sel_hi:[0,1]
	s_delay_alu instid0(VALU_DEP_1) | instskip(SKIP_1) | instid1(VALU_DEP_2)
	v_pk_fma_f32 v[52:53], v[44:45], v[40:41], v[50:51] op_sel_hi:[1,0,1]
	v_pk_fma_f32 v[40:41], v[44:45], v[40:41], v[50:51] neg_lo:[0,0,1] neg_hi:[0,0,1]
	v_mov_b32_e32 v41, v53
	s_cbranch_execz .LBB82_119
	s_branch .LBB82_120
.LBB82_118:
                                        ; implicit-def: $vgpr40_vgpr41
.LBB82_119:
	ds_load_b64 v[40:41], v39
.LBB82_120:
	s_and_saveexec_b32 s6, s0
	s_cbranch_execz .LBB82_124
; %bb.121:
	s_movk_i32 s0, 0x98
	v_add_nc_u32_e32 v44, -7, v46
	v_mad_u32 v43, v48, s0, 0x178
	s_movk_i32 s7, 0xd8
	s_mov_b32 s0, 0
.LBB82_122:                             ; =>This Inner Loop Header: Depth=1
	s_delay_alu instid0(VALU_DEP_2)
	v_dual_mov_b32 v45, s7 :: v_dual_add_nc_u32 v44, -1, v44
	s_add_co_i32 s7, s7, 8
	ds_load_b64 v[50:51], v43
	ds_load_b64 v[52:53], v45
	v_add_nc_u32_e32 v43, 8, v43
	v_cmp_eq_u32_e32 vcc_lo, 0, v44
	s_or_b32 s0, vcc_lo, s0
	s_wait_dscnt 0x0
	v_pk_mul_f32 v[56:57], v[52:53], v[50:51] op_sel:[1,1] op_sel_hi:[0,1]
	s_delay_alu instid0(VALU_DEP_1) | instskip(SKIP_1) | instid1(VALU_DEP_2)
	v_pk_fma_f32 v[58:59], v[52:53], v[50:51], v[56:57] op_sel_hi:[1,0,1]
	v_pk_fma_f32 v[50:51], v[52:53], v[50:51], v[56:57] neg_lo:[0,0,1] neg_hi:[0,0,1]
	v_mov_b32_e32 v51, v59
	s_delay_alu instid0(VALU_DEP_1)
	v_pk_add_f32 v[40:41], v[40:41], v[50:51]
	s_and_not1_b32 exec_lo, exec_lo, s0
	s_cbranch_execnz .LBB82_122
; %bb.123:
	s_or_b32 exec_lo, exec_lo, s0
.LBB82_124:
	s_delay_alu instid0(SALU_CYCLE_1) | instskip(SKIP_4) | instid1(VALU_DEP_1)
	s_or_b32 exec_lo, exec_lo, s6
	v_mov_b32_e32 v43, 0
	ds_load_b64 v[44:45], v43 offset:48
	s_wait_dscnt 0x0
	v_pk_mul_f32 v[50:51], v[40:41], v[44:45] op_sel:[1,1] op_sel_hi:[0,1]
	v_pk_fma_f32 v[52:53], v[40:41], v[44:45], v[50:51] op_sel_hi:[1,0,1]
	v_pk_fma_f32 v[40:41], v[40:41], v[44:45], v[50:51] neg_lo:[0,0,1] neg_hi:[0,0,1]
	s_delay_alu instid0(VALU_DEP_2)
	v_mov_b32_e32 v41, v53
	ds_store_b64 v54, v[40:41] offset:48
.LBB82_125:
	s_or_b32 exec_lo, exec_lo, s4
	ds_load_b64 v[40:41], v54 offset:40
	v_cmp_lt_u32_e64 s0, 5, v46
	s_wait_dscnt 0x0
	ds_store_b64 v39, v[40:41]
	s_wait_dscnt 0x0
	s_barrier_signal -1
	s_barrier_wait -1
	s_and_saveexec_b32 s4, s0
	s_cbranch_execz .LBB82_135
; %bb.126:
	s_and_not1_b32 vcc_lo, exec_lo, s5
	s_cbranch_vccnz .LBB82_128
; %bb.127:
	ds_load_b64 v[40:41], v42
	ds_load_b64 v[44:45], v39
	s_wait_dscnt 0x0
	v_pk_mul_f32 v[50:51], v[44:45], v[40:41] op_sel:[1,1] op_sel_hi:[0,1]
	s_delay_alu instid0(VALU_DEP_1) | instskip(SKIP_1) | instid1(VALU_DEP_2)
	v_pk_fma_f32 v[52:53], v[44:45], v[40:41], v[50:51] op_sel_hi:[1,0,1]
	v_pk_fma_f32 v[40:41], v[44:45], v[40:41], v[50:51] neg_lo:[0,0,1] neg_hi:[0,0,1]
	v_mov_b32_e32 v41, v53
	s_cbranch_execz .LBB82_129
	s_branch .LBB82_130
.LBB82_128:
                                        ; implicit-def: $vgpr40_vgpr41
.LBB82_129:
	ds_load_b64 v[40:41], v39
.LBB82_130:
	s_and_saveexec_b32 s6, s1
	s_cbranch_execz .LBB82_134
; %bb.131:
	s_movk_i32 s1, 0x98
	v_add_nc_u32_e32 v44, -6, v46
	v_mad_u32 v43, v48, s1, 0x170
	s_movk_i32 s7, 0xd0
	s_mov_b32 s1, 0
.LBB82_132:                             ; =>This Inner Loop Header: Depth=1
	s_delay_alu instid0(VALU_DEP_2)
	v_dual_mov_b32 v45, s7 :: v_dual_add_nc_u32 v44, -1, v44
	s_add_co_i32 s7, s7, 8
	ds_load_b64 v[50:51], v43
	ds_load_b64 v[52:53], v45
	v_add_nc_u32_e32 v43, 8, v43
	v_cmp_eq_u32_e32 vcc_lo, 0, v44
	s_or_b32 s1, vcc_lo, s1
	s_wait_dscnt 0x0
	v_pk_mul_f32 v[56:57], v[52:53], v[50:51] op_sel:[1,1] op_sel_hi:[0,1]
	s_delay_alu instid0(VALU_DEP_1) | instskip(SKIP_1) | instid1(VALU_DEP_2)
	v_pk_fma_f32 v[58:59], v[52:53], v[50:51], v[56:57] op_sel_hi:[1,0,1]
	v_pk_fma_f32 v[50:51], v[52:53], v[50:51], v[56:57] neg_lo:[0,0,1] neg_hi:[0,0,1]
	v_mov_b32_e32 v51, v59
	s_delay_alu instid0(VALU_DEP_1)
	v_pk_add_f32 v[40:41], v[40:41], v[50:51]
	s_and_not1_b32 exec_lo, exec_lo, s1
	s_cbranch_execnz .LBB82_132
; %bb.133:
	s_or_b32 exec_lo, exec_lo, s1
.LBB82_134:
	s_delay_alu instid0(SALU_CYCLE_1) | instskip(SKIP_4) | instid1(VALU_DEP_1)
	s_or_b32 exec_lo, exec_lo, s6
	v_mov_b32_e32 v43, 0
	ds_load_b64 v[44:45], v43 offset:40
	s_wait_dscnt 0x0
	v_pk_mul_f32 v[50:51], v[40:41], v[44:45] op_sel:[1,1] op_sel_hi:[0,1]
	v_pk_fma_f32 v[52:53], v[40:41], v[44:45], v[50:51] op_sel_hi:[1,0,1]
	v_pk_fma_f32 v[40:41], v[40:41], v[44:45], v[50:51] neg_lo:[0,0,1] neg_hi:[0,0,1]
	s_delay_alu instid0(VALU_DEP_2)
	v_mov_b32_e32 v41, v53
	ds_store_b64 v54, v[40:41] offset:40
.LBB82_135:
	s_or_b32 exec_lo, exec_lo, s4
	ds_load_b64 v[40:41], v54 offset:32
	v_cmp_lt_u32_e64 s1, 4, v46
	s_wait_dscnt 0x0
	ds_store_b64 v39, v[40:41]
	s_wait_dscnt 0x0
	s_barrier_signal -1
	s_barrier_wait -1
	s_and_saveexec_b32 s4, s1
	s_cbranch_execz .LBB82_145
; %bb.136:
	s_and_not1_b32 vcc_lo, exec_lo, s5
	s_cbranch_vccnz .LBB82_138
; %bb.137:
	ds_load_b64 v[40:41], v42
	ds_load_b64 v[44:45], v39
	s_wait_dscnt 0x0
	v_pk_mul_f32 v[50:51], v[44:45], v[40:41] op_sel:[1,1] op_sel_hi:[0,1]
	s_delay_alu instid0(VALU_DEP_1) | instskip(SKIP_1) | instid1(VALU_DEP_2)
	v_pk_fma_f32 v[52:53], v[44:45], v[40:41], v[50:51] op_sel_hi:[1,0,1]
	v_pk_fma_f32 v[40:41], v[44:45], v[40:41], v[50:51] neg_lo:[0,0,1] neg_hi:[0,0,1]
	v_mov_b32_e32 v41, v53
	s_cbranch_execz .LBB82_139
	s_branch .LBB82_140
.LBB82_138:
                                        ; implicit-def: $vgpr40_vgpr41
.LBB82_139:
	ds_load_b64 v[40:41], v39
.LBB82_140:
	s_and_saveexec_b32 s6, s0
	s_cbranch_execz .LBB82_144
; %bb.141:
	s_movk_i32 s0, 0x98
	v_add_nc_u32_e32 v44, -5, v46
	v_mad_u32 v43, v48, s0, 0x168
	s_movk_i32 s7, 0xc8
	s_mov_b32 s0, 0
.LBB82_142:                             ; =>This Inner Loop Header: Depth=1
	s_delay_alu instid0(VALU_DEP_2)
	v_dual_mov_b32 v45, s7 :: v_dual_add_nc_u32 v44, -1, v44
	s_add_co_i32 s7, s7, 8
	ds_load_b64 v[50:51], v43
	ds_load_b64 v[52:53], v45
	v_add_nc_u32_e32 v43, 8, v43
	v_cmp_eq_u32_e32 vcc_lo, 0, v44
	s_or_b32 s0, vcc_lo, s0
	s_wait_dscnt 0x0
	v_pk_mul_f32 v[56:57], v[52:53], v[50:51] op_sel:[1,1] op_sel_hi:[0,1]
	s_delay_alu instid0(VALU_DEP_1) | instskip(SKIP_1) | instid1(VALU_DEP_2)
	v_pk_fma_f32 v[58:59], v[52:53], v[50:51], v[56:57] op_sel_hi:[1,0,1]
	v_pk_fma_f32 v[50:51], v[52:53], v[50:51], v[56:57] neg_lo:[0,0,1] neg_hi:[0,0,1]
	v_mov_b32_e32 v51, v59
	s_delay_alu instid0(VALU_DEP_1)
	v_pk_add_f32 v[40:41], v[40:41], v[50:51]
	s_and_not1_b32 exec_lo, exec_lo, s0
	s_cbranch_execnz .LBB82_142
; %bb.143:
	s_or_b32 exec_lo, exec_lo, s0
.LBB82_144:
	s_delay_alu instid0(SALU_CYCLE_1) | instskip(SKIP_4) | instid1(VALU_DEP_1)
	s_or_b32 exec_lo, exec_lo, s6
	v_mov_b32_e32 v43, 0
	ds_load_b64 v[44:45], v43 offset:32
	s_wait_dscnt 0x0
	v_pk_mul_f32 v[50:51], v[40:41], v[44:45] op_sel:[1,1] op_sel_hi:[0,1]
	v_pk_fma_f32 v[52:53], v[40:41], v[44:45], v[50:51] op_sel_hi:[1,0,1]
	v_pk_fma_f32 v[40:41], v[40:41], v[44:45], v[50:51] neg_lo:[0,0,1] neg_hi:[0,0,1]
	s_delay_alu instid0(VALU_DEP_2)
	v_mov_b32_e32 v41, v53
	ds_store_b64 v54, v[40:41] offset:32
.LBB82_145:
	s_or_b32 exec_lo, exec_lo, s4
	ds_load_b64 v[40:41], v54 offset:24
	v_cmp_lt_u32_e64 s0, 3, v46
	s_wait_dscnt 0x0
	ds_store_b64 v39, v[40:41]
	s_wait_dscnt 0x0
	s_barrier_signal -1
	s_barrier_wait -1
	s_and_saveexec_b32 s4, s0
	s_cbranch_execz .LBB82_155
; %bb.146:
	s_and_not1_b32 vcc_lo, exec_lo, s5
	s_cbranch_vccnz .LBB82_148
; %bb.147:
	ds_load_b64 v[40:41], v42
	ds_load_b64 v[44:45], v39
	s_wait_dscnt 0x0
	v_pk_mul_f32 v[50:51], v[44:45], v[40:41] op_sel:[1,1] op_sel_hi:[0,1]
	s_delay_alu instid0(VALU_DEP_1) | instskip(SKIP_1) | instid1(VALU_DEP_2)
	v_pk_fma_f32 v[52:53], v[44:45], v[40:41], v[50:51] op_sel_hi:[1,0,1]
	v_pk_fma_f32 v[40:41], v[44:45], v[40:41], v[50:51] neg_lo:[0,0,1] neg_hi:[0,0,1]
	v_mov_b32_e32 v41, v53
	s_cbranch_execz .LBB82_149
	s_branch .LBB82_150
.LBB82_148:
                                        ; implicit-def: $vgpr40_vgpr41
.LBB82_149:
	ds_load_b64 v[40:41], v39
.LBB82_150:
	s_and_saveexec_b32 s6, s1
	s_cbranch_execz .LBB82_154
; %bb.151:
	s_movk_i32 s1, 0x98
	v_add_nc_u32_e32 v44, -4, v46
	v_mad_u32 v43, v48, s1, 0x160
	s_movk_i32 s7, 0xc0
	s_mov_b32 s1, 0
.LBB82_152:                             ; =>This Inner Loop Header: Depth=1
	s_delay_alu instid0(VALU_DEP_2)
	v_dual_mov_b32 v45, s7 :: v_dual_add_nc_u32 v44, -1, v44
	s_add_co_i32 s7, s7, 8
	ds_load_b64 v[50:51], v43
	ds_load_b64 v[52:53], v45
	v_add_nc_u32_e32 v43, 8, v43
	v_cmp_eq_u32_e32 vcc_lo, 0, v44
	s_or_b32 s1, vcc_lo, s1
	s_wait_dscnt 0x0
	v_pk_mul_f32 v[56:57], v[52:53], v[50:51] op_sel:[1,1] op_sel_hi:[0,1]
	s_delay_alu instid0(VALU_DEP_1) | instskip(SKIP_1) | instid1(VALU_DEP_2)
	v_pk_fma_f32 v[58:59], v[52:53], v[50:51], v[56:57] op_sel_hi:[1,0,1]
	v_pk_fma_f32 v[50:51], v[52:53], v[50:51], v[56:57] neg_lo:[0,0,1] neg_hi:[0,0,1]
	v_mov_b32_e32 v51, v59
	s_delay_alu instid0(VALU_DEP_1)
	v_pk_add_f32 v[40:41], v[40:41], v[50:51]
	s_and_not1_b32 exec_lo, exec_lo, s1
	s_cbranch_execnz .LBB82_152
; %bb.153:
	s_or_b32 exec_lo, exec_lo, s1
.LBB82_154:
	s_delay_alu instid0(SALU_CYCLE_1) | instskip(SKIP_4) | instid1(VALU_DEP_1)
	s_or_b32 exec_lo, exec_lo, s6
	v_mov_b32_e32 v43, 0
	ds_load_b64 v[44:45], v43 offset:24
	s_wait_dscnt 0x0
	v_pk_mul_f32 v[50:51], v[40:41], v[44:45] op_sel:[1,1] op_sel_hi:[0,1]
	v_pk_fma_f32 v[52:53], v[40:41], v[44:45], v[50:51] op_sel_hi:[1,0,1]
	v_pk_fma_f32 v[40:41], v[40:41], v[44:45], v[50:51] neg_lo:[0,0,1] neg_hi:[0,0,1]
	s_delay_alu instid0(VALU_DEP_2)
	v_mov_b32_e32 v41, v53
	ds_store_b64 v54, v[40:41] offset:24
.LBB82_155:
	s_or_b32 exec_lo, exec_lo, s4
	ds_load_b64 v[40:41], v54 offset:16
	v_cmp_lt_u32_e64 s1, 2, v46
	s_wait_dscnt 0x0
	ds_store_b64 v39, v[40:41]
	s_wait_dscnt 0x0
	s_barrier_signal -1
	s_barrier_wait -1
	s_and_saveexec_b32 s4, s1
	s_cbranch_execz .LBB82_165
; %bb.156:
	s_and_not1_b32 vcc_lo, exec_lo, s5
	s_cbranch_vccnz .LBB82_158
; %bb.157:
	ds_load_b64 v[40:41], v42
	ds_load_b64 v[44:45], v39
	s_wait_dscnt 0x0
	v_pk_mul_f32 v[50:51], v[44:45], v[40:41] op_sel:[1,1] op_sel_hi:[0,1]
	s_delay_alu instid0(VALU_DEP_1) | instskip(SKIP_1) | instid1(VALU_DEP_2)
	v_pk_fma_f32 v[52:53], v[44:45], v[40:41], v[50:51] op_sel_hi:[1,0,1]
	v_pk_fma_f32 v[40:41], v[44:45], v[40:41], v[50:51] neg_lo:[0,0,1] neg_hi:[0,0,1]
	v_mov_b32_e32 v41, v53
	s_cbranch_execz .LBB82_159
	s_branch .LBB82_160
.LBB82_158:
                                        ; implicit-def: $vgpr40_vgpr41
.LBB82_159:
	ds_load_b64 v[40:41], v39
.LBB82_160:
	s_and_saveexec_b32 s6, s0
	s_cbranch_execz .LBB82_164
; %bb.161:
	s_movk_i32 s0, 0x98
	v_add_nc_u32_e32 v44, -3, v46
	v_mad_u32 v43, v48, s0, 0x158
	s_movk_i32 s7, 0xb8
	s_mov_b32 s0, 0
.LBB82_162:                             ; =>This Inner Loop Header: Depth=1
	s_delay_alu instid0(VALU_DEP_2)
	v_dual_mov_b32 v45, s7 :: v_dual_add_nc_u32 v44, -1, v44
	s_add_co_i32 s7, s7, 8
	ds_load_b64 v[50:51], v43
	ds_load_b64 v[52:53], v45
	v_add_nc_u32_e32 v43, 8, v43
	v_cmp_eq_u32_e32 vcc_lo, 0, v44
	s_or_b32 s0, vcc_lo, s0
	s_wait_dscnt 0x0
	v_pk_mul_f32 v[56:57], v[52:53], v[50:51] op_sel:[1,1] op_sel_hi:[0,1]
	s_delay_alu instid0(VALU_DEP_1) | instskip(SKIP_1) | instid1(VALU_DEP_2)
	v_pk_fma_f32 v[58:59], v[52:53], v[50:51], v[56:57] op_sel_hi:[1,0,1]
	v_pk_fma_f32 v[50:51], v[52:53], v[50:51], v[56:57] neg_lo:[0,0,1] neg_hi:[0,0,1]
	v_mov_b32_e32 v51, v59
	s_delay_alu instid0(VALU_DEP_1)
	v_pk_add_f32 v[40:41], v[40:41], v[50:51]
	s_and_not1_b32 exec_lo, exec_lo, s0
	s_cbranch_execnz .LBB82_162
; %bb.163:
	s_or_b32 exec_lo, exec_lo, s0
.LBB82_164:
	s_delay_alu instid0(SALU_CYCLE_1) | instskip(SKIP_4) | instid1(VALU_DEP_1)
	s_or_b32 exec_lo, exec_lo, s6
	v_mov_b32_e32 v43, 0
	ds_load_b64 v[44:45], v43 offset:16
	s_wait_dscnt 0x0
	v_pk_mul_f32 v[50:51], v[40:41], v[44:45] op_sel:[1,1] op_sel_hi:[0,1]
	v_pk_fma_f32 v[52:53], v[40:41], v[44:45], v[50:51] op_sel_hi:[1,0,1]
	v_pk_fma_f32 v[40:41], v[40:41], v[44:45], v[50:51] neg_lo:[0,0,1] neg_hi:[0,0,1]
	s_delay_alu instid0(VALU_DEP_2)
	v_mov_b32_e32 v41, v53
	ds_store_b64 v54, v[40:41] offset:16
.LBB82_165:
	s_or_b32 exec_lo, exec_lo, s4
	ds_load_b64 v[40:41], v54 offset:8
	v_cmp_lt_u32_e64 s0, 1, v46
	s_wait_dscnt 0x0
	ds_store_b64 v39, v[40:41]
	s_wait_dscnt 0x0
	s_barrier_signal -1
	s_barrier_wait -1
	s_and_saveexec_b32 s4, s0
	s_cbranch_execz .LBB82_175
; %bb.166:
	s_and_not1_b32 vcc_lo, exec_lo, s5
	s_cbranch_vccnz .LBB82_168
; %bb.167:
	ds_load_b64 v[40:41], v42
	ds_load_b64 v[44:45], v39
	s_wait_dscnt 0x0
	v_pk_mul_f32 v[50:51], v[44:45], v[40:41] op_sel:[1,1] op_sel_hi:[0,1]
	s_delay_alu instid0(VALU_DEP_1) | instskip(SKIP_1) | instid1(VALU_DEP_2)
	v_pk_fma_f32 v[52:53], v[44:45], v[40:41], v[50:51] op_sel_hi:[1,0,1]
	v_pk_fma_f32 v[40:41], v[44:45], v[40:41], v[50:51] neg_lo:[0,0,1] neg_hi:[0,0,1]
	v_mov_b32_e32 v41, v53
	s_cbranch_execz .LBB82_169
	s_branch .LBB82_170
.LBB82_168:
                                        ; implicit-def: $vgpr40_vgpr41
.LBB82_169:
	ds_load_b64 v[40:41], v39
.LBB82_170:
	s_and_saveexec_b32 s6, s1
	s_cbranch_execz .LBB82_174
; %bb.171:
	s_movk_i32 s1, 0x98
	v_add_nc_u32_e32 v44, -2, v46
	v_mad_u32 v43, v48, s1, 0x150
	s_movk_i32 s7, 0xb0
	s_mov_b32 s1, 0
.LBB82_172:                             ; =>This Inner Loop Header: Depth=1
	s_delay_alu instid0(VALU_DEP_2)
	v_dual_mov_b32 v45, s7 :: v_dual_add_nc_u32 v44, -1, v44
	s_add_co_i32 s7, s7, 8
	ds_load_b64 v[50:51], v43
	ds_load_b64 v[52:53], v45
	v_add_nc_u32_e32 v43, 8, v43
	v_cmp_eq_u32_e32 vcc_lo, 0, v44
	s_or_b32 s1, vcc_lo, s1
	s_wait_dscnt 0x0
	v_pk_mul_f32 v[56:57], v[52:53], v[50:51] op_sel:[1,1] op_sel_hi:[0,1]
	s_delay_alu instid0(VALU_DEP_1) | instskip(SKIP_1) | instid1(VALU_DEP_2)
	v_pk_fma_f32 v[58:59], v[52:53], v[50:51], v[56:57] op_sel_hi:[1,0,1]
	v_pk_fma_f32 v[50:51], v[52:53], v[50:51], v[56:57] neg_lo:[0,0,1] neg_hi:[0,0,1]
	v_mov_b32_e32 v51, v59
	s_delay_alu instid0(VALU_DEP_1)
	v_pk_add_f32 v[40:41], v[40:41], v[50:51]
	s_and_not1_b32 exec_lo, exec_lo, s1
	s_cbranch_execnz .LBB82_172
; %bb.173:
	s_or_b32 exec_lo, exec_lo, s1
.LBB82_174:
	s_delay_alu instid0(SALU_CYCLE_1) | instskip(SKIP_4) | instid1(VALU_DEP_1)
	s_or_b32 exec_lo, exec_lo, s6
	v_mov_b32_e32 v43, 0
	ds_load_b64 v[44:45], v43 offset:8
	s_wait_dscnt 0x0
	v_pk_mul_f32 v[50:51], v[40:41], v[44:45] op_sel:[1,1] op_sel_hi:[0,1]
	v_pk_fma_f32 v[52:53], v[40:41], v[44:45], v[50:51] op_sel_hi:[1,0,1]
	v_pk_fma_f32 v[40:41], v[40:41], v[44:45], v[50:51] neg_lo:[0,0,1] neg_hi:[0,0,1]
	s_delay_alu instid0(VALU_DEP_2)
	v_mov_b32_e32 v41, v53
	ds_store_b64 v54, v[40:41] offset:8
.LBB82_175:
	s_or_b32 exec_lo, exec_lo, s4
	ds_load_b64 v[40:41], v54
	s_mov_b32 s4, 0
	s_mov_b32 s1, 0
	s_mov_b32 s6, exec_lo
                                        ; implicit-def: $vgpr55
                                        ; implicit-def: $vgpr56
	s_wait_dscnt 0x0
	ds_store_b64 v39, v[40:41]
	s_wait_dscnt 0x0
	s_barrier_signal -1
	s_barrier_wait -1
	v_cmpx_ne_u32_e32 0, v46
	s_cbranch_execz .LBB82_185
; %bb.176:
	s_and_not1_b32 vcc_lo, exec_lo, s5
	s_cbranch_vccnz .LBB82_178
; %bb.177:
	ds_load_b64 v[44:45], v42
	ds_load_b64 v[50:51], v39
	s_wait_dscnt 0x0
	v_dual_mul_f32 v40, v51, v45 :: v_dual_mul_f32 v41, v50, v45
	s_delay_alu instid0(VALU_DEP_1)
	v_dual_fma_f32 v40, v50, v44, -v40 :: v_dual_fmac_f32 v41, v51, v44
	s_and_not1_b32 vcc_lo, exec_lo, s1
	s_cbranch_vccz .LBB82_179
	s_branch .LBB82_180
.LBB82_178:
                                        ; implicit-def: $vgpr40
.LBB82_179:
	ds_load_b64 v[40:41], v39
.LBB82_180:
	s_and_saveexec_b32 s1, s0
	s_cbranch_execz .LBB82_184
; %bb.181:
	s_movk_i32 s0, 0x98
	v_add_nc_u32_e32 v44, -1, v46
	v_mad_u32 v43, v48, s0, 0x148
	s_movk_i32 s7, 0xa8
	s_mov_b32 s0, 0
.LBB82_182:                             ; =>This Inner Loop Header: Depth=1
	v_mov_b32_e32 v45, s7
	s_add_co_i32 s7, s7, 8
	ds_load_b64 v[48:49], v43
	ds_load_b64 v[50:51], v45
	v_dual_add_nc_u32 v44, -1, v44 :: v_dual_add_nc_u32 v43, 8, v43
	s_delay_alu instid0(VALU_DEP_1) | instskip(SKIP_3) | instid1(VALU_DEP_1)
	v_cmp_eq_u32_e32 vcc_lo, 0, v44
	s_or_b32 s0, vcc_lo, s0
	s_wait_dscnt 0x0
	v_dual_mul_f32 v45, v51, v49 :: v_dual_mul_f32 v49, v50, v49
	v_fma_f32 v45, v50, v48, -v45
	s_delay_alu instid0(VALU_DEP_1) | instskip(NEXT) | instid1(VALU_DEP_1)
	v_dual_fmac_f32 v49, v51, v48 :: v_dual_add_f32 v40, v40, v45
	v_add_f32_e32 v41, v41, v49
	s_and_not1_b32 exec_lo, exec_lo, s0
	s_cbranch_execnz .LBB82_182
; %bb.183:
	s_or_b32 exec_lo, exec_lo, s0
.LBB82_184:
	s_delay_alu instid0(SALU_CYCLE_1)
	s_or_b32 exec_lo, exec_lo, s1
	v_mov_b32_e32 v43, 0
	s_mov_b32 s1, exec_lo
	v_add_nc_u32_e32 v56, 4, v54
	ds_load_b64 v[44:45], v43
	s_wait_dscnt 0x0
	v_dual_mul_f32 v43, v41, v45 :: v_dual_mul_f32 v55, v40, v45
	s_delay_alu instid0(VALU_DEP_1) | instskip(NEXT) | instid1(VALU_DEP_2)
	v_fma_f32 v40, v40, v44, -v43
	v_fmac_f32_e32 v55, v41, v44
	ds_store_b32 v54, v40
.LBB82_185:
	s_or_b32 exec_lo, exec_lo, s6
	s_delay_alu instid0(SALU_CYCLE_1)
	s_and_b32 vcc_lo, exec_lo, s4
	s_cbranch_vccz .LBB82_361
.LBB82_186:
	ds_load_b64 v[40:41], v54 offset:8
	v_cmp_eq_u32_e64 s0, 0, v46
	s_wait_dscnt 0x0
	ds_store_b64 v39, v[40:41]
	s_wait_dscnt 0x0
	s_barrier_signal -1
	s_barrier_wait -1
	s_and_saveexec_b32 s4, s0
	s_cbranch_execz .LBB82_192
; %bb.187:
	s_and_b32 vcc_lo, exec_lo, s5
	s_cbranch_vccz .LBB82_189
; %bb.188:
	ds_load_b64 v[40:41], v42
	ds_load_b64 v[44:45], v39
	s_wait_dscnt 0x0
	v_pk_mul_f32 v[48:49], v[44:45], v[40:41] op_sel:[1,1] op_sel_hi:[0,1]
	v_pk_mul_f32 v[50:51], v[44:45], v[40:41] op_sel_hi:[1,0]
	s_delay_alu instid0(VALU_DEP_2) | instskip(NEXT) | instid1(VALU_DEP_2)
	v_pk_fma_f32 v[40:41], v[44:45], v[40:41], v[48:49] op_sel_hi:[1,0,1]
	v_sub_f32_e32 v40, v50, v48
	s_cbranch_execz .LBB82_190
	s_branch .LBB82_191
.LBB82_189:
                                        ; implicit-def: $vgpr41
.LBB82_190:
	ds_load_b64 v[40:41], v39
.LBB82_191:
	s_wait_dscnt 0x0
	v_dual_mov_b32 v43, 0 :: v_dual_mov_b32 v48, v41
	v_mov_b32_e32 v49, v40
	ds_load_b64 v[44:45], v43 offset:8
	s_wait_dscnt 0x0
	v_pk_mul_f32 v[48:49], v[48:49], v[44:45] op_sel:[0,1]
	s_delay_alu instid0(VALU_DEP_1) | instskip(SKIP_1) | instid1(VALU_DEP_2)
	v_pk_fma_f32 v[50:51], v[40:41], v[44:45], v[48:49] op_sel_hi:[1,0,1]
	v_pk_fma_f32 v[40:41], v[40:41], v[44:45], v[48:49] neg_lo:[0,0,1] neg_hi:[0,0,1]
	v_mov_b32_e32 v41, v51
	ds_store_b64 v54, v[40:41] offset:8
.LBB82_192:
	s_or_b32 exec_lo, exec_lo, s4
	ds_load_b64 v[40:41], v54 offset:16
	v_cndmask_b32_e64 v43, 0, 1, s5
	s_mov_b32 s4, exec_lo
	s_wait_dscnt 0x0
	ds_store_b64 v39, v[40:41]
	s_wait_dscnt 0x0
	s_barrier_signal -1
	s_barrier_wait -1
	v_cmpx_gt_u32_e32 2, v46
	s_cbranch_execz .LBB82_200
; %bb.193:
	s_and_not1_b32 vcc_lo, exec_lo, s5
	s_cbranch_vccnz .LBB82_195
; %bb.194:
	ds_load_b64 v[40:41], v42
	ds_load_b64 v[44:45], v39
	s_wait_dscnt 0x0
	v_pk_mul_f32 v[48:49], v[44:45], v[40:41] op_sel:[1,1] op_sel_hi:[0,1]
	s_delay_alu instid0(VALU_DEP_1) | instskip(SKIP_1) | instid1(VALU_DEP_2)
	v_pk_fma_f32 v[50:51], v[44:45], v[40:41], v[48:49] op_sel_hi:[1,0,1]
	v_pk_fma_f32 v[40:41], v[44:45], v[40:41], v[48:49] neg_lo:[0,0,1] neg_hi:[0,0,1]
	v_mov_b32_e32 v41, v51
	s_cbranch_execz .LBB82_196
	s_branch .LBB82_197
.LBB82_195:
                                        ; implicit-def: $vgpr40_vgpr41
.LBB82_196:
	ds_load_b64 v[40:41], v39
.LBB82_197:
	s_and_saveexec_b32 s5, s0
	s_cbranch_execz .LBB82_199
; %bb.198:
	v_mov_b32_e32 v48, 0
	ds_load_b64 v[44:45], v54 offset:8
	ds_load_b64 v[48:49], v48 offset:168
	s_wait_dscnt 0x0
	v_pk_mul_f32 v[50:51], v[48:49], v[44:45] op_sel:[1,1] op_sel_hi:[0,1]
	s_delay_alu instid0(VALU_DEP_1) | instskip(SKIP_1) | instid1(VALU_DEP_2)
	v_pk_fma_f32 v[52:53], v[48:49], v[44:45], v[50:51] op_sel_hi:[1,0,1]
	v_pk_fma_f32 v[44:45], v[48:49], v[44:45], v[50:51] neg_lo:[0,0,1] neg_hi:[0,0,1]
	v_mov_b32_e32 v45, v53
	s_delay_alu instid0(VALU_DEP_1)
	v_pk_add_f32 v[40:41], v[40:41], v[44:45]
.LBB82_199:
	s_or_b32 exec_lo, exec_lo, s5
	v_mov_b32_e32 v44, 0
	ds_load_b64 v[44:45], v44 offset:16
	s_wait_dscnt 0x0
	v_pk_mul_f32 v[48:49], v[40:41], v[44:45] op_sel:[1,1] op_sel_hi:[0,1]
	s_delay_alu instid0(VALU_DEP_1) | instskip(SKIP_1) | instid1(VALU_DEP_2)
	v_pk_fma_f32 v[50:51], v[40:41], v[44:45], v[48:49] op_sel_hi:[1,0,1]
	v_pk_fma_f32 v[40:41], v[40:41], v[44:45], v[48:49] neg_lo:[0,0,1] neg_hi:[0,0,1]
	v_mov_b32_e32 v41, v51
	ds_store_b64 v54, v[40:41] offset:16
.LBB82_200:
	s_or_b32 exec_lo, exec_lo, s4
	ds_load_b64 v[40:41], v54 offset:24
	s_mov_b32 s4, exec_lo
	s_wait_dscnt 0x0
	ds_store_b64 v39, v[40:41]
	s_wait_dscnt 0x0
	s_barrier_signal -1
	s_barrier_wait -1
	v_cmpx_gt_u32_e32 3, v46
	s_cbranch_execz .LBB82_210
; %bb.201:
	v_cmp_ne_u32_e32 vcc_lo, 1, v43
	s_cbranch_vccnz .LBB82_203
; %bb.202:
	ds_load_b64 v[40:41], v42
	ds_load_b64 v[44:45], v39
	s_wait_dscnt 0x0
	v_pk_mul_f32 v[48:49], v[44:45], v[40:41] op_sel:[1,1] op_sel_hi:[0,1]
	s_delay_alu instid0(VALU_DEP_1) | instskip(SKIP_1) | instid1(VALU_DEP_2)
	v_pk_fma_f32 v[50:51], v[44:45], v[40:41], v[48:49] op_sel_hi:[1,0,1]
	v_pk_fma_f32 v[40:41], v[44:45], v[40:41], v[48:49] neg_lo:[0,0,1] neg_hi:[0,0,1]
	v_mov_b32_e32 v41, v51
	s_cbranch_execz .LBB82_204
	s_branch .LBB82_205
.LBB82_203:
                                        ; implicit-def: $vgpr40_vgpr41
.LBB82_204:
	ds_load_b64 v[40:41], v39
.LBB82_205:
	s_mov_b32 s5, exec_lo
	v_cmpx_ne_u32_e32 2, v46
	s_cbranch_execz .LBB82_209
; %bb.206:
	ds_load_b64 v[44:45], v42 offset:8
	ds_load_b64 v[48:49], v39 offset:8
	s_wait_dscnt 0x0
	v_pk_mul_f32 v[50:51], v[48:49], v[44:45] op_sel:[1,1] op_sel_hi:[0,1]
	s_delay_alu instid0(VALU_DEP_1) | instskip(SKIP_1) | instid1(VALU_DEP_2)
	v_pk_fma_f32 v[52:53], v[48:49], v[44:45], v[50:51] op_sel_hi:[1,0,1]
	v_pk_fma_f32 v[44:45], v[48:49], v[44:45], v[50:51] neg_lo:[0,0,1] neg_hi:[0,0,1]
	v_mov_b32_e32 v45, v53
	s_delay_alu instid0(VALU_DEP_1)
	v_pk_add_f32 v[40:41], v[40:41], v[44:45]
	s_and_saveexec_b32 s6, s0
	s_cbranch_execz .LBB82_208
; %bb.207:
	v_mov_b32_e32 v44, 0
	ds_load_b64 v[44:45], v44 offset:176
	ds_load_b64 v[48:49], v54 offset:16
	s_wait_dscnt 0x0
	v_pk_mul_f32 v[50:51], v[44:45], v[48:49] op_sel:[1,1] op_sel_hi:[0,1]
	s_delay_alu instid0(VALU_DEP_1) | instskip(SKIP_1) | instid1(VALU_DEP_2)
	v_pk_fma_f32 v[52:53], v[44:45], v[48:49], v[50:51] op_sel_hi:[1,0,1]
	v_pk_fma_f32 v[44:45], v[44:45], v[48:49], v[50:51] neg_lo:[0,0,1] neg_hi:[0,0,1]
	v_mov_b32_e32 v45, v53
	s_delay_alu instid0(VALU_DEP_1)
	v_pk_add_f32 v[40:41], v[40:41], v[44:45]
.LBB82_208:
	s_or_b32 exec_lo, exec_lo, s6
.LBB82_209:
	s_delay_alu instid0(SALU_CYCLE_1) | instskip(SKIP_4) | instid1(VALU_DEP_1)
	s_or_b32 exec_lo, exec_lo, s5
	v_mov_b32_e32 v44, 0
	ds_load_b64 v[44:45], v44 offset:24
	s_wait_dscnt 0x0
	v_pk_mul_f32 v[48:49], v[40:41], v[44:45] op_sel:[1,1] op_sel_hi:[0,1]
	v_pk_fma_f32 v[50:51], v[40:41], v[44:45], v[48:49] op_sel_hi:[1,0,1]
	v_pk_fma_f32 v[40:41], v[40:41], v[44:45], v[48:49] neg_lo:[0,0,1] neg_hi:[0,0,1]
	s_delay_alu instid0(VALU_DEP_2)
	v_mov_b32_e32 v41, v51
	ds_store_b64 v54, v[40:41] offset:24
.LBB82_210:
	s_or_b32 exec_lo, exec_lo, s4
	ds_load_b64 v[40:41], v54 offset:32
	s_mov_b32 s0, exec_lo
	s_wait_dscnt 0x0
	ds_store_b64 v39, v[40:41]
	s_wait_dscnt 0x0
	s_barrier_signal -1
	s_barrier_wait -1
	v_cmpx_gt_u32_e32 4, v46
	s_cbranch_execz .LBB82_220
; %bb.211:
	v_cmp_ne_u32_e32 vcc_lo, 1, v43
	s_cbranch_vccnz .LBB82_213
; %bb.212:
	ds_load_b64 v[40:41], v42
	ds_load_b64 v[44:45], v39
	s_wait_dscnt 0x0
	v_pk_mul_f32 v[48:49], v[44:45], v[40:41] op_sel:[1,1] op_sel_hi:[0,1]
	s_delay_alu instid0(VALU_DEP_1) | instskip(SKIP_1) | instid1(VALU_DEP_2)
	v_pk_fma_f32 v[50:51], v[44:45], v[40:41], v[48:49] op_sel_hi:[1,0,1]
	v_pk_fma_f32 v[40:41], v[44:45], v[40:41], v[48:49] neg_lo:[0,0,1] neg_hi:[0,0,1]
	v_mov_b32_e32 v41, v51
	s_cbranch_execz .LBB82_214
	s_branch .LBB82_215
.LBB82_213:
                                        ; implicit-def: $vgpr40_vgpr41
.LBB82_214:
	ds_load_b64 v[40:41], v39
.LBB82_215:
	s_mov_b32 s4, exec_lo
	v_cmpx_ne_u32_e32 3, v46
	s_cbranch_execz .LBB82_219
; %bb.216:
	v_add_nc_u32_e32 v44, 0xa8, v38
	v_add3_u32 v45, v47, v38, 0x148
	v_mov_b32_e32 v48, v46
	s_mov_b32 s5, 0
.LBB82_217:                             ; =>This Inner Loop Header: Depth=1
	ds_load_b64 v[50:51], v45
	ds_load_b64 v[52:53], v44
	v_dual_add_nc_u32 v44, 8, v44 :: v_dual_add_nc_u32 v45, 8, v45
	s_wait_dscnt 0x0
	v_pk_mul_f32 v[56:57], v[52:53], v[50:51] op_sel:[1,1] op_sel_hi:[0,1]
	s_delay_alu instid0(VALU_DEP_1) | instskip(SKIP_2) | instid1(VALU_DEP_3)
	v_pk_fma_f32 v[58:59], v[52:53], v[50:51], v[56:57] op_sel_hi:[1,0,1]
	v_add_nc_u32_e32 v48, 1, v48
	v_pk_fma_f32 v[50:51], v[52:53], v[50:51], v[56:57] neg_lo:[0,0,1] neg_hi:[0,0,1]
	v_mov_b32_e32 v51, v59
	s_delay_alu instid0(VALU_DEP_3) | instskip(NEXT) | instid1(VALU_DEP_2)
	v_cmp_lt_u32_e32 vcc_lo, 2, v48
	v_pk_add_f32 v[40:41], v[40:41], v[50:51]
	s_or_b32 s5, vcc_lo, s5
	s_delay_alu instid0(SALU_CYCLE_1)
	s_and_not1_b32 exec_lo, exec_lo, s5
	s_cbranch_execnz .LBB82_217
; %bb.218:
	s_or_b32 exec_lo, exec_lo, s5
.LBB82_219:
	s_delay_alu instid0(SALU_CYCLE_1) | instskip(SKIP_4) | instid1(VALU_DEP_1)
	s_or_b32 exec_lo, exec_lo, s4
	v_mov_b32_e32 v44, 0
	ds_load_b64 v[44:45], v44 offset:32
	s_wait_dscnt 0x0
	v_pk_mul_f32 v[48:49], v[40:41], v[44:45] op_sel:[1,1] op_sel_hi:[0,1]
	v_pk_fma_f32 v[50:51], v[40:41], v[44:45], v[48:49] op_sel_hi:[1,0,1]
	v_pk_fma_f32 v[40:41], v[40:41], v[44:45], v[48:49] neg_lo:[0,0,1] neg_hi:[0,0,1]
	s_delay_alu instid0(VALU_DEP_2)
	v_mov_b32_e32 v41, v51
	ds_store_b64 v54, v[40:41] offset:32
.LBB82_220:
	s_or_b32 exec_lo, exec_lo, s0
	ds_load_b64 v[40:41], v54 offset:40
	s_mov_b32 s0, exec_lo
	s_wait_dscnt 0x0
	ds_store_b64 v39, v[40:41]
	s_wait_dscnt 0x0
	s_barrier_signal -1
	s_barrier_wait -1
	v_cmpx_gt_u32_e32 5, v46
	s_cbranch_execz .LBB82_230
; %bb.221:
	v_cmp_ne_u32_e32 vcc_lo, 1, v43
	s_cbranch_vccnz .LBB82_223
; %bb.222:
	ds_load_b64 v[40:41], v42
	ds_load_b64 v[44:45], v39
	s_wait_dscnt 0x0
	v_pk_mul_f32 v[48:49], v[44:45], v[40:41] op_sel:[1,1] op_sel_hi:[0,1]
	s_delay_alu instid0(VALU_DEP_1) | instskip(SKIP_1) | instid1(VALU_DEP_2)
	v_pk_fma_f32 v[50:51], v[44:45], v[40:41], v[48:49] op_sel_hi:[1,0,1]
	v_pk_fma_f32 v[40:41], v[44:45], v[40:41], v[48:49] neg_lo:[0,0,1] neg_hi:[0,0,1]
	v_mov_b32_e32 v41, v51
	s_cbranch_execz .LBB82_224
	s_branch .LBB82_225
.LBB82_223:
                                        ; implicit-def: $vgpr40_vgpr41
.LBB82_224:
	ds_load_b64 v[40:41], v39
.LBB82_225:
	s_mov_b32 s4, exec_lo
	v_cmpx_ne_u32_e32 4, v46
	s_cbranch_execz .LBB82_229
; %bb.226:
	v_add_nc_u32_e32 v44, 0xa8, v38
	v_add3_u32 v45, v47, v38, 0x148
	v_mov_b32_e32 v48, v46
	s_mov_b32 s5, 0
.LBB82_227:                             ; =>This Inner Loop Header: Depth=1
	ds_load_b64 v[50:51], v45
	ds_load_b64 v[52:53], v44
	v_dual_add_nc_u32 v44, 8, v44 :: v_dual_add_nc_u32 v45, 8, v45
	s_wait_dscnt 0x0
	v_pk_mul_f32 v[56:57], v[52:53], v[50:51] op_sel:[1,1] op_sel_hi:[0,1]
	s_delay_alu instid0(VALU_DEP_1) | instskip(SKIP_2) | instid1(VALU_DEP_3)
	v_pk_fma_f32 v[58:59], v[52:53], v[50:51], v[56:57] op_sel_hi:[1,0,1]
	v_add_nc_u32_e32 v48, 1, v48
	v_pk_fma_f32 v[50:51], v[52:53], v[50:51], v[56:57] neg_lo:[0,0,1] neg_hi:[0,0,1]
	v_mov_b32_e32 v51, v59
	s_delay_alu instid0(VALU_DEP_3) | instskip(NEXT) | instid1(VALU_DEP_2)
	v_cmp_lt_u32_e32 vcc_lo, 3, v48
	v_pk_add_f32 v[40:41], v[40:41], v[50:51]
	s_or_b32 s5, vcc_lo, s5
	s_delay_alu instid0(SALU_CYCLE_1)
	s_and_not1_b32 exec_lo, exec_lo, s5
	s_cbranch_execnz .LBB82_227
; %bb.228:
	s_or_b32 exec_lo, exec_lo, s5
.LBB82_229:
	s_delay_alu instid0(SALU_CYCLE_1) | instskip(SKIP_4) | instid1(VALU_DEP_1)
	s_or_b32 exec_lo, exec_lo, s4
	v_mov_b32_e32 v44, 0
	ds_load_b64 v[44:45], v44 offset:40
	s_wait_dscnt 0x0
	v_pk_mul_f32 v[48:49], v[40:41], v[44:45] op_sel:[1,1] op_sel_hi:[0,1]
	v_pk_fma_f32 v[50:51], v[40:41], v[44:45], v[48:49] op_sel_hi:[1,0,1]
	v_pk_fma_f32 v[40:41], v[40:41], v[44:45], v[48:49] neg_lo:[0,0,1] neg_hi:[0,0,1]
	s_delay_alu instid0(VALU_DEP_2)
	v_mov_b32_e32 v41, v51
	ds_store_b64 v54, v[40:41] offset:40
.LBB82_230:
	s_or_b32 exec_lo, exec_lo, s0
	ds_load_b64 v[40:41], v54 offset:48
	s_mov_b32 s0, exec_lo
	s_wait_dscnt 0x0
	ds_store_b64 v39, v[40:41]
	s_wait_dscnt 0x0
	s_barrier_signal -1
	s_barrier_wait -1
	v_cmpx_gt_u32_e32 6, v46
	s_cbranch_execz .LBB82_240
; %bb.231:
	v_cmp_ne_u32_e32 vcc_lo, 1, v43
	s_cbranch_vccnz .LBB82_233
; %bb.232:
	ds_load_b64 v[40:41], v42
	ds_load_b64 v[44:45], v39
	s_wait_dscnt 0x0
	v_pk_mul_f32 v[48:49], v[44:45], v[40:41] op_sel:[1,1] op_sel_hi:[0,1]
	s_delay_alu instid0(VALU_DEP_1) | instskip(SKIP_1) | instid1(VALU_DEP_2)
	v_pk_fma_f32 v[50:51], v[44:45], v[40:41], v[48:49] op_sel_hi:[1,0,1]
	v_pk_fma_f32 v[40:41], v[44:45], v[40:41], v[48:49] neg_lo:[0,0,1] neg_hi:[0,0,1]
	v_mov_b32_e32 v41, v51
	s_cbranch_execz .LBB82_234
	s_branch .LBB82_235
.LBB82_233:
                                        ; implicit-def: $vgpr40_vgpr41
.LBB82_234:
	ds_load_b64 v[40:41], v39
.LBB82_235:
	s_mov_b32 s4, exec_lo
	v_cmpx_ne_u32_e32 5, v46
	s_cbranch_execz .LBB82_239
; %bb.236:
	v_add_nc_u32_e32 v44, 0xa8, v38
	v_add3_u32 v45, v47, v38, 0x148
	v_mov_b32_e32 v48, v46
	s_mov_b32 s5, 0
.LBB82_237:                             ; =>This Inner Loop Header: Depth=1
	ds_load_b64 v[50:51], v45
	ds_load_b64 v[52:53], v44
	v_dual_add_nc_u32 v44, 8, v44 :: v_dual_add_nc_u32 v45, 8, v45
	s_wait_dscnt 0x0
	v_pk_mul_f32 v[56:57], v[52:53], v[50:51] op_sel:[1,1] op_sel_hi:[0,1]
	s_delay_alu instid0(VALU_DEP_1) | instskip(SKIP_2) | instid1(VALU_DEP_3)
	v_pk_fma_f32 v[58:59], v[52:53], v[50:51], v[56:57] op_sel_hi:[1,0,1]
	v_add_nc_u32_e32 v48, 1, v48
	v_pk_fma_f32 v[50:51], v[52:53], v[50:51], v[56:57] neg_lo:[0,0,1] neg_hi:[0,0,1]
	v_mov_b32_e32 v51, v59
	s_delay_alu instid0(VALU_DEP_3) | instskip(NEXT) | instid1(VALU_DEP_2)
	v_cmp_lt_u32_e32 vcc_lo, 4, v48
	v_pk_add_f32 v[40:41], v[40:41], v[50:51]
	s_or_b32 s5, vcc_lo, s5
	s_delay_alu instid0(SALU_CYCLE_1)
	s_and_not1_b32 exec_lo, exec_lo, s5
	s_cbranch_execnz .LBB82_237
; %bb.238:
	s_or_b32 exec_lo, exec_lo, s5
.LBB82_239:
	s_delay_alu instid0(SALU_CYCLE_1) | instskip(SKIP_4) | instid1(VALU_DEP_1)
	s_or_b32 exec_lo, exec_lo, s4
	v_mov_b32_e32 v44, 0
	ds_load_b64 v[44:45], v44 offset:48
	s_wait_dscnt 0x0
	v_pk_mul_f32 v[48:49], v[40:41], v[44:45] op_sel:[1,1] op_sel_hi:[0,1]
	v_pk_fma_f32 v[50:51], v[40:41], v[44:45], v[48:49] op_sel_hi:[1,0,1]
	v_pk_fma_f32 v[40:41], v[40:41], v[44:45], v[48:49] neg_lo:[0,0,1] neg_hi:[0,0,1]
	s_delay_alu instid0(VALU_DEP_2)
	v_mov_b32_e32 v41, v51
	ds_store_b64 v54, v[40:41] offset:48
.LBB82_240:
	s_or_b32 exec_lo, exec_lo, s0
	ds_load_b64 v[40:41], v54 offset:56
	s_mov_b32 s0, exec_lo
	s_wait_dscnt 0x0
	ds_store_b64 v39, v[40:41]
	s_wait_dscnt 0x0
	s_barrier_signal -1
	s_barrier_wait -1
	v_cmpx_gt_u32_e32 7, v46
	s_cbranch_execz .LBB82_250
; %bb.241:
	v_cmp_ne_u32_e32 vcc_lo, 1, v43
	s_cbranch_vccnz .LBB82_243
; %bb.242:
	ds_load_b64 v[40:41], v42
	ds_load_b64 v[44:45], v39
	s_wait_dscnt 0x0
	v_pk_mul_f32 v[48:49], v[44:45], v[40:41] op_sel:[1,1] op_sel_hi:[0,1]
	s_delay_alu instid0(VALU_DEP_1) | instskip(SKIP_1) | instid1(VALU_DEP_2)
	v_pk_fma_f32 v[50:51], v[44:45], v[40:41], v[48:49] op_sel_hi:[1,0,1]
	v_pk_fma_f32 v[40:41], v[44:45], v[40:41], v[48:49] neg_lo:[0,0,1] neg_hi:[0,0,1]
	v_mov_b32_e32 v41, v51
	s_cbranch_execz .LBB82_244
	s_branch .LBB82_245
.LBB82_243:
                                        ; implicit-def: $vgpr40_vgpr41
.LBB82_244:
	ds_load_b64 v[40:41], v39
.LBB82_245:
	s_mov_b32 s4, exec_lo
	v_cmpx_ne_u32_e32 6, v46
	s_cbranch_execz .LBB82_249
; %bb.246:
	v_add_nc_u32_e32 v44, 0xa8, v38
	v_add3_u32 v45, v47, v38, 0x148
	v_mov_b32_e32 v48, v46
	s_mov_b32 s5, 0
.LBB82_247:                             ; =>This Inner Loop Header: Depth=1
	ds_load_b64 v[50:51], v45
	ds_load_b64 v[52:53], v44
	v_dual_add_nc_u32 v44, 8, v44 :: v_dual_add_nc_u32 v45, 8, v45
	s_wait_dscnt 0x0
	v_pk_mul_f32 v[56:57], v[52:53], v[50:51] op_sel:[1,1] op_sel_hi:[0,1]
	s_delay_alu instid0(VALU_DEP_1) | instskip(SKIP_2) | instid1(VALU_DEP_3)
	v_pk_fma_f32 v[58:59], v[52:53], v[50:51], v[56:57] op_sel_hi:[1,0,1]
	v_add_nc_u32_e32 v48, 1, v48
	v_pk_fma_f32 v[50:51], v[52:53], v[50:51], v[56:57] neg_lo:[0,0,1] neg_hi:[0,0,1]
	v_mov_b32_e32 v51, v59
	s_delay_alu instid0(VALU_DEP_3) | instskip(NEXT) | instid1(VALU_DEP_2)
	v_cmp_lt_u32_e32 vcc_lo, 5, v48
	v_pk_add_f32 v[40:41], v[40:41], v[50:51]
	s_or_b32 s5, vcc_lo, s5
	s_delay_alu instid0(SALU_CYCLE_1)
	s_and_not1_b32 exec_lo, exec_lo, s5
	s_cbranch_execnz .LBB82_247
; %bb.248:
	s_or_b32 exec_lo, exec_lo, s5
.LBB82_249:
	s_delay_alu instid0(SALU_CYCLE_1) | instskip(SKIP_4) | instid1(VALU_DEP_1)
	s_or_b32 exec_lo, exec_lo, s4
	v_mov_b32_e32 v44, 0
	ds_load_b64 v[44:45], v44 offset:56
	s_wait_dscnt 0x0
	v_pk_mul_f32 v[48:49], v[40:41], v[44:45] op_sel:[1,1] op_sel_hi:[0,1]
	v_pk_fma_f32 v[50:51], v[40:41], v[44:45], v[48:49] op_sel_hi:[1,0,1]
	v_pk_fma_f32 v[40:41], v[40:41], v[44:45], v[48:49] neg_lo:[0,0,1] neg_hi:[0,0,1]
	s_delay_alu instid0(VALU_DEP_2)
	v_mov_b32_e32 v41, v51
	ds_store_b64 v54, v[40:41] offset:56
.LBB82_250:
	s_or_b32 exec_lo, exec_lo, s0
	ds_load_b64 v[40:41], v54 offset:64
	s_mov_b32 s0, exec_lo
	s_wait_dscnt 0x0
	ds_store_b64 v39, v[40:41]
	s_wait_dscnt 0x0
	s_barrier_signal -1
	s_barrier_wait -1
	v_cmpx_gt_u32_e32 8, v46
	s_cbranch_execz .LBB82_260
; %bb.251:
	v_cmp_ne_u32_e32 vcc_lo, 1, v43
	s_cbranch_vccnz .LBB82_253
; %bb.252:
	ds_load_b64 v[40:41], v42
	ds_load_b64 v[44:45], v39
	s_wait_dscnt 0x0
	v_pk_mul_f32 v[48:49], v[44:45], v[40:41] op_sel:[1,1] op_sel_hi:[0,1]
	s_delay_alu instid0(VALU_DEP_1) | instskip(SKIP_1) | instid1(VALU_DEP_2)
	v_pk_fma_f32 v[50:51], v[44:45], v[40:41], v[48:49] op_sel_hi:[1,0,1]
	v_pk_fma_f32 v[40:41], v[44:45], v[40:41], v[48:49] neg_lo:[0,0,1] neg_hi:[0,0,1]
	v_mov_b32_e32 v41, v51
	s_cbranch_execz .LBB82_254
	s_branch .LBB82_255
.LBB82_253:
                                        ; implicit-def: $vgpr40_vgpr41
.LBB82_254:
	ds_load_b64 v[40:41], v39
.LBB82_255:
	s_mov_b32 s4, exec_lo
	v_cmpx_ne_u32_e32 7, v46
	s_cbranch_execz .LBB82_259
; %bb.256:
	v_add_nc_u32_e32 v44, 0xa8, v38
	v_add3_u32 v45, v47, v38, 0x148
	v_mov_b32_e32 v48, v46
	s_mov_b32 s5, 0
.LBB82_257:                             ; =>This Inner Loop Header: Depth=1
	ds_load_b64 v[50:51], v45
	ds_load_b64 v[52:53], v44
	v_dual_add_nc_u32 v44, 8, v44 :: v_dual_add_nc_u32 v45, 8, v45
	s_wait_dscnt 0x0
	v_pk_mul_f32 v[56:57], v[52:53], v[50:51] op_sel:[1,1] op_sel_hi:[0,1]
	s_delay_alu instid0(VALU_DEP_1) | instskip(SKIP_2) | instid1(VALU_DEP_3)
	v_pk_fma_f32 v[58:59], v[52:53], v[50:51], v[56:57] op_sel_hi:[1,0,1]
	v_add_nc_u32_e32 v48, 1, v48
	v_pk_fma_f32 v[50:51], v[52:53], v[50:51], v[56:57] neg_lo:[0,0,1] neg_hi:[0,0,1]
	v_mov_b32_e32 v51, v59
	s_delay_alu instid0(VALU_DEP_3) | instskip(NEXT) | instid1(VALU_DEP_2)
	v_cmp_lt_u32_e32 vcc_lo, 6, v48
	v_pk_add_f32 v[40:41], v[40:41], v[50:51]
	s_or_b32 s5, vcc_lo, s5
	s_delay_alu instid0(SALU_CYCLE_1)
	s_and_not1_b32 exec_lo, exec_lo, s5
	s_cbranch_execnz .LBB82_257
; %bb.258:
	s_or_b32 exec_lo, exec_lo, s5
.LBB82_259:
	s_delay_alu instid0(SALU_CYCLE_1) | instskip(SKIP_4) | instid1(VALU_DEP_1)
	s_or_b32 exec_lo, exec_lo, s4
	v_mov_b32_e32 v44, 0
	ds_load_b64 v[44:45], v44 offset:64
	s_wait_dscnt 0x0
	v_pk_mul_f32 v[48:49], v[40:41], v[44:45] op_sel:[1,1] op_sel_hi:[0,1]
	v_pk_fma_f32 v[50:51], v[40:41], v[44:45], v[48:49] op_sel_hi:[1,0,1]
	v_pk_fma_f32 v[40:41], v[40:41], v[44:45], v[48:49] neg_lo:[0,0,1] neg_hi:[0,0,1]
	s_delay_alu instid0(VALU_DEP_2)
	v_mov_b32_e32 v41, v51
	ds_store_b64 v54, v[40:41] offset:64
.LBB82_260:
	s_or_b32 exec_lo, exec_lo, s0
	ds_load_b64 v[40:41], v54 offset:72
	s_mov_b32 s0, exec_lo
	s_wait_dscnt 0x0
	ds_store_b64 v39, v[40:41]
	s_wait_dscnt 0x0
	s_barrier_signal -1
	s_barrier_wait -1
	v_cmpx_gt_u32_e32 9, v46
	s_cbranch_execz .LBB82_270
; %bb.261:
	v_cmp_ne_u32_e32 vcc_lo, 1, v43
	s_cbranch_vccnz .LBB82_263
; %bb.262:
	ds_load_b64 v[40:41], v42
	ds_load_b64 v[44:45], v39
	s_wait_dscnt 0x0
	v_pk_mul_f32 v[48:49], v[44:45], v[40:41] op_sel:[1,1] op_sel_hi:[0,1]
	s_delay_alu instid0(VALU_DEP_1) | instskip(SKIP_1) | instid1(VALU_DEP_2)
	v_pk_fma_f32 v[50:51], v[44:45], v[40:41], v[48:49] op_sel_hi:[1,0,1]
	v_pk_fma_f32 v[40:41], v[44:45], v[40:41], v[48:49] neg_lo:[0,0,1] neg_hi:[0,0,1]
	v_mov_b32_e32 v41, v51
	s_cbranch_execz .LBB82_264
	s_branch .LBB82_265
.LBB82_263:
                                        ; implicit-def: $vgpr40_vgpr41
.LBB82_264:
	ds_load_b64 v[40:41], v39
.LBB82_265:
	s_mov_b32 s4, exec_lo
	v_cmpx_ne_u32_e32 8, v46
	s_cbranch_execz .LBB82_269
; %bb.266:
	v_add_nc_u32_e32 v44, 0xa8, v38
	v_add3_u32 v45, v47, v38, 0x148
	v_mov_b32_e32 v48, v46
	s_mov_b32 s5, 0
.LBB82_267:                             ; =>This Inner Loop Header: Depth=1
	ds_load_b64 v[50:51], v45
	ds_load_b64 v[52:53], v44
	v_dual_add_nc_u32 v44, 8, v44 :: v_dual_add_nc_u32 v45, 8, v45
	s_wait_dscnt 0x0
	v_pk_mul_f32 v[56:57], v[52:53], v[50:51] op_sel:[1,1] op_sel_hi:[0,1]
	s_delay_alu instid0(VALU_DEP_1) | instskip(SKIP_2) | instid1(VALU_DEP_3)
	v_pk_fma_f32 v[58:59], v[52:53], v[50:51], v[56:57] op_sel_hi:[1,0,1]
	v_add_nc_u32_e32 v48, 1, v48
	v_pk_fma_f32 v[50:51], v[52:53], v[50:51], v[56:57] neg_lo:[0,0,1] neg_hi:[0,0,1]
	v_mov_b32_e32 v51, v59
	s_delay_alu instid0(VALU_DEP_3) | instskip(NEXT) | instid1(VALU_DEP_2)
	v_cmp_lt_u32_e32 vcc_lo, 7, v48
	v_pk_add_f32 v[40:41], v[40:41], v[50:51]
	s_or_b32 s5, vcc_lo, s5
	s_delay_alu instid0(SALU_CYCLE_1)
	s_and_not1_b32 exec_lo, exec_lo, s5
	s_cbranch_execnz .LBB82_267
; %bb.268:
	s_or_b32 exec_lo, exec_lo, s5
.LBB82_269:
	s_delay_alu instid0(SALU_CYCLE_1) | instskip(SKIP_4) | instid1(VALU_DEP_1)
	s_or_b32 exec_lo, exec_lo, s4
	v_mov_b32_e32 v44, 0
	ds_load_b64 v[44:45], v44 offset:72
	s_wait_dscnt 0x0
	v_pk_mul_f32 v[48:49], v[40:41], v[44:45] op_sel:[1,1] op_sel_hi:[0,1]
	v_pk_fma_f32 v[50:51], v[40:41], v[44:45], v[48:49] op_sel_hi:[1,0,1]
	v_pk_fma_f32 v[40:41], v[40:41], v[44:45], v[48:49] neg_lo:[0,0,1] neg_hi:[0,0,1]
	s_delay_alu instid0(VALU_DEP_2)
	v_mov_b32_e32 v41, v51
	ds_store_b64 v54, v[40:41] offset:72
.LBB82_270:
	s_or_b32 exec_lo, exec_lo, s0
	ds_load_b64 v[40:41], v54 offset:80
	s_mov_b32 s0, exec_lo
	s_wait_dscnt 0x0
	ds_store_b64 v39, v[40:41]
	s_wait_dscnt 0x0
	s_barrier_signal -1
	s_barrier_wait -1
	v_cmpx_gt_u32_e32 10, v46
	s_cbranch_execz .LBB82_280
; %bb.271:
	v_cmp_ne_u32_e32 vcc_lo, 1, v43
	s_cbranch_vccnz .LBB82_273
; %bb.272:
	ds_load_b64 v[40:41], v42
	ds_load_b64 v[44:45], v39
	s_wait_dscnt 0x0
	v_pk_mul_f32 v[48:49], v[44:45], v[40:41] op_sel:[1,1] op_sel_hi:[0,1]
	s_delay_alu instid0(VALU_DEP_1) | instskip(SKIP_1) | instid1(VALU_DEP_2)
	v_pk_fma_f32 v[50:51], v[44:45], v[40:41], v[48:49] op_sel_hi:[1,0,1]
	v_pk_fma_f32 v[40:41], v[44:45], v[40:41], v[48:49] neg_lo:[0,0,1] neg_hi:[0,0,1]
	v_mov_b32_e32 v41, v51
	s_cbranch_execz .LBB82_274
	s_branch .LBB82_275
.LBB82_273:
                                        ; implicit-def: $vgpr40_vgpr41
.LBB82_274:
	ds_load_b64 v[40:41], v39
.LBB82_275:
	s_mov_b32 s4, exec_lo
	v_cmpx_ne_u32_e32 9, v46
	s_cbranch_execz .LBB82_279
; %bb.276:
	v_add_nc_u32_e32 v44, 0xa8, v38
	v_add3_u32 v45, v47, v38, 0x148
	v_mov_b32_e32 v48, v46
	s_mov_b32 s5, 0
.LBB82_277:                             ; =>This Inner Loop Header: Depth=1
	ds_load_b64 v[50:51], v45
	ds_load_b64 v[52:53], v44
	v_dual_add_nc_u32 v44, 8, v44 :: v_dual_add_nc_u32 v45, 8, v45
	s_wait_dscnt 0x0
	v_pk_mul_f32 v[56:57], v[52:53], v[50:51] op_sel:[1,1] op_sel_hi:[0,1]
	s_delay_alu instid0(VALU_DEP_1) | instskip(SKIP_2) | instid1(VALU_DEP_3)
	v_pk_fma_f32 v[58:59], v[52:53], v[50:51], v[56:57] op_sel_hi:[1,0,1]
	v_add_nc_u32_e32 v48, 1, v48
	v_pk_fma_f32 v[50:51], v[52:53], v[50:51], v[56:57] neg_lo:[0,0,1] neg_hi:[0,0,1]
	v_mov_b32_e32 v51, v59
	s_delay_alu instid0(VALU_DEP_3) | instskip(NEXT) | instid1(VALU_DEP_2)
	v_cmp_lt_u32_e32 vcc_lo, 8, v48
	v_pk_add_f32 v[40:41], v[40:41], v[50:51]
	s_or_b32 s5, vcc_lo, s5
	s_delay_alu instid0(SALU_CYCLE_1)
	s_and_not1_b32 exec_lo, exec_lo, s5
	s_cbranch_execnz .LBB82_277
; %bb.278:
	s_or_b32 exec_lo, exec_lo, s5
.LBB82_279:
	s_delay_alu instid0(SALU_CYCLE_1) | instskip(SKIP_4) | instid1(VALU_DEP_1)
	s_or_b32 exec_lo, exec_lo, s4
	v_mov_b32_e32 v44, 0
	ds_load_b64 v[44:45], v44 offset:80
	s_wait_dscnt 0x0
	v_pk_mul_f32 v[48:49], v[40:41], v[44:45] op_sel:[1,1] op_sel_hi:[0,1]
	v_pk_fma_f32 v[50:51], v[40:41], v[44:45], v[48:49] op_sel_hi:[1,0,1]
	v_pk_fma_f32 v[40:41], v[40:41], v[44:45], v[48:49] neg_lo:[0,0,1] neg_hi:[0,0,1]
	s_delay_alu instid0(VALU_DEP_2)
	v_mov_b32_e32 v41, v51
	ds_store_b64 v54, v[40:41] offset:80
.LBB82_280:
	s_or_b32 exec_lo, exec_lo, s0
	ds_load_b64 v[40:41], v54 offset:88
	s_mov_b32 s0, exec_lo
	s_wait_dscnt 0x0
	ds_store_b64 v39, v[40:41]
	s_wait_dscnt 0x0
	s_barrier_signal -1
	s_barrier_wait -1
	v_cmpx_gt_u32_e32 11, v46
	s_cbranch_execz .LBB82_290
; %bb.281:
	v_cmp_ne_u32_e32 vcc_lo, 1, v43
	s_cbranch_vccnz .LBB82_283
; %bb.282:
	ds_load_b64 v[40:41], v42
	ds_load_b64 v[44:45], v39
	s_wait_dscnt 0x0
	v_pk_mul_f32 v[48:49], v[44:45], v[40:41] op_sel:[1,1] op_sel_hi:[0,1]
	s_delay_alu instid0(VALU_DEP_1) | instskip(SKIP_1) | instid1(VALU_DEP_2)
	v_pk_fma_f32 v[50:51], v[44:45], v[40:41], v[48:49] op_sel_hi:[1,0,1]
	v_pk_fma_f32 v[40:41], v[44:45], v[40:41], v[48:49] neg_lo:[0,0,1] neg_hi:[0,0,1]
	v_mov_b32_e32 v41, v51
	s_cbranch_execz .LBB82_284
	s_branch .LBB82_285
.LBB82_283:
                                        ; implicit-def: $vgpr40_vgpr41
.LBB82_284:
	ds_load_b64 v[40:41], v39
.LBB82_285:
	s_mov_b32 s4, exec_lo
	v_cmpx_ne_u32_e32 10, v46
	s_cbranch_execz .LBB82_289
; %bb.286:
	v_add_nc_u32_e32 v44, 0xa8, v38
	v_add3_u32 v45, v47, v38, 0x148
	v_mov_b32_e32 v48, v46
	s_mov_b32 s5, 0
.LBB82_287:                             ; =>This Inner Loop Header: Depth=1
	ds_load_b64 v[50:51], v45
	ds_load_b64 v[52:53], v44
	v_dual_add_nc_u32 v44, 8, v44 :: v_dual_add_nc_u32 v45, 8, v45
	s_wait_dscnt 0x0
	v_pk_mul_f32 v[56:57], v[52:53], v[50:51] op_sel:[1,1] op_sel_hi:[0,1]
	s_delay_alu instid0(VALU_DEP_1) | instskip(SKIP_2) | instid1(VALU_DEP_3)
	v_pk_fma_f32 v[58:59], v[52:53], v[50:51], v[56:57] op_sel_hi:[1,0,1]
	v_add_nc_u32_e32 v48, 1, v48
	v_pk_fma_f32 v[50:51], v[52:53], v[50:51], v[56:57] neg_lo:[0,0,1] neg_hi:[0,0,1]
	v_mov_b32_e32 v51, v59
	s_delay_alu instid0(VALU_DEP_3) | instskip(NEXT) | instid1(VALU_DEP_2)
	v_cmp_lt_u32_e32 vcc_lo, 9, v48
	v_pk_add_f32 v[40:41], v[40:41], v[50:51]
	s_or_b32 s5, vcc_lo, s5
	s_delay_alu instid0(SALU_CYCLE_1)
	s_and_not1_b32 exec_lo, exec_lo, s5
	s_cbranch_execnz .LBB82_287
; %bb.288:
	s_or_b32 exec_lo, exec_lo, s5
.LBB82_289:
	s_delay_alu instid0(SALU_CYCLE_1) | instskip(SKIP_4) | instid1(VALU_DEP_1)
	s_or_b32 exec_lo, exec_lo, s4
	v_mov_b32_e32 v44, 0
	ds_load_b64 v[44:45], v44 offset:88
	s_wait_dscnt 0x0
	v_pk_mul_f32 v[48:49], v[40:41], v[44:45] op_sel:[1,1] op_sel_hi:[0,1]
	v_pk_fma_f32 v[50:51], v[40:41], v[44:45], v[48:49] op_sel_hi:[1,0,1]
	v_pk_fma_f32 v[40:41], v[40:41], v[44:45], v[48:49] neg_lo:[0,0,1] neg_hi:[0,0,1]
	s_delay_alu instid0(VALU_DEP_2)
	v_mov_b32_e32 v41, v51
	ds_store_b64 v54, v[40:41] offset:88
.LBB82_290:
	s_or_b32 exec_lo, exec_lo, s0
	ds_load_b64 v[40:41], v54 offset:96
	s_mov_b32 s0, exec_lo
	s_wait_dscnt 0x0
	ds_store_b64 v39, v[40:41]
	s_wait_dscnt 0x0
	s_barrier_signal -1
	s_barrier_wait -1
	v_cmpx_gt_u32_e32 12, v46
	s_cbranch_execz .LBB82_300
; %bb.291:
	v_cmp_ne_u32_e32 vcc_lo, 1, v43
	s_cbranch_vccnz .LBB82_293
; %bb.292:
	ds_load_b64 v[40:41], v42
	ds_load_b64 v[44:45], v39
	s_wait_dscnt 0x0
	v_pk_mul_f32 v[48:49], v[44:45], v[40:41] op_sel:[1,1] op_sel_hi:[0,1]
	s_delay_alu instid0(VALU_DEP_1) | instskip(SKIP_1) | instid1(VALU_DEP_2)
	v_pk_fma_f32 v[50:51], v[44:45], v[40:41], v[48:49] op_sel_hi:[1,0,1]
	v_pk_fma_f32 v[40:41], v[44:45], v[40:41], v[48:49] neg_lo:[0,0,1] neg_hi:[0,0,1]
	v_mov_b32_e32 v41, v51
	s_cbranch_execz .LBB82_294
	s_branch .LBB82_295
.LBB82_293:
                                        ; implicit-def: $vgpr40_vgpr41
.LBB82_294:
	ds_load_b64 v[40:41], v39
.LBB82_295:
	s_mov_b32 s4, exec_lo
	v_cmpx_ne_u32_e32 11, v46
	s_cbranch_execz .LBB82_299
; %bb.296:
	v_add_nc_u32_e32 v44, 0xa8, v38
	v_add3_u32 v45, v47, v38, 0x148
	v_mov_b32_e32 v48, v46
	s_mov_b32 s5, 0
.LBB82_297:                             ; =>This Inner Loop Header: Depth=1
	ds_load_b64 v[50:51], v45
	ds_load_b64 v[52:53], v44
	v_dual_add_nc_u32 v44, 8, v44 :: v_dual_add_nc_u32 v45, 8, v45
	s_wait_dscnt 0x0
	v_pk_mul_f32 v[56:57], v[52:53], v[50:51] op_sel:[1,1] op_sel_hi:[0,1]
	s_delay_alu instid0(VALU_DEP_1) | instskip(SKIP_2) | instid1(VALU_DEP_3)
	v_pk_fma_f32 v[58:59], v[52:53], v[50:51], v[56:57] op_sel_hi:[1,0,1]
	v_add_nc_u32_e32 v48, 1, v48
	v_pk_fma_f32 v[50:51], v[52:53], v[50:51], v[56:57] neg_lo:[0,0,1] neg_hi:[0,0,1]
	v_mov_b32_e32 v51, v59
	s_delay_alu instid0(VALU_DEP_3) | instskip(NEXT) | instid1(VALU_DEP_2)
	v_cmp_lt_u32_e32 vcc_lo, 10, v48
	v_pk_add_f32 v[40:41], v[40:41], v[50:51]
	s_or_b32 s5, vcc_lo, s5
	s_delay_alu instid0(SALU_CYCLE_1)
	s_and_not1_b32 exec_lo, exec_lo, s5
	s_cbranch_execnz .LBB82_297
; %bb.298:
	s_or_b32 exec_lo, exec_lo, s5
.LBB82_299:
	s_delay_alu instid0(SALU_CYCLE_1) | instskip(SKIP_4) | instid1(VALU_DEP_1)
	s_or_b32 exec_lo, exec_lo, s4
	v_mov_b32_e32 v44, 0
	ds_load_b64 v[44:45], v44 offset:96
	s_wait_dscnt 0x0
	v_pk_mul_f32 v[48:49], v[40:41], v[44:45] op_sel:[1,1] op_sel_hi:[0,1]
	v_pk_fma_f32 v[50:51], v[40:41], v[44:45], v[48:49] op_sel_hi:[1,0,1]
	v_pk_fma_f32 v[40:41], v[40:41], v[44:45], v[48:49] neg_lo:[0,0,1] neg_hi:[0,0,1]
	s_delay_alu instid0(VALU_DEP_2)
	v_mov_b32_e32 v41, v51
	ds_store_b64 v54, v[40:41] offset:96
.LBB82_300:
	s_or_b32 exec_lo, exec_lo, s0
	ds_load_b64 v[40:41], v54 offset:104
	s_mov_b32 s0, exec_lo
	s_wait_dscnt 0x0
	ds_store_b64 v39, v[40:41]
	s_wait_dscnt 0x0
	s_barrier_signal -1
	s_barrier_wait -1
	v_cmpx_gt_u32_e32 13, v46
	s_cbranch_execz .LBB82_310
; %bb.301:
	v_cmp_ne_u32_e32 vcc_lo, 1, v43
	s_cbranch_vccnz .LBB82_303
; %bb.302:
	ds_load_b64 v[40:41], v42
	ds_load_b64 v[44:45], v39
	s_wait_dscnt 0x0
	v_pk_mul_f32 v[48:49], v[44:45], v[40:41] op_sel:[1,1] op_sel_hi:[0,1]
	s_delay_alu instid0(VALU_DEP_1) | instskip(SKIP_1) | instid1(VALU_DEP_2)
	v_pk_fma_f32 v[50:51], v[44:45], v[40:41], v[48:49] op_sel_hi:[1,0,1]
	v_pk_fma_f32 v[40:41], v[44:45], v[40:41], v[48:49] neg_lo:[0,0,1] neg_hi:[0,0,1]
	v_mov_b32_e32 v41, v51
	s_cbranch_execz .LBB82_304
	s_branch .LBB82_305
.LBB82_303:
                                        ; implicit-def: $vgpr40_vgpr41
.LBB82_304:
	ds_load_b64 v[40:41], v39
.LBB82_305:
	s_mov_b32 s4, exec_lo
	v_cmpx_ne_u32_e32 12, v46
	s_cbranch_execz .LBB82_309
; %bb.306:
	v_add_nc_u32_e32 v44, 0xa8, v38
	v_add3_u32 v45, v47, v38, 0x148
	v_mov_b32_e32 v48, v46
	s_mov_b32 s5, 0
.LBB82_307:                             ; =>This Inner Loop Header: Depth=1
	ds_load_b64 v[50:51], v45
	ds_load_b64 v[52:53], v44
	v_dual_add_nc_u32 v44, 8, v44 :: v_dual_add_nc_u32 v45, 8, v45
	s_wait_dscnt 0x0
	v_pk_mul_f32 v[56:57], v[52:53], v[50:51] op_sel:[1,1] op_sel_hi:[0,1]
	s_delay_alu instid0(VALU_DEP_1) | instskip(SKIP_2) | instid1(VALU_DEP_3)
	v_pk_fma_f32 v[58:59], v[52:53], v[50:51], v[56:57] op_sel_hi:[1,0,1]
	v_add_nc_u32_e32 v48, 1, v48
	v_pk_fma_f32 v[50:51], v[52:53], v[50:51], v[56:57] neg_lo:[0,0,1] neg_hi:[0,0,1]
	v_mov_b32_e32 v51, v59
	s_delay_alu instid0(VALU_DEP_3) | instskip(NEXT) | instid1(VALU_DEP_2)
	v_cmp_lt_u32_e32 vcc_lo, 11, v48
	v_pk_add_f32 v[40:41], v[40:41], v[50:51]
	s_or_b32 s5, vcc_lo, s5
	s_delay_alu instid0(SALU_CYCLE_1)
	s_and_not1_b32 exec_lo, exec_lo, s5
	s_cbranch_execnz .LBB82_307
; %bb.308:
	s_or_b32 exec_lo, exec_lo, s5
.LBB82_309:
	s_delay_alu instid0(SALU_CYCLE_1) | instskip(SKIP_4) | instid1(VALU_DEP_1)
	s_or_b32 exec_lo, exec_lo, s4
	v_mov_b32_e32 v44, 0
	ds_load_b64 v[44:45], v44 offset:104
	s_wait_dscnt 0x0
	v_pk_mul_f32 v[48:49], v[40:41], v[44:45] op_sel:[1,1] op_sel_hi:[0,1]
	v_pk_fma_f32 v[50:51], v[40:41], v[44:45], v[48:49] op_sel_hi:[1,0,1]
	v_pk_fma_f32 v[40:41], v[40:41], v[44:45], v[48:49] neg_lo:[0,0,1] neg_hi:[0,0,1]
	s_delay_alu instid0(VALU_DEP_2)
	v_mov_b32_e32 v41, v51
	ds_store_b64 v54, v[40:41] offset:104
.LBB82_310:
	s_or_b32 exec_lo, exec_lo, s0
	ds_load_b64 v[40:41], v54 offset:112
	s_mov_b32 s0, exec_lo
	s_wait_dscnt 0x0
	ds_store_b64 v39, v[40:41]
	s_wait_dscnt 0x0
	s_barrier_signal -1
	s_barrier_wait -1
	v_cmpx_gt_u32_e32 14, v46
	s_cbranch_execz .LBB82_320
; %bb.311:
	v_cmp_ne_u32_e32 vcc_lo, 1, v43
	s_cbranch_vccnz .LBB82_313
; %bb.312:
	ds_load_b64 v[40:41], v42
	ds_load_b64 v[44:45], v39
	s_wait_dscnt 0x0
	v_pk_mul_f32 v[48:49], v[44:45], v[40:41] op_sel:[1,1] op_sel_hi:[0,1]
	s_delay_alu instid0(VALU_DEP_1) | instskip(SKIP_1) | instid1(VALU_DEP_2)
	v_pk_fma_f32 v[50:51], v[44:45], v[40:41], v[48:49] op_sel_hi:[1,0,1]
	v_pk_fma_f32 v[40:41], v[44:45], v[40:41], v[48:49] neg_lo:[0,0,1] neg_hi:[0,0,1]
	v_mov_b32_e32 v41, v51
	s_cbranch_execz .LBB82_314
	s_branch .LBB82_315
.LBB82_313:
                                        ; implicit-def: $vgpr40_vgpr41
.LBB82_314:
	ds_load_b64 v[40:41], v39
.LBB82_315:
	s_mov_b32 s4, exec_lo
	v_cmpx_ne_u32_e32 13, v46
	s_cbranch_execz .LBB82_319
; %bb.316:
	v_add_nc_u32_e32 v44, 0xa8, v38
	v_add3_u32 v45, v47, v38, 0x148
	v_mov_b32_e32 v48, v46
	s_mov_b32 s5, 0
.LBB82_317:                             ; =>This Inner Loop Header: Depth=1
	ds_load_b64 v[50:51], v45
	ds_load_b64 v[52:53], v44
	v_dual_add_nc_u32 v44, 8, v44 :: v_dual_add_nc_u32 v45, 8, v45
	s_wait_dscnt 0x0
	v_pk_mul_f32 v[56:57], v[52:53], v[50:51] op_sel:[1,1] op_sel_hi:[0,1]
	s_delay_alu instid0(VALU_DEP_1) | instskip(SKIP_2) | instid1(VALU_DEP_3)
	v_pk_fma_f32 v[58:59], v[52:53], v[50:51], v[56:57] op_sel_hi:[1,0,1]
	v_add_nc_u32_e32 v48, 1, v48
	v_pk_fma_f32 v[50:51], v[52:53], v[50:51], v[56:57] neg_lo:[0,0,1] neg_hi:[0,0,1]
	v_mov_b32_e32 v51, v59
	s_delay_alu instid0(VALU_DEP_3) | instskip(NEXT) | instid1(VALU_DEP_2)
	v_cmp_lt_u32_e32 vcc_lo, 12, v48
	v_pk_add_f32 v[40:41], v[40:41], v[50:51]
	s_or_b32 s5, vcc_lo, s5
	s_delay_alu instid0(SALU_CYCLE_1)
	s_and_not1_b32 exec_lo, exec_lo, s5
	s_cbranch_execnz .LBB82_317
; %bb.318:
	s_or_b32 exec_lo, exec_lo, s5
.LBB82_319:
	s_delay_alu instid0(SALU_CYCLE_1) | instskip(SKIP_4) | instid1(VALU_DEP_1)
	s_or_b32 exec_lo, exec_lo, s4
	v_mov_b32_e32 v44, 0
	ds_load_b64 v[44:45], v44 offset:112
	s_wait_dscnt 0x0
	v_pk_mul_f32 v[48:49], v[40:41], v[44:45] op_sel:[1,1] op_sel_hi:[0,1]
	v_pk_fma_f32 v[50:51], v[40:41], v[44:45], v[48:49] op_sel_hi:[1,0,1]
	v_pk_fma_f32 v[40:41], v[40:41], v[44:45], v[48:49] neg_lo:[0,0,1] neg_hi:[0,0,1]
	s_delay_alu instid0(VALU_DEP_2)
	v_mov_b32_e32 v41, v51
	ds_store_b64 v54, v[40:41] offset:112
.LBB82_320:
	s_or_b32 exec_lo, exec_lo, s0
	ds_load_b64 v[40:41], v54 offset:120
	s_mov_b32 s0, exec_lo
	s_wait_dscnt 0x0
	ds_store_b64 v39, v[40:41]
	s_wait_dscnt 0x0
	s_barrier_signal -1
	s_barrier_wait -1
	v_cmpx_gt_u32_e32 15, v46
	s_cbranch_execz .LBB82_330
; %bb.321:
	v_cmp_ne_u32_e32 vcc_lo, 1, v43
	s_cbranch_vccnz .LBB82_323
; %bb.322:
	ds_load_b64 v[40:41], v42
	ds_load_b64 v[44:45], v39
	s_wait_dscnt 0x0
	v_pk_mul_f32 v[48:49], v[44:45], v[40:41] op_sel:[1,1] op_sel_hi:[0,1]
	s_delay_alu instid0(VALU_DEP_1) | instskip(SKIP_1) | instid1(VALU_DEP_2)
	v_pk_fma_f32 v[50:51], v[44:45], v[40:41], v[48:49] op_sel_hi:[1,0,1]
	v_pk_fma_f32 v[40:41], v[44:45], v[40:41], v[48:49] neg_lo:[0,0,1] neg_hi:[0,0,1]
	v_mov_b32_e32 v41, v51
	s_cbranch_execz .LBB82_324
	s_branch .LBB82_325
.LBB82_323:
                                        ; implicit-def: $vgpr40_vgpr41
.LBB82_324:
	ds_load_b64 v[40:41], v39
.LBB82_325:
	s_mov_b32 s4, exec_lo
	v_cmpx_ne_u32_e32 14, v46
	s_cbranch_execz .LBB82_329
; %bb.326:
	v_add_nc_u32_e32 v44, 0xa8, v38
	v_add3_u32 v45, v47, v38, 0x148
	v_mov_b32_e32 v48, v46
	s_mov_b32 s5, 0
.LBB82_327:                             ; =>This Inner Loop Header: Depth=1
	ds_load_b64 v[50:51], v45
	ds_load_b64 v[52:53], v44
	v_dual_add_nc_u32 v44, 8, v44 :: v_dual_add_nc_u32 v45, 8, v45
	s_wait_dscnt 0x0
	v_pk_mul_f32 v[56:57], v[52:53], v[50:51] op_sel:[1,1] op_sel_hi:[0,1]
	s_delay_alu instid0(VALU_DEP_1) | instskip(SKIP_2) | instid1(VALU_DEP_3)
	v_pk_fma_f32 v[58:59], v[52:53], v[50:51], v[56:57] op_sel_hi:[1,0,1]
	v_add_nc_u32_e32 v48, 1, v48
	v_pk_fma_f32 v[50:51], v[52:53], v[50:51], v[56:57] neg_lo:[0,0,1] neg_hi:[0,0,1]
	v_mov_b32_e32 v51, v59
	s_delay_alu instid0(VALU_DEP_3) | instskip(NEXT) | instid1(VALU_DEP_2)
	v_cmp_lt_u32_e32 vcc_lo, 13, v48
	v_pk_add_f32 v[40:41], v[40:41], v[50:51]
	s_or_b32 s5, vcc_lo, s5
	s_delay_alu instid0(SALU_CYCLE_1)
	s_and_not1_b32 exec_lo, exec_lo, s5
	s_cbranch_execnz .LBB82_327
; %bb.328:
	s_or_b32 exec_lo, exec_lo, s5
.LBB82_329:
	s_delay_alu instid0(SALU_CYCLE_1) | instskip(SKIP_4) | instid1(VALU_DEP_1)
	s_or_b32 exec_lo, exec_lo, s4
	v_mov_b32_e32 v44, 0
	ds_load_b64 v[44:45], v44 offset:120
	s_wait_dscnt 0x0
	v_pk_mul_f32 v[48:49], v[40:41], v[44:45] op_sel:[1,1] op_sel_hi:[0,1]
	v_pk_fma_f32 v[50:51], v[40:41], v[44:45], v[48:49] op_sel_hi:[1,0,1]
	v_pk_fma_f32 v[40:41], v[40:41], v[44:45], v[48:49] neg_lo:[0,0,1] neg_hi:[0,0,1]
	s_delay_alu instid0(VALU_DEP_2)
	v_mov_b32_e32 v41, v51
	ds_store_b64 v54, v[40:41] offset:120
.LBB82_330:
	s_or_b32 exec_lo, exec_lo, s0
	ds_load_b64 v[40:41], v54 offset:128
	s_mov_b32 s0, exec_lo
	s_wait_dscnt 0x0
	ds_store_b64 v39, v[40:41]
	s_wait_dscnt 0x0
	s_barrier_signal -1
	s_barrier_wait -1
	v_cmpx_gt_u32_e32 16, v46
	s_cbranch_execz .LBB82_340
; %bb.331:
	v_cmp_ne_u32_e32 vcc_lo, 1, v43
	s_cbranch_vccnz .LBB82_333
; %bb.332:
	ds_load_b64 v[40:41], v42
	ds_load_b64 v[44:45], v39
	s_wait_dscnt 0x0
	v_pk_mul_f32 v[48:49], v[44:45], v[40:41] op_sel:[1,1] op_sel_hi:[0,1]
	s_delay_alu instid0(VALU_DEP_1) | instskip(SKIP_1) | instid1(VALU_DEP_2)
	v_pk_fma_f32 v[50:51], v[44:45], v[40:41], v[48:49] op_sel_hi:[1,0,1]
	v_pk_fma_f32 v[40:41], v[44:45], v[40:41], v[48:49] neg_lo:[0,0,1] neg_hi:[0,0,1]
	v_mov_b32_e32 v41, v51
	s_cbranch_execz .LBB82_334
	s_branch .LBB82_335
.LBB82_333:
                                        ; implicit-def: $vgpr40_vgpr41
.LBB82_334:
	ds_load_b64 v[40:41], v39
.LBB82_335:
	s_mov_b32 s4, exec_lo
	v_cmpx_ne_u32_e32 15, v46
	s_cbranch_execz .LBB82_339
; %bb.336:
	v_add_nc_u32_e32 v44, 0xa8, v38
	v_add3_u32 v45, v47, v38, 0x148
	v_mov_b32_e32 v48, v46
	s_mov_b32 s5, 0
.LBB82_337:                             ; =>This Inner Loop Header: Depth=1
	ds_load_b64 v[50:51], v45
	ds_load_b64 v[52:53], v44
	v_dual_add_nc_u32 v44, 8, v44 :: v_dual_add_nc_u32 v45, 8, v45
	s_wait_dscnt 0x0
	v_pk_mul_f32 v[56:57], v[52:53], v[50:51] op_sel:[1,1] op_sel_hi:[0,1]
	s_delay_alu instid0(VALU_DEP_1) | instskip(SKIP_2) | instid1(VALU_DEP_3)
	v_pk_fma_f32 v[58:59], v[52:53], v[50:51], v[56:57] op_sel_hi:[1,0,1]
	v_add_nc_u32_e32 v48, 1, v48
	v_pk_fma_f32 v[50:51], v[52:53], v[50:51], v[56:57] neg_lo:[0,0,1] neg_hi:[0,0,1]
	v_mov_b32_e32 v51, v59
	s_delay_alu instid0(VALU_DEP_3) | instskip(NEXT) | instid1(VALU_DEP_2)
	v_cmp_lt_u32_e32 vcc_lo, 14, v48
	v_pk_add_f32 v[40:41], v[40:41], v[50:51]
	s_or_b32 s5, vcc_lo, s5
	s_delay_alu instid0(SALU_CYCLE_1)
	s_and_not1_b32 exec_lo, exec_lo, s5
	s_cbranch_execnz .LBB82_337
; %bb.338:
	s_or_b32 exec_lo, exec_lo, s5
.LBB82_339:
	s_delay_alu instid0(SALU_CYCLE_1) | instskip(SKIP_4) | instid1(VALU_DEP_1)
	s_or_b32 exec_lo, exec_lo, s4
	v_mov_b32_e32 v44, 0
	ds_load_b64 v[44:45], v44 offset:128
	s_wait_dscnt 0x0
	v_pk_mul_f32 v[48:49], v[40:41], v[44:45] op_sel:[1,1] op_sel_hi:[0,1]
	v_pk_fma_f32 v[50:51], v[40:41], v[44:45], v[48:49] op_sel_hi:[1,0,1]
	v_pk_fma_f32 v[40:41], v[40:41], v[44:45], v[48:49] neg_lo:[0,0,1] neg_hi:[0,0,1]
	s_delay_alu instid0(VALU_DEP_2)
	v_mov_b32_e32 v41, v51
	ds_store_b64 v54, v[40:41] offset:128
.LBB82_340:
	s_or_b32 exec_lo, exec_lo, s0
	ds_load_b64 v[40:41], v54 offset:136
	v_cmp_gt_u32_e64 s0, 17, v46
	s_wait_dscnt 0x0
	ds_store_b64 v39, v[40:41]
	s_wait_dscnt 0x0
	s_barrier_signal -1
	s_barrier_wait -1
	s_and_saveexec_b32 s4, s0
	s_cbranch_execz .LBB82_350
; %bb.341:
	v_cmp_ne_u32_e32 vcc_lo, 1, v43
	s_cbranch_vccnz .LBB82_343
; %bb.342:
	ds_load_b64 v[40:41], v42
	ds_load_b64 v[44:45], v39
	s_wait_dscnt 0x0
	v_pk_mul_f32 v[48:49], v[44:45], v[40:41] op_sel:[1,1] op_sel_hi:[0,1]
	s_delay_alu instid0(VALU_DEP_1) | instskip(SKIP_1) | instid1(VALU_DEP_2)
	v_pk_fma_f32 v[50:51], v[44:45], v[40:41], v[48:49] op_sel_hi:[1,0,1]
	v_pk_fma_f32 v[40:41], v[44:45], v[40:41], v[48:49] neg_lo:[0,0,1] neg_hi:[0,0,1]
	v_mov_b32_e32 v41, v51
	s_cbranch_execz .LBB82_344
	s_branch .LBB82_345
.LBB82_343:
                                        ; implicit-def: $vgpr40_vgpr41
.LBB82_344:
	ds_load_b64 v[40:41], v39
.LBB82_345:
	s_mov_b32 s5, exec_lo
	v_cmpx_ne_u32_e32 16, v46
	s_cbranch_execz .LBB82_349
; %bb.346:
	v_add_nc_u32_e32 v44, 0xa8, v38
	v_add3_u32 v45, v47, v38, 0x148
	v_mov_b32_e32 v48, v46
	s_mov_b32 s6, 0
.LBB82_347:                             ; =>This Inner Loop Header: Depth=1
	ds_load_b64 v[50:51], v45
	ds_load_b64 v[52:53], v44
	v_dual_add_nc_u32 v44, 8, v44 :: v_dual_add_nc_u32 v45, 8, v45
	s_wait_dscnt 0x0
	v_pk_mul_f32 v[56:57], v[52:53], v[50:51] op_sel:[1,1] op_sel_hi:[0,1]
	s_delay_alu instid0(VALU_DEP_1) | instskip(SKIP_2) | instid1(VALU_DEP_3)
	v_pk_fma_f32 v[58:59], v[52:53], v[50:51], v[56:57] op_sel_hi:[1,0,1]
	v_add_nc_u32_e32 v48, 1, v48
	v_pk_fma_f32 v[50:51], v[52:53], v[50:51], v[56:57] neg_lo:[0,0,1] neg_hi:[0,0,1]
	v_mov_b32_e32 v51, v59
	s_delay_alu instid0(VALU_DEP_3) | instskip(NEXT) | instid1(VALU_DEP_2)
	v_cmp_lt_u32_e32 vcc_lo, 15, v48
	v_pk_add_f32 v[40:41], v[40:41], v[50:51]
	s_or_b32 s6, vcc_lo, s6
	s_delay_alu instid0(SALU_CYCLE_1)
	s_and_not1_b32 exec_lo, exec_lo, s6
	s_cbranch_execnz .LBB82_347
; %bb.348:
	s_or_b32 exec_lo, exec_lo, s6
.LBB82_349:
	s_delay_alu instid0(SALU_CYCLE_1) | instskip(SKIP_4) | instid1(VALU_DEP_1)
	s_or_b32 exec_lo, exec_lo, s5
	v_mov_b32_e32 v44, 0
	ds_load_b64 v[44:45], v44 offset:136
	s_wait_dscnt 0x0
	v_pk_mul_f32 v[48:49], v[40:41], v[44:45] op_sel:[1,1] op_sel_hi:[0,1]
	v_pk_fma_f32 v[50:51], v[40:41], v[44:45], v[48:49] op_sel_hi:[1,0,1]
	v_pk_fma_f32 v[40:41], v[40:41], v[44:45], v[48:49] neg_lo:[0,0,1] neg_hi:[0,0,1]
	s_delay_alu instid0(VALU_DEP_2)
	v_mov_b32_e32 v41, v51
	ds_store_b64 v54, v[40:41] offset:136
.LBB82_350:
	s_or_b32 exec_lo, exec_lo, s4
	ds_load_b64 v[40:41], v54 offset:144
	s_mov_b32 s4, exec_lo
                                        ; implicit-def: $vgpr55
                                        ; implicit-def: $vgpr56
	s_wait_dscnt 0x0
	ds_store_b64 v39, v[40:41]
	s_wait_dscnt 0x0
	s_barrier_signal -1
	s_barrier_wait -1
	v_cmpx_ne_u32_e32 18, v46
	s_cbranch_execz .LBB82_360
; %bb.351:
	v_cmp_ne_u32_e32 vcc_lo, 1, v43
	s_cbranch_vccnz .LBB82_353
; %bb.352:
	ds_load_b64 v[42:43], v42
	ds_load_b64 v[44:45], v39
	s_wait_dscnt 0x0
	v_dual_mul_f32 v40, v45, v43 :: v_dual_mul_f32 v41, v44, v43
	s_delay_alu instid0(VALU_DEP_1)
	v_dual_fma_f32 v40, v44, v42, -v40 :: v_dual_fmac_f32 v41, v45, v42
	s_cbranch_execz .LBB82_354
	s_branch .LBB82_355
.LBB82_353:
                                        ; implicit-def: $vgpr41
.LBB82_354:
	ds_load_b64 v[40:41], v39
.LBB82_355:
	s_and_saveexec_b32 s5, s0
	s_cbranch_execz .LBB82_359
; %bb.356:
	v_add_nc_u32_e32 v39, 0xa8, v38
	v_add3_u32 v38, v47, v38, 0x148
	s_mov_b32 s0, 0
.LBB82_357:                             ; =>This Inner Loop Header: Depth=1
	ds_load_b64 v[42:43], v38
	ds_load_b64 v[44:45], v39
	v_dual_add_nc_u32 v46, 1, v46 :: v_dual_add_nc_u32 v39, 8, v39
	v_add_nc_u32_e32 v38, 8, v38
	s_delay_alu instid0(VALU_DEP_2) | instskip(SKIP_3) | instid1(VALU_DEP_1)
	v_cmp_lt_u32_e32 vcc_lo, 16, v46
	s_or_b32 s0, vcc_lo, s0
	s_wait_dscnt 0x0
	v_dual_mul_f32 v47, v45, v43 :: v_dual_mul_f32 v43, v44, v43
	v_fmac_f32_e32 v43, v45, v42
	s_delay_alu instid0(VALU_DEP_1) | instskip(NEXT) | instid1(VALU_DEP_1)
	v_dual_fma_f32 v44, v44, v42, -v47 :: v_dual_add_f32 v41, v41, v43
	v_add_f32_e32 v40, v40, v44
	s_and_not1_b32 exec_lo, exec_lo, s0
	s_cbranch_execnz .LBB82_357
; %bb.358:
	s_or_b32 exec_lo, exec_lo, s0
.LBB82_359:
	s_delay_alu instid0(SALU_CYCLE_1)
	s_or_b32 exec_lo, exec_lo, s5
	v_mov_b32_e32 v38, 0
	s_or_b32 s1, s1, exec_lo
	v_add_nc_u32_e32 v56, 0x94, v54
	ds_load_b64 v[38:39], v38 offset:144
	s_wait_dscnt 0x0
	v_dual_mul_f32 v42, v41, v39 :: v_dual_mul_f32 v55, v40, v39
	s_delay_alu instid0(VALU_DEP_1)
	v_dual_fma_f32 v39, v40, v38, -v42 :: v_dual_fmac_f32 v55, v41, v38
	ds_store_b32 v54, v39 offset:144
.LBB82_360:
	s_or_b32 exec_lo, exec_lo, s4
.LBB82_361:
	v_lshl_add_u64 v[52:53], v[4:5], 3, s[2:3]
	v_lshl_add_u64 v[50:51], v[6:7], 3, s[2:3]
	;; [unrolled: 1-line block ×17, first 2 shown]
	s_and_saveexec_b32 s0, s1
; %bb.362:
	ds_store_b32 v56, v55
; %bb.363:
	s_or_b32 exec_lo, exec_lo, s0
	ds_load_b64 v[22:23], v54
	s_wait_dscnt 0x0
	flat_store_b64 v[0:1], v[22:23]
	s_wait_xcnt 0x0
	ds_load_b64 v[0:1], v54 offset:8
	s_wait_dscnt 0x0
	flat_store_b64 v[2:3], v[0:1]
	s_wait_xcnt 0x0
	ds_load_b64 v[0:1], v54 offset:16
	;; [unrolled: 4-line block ×18, first 2 shown]
	s_wait_dscnt 0x0
	flat_store_b64 v[4:5], v[0:1]
.LBB82_364:
	s_endpgm
	.section	.rodata,"a",@progbits
	.p2align	6, 0x0
	.amdhsa_kernel _ZN9rocsolver6v33100L18trti2_kernel_smallILi19E19rocblas_complex_numIfEPKPS3_EEv13rocblas_fill_17rocblas_diagonal_T1_iil
		.amdhsa_group_segment_fixed_size 10048
		.amdhsa_private_segment_fixed_size 0
		.amdhsa_kernarg_size 32
		.amdhsa_user_sgpr_count 4
		.amdhsa_user_sgpr_dispatch_ptr 1
		.amdhsa_user_sgpr_queue_ptr 0
		.amdhsa_user_sgpr_kernarg_segment_ptr 1
		.amdhsa_user_sgpr_dispatch_id 0
		.amdhsa_user_sgpr_kernarg_preload_length 0
		.amdhsa_user_sgpr_kernarg_preload_offset 0
		.amdhsa_user_sgpr_private_segment_size 0
		.amdhsa_wavefront_size32 1
		.amdhsa_uses_dynamic_stack 0
		.amdhsa_enable_private_segment 0
		.amdhsa_system_sgpr_workgroup_id_x 1
		.amdhsa_system_sgpr_workgroup_id_y 0
		.amdhsa_system_sgpr_workgroup_id_z 0
		.amdhsa_system_sgpr_workgroup_info 0
		.amdhsa_system_vgpr_workitem_id 2
		.amdhsa_next_free_vgpr 60
		.amdhsa_next_free_sgpr 12
		.amdhsa_named_barrier_count 0
		.amdhsa_reserve_vcc 1
		.amdhsa_float_round_mode_32 0
		.amdhsa_float_round_mode_16_64 0
		.amdhsa_float_denorm_mode_32 3
		.amdhsa_float_denorm_mode_16_64 3
		.amdhsa_fp16_overflow 0
		.amdhsa_memory_ordered 1
		.amdhsa_forward_progress 1
		.amdhsa_inst_pref_size 108
		.amdhsa_round_robin_scheduling 0
		.amdhsa_exception_fp_ieee_invalid_op 0
		.amdhsa_exception_fp_denorm_src 0
		.amdhsa_exception_fp_ieee_div_zero 0
		.amdhsa_exception_fp_ieee_overflow 0
		.amdhsa_exception_fp_ieee_underflow 0
		.amdhsa_exception_fp_ieee_inexact 0
		.amdhsa_exception_int_div_zero 0
	.end_amdhsa_kernel
	.section	.text._ZN9rocsolver6v33100L18trti2_kernel_smallILi19E19rocblas_complex_numIfEPKPS3_EEv13rocblas_fill_17rocblas_diagonal_T1_iil,"axG",@progbits,_ZN9rocsolver6v33100L18trti2_kernel_smallILi19E19rocblas_complex_numIfEPKPS3_EEv13rocblas_fill_17rocblas_diagonal_T1_iil,comdat
.Lfunc_end82:
	.size	_ZN9rocsolver6v33100L18trti2_kernel_smallILi19E19rocblas_complex_numIfEPKPS3_EEv13rocblas_fill_17rocblas_diagonal_T1_iil, .Lfunc_end82-_ZN9rocsolver6v33100L18trti2_kernel_smallILi19E19rocblas_complex_numIfEPKPS3_EEv13rocblas_fill_17rocblas_diagonal_T1_iil
                                        ; -- End function
	.set _ZN9rocsolver6v33100L18trti2_kernel_smallILi19E19rocblas_complex_numIfEPKPS3_EEv13rocblas_fill_17rocblas_diagonal_T1_iil.num_vgpr, 60
	.set _ZN9rocsolver6v33100L18trti2_kernel_smallILi19E19rocblas_complex_numIfEPKPS3_EEv13rocblas_fill_17rocblas_diagonal_T1_iil.num_agpr, 0
	.set _ZN9rocsolver6v33100L18trti2_kernel_smallILi19E19rocblas_complex_numIfEPKPS3_EEv13rocblas_fill_17rocblas_diagonal_T1_iil.numbered_sgpr, 12
	.set _ZN9rocsolver6v33100L18trti2_kernel_smallILi19E19rocblas_complex_numIfEPKPS3_EEv13rocblas_fill_17rocblas_diagonal_T1_iil.num_named_barrier, 0
	.set _ZN9rocsolver6v33100L18trti2_kernel_smallILi19E19rocblas_complex_numIfEPKPS3_EEv13rocblas_fill_17rocblas_diagonal_T1_iil.private_seg_size, 0
	.set _ZN9rocsolver6v33100L18trti2_kernel_smallILi19E19rocblas_complex_numIfEPKPS3_EEv13rocblas_fill_17rocblas_diagonal_T1_iil.uses_vcc, 1
	.set _ZN9rocsolver6v33100L18trti2_kernel_smallILi19E19rocblas_complex_numIfEPKPS3_EEv13rocblas_fill_17rocblas_diagonal_T1_iil.uses_flat_scratch, 0
	.set _ZN9rocsolver6v33100L18trti2_kernel_smallILi19E19rocblas_complex_numIfEPKPS3_EEv13rocblas_fill_17rocblas_diagonal_T1_iil.has_dyn_sized_stack, 0
	.set _ZN9rocsolver6v33100L18trti2_kernel_smallILi19E19rocblas_complex_numIfEPKPS3_EEv13rocblas_fill_17rocblas_diagonal_T1_iil.has_recursion, 0
	.set _ZN9rocsolver6v33100L18trti2_kernel_smallILi19E19rocblas_complex_numIfEPKPS3_EEv13rocblas_fill_17rocblas_diagonal_T1_iil.has_indirect_call, 0
	.section	.AMDGPU.csdata,"",@progbits
; Kernel info:
; codeLenInByte = 13716
; TotalNumSgprs: 14
; NumVgprs: 60
; ScratchSize: 0
; MemoryBound: 0
; FloatMode: 240
; IeeeMode: 1
; LDSByteSize: 10048 bytes/workgroup (compile time only)
; SGPRBlocks: 0
; VGPRBlocks: 3
; NumSGPRsForWavesPerEU: 14
; NumVGPRsForWavesPerEU: 60
; NamedBarCnt: 0
; Occupancy: 8
; WaveLimiterHint : 1
; COMPUTE_PGM_RSRC2:SCRATCH_EN: 0
; COMPUTE_PGM_RSRC2:USER_SGPR: 4
; COMPUTE_PGM_RSRC2:TRAP_HANDLER: 0
; COMPUTE_PGM_RSRC2:TGID_X_EN: 1
; COMPUTE_PGM_RSRC2:TGID_Y_EN: 0
; COMPUTE_PGM_RSRC2:TGID_Z_EN: 0
; COMPUTE_PGM_RSRC2:TIDIG_COMP_CNT: 2
	.section	.text._ZN9rocsolver6v33100L18trti2_kernel_smallILi20E19rocblas_complex_numIfEPKPS3_EEv13rocblas_fill_17rocblas_diagonal_T1_iil,"axG",@progbits,_ZN9rocsolver6v33100L18trti2_kernel_smallILi20E19rocblas_complex_numIfEPKPS3_EEv13rocblas_fill_17rocblas_diagonal_T1_iil,comdat
	.globl	_ZN9rocsolver6v33100L18trti2_kernel_smallILi20E19rocblas_complex_numIfEPKPS3_EEv13rocblas_fill_17rocblas_diagonal_T1_iil ; -- Begin function _ZN9rocsolver6v33100L18trti2_kernel_smallILi20E19rocblas_complex_numIfEPKPS3_EEv13rocblas_fill_17rocblas_diagonal_T1_iil
	.p2align	8
	.type	_ZN9rocsolver6v33100L18trti2_kernel_smallILi20E19rocblas_complex_numIfEPKPS3_EEv13rocblas_fill_17rocblas_diagonal_T1_iil,@function
_ZN9rocsolver6v33100L18trti2_kernel_smallILi20E19rocblas_complex_numIfEPKPS3_EEv13rocblas_fill_17rocblas_diagonal_T1_iil: ; @_ZN9rocsolver6v33100L18trti2_kernel_smallILi20E19rocblas_complex_numIfEPKPS3_EEv13rocblas_fill_17rocblas_diagonal_T1_iil
; %bb.0:
	s_mov_b32 s2, exec_lo
	v_cmpx_gt_u32_e32 20, v0
	s_cbranch_execz .LBB83_384
; %bb.1:
	s_clause 0x1
	s_load_b64 s[2:3], s[0:1], 0x10
	s_load_b128 s[4:7], s[0:1], 0x0
	s_wait_xcnt 0x0
	s_bfe_u32 s0, ttmp6, 0x4000c
	s_and_b32 s1, ttmp6, 15
	s_add_co_i32 s0, s0, 1
	s_getreg_b32 s8, hwreg(HW_REG_IB_STS2, 6, 4)
	s_mul_i32 s0, ttmp9, s0
	v_dual_mov_b32 v43, 0 :: v_dual_lshlrev_b32 v42, 3, v0
	s_add_co_i32 s0, s1, s0
	s_wait_kmcnt 0x0
	s_ashr_i32 s1, s2, 31
	s_cmp_eq_u32 s8, 0
	s_cselect_b32 s8, ttmp9, s0
	s_mov_b32 s0, s2
	s_ashr_i32 s9, s8, 31
	s_lshl_b64 s[0:1], s[0:1], 3
	s_lshl_b64 s[8:9], s[8:9], 3
	s_delay_alu instid0(SALU_CYCLE_1)
	s_add_nc_u64 s[6:7], s[6:7], s[8:9]
	s_load_b64 s[6:7], s[6:7], 0x0
	s_wait_kmcnt 0x0
	s_add_nc_u64 s[6:7], s[6:7], s[0:1]
	s_mov_b32 s0, s3
	flat_load_b64 v[6:7], v0, s[6:7] scale_offset
	v_add_nc_u64_e32 v[2:3], s[6:7], v[42:43]
	s_ashr_i32 s1, s3, 31
	s_cmp_lg_u32 s5, 0x84
	s_delay_alu instid0(VALU_DEP_1)
	v_lshl_add_u64 v[4:5], s[0:1], 3, v[2:3]
	s_mov_b32 s0, -1
	s_wait_loadcnt_dscnt 0x0
	scratch_store_b64 off, v[6:7], off
	flat_load_b64 v[8:9], v[4:5]
	s_wait_xcnt 0x1
	v_add3_u32 v6, s3, s3, v0
	s_wait_loadcnt_dscnt 0x0
	scratch_store_b64 off, v[8:9], off offset:8
	flat_load_b64 v[10:11], v6, s[6:7] scale_offset
	s_wait_xcnt 0x1
	v_add_nc_u32_e32 v8, s3, v6
	s_wait_loadcnt_dscnt 0x0
	scratch_store_b64 off, v[10:11], off offset:16
	flat_load_b64 v[12:13], v8, s[6:7] scale_offset
	s_wait_xcnt 0x1
	v_add_nc_u32_e32 v10, s3, v8
	;; [unrolled: 5-line block ×17, first 2 shown]
	s_cselect_b32 s3, -1, 0
	s_delay_alu instid0(SALU_CYCLE_1)
	s_and_b32 vcc_lo, exec_lo, s3
	s_wait_loadcnt_dscnt 0x0
	scratch_store_b64 off, v[44:45], off offset:144
	flat_load_b64 v[44:45], v40, s[6:7] scale_offset
	s_wait_loadcnt_dscnt 0x0
	scratch_store_b64 off, v[44:45], off offset:152
	s_cbranch_vccz .LBB83_7
; %bb.2:
	scratch_load_b64 v[44:45], v0, off scale_offset
                                        ; implicit-def: $vgpr49
                                        ; implicit-def: $vgpr46
	s_wait_loadcnt 0x0
	v_cmp_ngt_f32_e64 s0, |v44|, |v45|
	s_wait_xcnt 0x0
	s_and_saveexec_b32 s1, s0
	s_delay_alu instid0(SALU_CYCLE_1)
	s_xor_b32 s0, exec_lo, s1
	s_cbranch_execz .LBB83_4
; %bb.3:
	v_div_scale_f32 v1, null, v45, v45, v44
	v_div_scale_f32 v11, vcc_lo, v44, v45, v44
	s_delay_alu instid0(VALU_DEP_2) | instskip(SKIP_1) | instid1(TRANS32_DEP_1)
	v_rcp_f32_e32 v7, v1
	v_nop
	v_fma_f32 v9, -v1, v7, 1.0
	s_delay_alu instid0(VALU_DEP_1) | instskip(NEXT) | instid1(VALU_DEP_1)
	v_fmac_f32_e32 v7, v9, v7
	v_mul_f32_e32 v9, v11, v7
	s_delay_alu instid0(VALU_DEP_1) | instskip(NEXT) | instid1(VALU_DEP_1)
	v_fma_f32 v13, -v1, v9, v11
	v_fmac_f32_e32 v9, v13, v7
	s_delay_alu instid0(VALU_DEP_1) | instskip(NEXT) | instid1(VALU_DEP_1)
	v_fma_f32 v1, -v1, v9, v11
	v_div_fmas_f32 v1, v1, v7, v9
	s_delay_alu instid0(VALU_DEP_1) | instskip(NEXT) | instid1(VALU_DEP_1)
	v_div_fixup_f32 v1, v1, v45, v44
	v_fmac_f32_e32 v45, v44, v1
	s_delay_alu instid0(VALU_DEP_1) | instskip(NEXT) | instid1(VALU_DEP_1)
	v_div_scale_f32 v7, null, v45, v45, -1.0
	v_rcp_f32_e32 v9, v7
	v_nop
	s_delay_alu instid0(TRANS32_DEP_1) | instskip(NEXT) | instid1(VALU_DEP_1)
	v_fma_f32 v11, -v7, v9, 1.0
	v_fmac_f32_e32 v9, v11, v9
	v_div_scale_f32 v11, vcc_lo, -1.0, v45, -1.0
	s_delay_alu instid0(VALU_DEP_1) | instskip(NEXT) | instid1(VALU_DEP_1)
	v_mul_f32_e32 v13, v11, v9
	v_fma_f32 v15, -v7, v13, v11
	s_delay_alu instid0(VALU_DEP_1) | instskip(NEXT) | instid1(VALU_DEP_1)
	v_fmac_f32_e32 v13, v15, v9
	v_fma_f32 v7, -v7, v13, v11
	s_delay_alu instid0(VALU_DEP_1) | instskip(NEXT) | instid1(VALU_DEP_1)
	v_div_fmas_f32 v7, v7, v9, v13
	v_div_fixup_f32 v49, v7, v45, -1.0
                                        ; implicit-def: $vgpr44_vgpr45
	s_delay_alu instid0(VALU_DEP_1) | instskip(NEXT) | instid1(VALU_DEP_1)
	v_mul_f32_e32 v46, v1, v49
	v_xor_b32_e32 v48, 0x80000000, v46
.LBB83_4:
	s_or_saveexec_b32 s0, s0
	v_lshl_add_u32 v1, v0, 3, 0
	s_xor_b32 exec_lo, exec_lo, s0
	s_cbranch_execz .LBB83_6
; %bb.5:
	v_div_scale_f32 v7, null, v44, v44, v45
	v_div_scale_f32 v13, vcc_lo, v45, v44, v45
	s_delay_alu instid0(VALU_DEP_2) | instskip(SKIP_1) | instid1(TRANS32_DEP_1)
	v_rcp_f32_e32 v9, v7
	v_nop
	v_fma_f32 v11, -v7, v9, 1.0
	s_delay_alu instid0(VALU_DEP_1) | instskip(NEXT) | instid1(VALU_DEP_1)
	v_fmac_f32_e32 v9, v11, v9
	v_mul_f32_e32 v11, v13, v9
	s_delay_alu instid0(VALU_DEP_1) | instskip(NEXT) | instid1(VALU_DEP_1)
	v_fma_f32 v15, -v7, v11, v13
	v_fmac_f32_e32 v11, v15, v9
	s_delay_alu instid0(VALU_DEP_1) | instskip(NEXT) | instid1(VALU_DEP_1)
	v_fma_f32 v7, -v7, v11, v13
	v_div_fmas_f32 v7, v7, v9, v11
	s_delay_alu instid0(VALU_DEP_1) | instskip(NEXT) | instid1(VALU_DEP_1)
	v_div_fixup_f32 v7, v7, v44, v45
	v_fmac_f32_e32 v44, v45, v7
	s_delay_alu instid0(VALU_DEP_1) | instskip(SKIP_1) | instid1(VALU_DEP_2)
	v_div_scale_f32 v9, null, v44, v44, 1.0
	v_div_scale_f32 v15, vcc_lo, 1.0, v44, 1.0
	v_rcp_f32_e32 v11, v9
	v_nop
	s_delay_alu instid0(TRANS32_DEP_1) | instskip(NEXT) | instid1(VALU_DEP_1)
	v_fma_f32 v13, -v9, v11, 1.0
	v_fmac_f32_e32 v11, v13, v11
	s_delay_alu instid0(VALU_DEP_1) | instskip(NEXT) | instid1(VALU_DEP_1)
	v_mul_f32_e32 v13, v15, v11
	v_fma_f32 v17, -v9, v13, v15
	s_delay_alu instid0(VALU_DEP_1) | instskip(NEXT) | instid1(VALU_DEP_1)
	v_fmac_f32_e32 v13, v17, v11
	v_fma_f32 v9, -v9, v13, v15
	s_delay_alu instid0(VALU_DEP_1) | instskip(NEXT) | instid1(VALU_DEP_1)
	v_div_fmas_f32 v9, v9, v11, v13
	v_div_fixup_f32 v48, v9, v44, 1.0
	s_delay_alu instid0(VALU_DEP_1)
	v_xor_b32_e32 v46, 0x80000000, v48
	v_mul_f32_e64 v49, v7, -v48
.LBB83_6:
	s_or_b32 exec_lo, exec_lo, s0
	s_delay_alu instid0(VALU_DEP_1)
	v_xor_b32_e32 v47, 0x80000000, v49
	s_mov_b32 s0, 0
	scratch_store_b64 v1, v[48:49], off
	ds_store_b64 v42, v[46:47]
.LBB83_7:
	s_and_b32 vcc_lo, exec_lo, s0
	s_cbranch_vccz .LBB83_9
; %bb.8:
	s_mov_b64 s[0:1], 0xbf800000
	s_wait_xcnt 0x0
	v_mov_b64_e32 v[44:45], s[0:1]
	ds_store_b64 v42, v[44:45]
.LBB83_9:
	v_dual_ashrrev_i32 v7, 31, v6 :: v_dual_ashrrev_i32 v9, 31, v8
	v_dual_ashrrev_i32 v11, 31, v10 :: v_dual_ashrrev_i32 v13, 31, v12
	;; [unrolled: 1-line block ×9, first 2 shown]
	s_wait_xcnt 0x0
	v_add_nc_u32_e32 v1, 0xa0, v42
	v_mov_b32_e32 v43, v42
	s_cmp_eq_u32 s4, 0x79
	s_cbranch_scc1 .LBB83_13
; %bb.10:
	scratch_load_b64 v[44:45], off, off offset:144
	v_cmp_eq_u32_e64 s0, 19, v0
	s_movk_i32 s1, 0x48
	s_movk_i32 s14, 0x50
	;; [unrolled: 1-line block ×9, first 2 shown]
	s_wait_loadcnt 0x0
	ds_store_b64 v1, v[44:45]
	s_wait_storecnt_dscnt 0x0
	s_barrier_signal -1
	s_barrier_wait -1
	s_wait_xcnt 0x0
	s_and_saveexec_b32 s2, s0
	s_cbranch_execz .LBB83_17
; %bb.11:
	s_and_b32 vcc_lo, exec_lo, s3
	s_cbranch_vccz .LBB83_14
; %bb.12:
	scratch_load_b64 v[44:45], v43, off
	ds_load_b64 v[46:47], v1
	s_wait_loadcnt_dscnt 0x0
	v_pk_mul_f32 v[48:49], v[46:47], v[44:45] op_sel:[1,1] op_sel_hi:[0,1]
	v_pk_mul_f32 v[50:51], v[46:47], v[44:45] op_sel_hi:[1,0]
	s_delay_alu instid0(VALU_DEP_2) | instskip(NEXT) | instid1(VALU_DEP_2)
	v_pk_fma_f32 v[44:45], v[46:47], v[44:45], v[48:49] op_sel_hi:[1,0,1]
	v_sub_f32_e32 v44, v50, v48
	s_cbranch_execz .LBB83_15
	s_branch .LBB83_16
.LBB83_13:
	s_mov_b32 s1, 0
                                        ; implicit-def: $vgpr58
                                        ; implicit-def: $sgpr8
	s_cbranch_execnz .LBB83_196
	s_branch .LBB83_381
.LBB83_14:
                                        ; implicit-def: $vgpr45
.LBB83_15:
	ds_load_b64 v[44:45], v1
.LBB83_16:
	s_wait_dscnt 0x0
	v_dual_mov_b32 v46, 0 :: v_dual_mov_b32 v48, v45
	v_mov_b32_e32 v49, v44
	ds_load_b64 v[46:47], v46 offset:144
	s_wait_dscnt 0x0
	v_pk_mul_f32 v[48:49], v[48:49], v[46:47] op_sel:[0,1]
	s_delay_alu instid0(VALU_DEP_1) | instskip(SKIP_1) | instid1(VALU_DEP_2)
	v_pk_fma_f32 v[50:51], v[44:45], v[46:47], v[48:49] op_sel_hi:[1,0,1]
	v_pk_fma_f32 v[44:45], v[44:45], v[46:47], v[48:49] neg_lo:[0,0,1] neg_hi:[0,0,1]
	v_mov_b32_e32 v45, v51
	scratch_store_b64 off, v[44:45], off offset:144
.LBB83_17:
	s_wait_xcnt 0x0
	s_or_b32 exec_lo, exec_lo, s2
	scratch_load_b64 v[44:45], off, off offset:136
	s_mov_b32 s13, s1
	v_cmp_lt_u32_e64 s1, 17, v0
	s_or_b32 s4, 0, 8
	s_mov_b32 s5, 16
	s_mov_b32 s8, 24
	;; [unrolled: 1-line block ×7, first 2 shown]
	s_wait_loadcnt 0x0
	ds_store_b64 v1, v[44:45]
	s_wait_storecnt_dscnt 0x0
	s_barrier_signal -1
	s_barrier_wait -1
	s_wait_xcnt 0x0
	s_and_saveexec_b32 s22, s1
	s_cbranch_execz .LBB83_25
; %bb.18:
	s_and_not1_b32 vcc_lo, exec_lo, s3
	s_cbranch_vccnz .LBB83_20
; %bb.19:
	scratch_load_b64 v[44:45], v43, off
	ds_load_b64 v[46:47], v1
	s_wait_loadcnt_dscnt 0x0
	v_pk_mul_f32 v[48:49], v[46:47], v[44:45] op_sel:[1,1] op_sel_hi:[0,1]
	s_delay_alu instid0(VALU_DEP_1) | instskip(SKIP_1) | instid1(VALU_DEP_2)
	v_pk_fma_f32 v[50:51], v[46:47], v[44:45], v[48:49] op_sel_hi:[1,0,1]
	v_pk_fma_f32 v[44:45], v[46:47], v[44:45], v[48:49] neg_lo:[0,0,1] neg_hi:[0,0,1]
	v_mov_b32_e32 v45, v51
	s_cbranch_execz .LBB83_21
	s_branch .LBB83_22
.LBB83_20:
                                        ; implicit-def: $vgpr44_vgpr45
.LBB83_21:
	ds_load_b64 v[44:45], v1
.LBB83_22:
	s_and_saveexec_b32 s23, s0
	s_cbranch_execz .LBB83_24
; %bb.23:
	scratch_load_b64 v[46:47], off, off offset:144
	v_mov_b32_e32 v48, 0
	ds_load_b64 v[48:49], v48 offset:304
	s_wait_loadcnt_dscnt 0x0
	v_pk_mul_f32 v[50:51], v[48:49], v[46:47] op_sel:[1,1] op_sel_hi:[0,1]
	s_delay_alu instid0(VALU_DEP_1) | instskip(SKIP_1) | instid1(VALU_DEP_2)
	v_pk_fma_f32 v[52:53], v[48:49], v[46:47], v[50:51] op_sel_hi:[1,0,1]
	v_pk_fma_f32 v[46:47], v[48:49], v[46:47], v[50:51] neg_lo:[0,0,1] neg_hi:[0,0,1]
	v_mov_b32_e32 v47, v53
	s_delay_alu instid0(VALU_DEP_1)
	v_pk_add_f32 v[44:45], v[44:45], v[46:47]
.LBB83_24:
	s_or_b32 exec_lo, exec_lo, s23
	v_mov_b32_e32 v46, 0
	ds_load_b64 v[46:47], v46 offset:136
	s_wait_dscnt 0x0
	v_pk_mul_f32 v[48:49], v[44:45], v[46:47] op_sel:[1,1] op_sel_hi:[0,1]
	s_delay_alu instid0(VALU_DEP_1) | instskip(SKIP_1) | instid1(VALU_DEP_2)
	v_pk_fma_f32 v[50:51], v[44:45], v[46:47], v[48:49] op_sel_hi:[1,0,1]
	v_pk_fma_f32 v[44:45], v[44:45], v[46:47], v[48:49] neg_lo:[0,0,1] neg_hi:[0,0,1]
	v_mov_b32_e32 v45, v51
	scratch_store_b64 off, v[44:45], off offset:136
.LBB83_25:
	s_wait_xcnt 0x0
	s_or_b32 exec_lo, exec_lo, s22
	scratch_load_b64 v[44:45], off, off offset:128
	v_cmp_lt_u32_e64 s0, 16, v0
	s_wait_loadcnt 0x0
	ds_store_b64 v1, v[44:45]
	s_wait_storecnt_dscnt 0x0
	s_barrier_signal -1
	s_barrier_wait -1
	s_wait_xcnt 0x0
	s_and_saveexec_b32 s22, s0
	s_cbranch_execz .LBB83_35
; %bb.26:
	s_and_not1_b32 vcc_lo, exec_lo, s3
	s_cbranch_vccnz .LBB83_28
; %bb.27:
	scratch_load_b64 v[44:45], v43, off
	ds_load_b64 v[46:47], v1
	s_wait_loadcnt_dscnt 0x0
	v_pk_mul_f32 v[48:49], v[46:47], v[44:45] op_sel:[1,1] op_sel_hi:[0,1]
	s_delay_alu instid0(VALU_DEP_1) | instskip(SKIP_1) | instid1(VALU_DEP_2)
	v_pk_fma_f32 v[50:51], v[46:47], v[44:45], v[48:49] op_sel_hi:[1,0,1]
	v_pk_fma_f32 v[44:45], v[46:47], v[44:45], v[48:49] neg_lo:[0,0,1] neg_hi:[0,0,1]
	v_mov_b32_e32 v45, v51
	s_cbranch_execz .LBB83_29
	s_branch .LBB83_30
.LBB83_28:
                                        ; implicit-def: $vgpr44_vgpr45
.LBB83_29:
	ds_load_b64 v[44:45], v1
.LBB83_30:
	s_and_saveexec_b32 s23, s1
	s_cbranch_execz .LBB83_34
; %bb.31:
	v_subrev_nc_u32_e32 v46, 17, v0
	s_movk_i32 s24, 0x128
	s_mov_b32 s1, 0
.LBB83_32:                              ; =>This Inner Loop Header: Depth=1
	scratch_load_b64 v[48:49], off, s21
	v_dual_mov_b32 v47, s24 :: v_dual_add_nc_u32 v46, -1, v46
	s_add_co_i32 s24, s24, 8
	s_wait_xcnt 0x0
	s_add_co_i32 s21, s21, 8
	ds_load_b64 v[50:51], v47
	v_cmp_eq_u32_e32 vcc_lo, 0, v46
	s_or_b32 s1, vcc_lo, s1
	s_wait_loadcnt_dscnt 0x0
	v_pk_mul_f32 v[52:53], v[50:51], v[48:49] op_sel:[1,1] op_sel_hi:[0,1]
	s_delay_alu instid0(VALU_DEP_1) | instskip(SKIP_1) | instid1(VALU_DEP_2)
	v_pk_fma_f32 v[54:55], v[50:51], v[48:49], v[52:53] op_sel_hi:[1,0,1]
	v_pk_fma_f32 v[48:49], v[50:51], v[48:49], v[52:53] neg_lo:[0,0,1] neg_hi:[0,0,1]
	v_mov_b32_e32 v49, v55
	s_delay_alu instid0(VALU_DEP_1)
	v_pk_add_f32 v[44:45], v[44:45], v[48:49]
	s_and_not1_b32 exec_lo, exec_lo, s1
	s_cbranch_execnz .LBB83_32
; %bb.33:
	s_or_b32 exec_lo, exec_lo, s1
.LBB83_34:
	s_delay_alu instid0(SALU_CYCLE_1) | instskip(SKIP_4) | instid1(VALU_DEP_1)
	s_or_b32 exec_lo, exec_lo, s23
	v_mov_b32_e32 v46, 0
	ds_load_b64 v[46:47], v46 offset:128
	s_wait_dscnt 0x0
	v_pk_mul_f32 v[48:49], v[44:45], v[46:47] op_sel:[1,1] op_sel_hi:[0,1]
	v_pk_fma_f32 v[50:51], v[44:45], v[46:47], v[48:49] op_sel_hi:[1,0,1]
	v_pk_fma_f32 v[44:45], v[44:45], v[46:47], v[48:49] neg_lo:[0,0,1] neg_hi:[0,0,1]
	s_delay_alu instid0(VALU_DEP_2)
	v_mov_b32_e32 v45, v51
	scratch_store_b64 off, v[44:45], off offset:128
.LBB83_35:
	s_wait_xcnt 0x0
	s_or_b32 exec_lo, exec_lo, s22
	scratch_load_b64 v[44:45], off, off offset:120
	v_cmp_lt_u32_e64 s1, 15, v0
	s_wait_loadcnt 0x0
	ds_store_b64 v1, v[44:45]
	s_wait_storecnt_dscnt 0x0
	s_barrier_signal -1
	s_barrier_wait -1
	s_wait_xcnt 0x0
	s_and_saveexec_b32 s21, s1
	s_cbranch_execz .LBB83_45
; %bb.36:
	s_and_not1_b32 vcc_lo, exec_lo, s3
	s_cbranch_vccnz .LBB83_38
; %bb.37:
	scratch_load_b64 v[44:45], v43, off
	ds_load_b64 v[46:47], v1
	s_wait_loadcnt_dscnt 0x0
	v_pk_mul_f32 v[48:49], v[46:47], v[44:45] op_sel:[1,1] op_sel_hi:[0,1]
	s_delay_alu instid0(VALU_DEP_1) | instskip(SKIP_1) | instid1(VALU_DEP_2)
	v_pk_fma_f32 v[50:51], v[46:47], v[44:45], v[48:49] op_sel_hi:[1,0,1]
	v_pk_fma_f32 v[44:45], v[46:47], v[44:45], v[48:49] neg_lo:[0,0,1] neg_hi:[0,0,1]
	v_mov_b32_e32 v45, v51
	s_cbranch_execz .LBB83_39
	s_branch .LBB83_40
.LBB83_38:
                                        ; implicit-def: $vgpr44_vgpr45
.LBB83_39:
	ds_load_b64 v[44:45], v1
.LBB83_40:
	s_and_saveexec_b32 s22, s0
	s_cbranch_execz .LBB83_44
; %bb.41:
	v_add_nc_u32_e32 v46, -16, v0
	s_movk_i32 s23, 0x120
	s_mov_b32 s0, 0
.LBB83_42:                              ; =>This Inner Loop Header: Depth=1
	scratch_load_b64 v[48:49], off, s20
	v_dual_mov_b32 v47, s23 :: v_dual_add_nc_u32 v46, -1, v46
	s_add_co_i32 s23, s23, 8
	s_wait_xcnt 0x0
	s_add_co_i32 s20, s20, 8
	ds_load_b64 v[50:51], v47
	v_cmp_eq_u32_e32 vcc_lo, 0, v46
	s_or_b32 s0, vcc_lo, s0
	s_wait_loadcnt_dscnt 0x0
	v_pk_mul_f32 v[52:53], v[50:51], v[48:49] op_sel:[1,1] op_sel_hi:[0,1]
	s_delay_alu instid0(VALU_DEP_1) | instskip(SKIP_1) | instid1(VALU_DEP_2)
	v_pk_fma_f32 v[54:55], v[50:51], v[48:49], v[52:53] op_sel_hi:[1,0,1]
	v_pk_fma_f32 v[48:49], v[50:51], v[48:49], v[52:53] neg_lo:[0,0,1] neg_hi:[0,0,1]
	v_mov_b32_e32 v49, v55
	s_delay_alu instid0(VALU_DEP_1)
	v_pk_add_f32 v[44:45], v[44:45], v[48:49]
	s_and_not1_b32 exec_lo, exec_lo, s0
	s_cbranch_execnz .LBB83_42
; %bb.43:
	s_or_b32 exec_lo, exec_lo, s0
.LBB83_44:
	s_delay_alu instid0(SALU_CYCLE_1) | instskip(SKIP_4) | instid1(VALU_DEP_1)
	s_or_b32 exec_lo, exec_lo, s22
	v_mov_b32_e32 v46, 0
	ds_load_b64 v[46:47], v46 offset:120
	s_wait_dscnt 0x0
	v_pk_mul_f32 v[48:49], v[44:45], v[46:47] op_sel:[1,1] op_sel_hi:[0,1]
	v_pk_fma_f32 v[50:51], v[44:45], v[46:47], v[48:49] op_sel_hi:[1,0,1]
	v_pk_fma_f32 v[44:45], v[44:45], v[46:47], v[48:49] neg_lo:[0,0,1] neg_hi:[0,0,1]
	s_delay_alu instid0(VALU_DEP_2)
	v_mov_b32_e32 v45, v51
	scratch_store_b64 off, v[44:45], off offset:120
.LBB83_45:
	s_wait_xcnt 0x0
	s_or_b32 exec_lo, exec_lo, s21
	scratch_load_b64 v[44:45], off, off offset:112
	v_cmp_lt_u32_e64 s0, 14, v0
	s_wait_loadcnt 0x0
	ds_store_b64 v1, v[44:45]
	s_wait_storecnt_dscnt 0x0
	s_barrier_signal -1
	s_barrier_wait -1
	s_wait_xcnt 0x0
	s_and_saveexec_b32 s20, s0
	s_cbranch_execz .LBB83_55
; %bb.46:
	s_and_not1_b32 vcc_lo, exec_lo, s3
	s_cbranch_vccnz .LBB83_48
; %bb.47:
	scratch_load_b64 v[44:45], v43, off
	ds_load_b64 v[46:47], v1
	s_wait_loadcnt_dscnt 0x0
	v_pk_mul_f32 v[48:49], v[46:47], v[44:45] op_sel:[1,1] op_sel_hi:[0,1]
	s_delay_alu instid0(VALU_DEP_1) | instskip(SKIP_1) | instid1(VALU_DEP_2)
	v_pk_fma_f32 v[50:51], v[46:47], v[44:45], v[48:49] op_sel_hi:[1,0,1]
	v_pk_fma_f32 v[44:45], v[46:47], v[44:45], v[48:49] neg_lo:[0,0,1] neg_hi:[0,0,1]
	v_mov_b32_e32 v45, v51
	s_cbranch_execz .LBB83_49
	s_branch .LBB83_50
.LBB83_48:
                                        ; implicit-def: $vgpr44_vgpr45
.LBB83_49:
	ds_load_b64 v[44:45], v1
.LBB83_50:
	s_and_saveexec_b32 s21, s1
	s_cbranch_execz .LBB83_54
; %bb.51:
	v_add_nc_u32_e32 v46, -15, v0
	s_movk_i32 s22, 0x118
	s_mov_b32 s1, 0
.LBB83_52:                              ; =>This Inner Loop Header: Depth=1
	scratch_load_b64 v[48:49], off, s19
	v_dual_mov_b32 v47, s22 :: v_dual_add_nc_u32 v46, -1, v46
	s_add_co_i32 s22, s22, 8
	s_wait_xcnt 0x0
	s_add_co_i32 s19, s19, 8
	ds_load_b64 v[50:51], v47
	v_cmp_eq_u32_e32 vcc_lo, 0, v46
	s_or_b32 s1, vcc_lo, s1
	s_wait_loadcnt_dscnt 0x0
	v_pk_mul_f32 v[52:53], v[50:51], v[48:49] op_sel:[1,1] op_sel_hi:[0,1]
	s_delay_alu instid0(VALU_DEP_1) | instskip(SKIP_1) | instid1(VALU_DEP_2)
	v_pk_fma_f32 v[54:55], v[50:51], v[48:49], v[52:53] op_sel_hi:[1,0,1]
	v_pk_fma_f32 v[48:49], v[50:51], v[48:49], v[52:53] neg_lo:[0,0,1] neg_hi:[0,0,1]
	v_mov_b32_e32 v49, v55
	s_delay_alu instid0(VALU_DEP_1)
	v_pk_add_f32 v[44:45], v[44:45], v[48:49]
	s_and_not1_b32 exec_lo, exec_lo, s1
	s_cbranch_execnz .LBB83_52
; %bb.53:
	s_or_b32 exec_lo, exec_lo, s1
.LBB83_54:
	s_delay_alu instid0(SALU_CYCLE_1) | instskip(SKIP_4) | instid1(VALU_DEP_1)
	s_or_b32 exec_lo, exec_lo, s21
	v_mov_b32_e32 v46, 0
	ds_load_b64 v[46:47], v46 offset:112
	s_wait_dscnt 0x0
	v_pk_mul_f32 v[48:49], v[44:45], v[46:47] op_sel:[1,1] op_sel_hi:[0,1]
	v_pk_fma_f32 v[50:51], v[44:45], v[46:47], v[48:49] op_sel_hi:[1,0,1]
	v_pk_fma_f32 v[44:45], v[44:45], v[46:47], v[48:49] neg_lo:[0,0,1] neg_hi:[0,0,1]
	s_delay_alu instid0(VALU_DEP_2)
	v_mov_b32_e32 v45, v51
	scratch_store_b64 off, v[44:45], off offset:112
.LBB83_55:
	s_wait_xcnt 0x0
	s_or_b32 exec_lo, exec_lo, s20
	scratch_load_b64 v[44:45], off, off offset:104
	v_cmp_lt_u32_e64 s1, 13, v0
	s_wait_loadcnt 0x0
	ds_store_b64 v1, v[44:45]
	s_wait_storecnt_dscnt 0x0
	s_barrier_signal -1
	s_barrier_wait -1
	s_wait_xcnt 0x0
	s_and_saveexec_b32 s19, s1
	s_cbranch_execz .LBB83_65
; %bb.56:
	s_and_not1_b32 vcc_lo, exec_lo, s3
	s_cbranch_vccnz .LBB83_58
; %bb.57:
	scratch_load_b64 v[44:45], v43, off
	ds_load_b64 v[46:47], v1
	s_wait_loadcnt_dscnt 0x0
	v_pk_mul_f32 v[48:49], v[46:47], v[44:45] op_sel:[1,1] op_sel_hi:[0,1]
	s_delay_alu instid0(VALU_DEP_1) | instskip(SKIP_1) | instid1(VALU_DEP_2)
	v_pk_fma_f32 v[50:51], v[46:47], v[44:45], v[48:49] op_sel_hi:[1,0,1]
	v_pk_fma_f32 v[44:45], v[46:47], v[44:45], v[48:49] neg_lo:[0,0,1] neg_hi:[0,0,1]
	v_mov_b32_e32 v45, v51
	s_cbranch_execz .LBB83_59
	s_branch .LBB83_60
.LBB83_58:
                                        ; implicit-def: $vgpr44_vgpr45
.LBB83_59:
	ds_load_b64 v[44:45], v1
.LBB83_60:
	s_and_saveexec_b32 s20, s0
	s_cbranch_execz .LBB83_64
; %bb.61:
	v_add_nc_u32_e32 v46, -14, v0
	s_movk_i32 s21, 0x110
	s_mov_b32 s0, 0
.LBB83_62:                              ; =>This Inner Loop Header: Depth=1
	scratch_load_b64 v[48:49], off, s18
	v_dual_mov_b32 v47, s21 :: v_dual_add_nc_u32 v46, -1, v46
	s_add_co_i32 s21, s21, 8
	s_wait_xcnt 0x0
	s_add_co_i32 s18, s18, 8
	ds_load_b64 v[50:51], v47
	v_cmp_eq_u32_e32 vcc_lo, 0, v46
	s_or_b32 s0, vcc_lo, s0
	s_wait_loadcnt_dscnt 0x0
	v_pk_mul_f32 v[52:53], v[50:51], v[48:49] op_sel:[1,1] op_sel_hi:[0,1]
	s_delay_alu instid0(VALU_DEP_1) | instskip(SKIP_1) | instid1(VALU_DEP_2)
	v_pk_fma_f32 v[54:55], v[50:51], v[48:49], v[52:53] op_sel_hi:[1,0,1]
	v_pk_fma_f32 v[48:49], v[50:51], v[48:49], v[52:53] neg_lo:[0,0,1] neg_hi:[0,0,1]
	v_mov_b32_e32 v49, v55
	s_delay_alu instid0(VALU_DEP_1)
	v_pk_add_f32 v[44:45], v[44:45], v[48:49]
	s_and_not1_b32 exec_lo, exec_lo, s0
	s_cbranch_execnz .LBB83_62
; %bb.63:
	s_or_b32 exec_lo, exec_lo, s0
.LBB83_64:
	s_delay_alu instid0(SALU_CYCLE_1) | instskip(SKIP_4) | instid1(VALU_DEP_1)
	s_or_b32 exec_lo, exec_lo, s20
	v_mov_b32_e32 v46, 0
	ds_load_b64 v[46:47], v46 offset:104
	s_wait_dscnt 0x0
	v_pk_mul_f32 v[48:49], v[44:45], v[46:47] op_sel:[1,1] op_sel_hi:[0,1]
	v_pk_fma_f32 v[50:51], v[44:45], v[46:47], v[48:49] op_sel_hi:[1,0,1]
	v_pk_fma_f32 v[44:45], v[44:45], v[46:47], v[48:49] neg_lo:[0,0,1] neg_hi:[0,0,1]
	s_delay_alu instid0(VALU_DEP_2)
	v_mov_b32_e32 v45, v51
	scratch_store_b64 off, v[44:45], off offset:104
.LBB83_65:
	s_wait_xcnt 0x0
	s_or_b32 exec_lo, exec_lo, s19
	scratch_load_b64 v[44:45], off, off offset:96
	v_cmp_lt_u32_e64 s0, 12, v0
	s_wait_loadcnt 0x0
	ds_store_b64 v1, v[44:45]
	s_wait_storecnt_dscnt 0x0
	s_barrier_signal -1
	s_barrier_wait -1
	s_wait_xcnt 0x0
	s_and_saveexec_b32 s18, s0
	s_cbranch_execz .LBB83_75
; %bb.66:
	s_and_not1_b32 vcc_lo, exec_lo, s3
	s_cbranch_vccnz .LBB83_68
; %bb.67:
	scratch_load_b64 v[44:45], v43, off
	ds_load_b64 v[46:47], v1
	s_wait_loadcnt_dscnt 0x0
	v_pk_mul_f32 v[48:49], v[46:47], v[44:45] op_sel:[1,1] op_sel_hi:[0,1]
	s_delay_alu instid0(VALU_DEP_1) | instskip(SKIP_1) | instid1(VALU_DEP_2)
	v_pk_fma_f32 v[50:51], v[46:47], v[44:45], v[48:49] op_sel_hi:[1,0,1]
	v_pk_fma_f32 v[44:45], v[46:47], v[44:45], v[48:49] neg_lo:[0,0,1] neg_hi:[0,0,1]
	v_mov_b32_e32 v45, v51
	s_cbranch_execz .LBB83_69
	s_branch .LBB83_70
.LBB83_68:
                                        ; implicit-def: $vgpr44_vgpr45
.LBB83_69:
	ds_load_b64 v[44:45], v1
.LBB83_70:
	s_and_saveexec_b32 s19, s1
	s_cbranch_execz .LBB83_74
; %bb.71:
	v_add_nc_u32_e32 v46, -13, v0
	s_movk_i32 s20, 0x108
	s_mov_b32 s1, 0
.LBB83_72:                              ; =>This Inner Loop Header: Depth=1
	scratch_load_b64 v[48:49], off, s17
	v_dual_mov_b32 v47, s20 :: v_dual_add_nc_u32 v46, -1, v46
	s_add_co_i32 s20, s20, 8
	s_wait_xcnt 0x0
	s_add_co_i32 s17, s17, 8
	ds_load_b64 v[50:51], v47
	v_cmp_eq_u32_e32 vcc_lo, 0, v46
	s_or_b32 s1, vcc_lo, s1
	s_wait_loadcnt_dscnt 0x0
	v_pk_mul_f32 v[52:53], v[50:51], v[48:49] op_sel:[1,1] op_sel_hi:[0,1]
	s_delay_alu instid0(VALU_DEP_1) | instskip(SKIP_1) | instid1(VALU_DEP_2)
	v_pk_fma_f32 v[54:55], v[50:51], v[48:49], v[52:53] op_sel_hi:[1,0,1]
	v_pk_fma_f32 v[48:49], v[50:51], v[48:49], v[52:53] neg_lo:[0,0,1] neg_hi:[0,0,1]
	v_mov_b32_e32 v49, v55
	s_delay_alu instid0(VALU_DEP_1)
	v_pk_add_f32 v[44:45], v[44:45], v[48:49]
	s_and_not1_b32 exec_lo, exec_lo, s1
	s_cbranch_execnz .LBB83_72
; %bb.73:
	s_or_b32 exec_lo, exec_lo, s1
.LBB83_74:
	s_delay_alu instid0(SALU_CYCLE_1) | instskip(SKIP_4) | instid1(VALU_DEP_1)
	s_or_b32 exec_lo, exec_lo, s19
	v_mov_b32_e32 v46, 0
	ds_load_b64 v[46:47], v46 offset:96
	s_wait_dscnt 0x0
	v_pk_mul_f32 v[48:49], v[44:45], v[46:47] op_sel:[1,1] op_sel_hi:[0,1]
	v_pk_fma_f32 v[50:51], v[44:45], v[46:47], v[48:49] op_sel_hi:[1,0,1]
	v_pk_fma_f32 v[44:45], v[44:45], v[46:47], v[48:49] neg_lo:[0,0,1] neg_hi:[0,0,1]
	s_delay_alu instid0(VALU_DEP_2)
	v_mov_b32_e32 v45, v51
	scratch_store_b64 off, v[44:45], off offset:96
.LBB83_75:
	s_wait_xcnt 0x0
	s_or_b32 exec_lo, exec_lo, s18
	scratch_load_b64 v[44:45], off, off offset:88
	v_cmp_lt_u32_e64 s1, 11, v0
	s_wait_loadcnt 0x0
	ds_store_b64 v1, v[44:45]
	s_wait_storecnt_dscnt 0x0
	s_barrier_signal -1
	s_barrier_wait -1
	s_wait_xcnt 0x0
	s_and_saveexec_b32 s17, s1
	s_cbranch_execz .LBB83_85
; %bb.76:
	s_and_not1_b32 vcc_lo, exec_lo, s3
	s_cbranch_vccnz .LBB83_78
; %bb.77:
	scratch_load_b64 v[44:45], v43, off
	ds_load_b64 v[46:47], v1
	s_wait_loadcnt_dscnt 0x0
	v_pk_mul_f32 v[48:49], v[46:47], v[44:45] op_sel:[1,1] op_sel_hi:[0,1]
	s_delay_alu instid0(VALU_DEP_1) | instskip(SKIP_1) | instid1(VALU_DEP_2)
	v_pk_fma_f32 v[50:51], v[46:47], v[44:45], v[48:49] op_sel_hi:[1,0,1]
	v_pk_fma_f32 v[44:45], v[46:47], v[44:45], v[48:49] neg_lo:[0,0,1] neg_hi:[0,0,1]
	v_mov_b32_e32 v45, v51
	s_cbranch_execz .LBB83_79
	s_branch .LBB83_80
.LBB83_78:
                                        ; implicit-def: $vgpr44_vgpr45
.LBB83_79:
	ds_load_b64 v[44:45], v1
.LBB83_80:
	s_and_saveexec_b32 s18, s0
	s_cbranch_execz .LBB83_84
; %bb.81:
	v_add_nc_u32_e32 v46, -12, v0
	s_movk_i32 s19, 0x100
	s_mov_b32 s0, 0
.LBB83_82:                              ; =>This Inner Loop Header: Depth=1
	scratch_load_b64 v[48:49], off, s16
	v_dual_mov_b32 v47, s19 :: v_dual_add_nc_u32 v46, -1, v46
	s_add_co_i32 s19, s19, 8
	s_wait_xcnt 0x0
	s_add_co_i32 s16, s16, 8
	ds_load_b64 v[50:51], v47
	v_cmp_eq_u32_e32 vcc_lo, 0, v46
	s_or_b32 s0, vcc_lo, s0
	s_wait_loadcnt_dscnt 0x0
	v_pk_mul_f32 v[52:53], v[50:51], v[48:49] op_sel:[1,1] op_sel_hi:[0,1]
	s_delay_alu instid0(VALU_DEP_1) | instskip(SKIP_1) | instid1(VALU_DEP_2)
	v_pk_fma_f32 v[54:55], v[50:51], v[48:49], v[52:53] op_sel_hi:[1,0,1]
	v_pk_fma_f32 v[48:49], v[50:51], v[48:49], v[52:53] neg_lo:[0,0,1] neg_hi:[0,0,1]
	v_mov_b32_e32 v49, v55
	s_delay_alu instid0(VALU_DEP_1)
	v_pk_add_f32 v[44:45], v[44:45], v[48:49]
	s_and_not1_b32 exec_lo, exec_lo, s0
	s_cbranch_execnz .LBB83_82
; %bb.83:
	s_or_b32 exec_lo, exec_lo, s0
.LBB83_84:
	s_delay_alu instid0(SALU_CYCLE_1) | instskip(SKIP_4) | instid1(VALU_DEP_1)
	s_or_b32 exec_lo, exec_lo, s18
	v_mov_b32_e32 v46, 0
	ds_load_b64 v[46:47], v46 offset:88
	s_wait_dscnt 0x0
	v_pk_mul_f32 v[48:49], v[44:45], v[46:47] op_sel:[1,1] op_sel_hi:[0,1]
	v_pk_fma_f32 v[50:51], v[44:45], v[46:47], v[48:49] op_sel_hi:[1,0,1]
	v_pk_fma_f32 v[44:45], v[44:45], v[46:47], v[48:49] neg_lo:[0,0,1] neg_hi:[0,0,1]
	s_delay_alu instid0(VALU_DEP_2)
	v_mov_b32_e32 v45, v51
	scratch_store_b64 off, v[44:45], off offset:88
.LBB83_85:
	s_wait_xcnt 0x0
	s_or_b32 exec_lo, exec_lo, s17
	scratch_load_b64 v[44:45], off, off offset:80
	v_cmp_lt_u32_e64 s0, 10, v0
	s_wait_loadcnt 0x0
	ds_store_b64 v1, v[44:45]
	s_wait_storecnt_dscnt 0x0
	s_barrier_signal -1
	s_barrier_wait -1
	s_wait_xcnt 0x0
	s_and_saveexec_b32 s16, s0
	s_cbranch_execz .LBB83_95
; %bb.86:
	s_and_not1_b32 vcc_lo, exec_lo, s3
	s_cbranch_vccnz .LBB83_88
; %bb.87:
	scratch_load_b64 v[44:45], v43, off
	ds_load_b64 v[46:47], v1
	s_wait_loadcnt_dscnt 0x0
	v_pk_mul_f32 v[48:49], v[46:47], v[44:45] op_sel:[1,1] op_sel_hi:[0,1]
	s_delay_alu instid0(VALU_DEP_1) | instskip(SKIP_1) | instid1(VALU_DEP_2)
	v_pk_fma_f32 v[50:51], v[46:47], v[44:45], v[48:49] op_sel_hi:[1,0,1]
	v_pk_fma_f32 v[44:45], v[46:47], v[44:45], v[48:49] neg_lo:[0,0,1] neg_hi:[0,0,1]
	v_mov_b32_e32 v45, v51
	s_cbranch_execz .LBB83_89
	s_branch .LBB83_90
.LBB83_88:
                                        ; implicit-def: $vgpr44_vgpr45
.LBB83_89:
	ds_load_b64 v[44:45], v1
.LBB83_90:
	s_and_saveexec_b32 s17, s1
	s_cbranch_execz .LBB83_94
; %bb.91:
	v_add_nc_u32_e32 v46, -11, v0
	s_movk_i32 s18, 0xf8
	s_mov_b32 s1, 0
.LBB83_92:                              ; =>This Inner Loop Header: Depth=1
	scratch_load_b64 v[48:49], off, s15
	v_dual_mov_b32 v47, s18 :: v_dual_add_nc_u32 v46, -1, v46
	s_add_co_i32 s18, s18, 8
	s_wait_xcnt 0x0
	s_add_co_i32 s15, s15, 8
	ds_load_b64 v[50:51], v47
	v_cmp_eq_u32_e32 vcc_lo, 0, v46
	s_or_b32 s1, vcc_lo, s1
	s_wait_loadcnt_dscnt 0x0
	v_pk_mul_f32 v[52:53], v[50:51], v[48:49] op_sel:[1,1] op_sel_hi:[0,1]
	s_delay_alu instid0(VALU_DEP_1) | instskip(SKIP_1) | instid1(VALU_DEP_2)
	v_pk_fma_f32 v[54:55], v[50:51], v[48:49], v[52:53] op_sel_hi:[1,0,1]
	v_pk_fma_f32 v[48:49], v[50:51], v[48:49], v[52:53] neg_lo:[0,0,1] neg_hi:[0,0,1]
	v_mov_b32_e32 v49, v55
	s_delay_alu instid0(VALU_DEP_1)
	v_pk_add_f32 v[44:45], v[44:45], v[48:49]
	s_and_not1_b32 exec_lo, exec_lo, s1
	s_cbranch_execnz .LBB83_92
; %bb.93:
	s_or_b32 exec_lo, exec_lo, s1
.LBB83_94:
	s_delay_alu instid0(SALU_CYCLE_1) | instskip(SKIP_4) | instid1(VALU_DEP_1)
	s_or_b32 exec_lo, exec_lo, s17
	v_mov_b32_e32 v46, 0
	ds_load_b64 v[46:47], v46 offset:80
	s_wait_dscnt 0x0
	v_pk_mul_f32 v[48:49], v[44:45], v[46:47] op_sel:[1,1] op_sel_hi:[0,1]
	v_pk_fma_f32 v[50:51], v[44:45], v[46:47], v[48:49] op_sel_hi:[1,0,1]
	v_pk_fma_f32 v[44:45], v[44:45], v[46:47], v[48:49] neg_lo:[0,0,1] neg_hi:[0,0,1]
	s_delay_alu instid0(VALU_DEP_2)
	v_mov_b32_e32 v45, v51
	scratch_store_b64 off, v[44:45], off offset:80
.LBB83_95:
	s_wait_xcnt 0x0
	s_or_b32 exec_lo, exec_lo, s16
	scratch_load_b64 v[44:45], off, off offset:72
	v_cmp_lt_u32_e64 s1, 9, v0
	s_wait_loadcnt 0x0
	ds_store_b64 v1, v[44:45]
	s_wait_storecnt_dscnt 0x0
	s_barrier_signal -1
	s_barrier_wait -1
	s_wait_xcnt 0x0
	s_and_saveexec_b32 s15, s1
	s_cbranch_execz .LBB83_105
; %bb.96:
	s_and_not1_b32 vcc_lo, exec_lo, s3
	s_cbranch_vccnz .LBB83_98
; %bb.97:
	scratch_load_b64 v[44:45], v43, off
	ds_load_b64 v[46:47], v1
	s_wait_loadcnt_dscnt 0x0
	v_pk_mul_f32 v[48:49], v[46:47], v[44:45] op_sel:[1,1] op_sel_hi:[0,1]
	s_delay_alu instid0(VALU_DEP_1) | instskip(SKIP_1) | instid1(VALU_DEP_2)
	v_pk_fma_f32 v[50:51], v[46:47], v[44:45], v[48:49] op_sel_hi:[1,0,1]
	v_pk_fma_f32 v[44:45], v[46:47], v[44:45], v[48:49] neg_lo:[0,0,1] neg_hi:[0,0,1]
	v_mov_b32_e32 v45, v51
	s_cbranch_execz .LBB83_99
	s_branch .LBB83_100
.LBB83_98:
                                        ; implicit-def: $vgpr44_vgpr45
.LBB83_99:
	ds_load_b64 v[44:45], v1
.LBB83_100:
	s_and_saveexec_b32 s16, s0
	s_cbranch_execz .LBB83_104
; %bb.101:
	v_add_nc_u32_e32 v46, -10, v0
	s_movk_i32 s17, 0xf0
	s_mov_b32 s0, 0
.LBB83_102:                             ; =>This Inner Loop Header: Depth=1
	scratch_load_b64 v[48:49], off, s14
	v_dual_mov_b32 v47, s17 :: v_dual_add_nc_u32 v46, -1, v46
	s_add_co_i32 s17, s17, 8
	s_wait_xcnt 0x0
	s_add_co_i32 s14, s14, 8
	ds_load_b64 v[50:51], v47
	v_cmp_eq_u32_e32 vcc_lo, 0, v46
	s_or_b32 s0, vcc_lo, s0
	s_wait_loadcnt_dscnt 0x0
	v_pk_mul_f32 v[52:53], v[50:51], v[48:49] op_sel:[1,1] op_sel_hi:[0,1]
	s_delay_alu instid0(VALU_DEP_1) | instskip(SKIP_1) | instid1(VALU_DEP_2)
	v_pk_fma_f32 v[54:55], v[50:51], v[48:49], v[52:53] op_sel_hi:[1,0,1]
	v_pk_fma_f32 v[48:49], v[50:51], v[48:49], v[52:53] neg_lo:[0,0,1] neg_hi:[0,0,1]
	v_mov_b32_e32 v49, v55
	s_delay_alu instid0(VALU_DEP_1)
	v_pk_add_f32 v[44:45], v[44:45], v[48:49]
	s_and_not1_b32 exec_lo, exec_lo, s0
	s_cbranch_execnz .LBB83_102
; %bb.103:
	s_or_b32 exec_lo, exec_lo, s0
.LBB83_104:
	s_delay_alu instid0(SALU_CYCLE_1) | instskip(SKIP_4) | instid1(VALU_DEP_1)
	s_or_b32 exec_lo, exec_lo, s16
	v_mov_b32_e32 v46, 0
	ds_load_b64 v[46:47], v46 offset:72
	s_wait_dscnt 0x0
	v_pk_mul_f32 v[48:49], v[44:45], v[46:47] op_sel:[1,1] op_sel_hi:[0,1]
	v_pk_fma_f32 v[50:51], v[44:45], v[46:47], v[48:49] op_sel_hi:[1,0,1]
	v_pk_fma_f32 v[44:45], v[44:45], v[46:47], v[48:49] neg_lo:[0,0,1] neg_hi:[0,0,1]
	s_delay_alu instid0(VALU_DEP_2)
	v_mov_b32_e32 v45, v51
	scratch_store_b64 off, v[44:45], off offset:72
.LBB83_105:
	s_wait_xcnt 0x0
	s_or_b32 exec_lo, exec_lo, s15
	scratch_load_b64 v[44:45], off, off offset:64
	v_cmp_lt_u32_e64 s0, 8, v0
	s_wait_loadcnt 0x0
	ds_store_b64 v1, v[44:45]
	s_wait_storecnt_dscnt 0x0
	s_barrier_signal -1
	s_barrier_wait -1
	s_wait_xcnt 0x0
	s_and_saveexec_b32 s14, s0
	s_cbranch_execz .LBB83_115
; %bb.106:
	s_and_not1_b32 vcc_lo, exec_lo, s3
	s_cbranch_vccnz .LBB83_108
; %bb.107:
	scratch_load_b64 v[44:45], v43, off
	ds_load_b64 v[46:47], v1
	s_wait_loadcnt_dscnt 0x0
	v_pk_mul_f32 v[48:49], v[46:47], v[44:45] op_sel:[1,1] op_sel_hi:[0,1]
	s_delay_alu instid0(VALU_DEP_1) | instskip(SKIP_1) | instid1(VALU_DEP_2)
	v_pk_fma_f32 v[50:51], v[46:47], v[44:45], v[48:49] op_sel_hi:[1,0,1]
	v_pk_fma_f32 v[44:45], v[46:47], v[44:45], v[48:49] neg_lo:[0,0,1] neg_hi:[0,0,1]
	v_mov_b32_e32 v45, v51
	s_cbranch_execz .LBB83_109
	s_branch .LBB83_110
.LBB83_108:
                                        ; implicit-def: $vgpr44_vgpr45
.LBB83_109:
	ds_load_b64 v[44:45], v1
.LBB83_110:
	s_and_saveexec_b32 s15, s1
	s_cbranch_execz .LBB83_114
; %bb.111:
	v_add_nc_u32_e32 v46, -9, v0
	s_movk_i32 s16, 0xe8
	s_mov_b32 s1, 0
.LBB83_112:                             ; =>This Inner Loop Header: Depth=1
	scratch_load_b64 v[48:49], off, s13
	v_dual_mov_b32 v47, s16 :: v_dual_add_nc_u32 v46, -1, v46
	s_add_co_i32 s16, s16, 8
	s_wait_xcnt 0x0
	s_add_co_i32 s13, s13, 8
	ds_load_b64 v[50:51], v47
	v_cmp_eq_u32_e32 vcc_lo, 0, v46
	s_or_b32 s1, vcc_lo, s1
	s_wait_loadcnt_dscnt 0x0
	v_pk_mul_f32 v[52:53], v[50:51], v[48:49] op_sel:[1,1] op_sel_hi:[0,1]
	s_delay_alu instid0(VALU_DEP_1) | instskip(SKIP_1) | instid1(VALU_DEP_2)
	v_pk_fma_f32 v[54:55], v[50:51], v[48:49], v[52:53] op_sel_hi:[1,0,1]
	v_pk_fma_f32 v[48:49], v[50:51], v[48:49], v[52:53] neg_lo:[0,0,1] neg_hi:[0,0,1]
	v_mov_b32_e32 v49, v55
	s_delay_alu instid0(VALU_DEP_1)
	v_pk_add_f32 v[44:45], v[44:45], v[48:49]
	s_and_not1_b32 exec_lo, exec_lo, s1
	s_cbranch_execnz .LBB83_112
; %bb.113:
	s_or_b32 exec_lo, exec_lo, s1
.LBB83_114:
	s_delay_alu instid0(SALU_CYCLE_1) | instskip(SKIP_4) | instid1(VALU_DEP_1)
	s_or_b32 exec_lo, exec_lo, s15
	v_mov_b32_e32 v46, 0
	ds_load_b64 v[46:47], v46 offset:64
	s_wait_dscnt 0x0
	v_pk_mul_f32 v[48:49], v[44:45], v[46:47] op_sel:[1,1] op_sel_hi:[0,1]
	v_pk_fma_f32 v[50:51], v[44:45], v[46:47], v[48:49] op_sel_hi:[1,0,1]
	v_pk_fma_f32 v[44:45], v[44:45], v[46:47], v[48:49] neg_lo:[0,0,1] neg_hi:[0,0,1]
	s_delay_alu instid0(VALU_DEP_2)
	v_mov_b32_e32 v45, v51
	scratch_store_b64 off, v[44:45], off offset:64
.LBB83_115:
	s_wait_xcnt 0x0
	s_or_b32 exec_lo, exec_lo, s14
	scratch_load_b64 v[44:45], off, off offset:56
	v_cmp_lt_u32_e64 s1, 7, v0
	s_wait_loadcnt 0x0
	ds_store_b64 v1, v[44:45]
	s_wait_storecnt_dscnt 0x0
	s_barrier_signal -1
	s_barrier_wait -1
	s_wait_xcnt 0x0
	s_and_saveexec_b32 s13, s1
	s_cbranch_execz .LBB83_125
; %bb.116:
	s_and_not1_b32 vcc_lo, exec_lo, s3
	s_cbranch_vccnz .LBB83_118
; %bb.117:
	scratch_load_b64 v[44:45], v43, off
	ds_load_b64 v[46:47], v1
	s_wait_loadcnt_dscnt 0x0
	v_pk_mul_f32 v[48:49], v[46:47], v[44:45] op_sel:[1,1] op_sel_hi:[0,1]
	s_delay_alu instid0(VALU_DEP_1) | instskip(SKIP_1) | instid1(VALU_DEP_2)
	v_pk_fma_f32 v[50:51], v[46:47], v[44:45], v[48:49] op_sel_hi:[1,0,1]
	v_pk_fma_f32 v[44:45], v[46:47], v[44:45], v[48:49] neg_lo:[0,0,1] neg_hi:[0,0,1]
	v_mov_b32_e32 v45, v51
	s_cbranch_execz .LBB83_119
	s_branch .LBB83_120
.LBB83_118:
                                        ; implicit-def: $vgpr44_vgpr45
.LBB83_119:
	ds_load_b64 v[44:45], v1
.LBB83_120:
	s_and_saveexec_b32 s14, s0
	s_cbranch_execz .LBB83_124
; %bb.121:
	v_add_nc_u32_e32 v46, -8, v0
	s_movk_i32 s15, 0xe0
	s_mov_b32 s0, 0
.LBB83_122:                             ; =>This Inner Loop Header: Depth=1
	scratch_load_b64 v[48:49], off, s12
	v_dual_mov_b32 v47, s15 :: v_dual_add_nc_u32 v46, -1, v46
	s_add_co_i32 s15, s15, 8
	s_wait_xcnt 0x0
	s_add_co_i32 s12, s12, 8
	ds_load_b64 v[50:51], v47
	v_cmp_eq_u32_e32 vcc_lo, 0, v46
	s_or_b32 s0, vcc_lo, s0
	s_wait_loadcnt_dscnt 0x0
	v_pk_mul_f32 v[52:53], v[50:51], v[48:49] op_sel:[1,1] op_sel_hi:[0,1]
	s_delay_alu instid0(VALU_DEP_1) | instskip(SKIP_1) | instid1(VALU_DEP_2)
	v_pk_fma_f32 v[54:55], v[50:51], v[48:49], v[52:53] op_sel_hi:[1,0,1]
	v_pk_fma_f32 v[48:49], v[50:51], v[48:49], v[52:53] neg_lo:[0,0,1] neg_hi:[0,0,1]
	v_mov_b32_e32 v49, v55
	s_delay_alu instid0(VALU_DEP_1)
	v_pk_add_f32 v[44:45], v[44:45], v[48:49]
	s_and_not1_b32 exec_lo, exec_lo, s0
	s_cbranch_execnz .LBB83_122
; %bb.123:
	s_or_b32 exec_lo, exec_lo, s0
.LBB83_124:
	s_delay_alu instid0(SALU_CYCLE_1) | instskip(SKIP_4) | instid1(VALU_DEP_1)
	s_or_b32 exec_lo, exec_lo, s14
	v_mov_b32_e32 v46, 0
	ds_load_b64 v[46:47], v46 offset:56
	s_wait_dscnt 0x0
	v_pk_mul_f32 v[48:49], v[44:45], v[46:47] op_sel:[1,1] op_sel_hi:[0,1]
	v_pk_fma_f32 v[50:51], v[44:45], v[46:47], v[48:49] op_sel_hi:[1,0,1]
	v_pk_fma_f32 v[44:45], v[44:45], v[46:47], v[48:49] neg_lo:[0,0,1] neg_hi:[0,0,1]
	s_delay_alu instid0(VALU_DEP_2)
	v_mov_b32_e32 v45, v51
	scratch_store_b64 off, v[44:45], off offset:56
.LBB83_125:
	s_wait_xcnt 0x0
	s_or_b32 exec_lo, exec_lo, s13
	scratch_load_b64 v[44:45], off, off offset:48
	v_cmp_lt_u32_e64 s0, 6, v0
	s_wait_loadcnt 0x0
	ds_store_b64 v1, v[44:45]
	s_wait_storecnt_dscnt 0x0
	s_barrier_signal -1
	s_barrier_wait -1
	s_wait_xcnt 0x0
	s_and_saveexec_b32 s12, s0
	s_cbranch_execz .LBB83_135
; %bb.126:
	s_and_not1_b32 vcc_lo, exec_lo, s3
	s_cbranch_vccnz .LBB83_128
; %bb.127:
	scratch_load_b64 v[44:45], v43, off
	ds_load_b64 v[46:47], v1
	s_wait_loadcnt_dscnt 0x0
	v_pk_mul_f32 v[48:49], v[46:47], v[44:45] op_sel:[1,1] op_sel_hi:[0,1]
	s_delay_alu instid0(VALU_DEP_1) | instskip(SKIP_1) | instid1(VALU_DEP_2)
	v_pk_fma_f32 v[50:51], v[46:47], v[44:45], v[48:49] op_sel_hi:[1,0,1]
	v_pk_fma_f32 v[44:45], v[46:47], v[44:45], v[48:49] neg_lo:[0,0,1] neg_hi:[0,0,1]
	v_mov_b32_e32 v45, v51
	s_cbranch_execz .LBB83_129
	s_branch .LBB83_130
.LBB83_128:
                                        ; implicit-def: $vgpr44_vgpr45
.LBB83_129:
	ds_load_b64 v[44:45], v1
.LBB83_130:
	s_and_saveexec_b32 s13, s1
	s_cbranch_execz .LBB83_134
; %bb.131:
	v_add_nc_u32_e32 v46, -7, v0
	s_movk_i32 s14, 0xd8
	s_mov_b32 s1, 0
.LBB83_132:                             ; =>This Inner Loop Header: Depth=1
	scratch_load_b64 v[48:49], off, s11
	v_dual_mov_b32 v47, s14 :: v_dual_add_nc_u32 v46, -1, v46
	s_add_co_i32 s14, s14, 8
	s_wait_xcnt 0x0
	s_add_co_i32 s11, s11, 8
	ds_load_b64 v[50:51], v47
	v_cmp_eq_u32_e32 vcc_lo, 0, v46
	s_or_b32 s1, vcc_lo, s1
	s_wait_loadcnt_dscnt 0x0
	v_pk_mul_f32 v[52:53], v[50:51], v[48:49] op_sel:[1,1] op_sel_hi:[0,1]
	s_delay_alu instid0(VALU_DEP_1) | instskip(SKIP_1) | instid1(VALU_DEP_2)
	v_pk_fma_f32 v[54:55], v[50:51], v[48:49], v[52:53] op_sel_hi:[1,0,1]
	v_pk_fma_f32 v[48:49], v[50:51], v[48:49], v[52:53] neg_lo:[0,0,1] neg_hi:[0,0,1]
	v_mov_b32_e32 v49, v55
	s_delay_alu instid0(VALU_DEP_1)
	v_pk_add_f32 v[44:45], v[44:45], v[48:49]
	s_and_not1_b32 exec_lo, exec_lo, s1
	s_cbranch_execnz .LBB83_132
; %bb.133:
	s_or_b32 exec_lo, exec_lo, s1
.LBB83_134:
	s_delay_alu instid0(SALU_CYCLE_1) | instskip(SKIP_4) | instid1(VALU_DEP_1)
	s_or_b32 exec_lo, exec_lo, s13
	v_mov_b32_e32 v46, 0
	ds_load_b64 v[46:47], v46 offset:48
	s_wait_dscnt 0x0
	v_pk_mul_f32 v[48:49], v[44:45], v[46:47] op_sel:[1,1] op_sel_hi:[0,1]
	v_pk_fma_f32 v[50:51], v[44:45], v[46:47], v[48:49] op_sel_hi:[1,0,1]
	v_pk_fma_f32 v[44:45], v[44:45], v[46:47], v[48:49] neg_lo:[0,0,1] neg_hi:[0,0,1]
	s_delay_alu instid0(VALU_DEP_2)
	v_mov_b32_e32 v45, v51
	scratch_store_b64 off, v[44:45], off offset:48
.LBB83_135:
	s_wait_xcnt 0x0
	s_or_b32 exec_lo, exec_lo, s12
	scratch_load_b64 v[44:45], off, off offset:40
	v_cmp_lt_u32_e64 s1, 5, v0
	s_wait_loadcnt 0x0
	ds_store_b64 v1, v[44:45]
	s_wait_storecnt_dscnt 0x0
	s_barrier_signal -1
	s_barrier_wait -1
	s_wait_xcnt 0x0
	s_and_saveexec_b32 s11, s1
	s_cbranch_execz .LBB83_145
; %bb.136:
	s_and_not1_b32 vcc_lo, exec_lo, s3
	s_cbranch_vccnz .LBB83_138
; %bb.137:
	scratch_load_b64 v[44:45], v43, off
	ds_load_b64 v[46:47], v1
	s_wait_loadcnt_dscnt 0x0
	v_pk_mul_f32 v[48:49], v[46:47], v[44:45] op_sel:[1,1] op_sel_hi:[0,1]
	s_delay_alu instid0(VALU_DEP_1) | instskip(SKIP_1) | instid1(VALU_DEP_2)
	v_pk_fma_f32 v[50:51], v[46:47], v[44:45], v[48:49] op_sel_hi:[1,0,1]
	v_pk_fma_f32 v[44:45], v[46:47], v[44:45], v[48:49] neg_lo:[0,0,1] neg_hi:[0,0,1]
	v_mov_b32_e32 v45, v51
	s_cbranch_execz .LBB83_139
	s_branch .LBB83_140
.LBB83_138:
                                        ; implicit-def: $vgpr44_vgpr45
.LBB83_139:
	ds_load_b64 v[44:45], v1
.LBB83_140:
	s_and_saveexec_b32 s12, s0
	s_cbranch_execz .LBB83_144
; %bb.141:
	v_add_nc_u32_e32 v46, -6, v0
	s_movk_i32 s13, 0xd0
	s_mov_b32 s0, 0
.LBB83_142:                             ; =>This Inner Loop Header: Depth=1
	scratch_load_b64 v[48:49], off, s10
	v_dual_mov_b32 v47, s13 :: v_dual_add_nc_u32 v46, -1, v46
	s_add_co_i32 s13, s13, 8
	s_wait_xcnt 0x0
	s_add_co_i32 s10, s10, 8
	ds_load_b64 v[50:51], v47
	v_cmp_eq_u32_e32 vcc_lo, 0, v46
	s_or_b32 s0, vcc_lo, s0
	s_wait_loadcnt_dscnt 0x0
	v_pk_mul_f32 v[52:53], v[50:51], v[48:49] op_sel:[1,1] op_sel_hi:[0,1]
	s_delay_alu instid0(VALU_DEP_1) | instskip(SKIP_1) | instid1(VALU_DEP_2)
	v_pk_fma_f32 v[54:55], v[50:51], v[48:49], v[52:53] op_sel_hi:[1,0,1]
	v_pk_fma_f32 v[48:49], v[50:51], v[48:49], v[52:53] neg_lo:[0,0,1] neg_hi:[0,0,1]
	v_mov_b32_e32 v49, v55
	s_delay_alu instid0(VALU_DEP_1)
	v_pk_add_f32 v[44:45], v[44:45], v[48:49]
	s_and_not1_b32 exec_lo, exec_lo, s0
	s_cbranch_execnz .LBB83_142
; %bb.143:
	s_or_b32 exec_lo, exec_lo, s0
.LBB83_144:
	s_delay_alu instid0(SALU_CYCLE_1) | instskip(SKIP_4) | instid1(VALU_DEP_1)
	s_or_b32 exec_lo, exec_lo, s12
	v_mov_b32_e32 v46, 0
	ds_load_b64 v[46:47], v46 offset:40
	s_wait_dscnt 0x0
	v_pk_mul_f32 v[48:49], v[44:45], v[46:47] op_sel:[1,1] op_sel_hi:[0,1]
	v_pk_fma_f32 v[50:51], v[44:45], v[46:47], v[48:49] op_sel_hi:[1,0,1]
	v_pk_fma_f32 v[44:45], v[44:45], v[46:47], v[48:49] neg_lo:[0,0,1] neg_hi:[0,0,1]
	s_delay_alu instid0(VALU_DEP_2)
	v_mov_b32_e32 v45, v51
	scratch_store_b64 off, v[44:45], off offset:40
.LBB83_145:
	s_wait_xcnt 0x0
	s_or_b32 exec_lo, exec_lo, s11
	scratch_load_b64 v[44:45], off, off offset:32
	v_cmp_lt_u32_e64 s0, 4, v0
	s_wait_loadcnt 0x0
	ds_store_b64 v1, v[44:45]
	s_wait_storecnt_dscnt 0x0
	s_barrier_signal -1
	s_barrier_wait -1
	s_wait_xcnt 0x0
	s_and_saveexec_b32 s10, s0
	s_cbranch_execz .LBB83_155
; %bb.146:
	s_and_not1_b32 vcc_lo, exec_lo, s3
	s_cbranch_vccnz .LBB83_148
; %bb.147:
	scratch_load_b64 v[44:45], v43, off
	ds_load_b64 v[46:47], v1
	s_wait_loadcnt_dscnt 0x0
	v_pk_mul_f32 v[48:49], v[46:47], v[44:45] op_sel:[1,1] op_sel_hi:[0,1]
	s_delay_alu instid0(VALU_DEP_1) | instskip(SKIP_1) | instid1(VALU_DEP_2)
	v_pk_fma_f32 v[50:51], v[46:47], v[44:45], v[48:49] op_sel_hi:[1,0,1]
	v_pk_fma_f32 v[44:45], v[46:47], v[44:45], v[48:49] neg_lo:[0,0,1] neg_hi:[0,0,1]
	v_mov_b32_e32 v45, v51
	s_cbranch_execz .LBB83_149
	s_branch .LBB83_150
.LBB83_148:
                                        ; implicit-def: $vgpr44_vgpr45
.LBB83_149:
	ds_load_b64 v[44:45], v1
.LBB83_150:
	s_and_saveexec_b32 s11, s1
	s_cbranch_execz .LBB83_154
; %bb.151:
	v_add_nc_u32_e32 v46, -5, v0
	s_movk_i32 s12, 0xc8
	s_mov_b32 s1, 0
.LBB83_152:                             ; =>This Inner Loop Header: Depth=1
	scratch_load_b64 v[48:49], off, s9
	v_dual_mov_b32 v47, s12 :: v_dual_add_nc_u32 v46, -1, v46
	s_add_co_i32 s12, s12, 8
	s_wait_xcnt 0x0
	s_add_co_i32 s9, s9, 8
	ds_load_b64 v[50:51], v47
	v_cmp_eq_u32_e32 vcc_lo, 0, v46
	s_or_b32 s1, vcc_lo, s1
	s_wait_loadcnt_dscnt 0x0
	v_pk_mul_f32 v[52:53], v[50:51], v[48:49] op_sel:[1,1] op_sel_hi:[0,1]
	s_delay_alu instid0(VALU_DEP_1) | instskip(SKIP_1) | instid1(VALU_DEP_2)
	v_pk_fma_f32 v[54:55], v[50:51], v[48:49], v[52:53] op_sel_hi:[1,0,1]
	v_pk_fma_f32 v[48:49], v[50:51], v[48:49], v[52:53] neg_lo:[0,0,1] neg_hi:[0,0,1]
	v_mov_b32_e32 v49, v55
	s_delay_alu instid0(VALU_DEP_1)
	v_pk_add_f32 v[44:45], v[44:45], v[48:49]
	s_and_not1_b32 exec_lo, exec_lo, s1
	s_cbranch_execnz .LBB83_152
; %bb.153:
	s_or_b32 exec_lo, exec_lo, s1
.LBB83_154:
	s_delay_alu instid0(SALU_CYCLE_1) | instskip(SKIP_4) | instid1(VALU_DEP_1)
	s_or_b32 exec_lo, exec_lo, s11
	v_mov_b32_e32 v46, 0
	ds_load_b64 v[46:47], v46 offset:32
	s_wait_dscnt 0x0
	v_pk_mul_f32 v[48:49], v[44:45], v[46:47] op_sel:[1,1] op_sel_hi:[0,1]
	v_pk_fma_f32 v[50:51], v[44:45], v[46:47], v[48:49] op_sel_hi:[1,0,1]
	v_pk_fma_f32 v[44:45], v[44:45], v[46:47], v[48:49] neg_lo:[0,0,1] neg_hi:[0,0,1]
	s_delay_alu instid0(VALU_DEP_2)
	v_mov_b32_e32 v45, v51
	scratch_store_b64 off, v[44:45], off offset:32
.LBB83_155:
	s_wait_xcnt 0x0
	s_or_b32 exec_lo, exec_lo, s10
	scratch_load_b64 v[44:45], off, off offset:24
	v_cmp_lt_u32_e64 s1, 3, v0
	s_wait_loadcnt 0x0
	ds_store_b64 v1, v[44:45]
	s_wait_storecnt_dscnt 0x0
	s_barrier_signal -1
	s_barrier_wait -1
	s_wait_xcnt 0x0
	s_and_saveexec_b32 s9, s1
	s_cbranch_execz .LBB83_165
; %bb.156:
	s_and_not1_b32 vcc_lo, exec_lo, s3
	s_cbranch_vccnz .LBB83_158
; %bb.157:
	scratch_load_b64 v[44:45], v43, off
	ds_load_b64 v[46:47], v1
	s_wait_loadcnt_dscnt 0x0
	v_pk_mul_f32 v[48:49], v[46:47], v[44:45] op_sel:[1,1] op_sel_hi:[0,1]
	s_delay_alu instid0(VALU_DEP_1) | instskip(SKIP_1) | instid1(VALU_DEP_2)
	v_pk_fma_f32 v[50:51], v[46:47], v[44:45], v[48:49] op_sel_hi:[1,0,1]
	v_pk_fma_f32 v[44:45], v[46:47], v[44:45], v[48:49] neg_lo:[0,0,1] neg_hi:[0,0,1]
	v_mov_b32_e32 v45, v51
	s_cbranch_execz .LBB83_159
	s_branch .LBB83_160
.LBB83_158:
                                        ; implicit-def: $vgpr44_vgpr45
.LBB83_159:
	ds_load_b64 v[44:45], v1
.LBB83_160:
	s_and_saveexec_b32 s10, s0
	s_cbranch_execz .LBB83_164
; %bb.161:
	v_add_nc_u32_e32 v46, -4, v0
	s_movk_i32 s11, 0xc0
	s_mov_b32 s0, 0
.LBB83_162:                             ; =>This Inner Loop Header: Depth=1
	scratch_load_b64 v[48:49], off, s2
	v_dual_mov_b32 v47, s11 :: v_dual_add_nc_u32 v46, -1, v46
	s_add_co_i32 s11, s11, 8
	s_wait_xcnt 0x0
	s_add_co_i32 s2, s2, 8
	ds_load_b64 v[50:51], v47
	v_cmp_eq_u32_e32 vcc_lo, 0, v46
	s_or_b32 s0, vcc_lo, s0
	s_wait_loadcnt_dscnt 0x0
	v_pk_mul_f32 v[52:53], v[50:51], v[48:49] op_sel:[1,1] op_sel_hi:[0,1]
	s_delay_alu instid0(VALU_DEP_1) | instskip(SKIP_1) | instid1(VALU_DEP_2)
	v_pk_fma_f32 v[54:55], v[50:51], v[48:49], v[52:53] op_sel_hi:[1,0,1]
	v_pk_fma_f32 v[48:49], v[50:51], v[48:49], v[52:53] neg_lo:[0,0,1] neg_hi:[0,0,1]
	v_mov_b32_e32 v49, v55
	s_delay_alu instid0(VALU_DEP_1)
	v_pk_add_f32 v[44:45], v[44:45], v[48:49]
	s_and_not1_b32 exec_lo, exec_lo, s0
	s_cbranch_execnz .LBB83_162
; %bb.163:
	s_or_b32 exec_lo, exec_lo, s0
.LBB83_164:
	s_delay_alu instid0(SALU_CYCLE_1) | instskip(SKIP_4) | instid1(VALU_DEP_1)
	s_or_b32 exec_lo, exec_lo, s10
	v_mov_b32_e32 v46, 0
	ds_load_b64 v[46:47], v46 offset:24
	s_wait_dscnt 0x0
	v_pk_mul_f32 v[48:49], v[44:45], v[46:47] op_sel:[1,1] op_sel_hi:[0,1]
	v_pk_fma_f32 v[50:51], v[44:45], v[46:47], v[48:49] op_sel_hi:[1,0,1]
	v_pk_fma_f32 v[44:45], v[44:45], v[46:47], v[48:49] neg_lo:[0,0,1] neg_hi:[0,0,1]
	s_delay_alu instid0(VALU_DEP_2)
	v_mov_b32_e32 v45, v51
	scratch_store_b64 off, v[44:45], off offset:24
.LBB83_165:
	s_wait_xcnt 0x0
	s_or_b32 exec_lo, exec_lo, s9
	scratch_load_b64 v[44:45], off, off offset:16
	v_cmp_lt_u32_e64 s2, 2, v0
	s_wait_loadcnt 0x0
	ds_store_b64 v1, v[44:45]
	s_wait_storecnt_dscnt 0x0
	s_barrier_signal -1
	s_barrier_wait -1
	s_wait_xcnt 0x0
	s_and_saveexec_b32 s0, s2
	s_cbranch_execz .LBB83_175
; %bb.166:
	s_and_not1_b32 vcc_lo, exec_lo, s3
	s_cbranch_vccnz .LBB83_168
; %bb.167:
	scratch_load_b64 v[44:45], v43, off
	ds_load_b64 v[46:47], v1
	s_wait_loadcnt_dscnt 0x0
	v_pk_mul_f32 v[48:49], v[46:47], v[44:45] op_sel:[1,1] op_sel_hi:[0,1]
	s_delay_alu instid0(VALU_DEP_1) | instskip(SKIP_1) | instid1(VALU_DEP_2)
	v_pk_fma_f32 v[50:51], v[46:47], v[44:45], v[48:49] op_sel_hi:[1,0,1]
	v_pk_fma_f32 v[44:45], v[46:47], v[44:45], v[48:49] neg_lo:[0,0,1] neg_hi:[0,0,1]
	v_mov_b32_e32 v45, v51
	s_cbranch_execz .LBB83_169
	s_branch .LBB83_170
.LBB83_168:
                                        ; implicit-def: $vgpr44_vgpr45
.LBB83_169:
	ds_load_b64 v[44:45], v1
.LBB83_170:
	s_and_saveexec_b32 s9, s1
	s_cbranch_execz .LBB83_174
; %bb.171:
	v_add_nc_u32_e32 v46, -3, v0
	s_movk_i32 s10, 0xb8
	s_mov_b32 s1, 0
.LBB83_172:                             ; =>This Inner Loop Header: Depth=1
	scratch_load_b64 v[48:49], off, s8
	v_dual_mov_b32 v47, s10 :: v_dual_add_nc_u32 v46, -1, v46
	s_add_co_i32 s10, s10, 8
	s_wait_xcnt 0x0
	s_add_co_i32 s8, s8, 8
	ds_load_b64 v[50:51], v47
	v_cmp_eq_u32_e32 vcc_lo, 0, v46
	s_or_b32 s1, vcc_lo, s1
	s_wait_loadcnt_dscnt 0x0
	v_pk_mul_f32 v[52:53], v[50:51], v[48:49] op_sel:[1,1] op_sel_hi:[0,1]
	s_delay_alu instid0(VALU_DEP_1) | instskip(SKIP_1) | instid1(VALU_DEP_2)
	v_pk_fma_f32 v[54:55], v[50:51], v[48:49], v[52:53] op_sel_hi:[1,0,1]
	v_pk_fma_f32 v[48:49], v[50:51], v[48:49], v[52:53] neg_lo:[0,0,1] neg_hi:[0,0,1]
	v_mov_b32_e32 v49, v55
	s_delay_alu instid0(VALU_DEP_1)
	v_pk_add_f32 v[44:45], v[44:45], v[48:49]
	s_and_not1_b32 exec_lo, exec_lo, s1
	s_cbranch_execnz .LBB83_172
; %bb.173:
	s_or_b32 exec_lo, exec_lo, s1
.LBB83_174:
	s_delay_alu instid0(SALU_CYCLE_1) | instskip(SKIP_4) | instid1(VALU_DEP_1)
	s_or_b32 exec_lo, exec_lo, s9
	v_mov_b32_e32 v46, 0
	ds_load_b64 v[46:47], v46 offset:16
	s_wait_dscnt 0x0
	v_pk_mul_f32 v[48:49], v[44:45], v[46:47] op_sel:[1,1] op_sel_hi:[0,1]
	v_pk_fma_f32 v[50:51], v[44:45], v[46:47], v[48:49] op_sel_hi:[1,0,1]
	v_pk_fma_f32 v[44:45], v[44:45], v[46:47], v[48:49] neg_lo:[0,0,1] neg_hi:[0,0,1]
	s_delay_alu instid0(VALU_DEP_2)
	v_mov_b32_e32 v45, v51
	scratch_store_b64 off, v[44:45], off offset:16
.LBB83_175:
	s_wait_xcnt 0x0
	s_or_b32 exec_lo, exec_lo, s0
	scratch_load_b64 v[44:45], off, off offset:8
	v_cmp_lt_u32_e64 s0, 1, v0
	s_wait_loadcnt 0x0
	ds_store_b64 v1, v[44:45]
	s_wait_storecnt_dscnt 0x0
	s_barrier_signal -1
	s_barrier_wait -1
	s_wait_xcnt 0x0
	s_and_saveexec_b32 s1, s0
	s_cbranch_execz .LBB83_185
; %bb.176:
	s_and_not1_b32 vcc_lo, exec_lo, s3
	s_cbranch_vccnz .LBB83_178
; %bb.177:
	scratch_load_b64 v[44:45], v43, off
	ds_load_b64 v[46:47], v1
	s_wait_loadcnt_dscnt 0x0
	v_pk_mul_f32 v[48:49], v[46:47], v[44:45] op_sel:[1,1] op_sel_hi:[0,1]
	s_delay_alu instid0(VALU_DEP_1) | instskip(SKIP_1) | instid1(VALU_DEP_2)
	v_pk_fma_f32 v[50:51], v[46:47], v[44:45], v[48:49] op_sel_hi:[1,0,1]
	v_pk_fma_f32 v[44:45], v[46:47], v[44:45], v[48:49] neg_lo:[0,0,1] neg_hi:[0,0,1]
	v_mov_b32_e32 v45, v51
	s_cbranch_execz .LBB83_179
	s_branch .LBB83_180
.LBB83_178:
                                        ; implicit-def: $vgpr44_vgpr45
.LBB83_179:
	ds_load_b64 v[44:45], v1
.LBB83_180:
	s_and_saveexec_b32 s8, s2
	s_cbranch_execz .LBB83_184
; %bb.181:
	v_add_nc_u32_e32 v46, -2, v0
	s_movk_i32 s9, 0xb0
	s_mov_b32 s2, 0
.LBB83_182:                             ; =>This Inner Loop Header: Depth=1
	scratch_load_b64 v[48:49], off, s5
	v_dual_mov_b32 v47, s9 :: v_dual_add_nc_u32 v46, -1, v46
	s_add_co_i32 s9, s9, 8
	s_wait_xcnt 0x0
	s_add_co_i32 s5, s5, 8
	ds_load_b64 v[50:51], v47
	v_cmp_eq_u32_e32 vcc_lo, 0, v46
	s_or_b32 s2, vcc_lo, s2
	s_wait_loadcnt_dscnt 0x0
	v_pk_mul_f32 v[52:53], v[50:51], v[48:49] op_sel:[1,1] op_sel_hi:[0,1]
	s_delay_alu instid0(VALU_DEP_1) | instskip(SKIP_1) | instid1(VALU_DEP_2)
	v_pk_fma_f32 v[54:55], v[50:51], v[48:49], v[52:53] op_sel_hi:[1,0,1]
	v_pk_fma_f32 v[48:49], v[50:51], v[48:49], v[52:53] neg_lo:[0,0,1] neg_hi:[0,0,1]
	v_mov_b32_e32 v49, v55
	s_delay_alu instid0(VALU_DEP_1)
	v_pk_add_f32 v[44:45], v[44:45], v[48:49]
	s_and_not1_b32 exec_lo, exec_lo, s2
	s_cbranch_execnz .LBB83_182
; %bb.183:
	s_or_b32 exec_lo, exec_lo, s2
.LBB83_184:
	s_delay_alu instid0(SALU_CYCLE_1) | instskip(SKIP_4) | instid1(VALU_DEP_1)
	s_or_b32 exec_lo, exec_lo, s8
	v_mov_b32_e32 v46, 0
	ds_load_b64 v[46:47], v46 offset:8
	s_wait_dscnt 0x0
	v_pk_mul_f32 v[48:49], v[44:45], v[46:47] op_sel:[1,1] op_sel_hi:[0,1]
	v_pk_fma_f32 v[50:51], v[44:45], v[46:47], v[48:49] op_sel_hi:[1,0,1]
	v_pk_fma_f32 v[44:45], v[44:45], v[46:47], v[48:49] neg_lo:[0,0,1] neg_hi:[0,0,1]
	s_delay_alu instid0(VALU_DEP_2)
	v_mov_b32_e32 v45, v51
	scratch_store_b64 off, v[44:45], off offset:8
.LBB83_185:
	s_wait_xcnt 0x0
	s_or_b32 exec_lo, exec_lo, s1
	scratch_load_b64 v[44:45], off, off
	s_mov_b32 s2, 0
	s_mov_b32 s1, 0
	s_mov_b32 s5, exec_lo
                                        ; implicit-def: $vgpr58
                                        ; implicit-def: $sgpr8
	s_wait_loadcnt 0x0
	ds_store_b64 v1, v[44:45]
	s_wait_storecnt_dscnt 0x0
	s_barrier_signal -1
	s_barrier_wait -1
	s_wait_xcnt 0x0
	v_cmpx_ne_u32_e32 0, v0
	s_cbranch_execz .LBB83_195
; %bb.186:
	s_and_not1_b32 vcc_lo, exec_lo, s3
	s_cbranch_vccnz .LBB83_188
; %bb.187:
	scratch_load_b64 v[46:47], v43, off
	ds_load_b64 v[48:49], v1
	s_wait_loadcnt_dscnt 0x0
	v_dual_mul_f32 v44, v49, v47 :: v_dual_mul_f32 v45, v48, v47
	s_delay_alu instid0(VALU_DEP_1)
	v_dual_fma_f32 v44, v48, v46, -v44 :: v_dual_fmac_f32 v45, v49, v46
	s_and_not1_b32 vcc_lo, exec_lo, s1
	s_cbranch_vccz .LBB83_189
	s_branch .LBB83_190
.LBB83_188:
                                        ; implicit-def: $vgpr44
.LBB83_189:
	ds_load_b64 v[44:45], v1
.LBB83_190:
	s_and_saveexec_b32 s1, s0
	s_cbranch_execz .LBB83_194
; %bb.191:
	v_add_nc_u32_e32 v46, -1, v0
	s_movk_i32 s8, 0xa8
	s_mov_b32 s0, 0
.LBB83_192:                             ; =>This Inner Loop Header: Depth=1
	scratch_load_b64 v[48:49], off, s4
	v_mov_b32_e32 v47, s8
	s_add_co_i32 s8, s8, 8
	s_wait_xcnt 0x0
	s_add_co_i32 s4, s4, 8
	v_add_nc_u32_e32 v46, -1, v46
	ds_load_b64 v[50:51], v47
	v_cmp_eq_u32_e32 vcc_lo, 0, v46
	s_or_b32 s0, vcc_lo, s0
	s_wait_loadcnt_dscnt 0x0
	v_dual_mul_f32 v47, v51, v49 :: v_dual_mul_f32 v49, v50, v49
	s_delay_alu instid0(VALU_DEP_1) | instskip(NEXT) | instid1(VALU_DEP_1)
	v_dual_fma_f32 v47, v50, v48, -v47 :: v_dual_fmac_f32 v49, v51, v48
	v_dual_add_f32 v44, v44, v47 :: v_dual_add_f32 v45, v45, v49
	s_and_not1_b32 exec_lo, exec_lo, s0
	s_cbranch_execnz .LBB83_192
; %bb.193:
	s_or_b32 exec_lo, exec_lo, s0
.LBB83_194:
	s_delay_alu instid0(SALU_CYCLE_1)
	s_or_b32 exec_lo, exec_lo, s1
	v_mov_b32_e32 v46, 0
	s_mov_b32 s1, exec_lo
	s_or_b32 s8, 0, 4
	ds_load_b64 v[46:47], v46
	s_wait_dscnt 0x0
	v_dual_mul_f32 v48, v45, v47 :: v_dual_mul_f32 v58, v44, v47
	s_delay_alu instid0(VALU_DEP_1)
	v_dual_fma_f32 v44, v44, v46, -v48 :: v_dual_fmac_f32 v58, v45, v46
	scratch_store_b32 off, v44, off
.LBB83_195:
	s_wait_xcnt 0x0
	s_or_b32 exec_lo, exec_lo, s5
	s_delay_alu instid0(SALU_CYCLE_1)
	s_and_b32 vcc_lo, exec_lo, s2
	s_cbranch_vccz .LBB83_381
.LBB83_196:
	scratch_load_b64 v[44:45], off, off offset:8
	v_cmp_eq_u32_e64 s0, 0, v0
	s_wait_loadcnt 0x0
	ds_store_b64 v1, v[44:45]
	s_wait_storecnt_dscnt 0x0
	s_barrier_signal -1
	s_barrier_wait -1
	s_wait_xcnt 0x0
	s_and_saveexec_b32 s2, s0
	s_cbranch_execz .LBB83_202
; %bb.197:
	s_and_b32 vcc_lo, exec_lo, s3
	s_cbranch_vccz .LBB83_199
; %bb.198:
	scratch_load_b64 v[44:45], v43, off
	ds_load_b64 v[46:47], v1
	s_wait_loadcnt_dscnt 0x0
	v_pk_mul_f32 v[48:49], v[46:47], v[44:45] op_sel:[1,1] op_sel_hi:[0,1]
	v_pk_mul_f32 v[50:51], v[46:47], v[44:45] op_sel_hi:[1,0]
	s_delay_alu instid0(VALU_DEP_2) | instskip(NEXT) | instid1(VALU_DEP_2)
	v_pk_fma_f32 v[44:45], v[46:47], v[44:45], v[48:49] op_sel_hi:[1,0,1]
	v_sub_f32_e32 v44, v50, v48
	s_cbranch_execz .LBB83_200
	s_branch .LBB83_201
.LBB83_199:
                                        ; implicit-def: $vgpr45
.LBB83_200:
	ds_load_b64 v[44:45], v1
.LBB83_201:
	s_wait_dscnt 0x0
	v_dual_mov_b32 v46, 0 :: v_dual_mov_b32 v48, v45
	v_mov_b32_e32 v49, v44
	ds_load_b64 v[46:47], v46 offset:8
	s_wait_dscnt 0x0
	v_pk_mul_f32 v[48:49], v[48:49], v[46:47] op_sel:[0,1]
	s_delay_alu instid0(VALU_DEP_1) | instskip(SKIP_1) | instid1(VALU_DEP_2)
	v_pk_fma_f32 v[50:51], v[44:45], v[46:47], v[48:49] op_sel_hi:[1,0,1]
	v_pk_fma_f32 v[44:45], v[44:45], v[46:47], v[48:49] neg_lo:[0,0,1] neg_hi:[0,0,1]
	v_mov_b32_e32 v45, v51
	scratch_store_b64 off, v[44:45], off offset:8
.LBB83_202:
	s_wait_xcnt 0x0
	s_or_b32 exec_lo, exec_lo, s2
	scratch_load_b64 v[44:45], off, off offset:16
	v_cndmask_b32_e64 v46, 0, 1, s3
	s_mov_b32 s2, exec_lo
	s_wait_loadcnt 0x0
	ds_store_b64 v1, v[44:45]
	s_wait_storecnt_dscnt 0x0
	s_barrier_signal -1
	s_barrier_wait -1
	s_wait_xcnt 0x0
	v_cmpx_gt_u32_e32 2, v0
	s_cbranch_execz .LBB83_210
; %bb.203:
	s_and_not1_b32 vcc_lo, exec_lo, s3
	s_cbranch_vccnz .LBB83_205
; %bb.204:
	scratch_load_b64 v[44:45], v43, off
	ds_load_b64 v[48:49], v1
	s_wait_loadcnt_dscnt 0x0
	v_pk_mul_f32 v[50:51], v[48:49], v[44:45] op_sel:[1,1] op_sel_hi:[0,1]
	s_delay_alu instid0(VALU_DEP_1) | instskip(SKIP_1) | instid1(VALU_DEP_2)
	v_pk_fma_f32 v[52:53], v[48:49], v[44:45], v[50:51] op_sel_hi:[1,0,1]
	v_pk_fma_f32 v[44:45], v[48:49], v[44:45], v[50:51] neg_lo:[0,0,1] neg_hi:[0,0,1]
	v_mov_b32_e32 v45, v53
	s_cbranch_execz .LBB83_206
	s_branch .LBB83_207
.LBB83_205:
                                        ; implicit-def: $vgpr44_vgpr45
.LBB83_206:
	ds_load_b64 v[44:45], v1
.LBB83_207:
	s_and_saveexec_b32 s3, s0
	s_cbranch_execz .LBB83_209
; %bb.208:
	scratch_load_b64 v[48:49], off, off offset:8
	v_mov_b32_e32 v47, 0
	ds_load_b64 v[50:51], v47 offset:168
	s_wait_loadcnt_dscnt 0x0
	v_pk_mul_f32 v[52:53], v[50:51], v[48:49] op_sel:[1,1] op_sel_hi:[0,1]
	s_delay_alu instid0(VALU_DEP_1) | instskip(SKIP_1) | instid1(VALU_DEP_2)
	v_pk_fma_f32 v[54:55], v[50:51], v[48:49], v[52:53] op_sel_hi:[1,0,1]
	v_pk_fma_f32 v[48:49], v[50:51], v[48:49], v[52:53] neg_lo:[0,0,1] neg_hi:[0,0,1]
	v_mov_b32_e32 v49, v55
	s_delay_alu instid0(VALU_DEP_1)
	v_pk_add_f32 v[44:45], v[44:45], v[48:49]
.LBB83_209:
	s_or_b32 exec_lo, exec_lo, s3
	v_mov_b32_e32 v47, 0
	ds_load_b64 v[48:49], v47 offset:16
	s_wait_dscnt 0x0
	v_pk_mul_f32 v[50:51], v[44:45], v[48:49] op_sel:[1,1] op_sel_hi:[0,1]
	s_delay_alu instid0(VALU_DEP_1) | instskip(SKIP_1) | instid1(VALU_DEP_2)
	v_pk_fma_f32 v[52:53], v[44:45], v[48:49], v[50:51] op_sel_hi:[1,0,1]
	v_pk_fma_f32 v[44:45], v[44:45], v[48:49], v[50:51] neg_lo:[0,0,1] neg_hi:[0,0,1]
	v_mov_b32_e32 v45, v53
	scratch_store_b64 off, v[44:45], off offset:16
.LBB83_210:
	s_wait_xcnt 0x0
	s_or_b32 exec_lo, exec_lo, s2
	scratch_load_b64 v[44:45], off, off offset:24
	s_mov_b32 s2, exec_lo
	s_wait_loadcnt 0x0
	ds_store_b64 v1, v[44:45]
	s_wait_storecnt_dscnt 0x0
	s_barrier_signal -1
	s_barrier_wait -1
	s_wait_xcnt 0x0
	v_cmpx_gt_u32_e32 3, v0
	s_cbranch_execz .LBB83_220
; %bb.211:
	v_cmp_ne_u32_e32 vcc_lo, 1, v46
	s_cbranch_vccnz .LBB83_213
; %bb.212:
	scratch_load_b64 v[44:45], v43, off
	ds_load_b64 v[48:49], v1
	s_wait_loadcnt_dscnt 0x0
	v_pk_mul_f32 v[50:51], v[48:49], v[44:45] op_sel:[1,1] op_sel_hi:[0,1]
	s_delay_alu instid0(VALU_DEP_1) | instskip(SKIP_1) | instid1(VALU_DEP_2)
	v_pk_fma_f32 v[52:53], v[48:49], v[44:45], v[50:51] op_sel_hi:[1,0,1]
	v_pk_fma_f32 v[44:45], v[48:49], v[44:45], v[50:51] neg_lo:[0,0,1] neg_hi:[0,0,1]
	v_mov_b32_e32 v45, v53
	s_cbranch_execz .LBB83_214
	s_branch .LBB83_215
.LBB83_213:
                                        ; implicit-def: $vgpr44_vgpr45
.LBB83_214:
	ds_load_b64 v[44:45], v1
.LBB83_215:
	s_mov_b32 s3, exec_lo
	v_cmpx_ne_u32_e32 2, v0
	s_cbranch_execz .LBB83_219
; %bb.216:
	scratch_load_b64 v[48:49], v43, off offset:8
	ds_load_b64 v[50:51], v1 offset:8
	s_wait_loadcnt_dscnt 0x0
	v_pk_mul_f32 v[52:53], v[50:51], v[48:49] op_sel:[1,1] op_sel_hi:[0,1]
	s_delay_alu instid0(VALU_DEP_1) | instskip(SKIP_1) | instid1(VALU_DEP_2)
	v_pk_fma_f32 v[54:55], v[50:51], v[48:49], v[52:53] op_sel_hi:[1,0,1]
	v_pk_fma_f32 v[48:49], v[50:51], v[48:49], v[52:53] neg_lo:[0,0,1] neg_hi:[0,0,1]
	v_mov_b32_e32 v49, v55
	s_delay_alu instid0(VALU_DEP_1)
	v_pk_add_f32 v[44:45], v[44:45], v[48:49]
	s_and_saveexec_b32 s4, s0
	s_cbranch_execz .LBB83_218
; %bb.217:
	scratch_load_b64 v[48:49], off, off offset:16
	v_mov_b32_e32 v47, 0
	ds_load_b64 v[50:51], v47 offset:176
	s_wait_loadcnt_dscnt 0x0
	v_pk_mul_f32 v[52:53], v[50:51], v[48:49] op_sel:[1,1] op_sel_hi:[0,1]
	s_delay_alu instid0(VALU_DEP_1) | instskip(SKIP_1) | instid1(VALU_DEP_2)
	v_pk_fma_f32 v[54:55], v[50:51], v[48:49], v[52:53] op_sel_hi:[1,0,1]
	v_pk_fma_f32 v[48:49], v[50:51], v[48:49], v[52:53] neg_lo:[0,0,1] neg_hi:[0,0,1]
	v_mov_b32_e32 v49, v55
	s_delay_alu instid0(VALU_DEP_1)
	v_pk_add_f32 v[44:45], v[44:45], v[48:49]
.LBB83_218:
	s_or_b32 exec_lo, exec_lo, s4
.LBB83_219:
	s_delay_alu instid0(SALU_CYCLE_1) | instskip(SKIP_4) | instid1(VALU_DEP_1)
	s_or_b32 exec_lo, exec_lo, s3
	v_mov_b32_e32 v47, 0
	ds_load_b64 v[48:49], v47 offset:24
	s_wait_dscnt 0x0
	v_pk_mul_f32 v[50:51], v[44:45], v[48:49] op_sel:[1,1] op_sel_hi:[0,1]
	v_pk_fma_f32 v[52:53], v[44:45], v[48:49], v[50:51] op_sel_hi:[1,0,1]
	v_pk_fma_f32 v[44:45], v[44:45], v[48:49], v[50:51] neg_lo:[0,0,1] neg_hi:[0,0,1]
	s_delay_alu instid0(VALU_DEP_2)
	v_mov_b32_e32 v45, v53
	scratch_store_b64 off, v[44:45], off offset:24
.LBB83_220:
	s_wait_xcnt 0x0
	s_or_b32 exec_lo, exec_lo, s2
	scratch_load_b64 v[44:45], off, off offset:32
	s_mov_b32 s0, exec_lo
	s_wait_loadcnt 0x0
	ds_store_b64 v1, v[44:45]
	s_wait_storecnt_dscnt 0x0
	s_barrier_signal -1
	s_barrier_wait -1
	s_wait_xcnt 0x0
	v_cmpx_gt_u32_e32 4, v0
	s_cbranch_execz .LBB83_230
; %bb.221:
	v_cmp_ne_u32_e32 vcc_lo, 1, v46
	s_cbranch_vccnz .LBB83_223
; %bb.222:
	scratch_load_b64 v[44:45], v43, off
	ds_load_b64 v[48:49], v1
	s_wait_loadcnt_dscnt 0x0
	v_pk_mul_f32 v[50:51], v[48:49], v[44:45] op_sel:[1,1] op_sel_hi:[0,1]
	s_delay_alu instid0(VALU_DEP_1) | instskip(SKIP_1) | instid1(VALU_DEP_2)
	v_pk_fma_f32 v[52:53], v[48:49], v[44:45], v[50:51] op_sel_hi:[1,0,1]
	v_pk_fma_f32 v[44:45], v[48:49], v[44:45], v[50:51] neg_lo:[0,0,1] neg_hi:[0,0,1]
	v_mov_b32_e32 v45, v53
	s_cbranch_execz .LBB83_224
	s_branch .LBB83_225
.LBB83_223:
                                        ; implicit-def: $vgpr44_vgpr45
.LBB83_224:
	ds_load_b64 v[44:45], v1
.LBB83_225:
	s_mov_b32 s2, exec_lo
	v_cmpx_ne_u32_e32 3, v0
	s_cbranch_execz .LBB83_229
; %bb.226:
	v_add_nc_u32_e32 v47, 0xa8, v42
	v_add3_u32 v48, 0, v42, 8
	v_mov_b32_e32 v49, v0
	s_mov_b32 s3, 0
.LBB83_227:                             ; =>This Inner Loop Header: Depth=1
	scratch_load_b64 v[50:51], v48, off
	ds_load_b64 v[52:53], v47
	s_wait_xcnt 0x0
	v_dual_add_nc_u32 v47, 8, v47 :: v_dual_add_nc_u32 v48, 8, v48
	s_wait_loadcnt_dscnt 0x0
	v_pk_mul_f32 v[54:55], v[52:53], v[50:51] op_sel:[1,1] op_sel_hi:[0,1]
	s_delay_alu instid0(VALU_DEP_1) | instskip(SKIP_2) | instid1(VALU_DEP_3)
	v_pk_fma_f32 v[56:57], v[52:53], v[50:51], v[54:55] op_sel_hi:[1,0,1]
	v_add_nc_u32_e32 v49, 1, v49
	v_pk_fma_f32 v[50:51], v[52:53], v[50:51], v[54:55] neg_lo:[0,0,1] neg_hi:[0,0,1]
	v_mov_b32_e32 v51, v57
	s_delay_alu instid0(VALU_DEP_3) | instskip(NEXT) | instid1(VALU_DEP_2)
	v_cmp_lt_u32_e32 vcc_lo, 2, v49
	v_pk_add_f32 v[44:45], v[44:45], v[50:51]
	s_or_b32 s3, vcc_lo, s3
	s_delay_alu instid0(SALU_CYCLE_1)
	s_and_not1_b32 exec_lo, exec_lo, s3
	s_cbranch_execnz .LBB83_227
; %bb.228:
	s_or_b32 exec_lo, exec_lo, s3
.LBB83_229:
	s_delay_alu instid0(SALU_CYCLE_1) | instskip(SKIP_4) | instid1(VALU_DEP_1)
	s_or_b32 exec_lo, exec_lo, s2
	v_mov_b32_e32 v47, 0
	ds_load_b64 v[48:49], v47 offset:32
	s_wait_dscnt 0x0
	v_pk_mul_f32 v[50:51], v[44:45], v[48:49] op_sel:[1,1] op_sel_hi:[0,1]
	v_pk_fma_f32 v[52:53], v[44:45], v[48:49], v[50:51] op_sel_hi:[1,0,1]
	v_pk_fma_f32 v[44:45], v[44:45], v[48:49], v[50:51] neg_lo:[0,0,1] neg_hi:[0,0,1]
	s_delay_alu instid0(VALU_DEP_2)
	v_mov_b32_e32 v45, v53
	scratch_store_b64 off, v[44:45], off offset:32
.LBB83_230:
	s_wait_xcnt 0x0
	s_or_b32 exec_lo, exec_lo, s0
	scratch_load_b64 v[44:45], off, off offset:40
	s_mov_b32 s0, exec_lo
	s_wait_loadcnt 0x0
	ds_store_b64 v1, v[44:45]
	s_wait_storecnt_dscnt 0x0
	s_barrier_signal -1
	s_barrier_wait -1
	s_wait_xcnt 0x0
	v_cmpx_gt_u32_e32 5, v0
	s_cbranch_execz .LBB83_240
; %bb.231:
	v_cmp_ne_u32_e32 vcc_lo, 1, v46
	s_cbranch_vccnz .LBB83_233
; %bb.232:
	scratch_load_b64 v[44:45], v43, off
	ds_load_b64 v[48:49], v1
	s_wait_loadcnt_dscnt 0x0
	v_pk_mul_f32 v[50:51], v[48:49], v[44:45] op_sel:[1,1] op_sel_hi:[0,1]
	s_delay_alu instid0(VALU_DEP_1) | instskip(SKIP_1) | instid1(VALU_DEP_2)
	v_pk_fma_f32 v[52:53], v[48:49], v[44:45], v[50:51] op_sel_hi:[1,0,1]
	v_pk_fma_f32 v[44:45], v[48:49], v[44:45], v[50:51] neg_lo:[0,0,1] neg_hi:[0,0,1]
	v_mov_b32_e32 v45, v53
	s_cbranch_execz .LBB83_234
	s_branch .LBB83_235
.LBB83_233:
                                        ; implicit-def: $vgpr44_vgpr45
.LBB83_234:
	ds_load_b64 v[44:45], v1
.LBB83_235:
	s_mov_b32 s2, exec_lo
	v_cmpx_ne_u32_e32 4, v0
	s_cbranch_execz .LBB83_239
; %bb.236:
	v_add_nc_u32_e32 v47, 0xa8, v42
	v_add3_u32 v48, 0, v42, 8
	v_mov_b32_e32 v49, v0
	s_mov_b32 s3, 0
.LBB83_237:                             ; =>This Inner Loop Header: Depth=1
	scratch_load_b64 v[50:51], v48, off
	ds_load_b64 v[52:53], v47
	s_wait_xcnt 0x0
	v_dual_add_nc_u32 v47, 8, v47 :: v_dual_add_nc_u32 v48, 8, v48
	s_wait_loadcnt_dscnt 0x0
	v_pk_mul_f32 v[54:55], v[52:53], v[50:51] op_sel:[1,1] op_sel_hi:[0,1]
	s_delay_alu instid0(VALU_DEP_1) | instskip(SKIP_2) | instid1(VALU_DEP_3)
	v_pk_fma_f32 v[56:57], v[52:53], v[50:51], v[54:55] op_sel_hi:[1,0,1]
	v_add_nc_u32_e32 v49, 1, v49
	v_pk_fma_f32 v[50:51], v[52:53], v[50:51], v[54:55] neg_lo:[0,0,1] neg_hi:[0,0,1]
	v_mov_b32_e32 v51, v57
	s_delay_alu instid0(VALU_DEP_3) | instskip(NEXT) | instid1(VALU_DEP_2)
	v_cmp_lt_u32_e32 vcc_lo, 3, v49
	v_pk_add_f32 v[44:45], v[44:45], v[50:51]
	s_or_b32 s3, vcc_lo, s3
	s_delay_alu instid0(SALU_CYCLE_1)
	s_and_not1_b32 exec_lo, exec_lo, s3
	s_cbranch_execnz .LBB83_237
; %bb.238:
	s_or_b32 exec_lo, exec_lo, s3
.LBB83_239:
	s_delay_alu instid0(SALU_CYCLE_1) | instskip(SKIP_4) | instid1(VALU_DEP_1)
	s_or_b32 exec_lo, exec_lo, s2
	v_mov_b32_e32 v47, 0
	ds_load_b64 v[48:49], v47 offset:40
	s_wait_dscnt 0x0
	v_pk_mul_f32 v[50:51], v[44:45], v[48:49] op_sel:[1,1] op_sel_hi:[0,1]
	v_pk_fma_f32 v[52:53], v[44:45], v[48:49], v[50:51] op_sel_hi:[1,0,1]
	v_pk_fma_f32 v[44:45], v[44:45], v[48:49], v[50:51] neg_lo:[0,0,1] neg_hi:[0,0,1]
	s_delay_alu instid0(VALU_DEP_2)
	v_mov_b32_e32 v45, v53
	scratch_store_b64 off, v[44:45], off offset:40
.LBB83_240:
	s_wait_xcnt 0x0
	s_or_b32 exec_lo, exec_lo, s0
	scratch_load_b64 v[44:45], off, off offset:48
	s_mov_b32 s0, exec_lo
	s_wait_loadcnt 0x0
	ds_store_b64 v1, v[44:45]
	s_wait_storecnt_dscnt 0x0
	s_barrier_signal -1
	s_barrier_wait -1
	s_wait_xcnt 0x0
	v_cmpx_gt_u32_e32 6, v0
	s_cbranch_execz .LBB83_250
; %bb.241:
	v_cmp_ne_u32_e32 vcc_lo, 1, v46
	s_cbranch_vccnz .LBB83_243
; %bb.242:
	scratch_load_b64 v[44:45], v43, off
	ds_load_b64 v[48:49], v1
	s_wait_loadcnt_dscnt 0x0
	v_pk_mul_f32 v[50:51], v[48:49], v[44:45] op_sel:[1,1] op_sel_hi:[0,1]
	s_delay_alu instid0(VALU_DEP_1) | instskip(SKIP_1) | instid1(VALU_DEP_2)
	v_pk_fma_f32 v[52:53], v[48:49], v[44:45], v[50:51] op_sel_hi:[1,0,1]
	v_pk_fma_f32 v[44:45], v[48:49], v[44:45], v[50:51] neg_lo:[0,0,1] neg_hi:[0,0,1]
	v_mov_b32_e32 v45, v53
	s_cbranch_execz .LBB83_244
	s_branch .LBB83_245
.LBB83_243:
                                        ; implicit-def: $vgpr44_vgpr45
.LBB83_244:
	ds_load_b64 v[44:45], v1
.LBB83_245:
	s_mov_b32 s2, exec_lo
	v_cmpx_ne_u32_e32 5, v0
	s_cbranch_execz .LBB83_249
; %bb.246:
	v_add_nc_u32_e32 v47, 0xa8, v42
	v_add3_u32 v48, 0, v42, 8
	v_mov_b32_e32 v49, v0
	s_mov_b32 s3, 0
.LBB83_247:                             ; =>This Inner Loop Header: Depth=1
	scratch_load_b64 v[50:51], v48, off
	ds_load_b64 v[52:53], v47
	s_wait_xcnt 0x0
	v_dual_add_nc_u32 v47, 8, v47 :: v_dual_add_nc_u32 v48, 8, v48
	s_wait_loadcnt_dscnt 0x0
	v_pk_mul_f32 v[54:55], v[52:53], v[50:51] op_sel:[1,1] op_sel_hi:[0,1]
	s_delay_alu instid0(VALU_DEP_1) | instskip(SKIP_2) | instid1(VALU_DEP_3)
	v_pk_fma_f32 v[56:57], v[52:53], v[50:51], v[54:55] op_sel_hi:[1,0,1]
	v_add_nc_u32_e32 v49, 1, v49
	v_pk_fma_f32 v[50:51], v[52:53], v[50:51], v[54:55] neg_lo:[0,0,1] neg_hi:[0,0,1]
	v_mov_b32_e32 v51, v57
	s_delay_alu instid0(VALU_DEP_3) | instskip(NEXT) | instid1(VALU_DEP_2)
	v_cmp_lt_u32_e32 vcc_lo, 4, v49
	v_pk_add_f32 v[44:45], v[44:45], v[50:51]
	s_or_b32 s3, vcc_lo, s3
	s_delay_alu instid0(SALU_CYCLE_1)
	s_and_not1_b32 exec_lo, exec_lo, s3
	s_cbranch_execnz .LBB83_247
; %bb.248:
	s_or_b32 exec_lo, exec_lo, s3
.LBB83_249:
	s_delay_alu instid0(SALU_CYCLE_1) | instskip(SKIP_4) | instid1(VALU_DEP_1)
	s_or_b32 exec_lo, exec_lo, s2
	v_mov_b32_e32 v47, 0
	ds_load_b64 v[48:49], v47 offset:48
	s_wait_dscnt 0x0
	v_pk_mul_f32 v[50:51], v[44:45], v[48:49] op_sel:[1,1] op_sel_hi:[0,1]
	v_pk_fma_f32 v[52:53], v[44:45], v[48:49], v[50:51] op_sel_hi:[1,0,1]
	v_pk_fma_f32 v[44:45], v[44:45], v[48:49], v[50:51] neg_lo:[0,0,1] neg_hi:[0,0,1]
	s_delay_alu instid0(VALU_DEP_2)
	v_mov_b32_e32 v45, v53
	scratch_store_b64 off, v[44:45], off offset:48
.LBB83_250:
	s_wait_xcnt 0x0
	s_or_b32 exec_lo, exec_lo, s0
	scratch_load_b64 v[44:45], off, off offset:56
	s_mov_b32 s0, exec_lo
	s_wait_loadcnt 0x0
	ds_store_b64 v1, v[44:45]
	s_wait_storecnt_dscnt 0x0
	s_barrier_signal -1
	s_barrier_wait -1
	s_wait_xcnt 0x0
	v_cmpx_gt_u32_e32 7, v0
	s_cbranch_execz .LBB83_260
; %bb.251:
	v_cmp_ne_u32_e32 vcc_lo, 1, v46
	s_cbranch_vccnz .LBB83_253
; %bb.252:
	scratch_load_b64 v[44:45], v43, off
	ds_load_b64 v[48:49], v1
	s_wait_loadcnt_dscnt 0x0
	v_pk_mul_f32 v[50:51], v[48:49], v[44:45] op_sel:[1,1] op_sel_hi:[0,1]
	s_delay_alu instid0(VALU_DEP_1) | instskip(SKIP_1) | instid1(VALU_DEP_2)
	v_pk_fma_f32 v[52:53], v[48:49], v[44:45], v[50:51] op_sel_hi:[1,0,1]
	v_pk_fma_f32 v[44:45], v[48:49], v[44:45], v[50:51] neg_lo:[0,0,1] neg_hi:[0,0,1]
	v_mov_b32_e32 v45, v53
	s_cbranch_execz .LBB83_254
	s_branch .LBB83_255
.LBB83_253:
                                        ; implicit-def: $vgpr44_vgpr45
.LBB83_254:
	ds_load_b64 v[44:45], v1
.LBB83_255:
	s_mov_b32 s2, exec_lo
	v_cmpx_ne_u32_e32 6, v0
	s_cbranch_execz .LBB83_259
; %bb.256:
	v_add_nc_u32_e32 v47, 0xa8, v42
	v_add3_u32 v48, 0, v42, 8
	v_mov_b32_e32 v49, v0
	s_mov_b32 s3, 0
.LBB83_257:                             ; =>This Inner Loop Header: Depth=1
	scratch_load_b64 v[50:51], v48, off
	ds_load_b64 v[52:53], v47
	s_wait_xcnt 0x0
	v_dual_add_nc_u32 v47, 8, v47 :: v_dual_add_nc_u32 v48, 8, v48
	s_wait_loadcnt_dscnt 0x0
	v_pk_mul_f32 v[54:55], v[52:53], v[50:51] op_sel:[1,1] op_sel_hi:[0,1]
	s_delay_alu instid0(VALU_DEP_1) | instskip(SKIP_2) | instid1(VALU_DEP_3)
	v_pk_fma_f32 v[56:57], v[52:53], v[50:51], v[54:55] op_sel_hi:[1,0,1]
	v_add_nc_u32_e32 v49, 1, v49
	v_pk_fma_f32 v[50:51], v[52:53], v[50:51], v[54:55] neg_lo:[0,0,1] neg_hi:[0,0,1]
	v_mov_b32_e32 v51, v57
	s_delay_alu instid0(VALU_DEP_3) | instskip(NEXT) | instid1(VALU_DEP_2)
	v_cmp_lt_u32_e32 vcc_lo, 5, v49
	v_pk_add_f32 v[44:45], v[44:45], v[50:51]
	s_or_b32 s3, vcc_lo, s3
	s_delay_alu instid0(SALU_CYCLE_1)
	s_and_not1_b32 exec_lo, exec_lo, s3
	s_cbranch_execnz .LBB83_257
; %bb.258:
	s_or_b32 exec_lo, exec_lo, s3
.LBB83_259:
	s_delay_alu instid0(SALU_CYCLE_1) | instskip(SKIP_4) | instid1(VALU_DEP_1)
	s_or_b32 exec_lo, exec_lo, s2
	v_mov_b32_e32 v47, 0
	ds_load_b64 v[48:49], v47 offset:56
	s_wait_dscnt 0x0
	v_pk_mul_f32 v[50:51], v[44:45], v[48:49] op_sel:[1,1] op_sel_hi:[0,1]
	v_pk_fma_f32 v[52:53], v[44:45], v[48:49], v[50:51] op_sel_hi:[1,0,1]
	v_pk_fma_f32 v[44:45], v[44:45], v[48:49], v[50:51] neg_lo:[0,0,1] neg_hi:[0,0,1]
	s_delay_alu instid0(VALU_DEP_2)
	v_mov_b32_e32 v45, v53
	scratch_store_b64 off, v[44:45], off offset:56
.LBB83_260:
	s_wait_xcnt 0x0
	s_or_b32 exec_lo, exec_lo, s0
	scratch_load_b64 v[44:45], off, off offset:64
	s_mov_b32 s0, exec_lo
	s_wait_loadcnt 0x0
	ds_store_b64 v1, v[44:45]
	s_wait_storecnt_dscnt 0x0
	s_barrier_signal -1
	s_barrier_wait -1
	s_wait_xcnt 0x0
	v_cmpx_gt_u32_e32 8, v0
	s_cbranch_execz .LBB83_270
; %bb.261:
	v_cmp_ne_u32_e32 vcc_lo, 1, v46
	s_cbranch_vccnz .LBB83_263
; %bb.262:
	scratch_load_b64 v[44:45], v43, off
	ds_load_b64 v[48:49], v1
	s_wait_loadcnt_dscnt 0x0
	v_pk_mul_f32 v[50:51], v[48:49], v[44:45] op_sel:[1,1] op_sel_hi:[0,1]
	s_delay_alu instid0(VALU_DEP_1) | instskip(SKIP_1) | instid1(VALU_DEP_2)
	v_pk_fma_f32 v[52:53], v[48:49], v[44:45], v[50:51] op_sel_hi:[1,0,1]
	v_pk_fma_f32 v[44:45], v[48:49], v[44:45], v[50:51] neg_lo:[0,0,1] neg_hi:[0,0,1]
	v_mov_b32_e32 v45, v53
	s_cbranch_execz .LBB83_264
	s_branch .LBB83_265
.LBB83_263:
                                        ; implicit-def: $vgpr44_vgpr45
.LBB83_264:
	ds_load_b64 v[44:45], v1
.LBB83_265:
	s_mov_b32 s2, exec_lo
	v_cmpx_ne_u32_e32 7, v0
	s_cbranch_execz .LBB83_269
; %bb.266:
	v_add_nc_u32_e32 v47, 0xa8, v42
	v_add3_u32 v48, 0, v42, 8
	v_mov_b32_e32 v49, v0
	s_mov_b32 s3, 0
.LBB83_267:                             ; =>This Inner Loop Header: Depth=1
	scratch_load_b64 v[50:51], v48, off
	ds_load_b64 v[52:53], v47
	s_wait_xcnt 0x0
	v_dual_add_nc_u32 v47, 8, v47 :: v_dual_add_nc_u32 v48, 8, v48
	s_wait_loadcnt_dscnt 0x0
	v_pk_mul_f32 v[54:55], v[52:53], v[50:51] op_sel:[1,1] op_sel_hi:[0,1]
	s_delay_alu instid0(VALU_DEP_1) | instskip(SKIP_2) | instid1(VALU_DEP_3)
	v_pk_fma_f32 v[56:57], v[52:53], v[50:51], v[54:55] op_sel_hi:[1,0,1]
	v_add_nc_u32_e32 v49, 1, v49
	v_pk_fma_f32 v[50:51], v[52:53], v[50:51], v[54:55] neg_lo:[0,0,1] neg_hi:[0,0,1]
	v_mov_b32_e32 v51, v57
	s_delay_alu instid0(VALU_DEP_3) | instskip(NEXT) | instid1(VALU_DEP_2)
	v_cmp_lt_u32_e32 vcc_lo, 6, v49
	v_pk_add_f32 v[44:45], v[44:45], v[50:51]
	s_or_b32 s3, vcc_lo, s3
	s_delay_alu instid0(SALU_CYCLE_1)
	s_and_not1_b32 exec_lo, exec_lo, s3
	s_cbranch_execnz .LBB83_267
; %bb.268:
	s_or_b32 exec_lo, exec_lo, s3
.LBB83_269:
	s_delay_alu instid0(SALU_CYCLE_1) | instskip(SKIP_4) | instid1(VALU_DEP_1)
	s_or_b32 exec_lo, exec_lo, s2
	v_mov_b32_e32 v47, 0
	ds_load_b64 v[48:49], v47 offset:64
	s_wait_dscnt 0x0
	v_pk_mul_f32 v[50:51], v[44:45], v[48:49] op_sel:[1,1] op_sel_hi:[0,1]
	v_pk_fma_f32 v[52:53], v[44:45], v[48:49], v[50:51] op_sel_hi:[1,0,1]
	v_pk_fma_f32 v[44:45], v[44:45], v[48:49], v[50:51] neg_lo:[0,0,1] neg_hi:[0,0,1]
	s_delay_alu instid0(VALU_DEP_2)
	v_mov_b32_e32 v45, v53
	scratch_store_b64 off, v[44:45], off offset:64
.LBB83_270:
	s_wait_xcnt 0x0
	s_or_b32 exec_lo, exec_lo, s0
	scratch_load_b64 v[44:45], off, off offset:72
	s_mov_b32 s0, exec_lo
	s_wait_loadcnt 0x0
	ds_store_b64 v1, v[44:45]
	s_wait_storecnt_dscnt 0x0
	s_barrier_signal -1
	s_barrier_wait -1
	s_wait_xcnt 0x0
	v_cmpx_gt_u32_e32 9, v0
	s_cbranch_execz .LBB83_280
; %bb.271:
	v_cmp_ne_u32_e32 vcc_lo, 1, v46
	s_cbranch_vccnz .LBB83_273
; %bb.272:
	scratch_load_b64 v[44:45], v43, off
	ds_load_b64 v[48:49], v1
	s_wait_loadcnt_dscnt 0x0
	v_pk_mul_f32 v[50:51], v[48:49], v[44:45] op_sel:[1,1] op_sel_hi:[0,1]
	s_delay_alu instid0(VALU_DEP_1) | instskip(SKIP_1) | instid1(VALU_DEP_2)
	v_pk_fma_f32 v[52:53], v[48:49], v[44:45], v[50:51] op_sel_hi:[1,0,1]
	v_pk_fma_f32 v[44:45], v[48:49], v[44:45], v[50:51] neg_lo:[0,0,1] neg_hi:[0,0,1]
	v_mov_b32_e32 v45, v53
	s_cbranch_execz .LBB83_274
	s_branch .LBB83_275
.LBB83_273:
                                        ; implicit-def: $vgpr44_vgpr45
.LBB83_274:
	ds_load_b64 v[44:45], v1
.LBB83_275:
	s_mov_b32 s2, exec_lo
	v_cmpx_ne_u32_e32 8, v0
	s_cbranch_execz .LBB83_279
; %bb.276:
	v_add_nc_u32_e32 v47, 0xa8, v42
	v_add3_u32 v48, 0, v42, 8
	v_mov_b32_e32 v49, v0
	s_mov_b32 s3, 0
.LBB83_277:                             ; =>This Inner Loop Header: Depth=1
	scratch_load_b64 v[50:51], v48, off
	ds_load_b64 v[52:53], v47
	s_wait_xcnt 0x0
	v_dual_add_nc_u32 v47, 8, v47 :: v_dual_add_nc_u32 v48, 8, v48
	s_wait_loadcnt_dscnt 0x0
	v_pk_mul_f32 v[54:55], v[52:53], v[50:51] op_sel:[1,1] op_sel_hi:[0,1]
	s_delay_alu instid0(VALU_DEP_1) | instskip(SKIP_2) | instid1(VALU_DEP_3)
	v_pk_fma_f32 v[56:57], v[52:53], v[50:51], v[54:55] op_sel_hi:[1,0,1]
	v_add_nc_u32_e32 v49, 1, v49
	v_pk_fma_f32 v[50:51], v[52:53], v[50:51], v[54:55] neg_lo:[0,0,1] neg_hi:[0,0,1]
	v_mov_b32_e32 v51, v57
	s_delay_alu instid0(VALU_DEP_3) | instskip(NEXT) | instid1(VALU_DEP_2)
	v_cmp_lt_u32_e32 vcc_lo, 7, v49
	v_pk_add_f32 v[44:45], v[44:45], v[50:51]
	s_or_b32 s3, vcc_lo, s3
	s_delay_alu instid0(SALU_CYCLE_1)
	s_and_not1_b32 exec_lo, exec_lo, s3
	s_cbranch_execnz .LBB83_277
; %bb.278:
	s_or_b32 exec_lo, exec_lo, s3
.LBB83_279:
	s_delay_alu instid0(SALU_CYCLE_1) | instskip(SKIP_4) | instid1(VALU_DEP_1)
	s_or_b32 exec_lo, exec_lo, s2
	v_mov_b32_e32 v47, 0
	ds_load_b64 v[48:49], v47 offset:72
	s_wait_dscnt 0x0
	v_pk_mul_f32 v[50:51], v[44:45], v[48:49] op_sel:[1,1] op_sel_hi:[0,1]
	v_pk_fma_f32 v[52:53], v[44:45], v[48:49], v[50:51] op_sel_hi:[1,0,1]
	v_pk_fma_f32 v[44:45], v[44:45], v[48:49], v[50:51] neg_lo:[0,0,1] neg_hi:[0,0,1]
	s_delay_alu instid0(VALU_DEP_2)
	v_mov_b32_e32 v45, v53
	scratch_store_b64 off, v[44:45], off offset:72
.LBB83_280:
	s_wait_xcnt 0x0
	s_or_b32 exec_lo, exec_lo, s0
	scratch_load_b64 v[44:45], off, off offset:80
	s_mov_b32 s0, exec_lo
	s_wait_loadcnt 0x0
	ds_store_b64 v1, v[44:45]
	s_wait_storecnt_dscnt 0x0
	s_barrier_signal -1
	s_barrier_wait -1
	s_wait_xcnt 0x0
	v_cmpx_gt_u32_e32 10, v0
	s_cbranch_execz .LBB83_290
; %bb.281:
	v_cmp_ne_u32_e32 vcc_lo, 1, v46
	s_cbranch_vccnz .LBB83_283
; %bb.282:
	scratch_load_b64 v[44:45], v43, off
	ds_load_b64 v[48:49], v1
	s_wait_loadcnt_dscnt 0x0
	v_pk_mul_f32 v[50:51], v[48:49], v[44:45] op_sel:[1,1] op_sel_hi:[0,1]
	s_delay_alu instid0(VALU_DEP_1) | instskip(SKIP_1) | instid1(VALU_DEP_2)
	v_pk_fma_f32 v[52:53], v[48:49], v[44:45], v[50:51] op_sel_hi:[1,0,1]
	v_pk_fma_f32 v[44:45], v[48:49], v[44:45], v[50:51] neg_lo:[0,0,1] neg_hi:[0,0,1]
	v_mov_b32_e32 v45, v53
	s_cbranch_execz .LBB83_284
	s_branch .LBB83_285
.LBB83_283:
                                        ; implicit-def: $vgpr44_vgpr45
.LBB83_284:
	ds_load_b64 v[44:45], v1
.LBB83_285:
	s_mov_b32 s2, exec_lo
	v_cmpx_ne_u32_e32 9, v0
	s_cbranch_execz .LBB83_289
; %bb.286:
	v_add_nc_u32_e32 v47, 0xa8, v42
	v_add3_u32 v48, 0, v42, 8
	v_mov_b32_e32 v49, v0
	s_mov_b32 s3, 0
.LBB83_287:                             ; =>This Inner Loop Header: Depth=1
	scratch_load_b64 v[50:51], v48, off
	ds_load_b64 v[52:53], v47
	s_wait_xcnt 0x0
	v_dual_add_nc_u32 v47, 8, v47 :: v_dual_add_nc_u32 v48, 8, v48
	s_wait_loadcnt_dscnt 0x0
	v_pk_mul_f32 v[54:55], v[52:53], v[50:51] op_sel:[1,1] op_sel_hi:[0,1]
	s_delay_alu instid0(VALU_DEP_1) | instskip(SKIP_2) | instid1(VALU_DEP_3)
	v_pk_fma_f32 v[56:57], v[52:53], v[50:51], v[54:55] op_sel_hi:[1,0,1]
	v_add_nc_u32_e32 v49, 1, v49
	v_pk_fma_f32 v[50:51], v[52:53], v[50:51], v[54:55] neg_lo:[0,0,1] neg_hi:[0,0,1]
	v_mov_b32_e32 v51, v57
	s_delay_alu instid0(VALU_DEP_3) | instskip(NEXT) | instid1(VALU_DEP_2)
	v_cmp_lt_u32_e32 vcc_lo, 8, v49
	v_pk_add_f32 v[44:45], v[44:45], v[50:51]
	s_or_b32 s3, vcc_lo, s3
	s_delay_alu instid0(SALU_CYCLE_1)
	s_and_not1_b32 exec_lo, exec_lo, s3
	s_cbranch_execnz .LBB83_287
; %bb.288:
	s_or_b32 exec_lo, exec_lo, s3
.LBB83_289:
	s_delay_alu instid0(SALU_CYCLE_1) | instskip(SKIP_4) | instid1(VALU_DEP_1)
	s_or_b32 exec_lo, exec_lo, s2
	v_mov_b32_e32 v47, 0
	ds_load_b64 v[48:49], v47 offset:80
	s_wait_dscnt 0x0
	v_pk_mul_f32 v[50:51], v[44:45], v[48:49] op_sel:[1,1] op_sel_hi:[0,1]
	v_pk_fma_f32 v[52:53], v[44:45], v[48:49], v[50:51] op_sel_hi:[1,0,1]
	v_pk_fma_f32 v[44:45], v[44:45], v[48:49], v[50:51] neg_lo:[0,0,1] neg_hi:[0,0,1]
	s_delay_alu instid0(VALU_DEP_2)
	v_mov_b32_e32 v45, v53
	scratch_store_b64 off, v[44:45], off offset:80
.LBB83_290:
	s_wait_xcnt 0x0
	s_or_b32 exec_lo, exec_lo, s0
	scratch_load_b64 v[44:45], off, off offset:88
	s_mov_b32 s0, exec_lo
	s_wait_loadcnt 0x0
	ds_store_b64 v1, v[44:45]
	s_wait_storecnt_dscnt 0x0
	s_barrier_signal -1
	s_barrier_wait -1
	s_wait_xcnt 0x0
	v_cmpx_gt_u32_e32 11, v0
	s_cbranch_execz .LBB83_300
; %bb.291:
	v_cmp_ne_u32_e32 vcc_lo, 1, v46
	s_cbranch_vccnz .LBB83_293
; %bb.292:
	scratch_load_b64 v[44:45], v43, off
	ds_load_b64 v[48:49], v1
	s_wait_loadcnt_dscnt 0x0
	v_pk_mul_f32 v[50:51], v[48:49], v[44:45] op_sel:[1,1] op_sel_hi:[0,1]
	s_delay_alu instid0(VALU_DEP_1) | instskip(SKIP_1) | instid1(VALU_DEP_2)
	v_pk_fma_f32 v[52:53], v[48:49], v[44:45], v[50:51] op_sel_hi:[1,0,1]
	v_pk_fma_f32 v[44:45], v[48:49], v[44:45], v[50:51] neg_lo:[0,0,1] neg_hi:[0,0,1]
	v_mov_b32_e32 v45, v53
	s_cbranch_execz .LBB83_294
	s_branch .LBB83_295
.LBB83_293:
                                        ; implicit-def: $vgpr44_vgpr45
.LBB83_294:
	ds_load_b64 v[44:45], v1
.LBB83_295:
	s_mov_b32 s2, exec_lo
	v_cmpx_ne_u32_e32 10, v0
	s_cbranch_execz .LBB83_299
; %bb.296:
	v_add_nc_u32_e32 v47, 0xa8, v42
	v_add3_u32 v48, 0, v42, 8
	v_mov_b32_e32 v49, v0
	s_mov_b32 s3, 0
.LBB83_297:                             ; =>This Inner Loop Header: Depth=1
	scratch_load_b64 v[50:51], v48, off
	ds_load_b64 v[52:53], v47
	s_wait_xcnt 0x0
	v_dual_add_nc_u32 v47, 8, v47 :: v_dual_add_nc_u32 v48, 8, v48
	s_wait_loadcnt_dscnt 0x0
	v_pk_mul_f32 v[54:55], v[52:53], v[50:51] op_sel:[1,1] op_sel_hi:[0,1]
	s_delay_alu instid0(VALU_DEP_1) | instskip(SKIP_2) | instid1(VALU_DEP_3)
	v_pk_fma_f32 v[56:57], v[52:53], v[50:51], v[54:55] op_sel_hi:[1,0,1]
	v_add_nc_u32_e32 v49, 1, v49
	v_pk_fma_f32 v[50:51], v[52:53], v[50:51], v[54:55] neg_lo:[0,0,1] neg_hi:[0,0,1]
	v_mov_b32_e32 v51, v57
	s_delay_alu instid0(VALU_DEP_3) | instskip(NEXT) | instid1(VALU_DEP_2)
	v_cmp_lt_u32_e32 vcc_lo, 9, v49
	v_pk_add_f32 v[44:45], v[44:45], v[50:51]
	s_or_b32 s3, vcc_lo, s3
	s_delay_alu instid0(SALU_CYCLE_1)
	s_and_not1_b32 exec_lo, exec_lo, s3
	s_cbranch_execnz .LBB83_297
; %bb.298:
	s_or_b32 exec_lo, exec_lo, s3
.LBB83_299:
	s_delay_alu instid0(SALU_CYCLE_1) | instskip(SKIP_4) | instid1(VALU_DEP_1)
	s_or_b32 exec_lo, exec_lo, s2
	v_mov_b32_e32 v47, 0
	ds_load_b64 v[48:49], v47 offset:88
	s_wait_dscnt 0x0
	v_pk_mul_f32 v[50:51], v[44:45], v[48:49] op_sel:[1,1] op_sel_hi:[0,1]
	v_pk_fma_f32 v[52:53], v[44:45], v[48:49], v[50:51] op_sel_hi:[1,0,1]
	v_pk_fma_f32 v[44:45], v[44:45], v[48:49], v[50:51] neg_lo:[0,0,1] neg_hi:[0,0,1]
	s_delay_alu instid0(VALU_DEP_2)
	v_mov_b32_e32 v45, v53
	scratch_store_b64 off, v[44:45], off offset:88
.LBB83_300:
	s_wait_xcnt 0x0
	s_or_b32 exec_lo, exec_lo, s0
	scratch_load_b64 v[44:45], off, off offset:96
	s_mov_b32 s0, exec_lo
	s_wait_loadcnt 0x0
	ds_store_b64 v1, v[44:45]
	s_wait_storecnt_dscnt 0x0
	s_barrier_signal -1
	s_barrier_wait -1
	s_wait_xcnt 0x0
	v_cmpx_gt_u32_e32 12, v0
	s_cbranch_execz .LBB83_310
; %bb.301:
	v_cmp_ne_u32_e32 vcc_lo, 1, v46
	s_cbranch_vccnz .LBB83_303
; %bb.302:
	scratch_load_b64 v[44:45], v43, off
	ds_load_b64 v[48:49], v1
	s_wait_loadcnt_dscnt 0x0
	v_pk_mul_f32 v[50:51], v[48:49], v[44:45] op_sel:[1,1] op_sel_hi:[0,1]
	s_delay_alu instid0(VALU_DEP_1) | instskip(SKIP_1) | instid1(VALU_DEP_2)
	v_pk_fma_f32 v[52:53], v[48:49], v[44:45], v[50:51] op_sel_hi:[1,0,1]
	v_pk_fma_f32 v[44:45], v[48:49], v[44:45], v[50:51] neg_lo:[0,0,1] neg_hi:[0,0,1]
	v_mov_b32_e32 v45, v53
	s_cbranch_execz .LBB83_304
	s_branch .LBB83_305
.LBB83_303:
                                        ; implicit-def: $vgpr44_vgpr45
.LBB83_304:
	ds_load_b64 v[44:45], v1
.LBB83_305:
	s_mov_b32 s2, exec_lo
	v_cmpx_ne_u32_e32 11, v0
	s_cbranch_execz .LBB83_309
; %bb.306:
	v_add_nc_u32_e32 v47, 0xa8, v42
	v_add3_u32 v48, 0, v42, 8
	v_mov_b32_e32 v49, v0
	s_mov_b32 s3, 0
.LBB83_307:                             ; =>This Inner Loop Header: Depth=1
	scratch_load_b64 v[50:51], v48, off
	ds_load_b64 v[52:53], v47
	s_wait_xcnt 0x0
	v_dual_add_nc_u32 v47, 8, v47 :: v_dual_add_nc_u32 v48, 8, v48
	s_wait_loadcnt_dscnt 0x0
	v_pk_mul_f32 v[54:55], v[52:53], v[50:51] op_sel:[1,1] op_sel_hi:[0,1]
	s_delay_alu instid0(VALU_DEP_1) | instskip(SKIP_2) | instid1(VALU_DEP_3)
	v_pk_fma_f32 v[56:57], v[52:53], v[50:51], v[54:55] op_sel_hi:[1,0,1]
	v_add_nc_u32_e32 v49, 1, v49
	v_pk_fma_f32 v[50:51], v[52:53], v[50:51], v[54:55] neg_lo:[0,0,1] neg_hi:[0,0,1]
	v_mov_b32_e32 v51, v57
	s_delay_alu instid0(VALU_DEP_3) | instskip(NEXT) | instid1(VALU_DEP_2)
	v_cmp_lt_u32_e32 vcc_lo, 10, v49
	v_pk_add_f32 v[44:45], v[44:45], v[50:51]
	s_or_b32 s3, vcc_lo, s3
	s_delay_alu instid0(SALU_CYCLE_1)
	s_and_not1_b32 exec_lo, exec_lo, s3
	s_cbranch_execnz .LBB83_307
; %bb.308:
	s_or_b32 exec_lo, exec_lo, s3
.LBB83_309:
	s_delay_alu instid0(SALU_CYCLE_1) | instskip(SKIP_4) | instid1(VALU_DEP_1)
	s_or_b32 exec_lo, exec_lo, s2
	v_mov_b32_e32 v47, 0
	ds_load_b64 v[48:49], v47 offset:96
	s_wait_dscnt 0x0
	v_pk_mul_f32 v[50:51], v[44:45], v[48:49] op_sel:[1,1] op_sel_hi:[0,1]
	v_pk_fma_f32 v[52:53], v[44:45], v[48:49], v[50:51] op_sel_hi:[1,0,1]
	v_pk_fma_f32 v[44:45], v[44:45], v[48:49], v[50:51] neg_lo:[0,0,1] neg_hi:[0,0,1]
	s_delay_alu instid0(VALU_DEP_2)
	v_mov_b32_e32 v45, v53
	scratch_store_b64 off, v[44:45], off offset:96
.LBB83_310:
	s_wait_xcnt 0x0
	s_or_b32 exec_lo, exec_lo, s0
	scratch_load_b64 v[44:45], off, off offset:104
	s_mov_b32 s0, exec_lo
	s_wait_loadcnt 0x0
	ds_store_b64 v1, v[44:45]
	s_wait_storecnt_dscnt 0x0
	s_barrier_signal -1
	s_barrier_wait -1
	s_wait_xcnt 0x0
	v_cmpx_gt_u32_e32 13, v0
	s_cbranch_execz .LBB83_320
; %bb.311:
	v_cmp_ne_u32_e32 vcc_lo, 1, v46
	s_cbranch_vccnz .LBB83_313
; %bb.312:
	scratch_load_b64 v[44:45], v43, off
	ds_load_b64 v[48:49], v1
	s_wait_loadcnt_dscnt 0x0
	v_pk_mul_f32 v[50:51], v[48:49], v[44:45] op_sel:[1,1] op_sel_hi:[0,1]
	s_delay_alu instid0(VALU_DEP_1) | instskip(SKIP_1) | instid1(VALU_DEP_2)
	v_pk_fma_f32 v[52:53], v[48:49], v[44:45], v[50:51] op_sel_hi:[1,0,1]
	v_pk_fma_f32 v[44:45], v[48:49], v[44:45], v[50:51] neg_lo:[0,0,1] neg_hi:[0,0,1]
	v_mov_b32_e32 v45, v53
	s_cbranch_execz .LBB83_314
	s_branch .LBB83_315
.LBB83_313:
                                        ; implicit-def: $vgpr44_vgpr45
.LBB83_314:
	ds_load_b64 v[44:45], v1
.LBB83_315:
	s_mov_b32 s2, exec_lo
	v_cmpx_ne_u32_e32 12, v0
	s_cbranch_execz .LBB83_319
; %bb.316:
	v_add_nc_u32_e32 v47, 0xa8, v42
	v_add3_u32 v48, 0, v42, 8
	v_mov_b32_e32 v49, v0
	s_mov_b32 s3, 0
.LBB83_317:                             ; =>This Inner Loop Header: Depth=1
	scratch_load_b64 v[50:51], v48, off
	ds_load_b64 v[52:53], v47
	s_wait_xcnt 0x0
	v_dual_add_nc_u32 v47, 8, v47 :: v_dual_add_nc_u32 v48, 8, v48
	s_wait_loadcnt_dscnt 0x0
	v_pk_mul_f32 v[54:55], v[52:53], v[50:51] op_sel:[1,1] op_sel_hi:[0,1]
	s_delay_alu instid0(VALU_DEP_1) | instskip(SKIP_2) | instid1(VALU_DEP_3)
	v_pk_fma_f32 v[56:57], v[52:53], v[50:51], v[54:55] op_sel_hi:[1,0,1]
	v_add_nc_u32_e32 v49, 1, v49
	v_pk_fma_f32 v[50:51], v[52:53], v[50:51], v[54:55] neg_lo:[0,0,1] neg_hi:[0,0,1]
	v_mov_b32_e32 v51, v57
	s_delay_alu instid0(VALU_DEP_3) | instskip(NEXT) | instid1(VALU_DEP_2)
	v_cmp_lt_u32_e32 vcc_lo, 11, v49
	v_pk_add_f32 v[44:45], v[44:45], v[50:51]
	s_or_b32 s3, vcc_lo, s3
	s_delay_alu instid0(SALU_CYCLE_1)
	s_and_not1_b32 exec_lo, exec_lo, s3
	s_cbranch_execnz .LBB83_317
; %bb.318:
	s_or_b32 exec_lo, exec_lo, s3
.LBB83_319:
	s_delay_alu instid0(SALU_CYCLE_1) | instskip(SKIP_4) | instid1(VALU_DEP_1)
	s_or_b32 exec_lo, exec_lo, s2
	v_mov_b32_e32 v47, 0
	ds_load_b64 v[48:49], v47 offset:104
	s_wait_dscnt 0x0
	v_pk_mul_f32 v[50:51], v[44:45], v[48:49] op_sel:[1,1] op_sel_hi:[0,1]
	v_pk_fma_f32 v[52:53], v[44:45], v[48:49], v[50:51] op_sel_hi:[1,0,1]
	v_pk_fma_f32 v[44:45], v[44:45], v[48:49], v[50:51] neg_lo:[0,0,1] neg_hi:[0,0,1]
	s_delay_alu instid0(VALU_DEP_2)
	v_mov_b32_e32 v45, v53
	scratch_store_b64 off, v[44:45], off offset:104
.LBB83_320:
	s_wait_xcnt 0x0
	s_or_b32 exec_lo, exec_lo, s0
	scratch_load_b64 v[44:45], off, off offset:112
	s_mov_b32 s0, exec_lo
	s_wait_loadcnt 0x0
	ds_store_b64 v1, v[44:45]
	s_wait_storecnt_dscnt 0x0
	s_barrier_signal -1
	s_barrier_wait -1
	s_wait_xcnt 0x0
	v_cmpx_gt_u32_e32 14, v0
	s_cbranch_execz .LBB83_330
; %bb.321:
	v_cmp_ne_u32_e32 vcc_lo, 1, v46
	s_cbranch_vccnz .LBB83_323
; %bb.322:
	scratch_load_b64 v[44:45], v43, off
	ds_load_b64 v[48:49], v1
	s_wait_loadcnt_dscnt 0x0
	v_pk_mul_f32 v[50:51], v[48:49], v[44:45] op_sel:[1,1] op_sel_hi:[0,1]
	s_delay_alu instid0(VALU_DEP_1) | instskip(SKIP_1) | instid1(VALU_DEP_2)
	v_pk_fma_f32 v[52:53], v[48:49], v[44:45], v[50:51] op_sel_hi:[1,0,1]
	v_pk_fma_f32 v[44:45], v[48:49], v[44:45], v[50:51] neg_lo:[0,0,1] neg_hi:[0,0,1]
	v_mov_b32_e32 v45, v53
	s_cbranch_execz .LBB83_324
	s_branch .LBB83_325
.LBB83_323:
                                        ; implicit-def: $vgpr44_vgpr45
.LBB83_324:
	ds_load_b64 v[44:45], v1
.LBB83_325:
	s_mov_b32 s2, exec_lo
	v_cmpx_ne_u32_e32 13, v0
	s_cbranch_execz .LBB83_329
; %bb.326:
	v_add_nc_u32_e32 v47, 0xa8, v42
	v_add3_u32 v48, 0, v42, 8
	v_mov_b32_e32 v49, v0
	s_mov_b32 s3, 0
.LBB83_327:                             ; =>This Inner Loop Header: Depth=1
	scratch_load_b64 v[50:51], v48, off
	ds_load_b64 v[52:53], v47
	s_wait_xcnt 0x0
	v_dual_add_nc_u32 v47, 8, v47 :: v_dual_add_nc_u32 v48, 8, v48
	s_wait_loadcnt_dscnt 0x0
	v_pk_mul_f32 v[54:55], v[52:53], v[50:51] op_sel:[1,1] op_sel_hi:[0,1]
	s_delay_alu instid0(VALU_DEP_1) | instskip(SKIP_2) | instid1(VALU_DEP_3)
	v_pk_fma_f32 v[56:57], v[52:53], v[50:51], v[54:55] op_sel_hi:[1,0,1]
	v_add_nc_u32_e32 v49, 1, v49
	v_pk_fma_f32 v[50:51], v[52:53], v[50:51], v[54:55] neg_lo:[0,0,1] neg_hi:[0,0,1]
	v_mov_b32_e32 v51, v57
	s_delay_alu instid0(VALU_DEP_3) | instskip(NEXT) | instid1(VALU_DEP_2)
	v_cmp_lt_u32_e32 vcc_lo, 12, v49
	v_pk_add_f32 v[44:45], v[44:45], v[50:51]
	s_or_b32 s3, vcc_lo, s3
	s_delay_alu instid0(SALU_CYCLE_1)
	s_and_not1_b32 exec_lo, exec_lo, s3
	s_cbranch_execnz .LBB83_327
; %bb.328:
	s_or_b32 exec_lo, exec_lo, s3
.LBB83_329:
	s_delay_alu instid0(SALU_CYCLE_1) | instskip(SKIP_4) | instid1(VALU_DEP_1)
	s_or_b32 exec_lo, exec_lo, s2
	v_mov_b32_e32 v47, 0
	ds_load_b64 v[48:49], v47 offset:112
	s_wait_dscnt 0x0
	v_pk_mul_f32 v[50:51], v[44:45], v[48:49] op_sel:[1,1] op_sel_hi:[0,1]
	v_pk_fma_f32 v[52:53], v[44:45], v[48:49], v[50:51] op_sel_hi:[1,0,1]
	v_pk_fma_f32 v[44:45], v[44:45], v[48:49], v[50:51] neg_lo:[0,0,1] neg_hi:[0,0,1]
	s_delay_alu instid0(VALU_DEP_2)
	v_mov_b32_e32 v45, v53
	scratch_store_b64 off, v[44:45], off offset:112
.LBB83_330:
	s_wait_xcnt 0x0
	s_or_b32 exec_lo, exec_lo, s0
	scratch_load_b64 v[44:45], off, off offset:120
	s_mov_b32 s0, exec_lo
	s_wait_loadcnt 0x0
	ds_store_b64 v1, v[44:45]
	s_wait_storecnt_dscnt 0x0
	s_barrier_signal -1
	s_barrier_wait -1
	s_wait_xcnt 0x0
	v_cmpx_gt_u32_e32 15, v0
	s_cbranch_execz .LBB83_340
; %bb.331:
	v_cmp_ne_u32_e32 vcc_lo, 1, v46
	s_cbranch_vccnz .LBB83_333
; %bb.332:
	scratch_load_b64 v[44:45], v43, off
	ds_load_b64 v[48:49], v1
	s_wait_loadcnt_dscnt 0x0
	v_pk_mul_f32 v[50:51], v[48:49], v[44:45] op_sel:[1,1] op_sel_hi:[0,1]
	s_delay_alu instid0(VALU_DEP_1) | instskip(SKIP_1) | instid1(VALU_DEP_2)
	v_pk_fma_f32 v[52:53], v[48:49], v[44:45], v[50:51] op_sel_hi:[1,0,1]
	v_pk_fma_f32 v[44:45], v[48:49], v[44:45], v[50:51] neg_lo:[0,0,1] neg_hi:[0,0,1]
	v_mov_b32_e32 v45, v53
	s_cbranch_execz .LBB83_334
	s_branch .LBB83_335
.LBB83_333:
                                        ; implicit-def: $vgpr44_vgpr45
.LBB83_334:
	ds_load_b64 v[44:45], v1
.LBB83_335:
	s_mov_b32 s2, exec_lo
	v_cmpx_ne_u32_e32 14, v0
	s_cbranch_execz .LBB83_339
; %bb.336:
	v_add_nc_u32_e32 v47, 0xa8, v42
	v_add3_u32 v48, 0, v42, 8
	v_mov_b32_e32 v49, v0
	s_mov_b32 s3, 0
.LBB83_337:                             ; =>This Inner Loop Header: Depth=1
	scratch_load_b64 v[50:51], v48, off
	ds_load_b64 v[52:53], v47
	s_wait_xcnt 0x0
	v_dual_add_nc_u32 v47, 8, v47 :: v_dual_add_nc_u32 v48, 8, v48
	s_wait_loadcnt_dscnt 0x0
	v_pk_mul_f32 v[54:55], v[52:53], v[50:51] op_sel:[1,1] op_sel_hi:[0,1]
	s_delay_alu instid0(VALU_DEP_1) | instskip(SKIP_2) | instid1(VALU_DEP_3)
	v_pk_fma_f32 v[56:57], v[52:53], v[50:51], v[54:55] op_sel_hi:[1,0,1]
	v_add_nc_u32_e32 v49, 1, v49
	v_pk_fma_f32 v[50:51], v[52:53], v[50:51], v[54:55] neg_lo:[0,0,1] neg_hi:[0,0,1]
	v_mov_b32_e32 v51, v57
	s_delay_alu instid0(VALU_DEP_3) | instskip(NEXT) | instid1(VALU_DEP_2)
	v_cmp_lt_u32_e32 vcc_lo, 13, v49
	v_pk_add_f32 v[44:45], v[44:45], v[50:51]
	s_or_b32 s3, vcc_lo, s3
	s_delay_alu instid0(SALU_CYCLE_1)
	s_and_not1_b32 exec_lo, exec_lo, s3
	s_cbranch_execnz .LBB83_337
; %bb.338:
	s_or_b32 exec_lo, exec_lo, s3
.LBB83_339:
	s_delay_alu instid0(SALU_CYCLE_1) | instskip(SKIP_4) | instid1(VALU_DEP_1)
	s_or_b32 exec_lo, exec_lo, s2
	v_mov_b32_e32 v47, 0
	ds_load_b64 v[48:49], v47 offset:120
	s_wait_dscnt 0x0
	v_pk_mul_f32 v[50:51], v[44:45], v[48:49] op_sel:[1,1] op_sel_hi:[0,1]
	v_pk_fma_f32 v[52:53], v[44:45], v[48:49], v[50:51] op_sel_hi:[1,0,1]
	v_pk_fma_f32 v[44:45], v[44:45], v[48:49], v[50:51] neg_lo:[0,0,1] neg_hi:[0,0,1]
	s_delay_alu instid0(VALU_DEP_2)
	v_mov_b32_e32 v45, v53
	scratch_store_b64 off, v[44:45], off offset:120
.LBB83_340:
	s_wait_xcnt 0x0
	s_or_b32 exec_lo, exec_lo, s0
	scratch_load_b64 v[44:45], off, off offset:128
	s_mov_b32 s0, exec_lo
	s_wait_loadcnt 0x0
	ds_store_b64 v1, v[44:45]
	s_wait_storecnt_dscnt 0x0
	s_barrier_signal -1
	s_barrier_wait -1
	s_wait_xcnt 0x0
	v_cmpx_gt_u32_e32 16, v0
	s_cbranch_execz .LBB83_350
; %bb.341:
	v_cmp_ne_u32_e32 vcc_lo, 1, v46
	s_cbranch_vccnz .LBB83_343
; %bb.342:
	scratch_load_b64 v[44:45], v43, off
	ds_load_b64 v[48:49], v1
	s_wait_loadcnt_dscnt 0x0
	v_pk_mul_f32 v[50:51], v[48:49], v[44:45] op_sel:[1,1] op_sel_hi:[0,1]
	s_delay_alu instid0(VALU_DEP_1) | instskip(SKIP_1) | instid1(VALU_DEP_2)
	v_pk_fma_f32 v[52:53], v[48:49], v[44:45], v[50:51] op_sel_hi:[1,0,1]
	v_pk_fma_f32 v[44:45], v[48:49], v[44:45], v[50:51] neg_lo:[0,0,1] neg_hi:[0,0,1]
	v_mov_b32_e32 v45, v53
	s_cbranch_execz .LBB83_344
	s_branch .LBB83_345
.LBB83_343:
                                        ; implicit-def: $vgpr44_vgpr45
.LBB83_344:
	ds_load_b64 v[44:45], v1
.LBB83_345:
	s_mov_b32 s2, exec_lo
	v_cmpx_ne_u32_e32 15, v0
	s_cbranch_execz .LBB83_349
; %bb.346:
	v_add_nc_u32_e32 v47, 0xa8, v42
	v_add3_u32 v48, 0, v42, 8
	v_mov_b32_e32 v49, v0
	s_mov_b32 s3, 0
.LBB83_347:                             ; =>This Inner Loop Header: Depth=1
	scratch_load_b64 v[50:51], v48, off
	ds_load_b64 v[52:53], v47
	s_wait_xcnt 0x0
	v_dual_add_nc_u32 v47, 8, v47 :: v_dual_add_nc_u32 v48, 8, v48
	s_wait_loadcnt_dscnt 0x0
	v_pk_mul_f32 v[54:55], v[52:53], v[50:51] op_sel:[1,1] op_sel_hi:[0,1]
	s_delay_alu instid0(VALU_DEP_1) | instskip(SKIP_2) | instid1(VALU_DEP_3)
	v_pk_fma_f32 v[56:57], v[52:53], v[50:51], v[54:55] op_sel_hi:[1,0,1]
	v_add_nc_u32_e32 v49, 1, v49
	v_pk_fma_f32 v[50:51], v[52:53], v[50:51], v[54:55] neg_lo:[0,0,1] neg_hi:[0,0,1]
	v_mov_b32_e32 v51, v57
	s_delay_alu instid0(VALU_DEP_3) | instskip(NEXT) | instid1(VALU_DEP_2)
	v_cmp_lt_u32_e32 vcc_lo, 14, v49
	v_pk_add_f32 v[44:45], v[44:45], v[50:51]
	s_or_b32 s3, vcc_lo, s3
	s_delay_alu instid0(SALU_CYCLE_1)
	s_and_not1_b32 exec_lo, exec_lo, s3
	s_cbranch_execnz .LBB83_347
; %bb.348:
	s_or_b32 exec_lo, exec_lo, s3
.LBB83_349:
	s_delay_alu instid0(SALU_CYCLE_1) | instskip(SKIP_4) | instid1(VALU_DEP_1)
	s_or_b32 exec_lo, exec_lo, s2
	v_mov_b32_e32 v47, 0
	ds_load_b64 v[48:49], v47 offset:128
	s_wait_dscnt 0x0
	v_pk_mul_f32 v[50:51], v[44:45], v[48:49] op_sel:[1,1] op_sel_hi:[0,1]
	v_pk_fma_f32 v[52:53], v[44:45], v[48:49], v[50:51] op_sel_hi:[1,0,1]
	v_pk_fma_f32 v[44:45], v[44:45], v[48:49], v[50:51] neg_lo:[0,0,1] neg_hi:[0,0,1]
	s_delay_alu instid0(VALU_DEP_2)
	v_mov_b32_e32 v45, v53
	scratch_store_b64 off, v[44:45], off offset:128
.LBB83_350:
	s_wait_xcnt 0x0
	s_or_b32 exec_lo, exec_lo, s0
	scratch_load_b64 v[44:45], off, off offset:136
	s_mov_b32 s0, exec_lo
	s_wait_loadcnt 0x0
	ds_store_b64 v1, v[44:45]
	s_wait_storecnt_dscnt 0x0
	s_barrier_signal -1
	s_barrier_wait -1
	s_wait_xcnt 0x0
	v_cmpx_gt_u32_e32 17, v0
	s_cbranch_execz .LBB83_360
; %bb.351:
	v_cmp_ne_u32_e32 vcc_lo, 1, v46
	s_cbranch_vccnz .LBB83_353
; %bb.352:
	scratch_load_b64 v[44:45], v43, off
	ds_load_b64 v[48:49], v1
	s_wait_loadcnt_dscnt 0x0
	v_pk_mul_f32 v[50:51], v[48:49], v[44:45] op_sel:[1,1] op_sel_hi:[0,1]
	s_delay_alu instid0(VALU_DEP_1) | instskip(SKIP_1) | instid1(VALU_DEP_2)
	v_pk_fma_f32 v[52:53], v[48:49], v[44:45], v[50:51] op_sel_hi:[1,0,1]
	v_pk_fma_f32 v[44:45], v[48:49], v[44:45], v[50:51] neg_lo:[0,0,1] neg_hi:[0,0,1]
	v_mov_b32_e32 v45, v53
	s_cbranch_execz .LBB83_354
	s_branch .LBB83_355
.LBB83_353:
                                        ; implicit-def: $vgpr44_vgpr45
.LBB83_354:
	ds_load_b64 v[44:45], v1
.LBB83_355:
	s_mov_b32 s2, exec_lo
	v_cmpx_ne_u32_e32 16, v0
	s_cbranch_execz .LBB83_359
; %bb.356:
	v_add_nc_u32_e32 v47, 0xa8, v42
	v_add3_u32 v48, 0, v42, 8
	v_mov_b32_e32 v49, v0
	s_mov_b32 s3, 0
.LBB83_357:                             ; =>This Inner Loop Header: Depth=1
	scratch_load_b64 v[50:51], v48, off
	ds_load_b64 v[52:53], v47
	s_wait_xcnt 0x0
	v_dual_add_nc_u32 v47, 8, v47 :: v_dual_add_nc_u32 v48, 8, v48
	s_wait_loadcnt_dscnt 0x0
	v_pk_mul_f32 v[54:55], v[52:53], v[50:51] op_sel:[1,1] op_sel_hi:[0,1]
	s_delay_alu instid0(VALU_DEP_1) | instskip(SKIP_2) | instid1(VALU_DEP_3)
	v_pk_fma_f32 v[56:57], v[52:53], v[50:51], v[54:55] op_sel_hi:[1,0,1]
	v_add_nc_u32_e32 v49, 1, v49
	v_pk_fma_f32 v[50:51], v[52:53], v[50:51], v[54:55] neg_lo:[0,0,1] neg_hi:[0,0,1]
	v_mov_b32_e32 v51, v57
	s_delay_alu instid0(VALU_DEP_3) | instskip(NEXT) | instid1(VALU_DEP_2)
	v_cmp_lt_u32_e32 vcc_lo, 15, v49
	v_pk_add_f32 v[44:45], v[44:45], v[50:51]
	s_or_b32 s3, vcc_lo, s3
	s_delay_alu instid0(SALU_CYCLE_1)
	s_and_not1_b32 exec_lo, exec_lo, s3
	s_cbranch_execnz .LBB83_357
; %bb.358:
	s_or_b32 exec_lo, exec_lo, s3
.LBB83_359:
	s_delay_alu instid0(SALU_CYCLE_1) | instskip(SKIP_4) | instid1(VALU_DEP_1)
	s_or_b32 exec_lo, exec_lo, s2
	v_mov_b32_e32 v47, 0
	ds_load_b64 v[48:49], v47 offset:136
	s_wait_dscnt 0x0
	v_pk_mul_f32 v[50:51], v[44:45], v[48:49] op_sel:[1,1] op_sel_hi:[0,1]
	v_pk_fma_f32 v[52:53], v[44:45], v[48:49], v[50:51] op_sel_hi:[1,0,1]
	v_pk_fma_f32 v[44:45], v[44:45], v[48:49], v[50:51] neg_lo:[0,0,1] neg_hi:[0,0,1]
	s_delay_alu instid0(VALU_DEP_2)
	v_mov_b32_e32 v45, v53
	scratch_store_b64 off, v[44:45], off offset:136
.LBB83_360:
	s_wait_xcnt 0x0
	s_or_b32 exec_lo, exec_lo, s0
	scratch_load_b64 v[44:45], off, off offset:144
	v_cmp_gt_u32_e64 s0, 18, v0
	s_wait_loadcnt 0x0
	ds_store_b64 v1, v[44:45]
	s_wait_storecnt_dscnt 0x0
	s_barrier_signal -1
	s_barrier_wait -1
	s_wait_xcnt 0x0
	s_and_saveexec_b32 s2, s0
	s_cbranch_execz .LBB83_370
; %bb.361:
	v_cmp_ne_u32_e32 vcc_lo, 1, v46
	s_cbranch_vccnz .LBB83_363
; %bb.362:
	scratch_load_b64 v[44:45], v43, off
	ds_load_b64 v[48:49], v1
	s_wait_loadcnt_dscnt 0x0
	v_pk_mul_f32 v[50:51], v[48:49], v[44:45] op_sel:[1,1] op_sel_hi:[0,1]
	s_delay_alu instid0(VALU_DEP_1) | instskip(SKIP_1) | instid1(VALU_DEP_2)
	v_pk_fma_f32 v[52:53], v[48:49], v[44:45], v[50:51] op_sel_hi:[1,0,1]
	v_pk_fma_f32 v[44:45], v[48:49], v[44:45], v[50:51] neg_lo:[0,0,1] neg_hi:[0,0,1]
	v_mov_b32_e32 v45, v53
	s_cbranch_execz .LBB83_364
	s_branch .LBB83_365
.LBB83_363:
                                        ; implicit-def: $vgpr44_vgpr45
.LBB83_364:
	ds_load_b64 v[44:45], v1
.LBB83_365:
	s_mov_b32 s3, exec_lo
	v_cmpx_ne_u32_e32 17, v0
	s_cbranch_execz .LBB83_369
; %bb.366:
	v_add_nc_u32_e32 v47, 0xa8, v42
	v_add3_u32 v48, 0, v42, 8
	v_mov_b32_e32 v49, v0
	s_mov_b32 s4, 0
.LBB83_367:                             ; =>This Inner Loop Header: Depth=1
	scratch_load_b64 v[50:51], v48, off
	ds_load_b64 v[52:53], v47
	s_wait_xcnt 0x0
	v_dual_add_nc_u32 v47, 8, v47 :: v_dual_add_nc_u32 v48, 8, v48
	s_wait_loadcnt_dscnt 0x0
	v_pk_mul_f32 v[54:55], v[52:53], v[50:51] op_sel:[1,1] op_sel_hi:[0,1]
	s_delay_alu instid0(VALU_DEP_1) | instskip(SKIP_2) | instid1(VALU_DEP_3)
	v_pk_fma_f32 v[56:57], v[52:53], v[50:51], v[54:55] op_sel_hi:[1,0,1]
	v_add_nc_u32_e32 v49, 1, v49
	v_pk_fma_f32 v[50:51], v[52:53], v[50:51], v[54:55] neg_lo:[0,0,1] neg_hi:[0,0,1]
	v_mov_b32_e32 v51, v57
	s_delay_alu instid0(VALU_DEP_3) | instskip(NEXT) | instid1(VALU_DEP_2)
	v_cmp_lt_u32_e32 vcc_lo, 16, v49
	v_pk_add_f32 v[44:45], v[44:45], v[50:51]
	s_or_b32 s4, vcc_lo, s4
	s_delay_alu instid0(SALU_CYCLE_1)
	s_and_not1_b32 exec_lo, exec_lo, s4
	s_cbranch_execnz .LBB83_367
; %bb.368:
	s_or_b32 exec_lo, exec_lo, s4
.LBB83_369:
	s_delay_alu instid0(SALU_CYCLE_1) | instskip(SKIP_4) | instid1(VALU_DEP_1)
	s_or_b32 exec_lo, exec_lo, s3
	v_mov_b32_e32 v47, 0
	ds_load_b64 v[48:49], v47 offset:144
	s_wait_dscnt 0x0
	v_pk_mul_f32 v[50:51], v[44:45], v[48:49] op_sel:[1,1] op_sel_hi:[0,1]
	v_pk_fma_f32 v[52:53], v[44:45], v[48:49], v[50:51] op_sel_hi:[1,0,1]
	v_pk_fma_f32 v[44:45], v[44:45], v[48:49], v[50:51] neg_lo:[0,0,1] neg_hi:[0,0,1]
	s_delay_alu instid0(VALU_DEP_2)
	v_mov_b32_e32 v45, v53
	scratch_store_b64 off, v[44:45], off offset:144
.LBB83_370:
	s_wait_xcnt 0x0
	s_or_b32 exec_lo, exec_lo, s2
	scratch_load_b64 v[44:45], off, off offset:152
	s_mov_b32 s2, exec_lo
                                        ; implicit-def: $vgpr58
                                        ; implicit-def: $sgpr8
	s_wait_loadcnt 0x0
	ds_store_b64 v1, v[44:45]
	s_wait_storecnt_dscnt 0x0
	s_barrier_signal -1
	s_barrier_wait -1
	s_wait_xcnt 0x0
	v_cmpx_ne_u32_e32 19, v0
	s_cbranch_execz .LBB83_380
; %bb.371:
	v_cmp_ne_u32_e32 vcc_lo, 1, v46
	s_cbranch_vccnz .LBB83_373
; %bb.372:
	scratch_load_b64 v[46:47], v43, off
	ds_load_b64 v[48:49], v1
	s_wait_loadcnt_dscnt 0x0
	v_dual_mul_f32 v43, v49, v47 :: v_dual_mul_f32 v45, v48, v47
	s_delay_alu instid0(VALU_DEP_1)
	v_dual_fma_f32 v44, v48, v46, -v43 :: v_dual_fmac_f32 v45, v49, v46
	s_cbranch_execz .LBB83_374
	s_branch .LBB83_375
.LBB83_373:
                                        ; implicit-def: $vgpr45
.LBB83_374:
	ds_load_b64 v[44:45], v1
.LBB83_375:
	s_and_saveexec_b32 s3, s0
	s_cbranch_execz .LBB83_379
; %bb.376:
	v_add_nc_u32_e32 v1, 0xa8, v42
	v_add3_u32 v42, 0, v42, 8
	s_mov_b32 s0, 0
.LBB83_377:                             ; =>This Inner Loop Header: Depth=1
	scratch_load_b64 v[46:47], v42, off
	ds_load_b64 v[48:49], v1
	s_wait_loadcnt_dscnt 0x0
	v_dual_add_nc_u32 v1, 8, v1 :: v_dual_mul_f32 v43, v49, v47
	v_dual_mul_f32 v47, v48, v47 :: v_dual_add_nc_u32 v0, 1, v0
	s_delay_alu instid0(VALU_DEP_2) | instskip(NEXT) | instid1(VALU_DEP_2)
	v_fma_f32 v43, v48, v46, -v43
	v_fmac_f32_e32 v47, v49, v46
	s_delay_alu instid0(VALU_DEP_3) | instskip(NEXT) | instid1(VALU_DEP_3)
	v_cmp_lt_u32_e32 vcc_lo, 17, v0
	v_dual_add_nc_u32 v42, 8, v42 :: v_dual_add_f32 v44, v44, v43
	s_delay_alu instid0(VALU_DEP_3) | instskip(SKIP_1) | instid1(SALU_CYCLE_1)
	v_add_f32_e32 v45, v45, v47
	s_or_b32 s0, vcc_lo, s0
	s_and_not1_b32 exec_lo, exec_lo, s0
	s_cbranch_execnz .LBB83_377
; %bb.378:
	s_or_b32 exec_lo, exec_lo, s0
.LBB83_379:
	s_delay_alu instid0(SALU_CYCLE_1)
	s_or_b32 exec_lo, exec_lo, s3
	v_mov_b32_e32 v0, 0
	s_movk_i32 s8, 0x9c
	s_or_b32 s1, s1, exec_lo
	ds_load_b64 v[0:1], v0 offset:152
	s_wait_dscnt 0x0
	v_dual_mul_f32 v42, v45, v1 :: v_dual_mul_f32 v58, v44, v1
	s_delay_alu instid0(VALU_DEP_1) | instskip(NEXT) | instid1(VALU_DEP_2)
	v_fma_f32 v1, v44, v0, -v42
	v_fmac_f32_e32 v58, v45, v0
	scratch_store_b32 off, v1, off offset:152
.LBB83_380:
	s_wait_xcnt 0x0
	s_or_b32 exec_lo, exec_lo, s2
.LBB83_381:
	v_lshl_add_u64 v[56:57], v[6:7], 3, s[6:7]
	v_lshl_add_u64 v[54:55], v[8:9], 3, s[6:7]
	;; [unrolled: 1-line block ×18, first 2 shown]
	s_and_saveexec_b32 s0, s1
	s_cbranch_execz .LBB83_383
; %bb.382:
	scratch_store_b32 off, v58, s8
.LBB83_383:
	s_wait_xcnt 0x0
	s_or_b32 exec_lo, exec_lo, s0
	scratch_load_b64 v[24:25], off, off
	s_wait_loadcnt 0x0
	flat_store_b64 v[2:3], v[24:25]
	scratch_load_b64 v[2:3], off, off offset:8
	s_wait_loadcnt 0x0
	flat_store_b64 v[4:5], v[2:3]
	scratch_load_b64 v[2:3], off, off offset:16
	;; [unrolled: 3-line block ×19, first 2 shown]
	s_wait_loadcnt 0x0
	flat_store_b64 v[0:1], v[2:3]
.LBB83_384:
	s_endpgm
	.section	.rodata,"a",@progbits
	.p2align	6, 0x0
	.amdhsa_kernel _ZN9rocsolver6v33100L18trti2_kernel_smallILi20E19rocblas_complex_numIfEPKPS3_EEv13rocblas_fill_17rocblas_diagonal_T1_iil
		.amdhsa_group_segment_fixed_size 320
		.amdhsa_private_segment_fixed_size 176
		.amdhsa_kernarg_size 32
		.amdhsa_user_sgpr_count 2
		.amdhsa_user_sgpr_dispatch_ptr 0
		.amdhsa_user_sgpr_queue_ptr 0
		.amdhsa_user_sgpr_kernarg_segment_ptr 1
		.amdhsa_user_sgpr_dispatch_id 0
		.amdhsa_user_sgpr_kernarg_preload_length 0
		.amdhsa_user_sgpr_kernarg_preload_offset 0
		.amdhsa_user_sgpr_private_segment_size 0
		.amdhsa_wavefront_size32 1
		.amdhsa_uses_dynamic_stack 0
		.amdhsa_enable_private_segment 1
		.amdhsa_system_sgpr_workgroup_id_x 1
		.amdhsa_system_sgpr_workgroup_id_y 0
		.amdhsa_system_sgpr_workgroup_id_z 0
		.amdhsa_system_sgpr_workgroup_info 0
		.amdhsa_system_vgpr_workitem_id 0
		.amdhsa_next_free_vgpr 59
		.amdhsa_next_free_sgpr 25
		.amdhsa_named_barrier_count 0
		.amdhsa_reserve_vcc 1
		.amdhsa_float_round_mode_32 0
		.amdhsa_float_round_mode_16_64 0
		.amdhsa_float_denorm_mode_32 3
		.amdhsa_float_denorm_mode_16_64 3
		.amdhsa_fp16_overflow 0
		.amdhsa_memory_ordered 1
		.amdhsa_forward_progress 1
		.amdhsa_inst_pref_size 120
		.amdhsa_round_robin_scheduling 0
		.amdhsa_exception_fp_ieee_invalid_op 0
		.amdhsa_exception_fp_denorm_src 0
		.amdhsa_exception_fp_ieee_div_zero 0
		.amdhsa_exception_fp_ieee_overflow 0
		.amdhsa_exception_fp_ieee_underflow 0
		.amdhsa_exception_fp_ieee_inexact 0
		.amdhsa_exception_int_div_zero 0
	.end_amdhsa_kernel
	.section	.text._ZN9rocsolver6v33100L18trti2_kernel_smallILi20E19rocblas_complex_numIfEPKPS3_EEv13rocblas_fill_17rocblas_diagonal_T1_iil,"axG",@progbits,_ZN9rocsolver6v33100L18trti2_kernel_smallILi20E19rocblas_complex_numIfEPKPS3_EEv13rocblas_fill_17rocblas_diagonal_T1_iil,comdat
.Lfunc_end83:
	.size	_ZN9rocsolver6v33100L18trti2_kernel_smallILi20E19rocblas_complex_numIfEPKPS3_EEv13rocblas_fill_17rocblas_diagonal_T1_iil, .Lfunc_end83-_ZN9rocsolver6v33100L18trti2_kernel_smallILi20E19rocblas_complex_numIfEPKPS3_EEv13rocblas_fill_17rocblas_diagonal_T1_iil
                                        ; -- End function
	.set _ZN9rocsolver6v33100L18trti2_kernel_smallILi20E19rocblas_complex_numIfEPKPS3_EEv13rocblas_fill_17rocblas_diagonal_T1_iil.num_vgpr, 59
	.set _ZN9rocsolver6v33100L18trti2_kernel_smallILi20E19rocblas_complex_numIfEPKPS3_EEv13rocblas_fill_17rocblas_diagonal_T1_iil.num_agpr, 0
	.set _ZN9rocsolver6v33100L18trti2_kernel_smallILi20E19rocblas_complex_numIfEPKPS3_EEv13rocblas_fill_17rocblas_diagonal_T1_iil.numbered_sgpr, 25
	.set _ZN9rocsolver6v33100L18trti2_kernel_smallILi20E19rocblas_complex_numIfEPKPS3_EEv13rocblas_fill_17rocblas_diagonal_T1_iil.num_named_barrier, 0
	.set _ZN9rocsolver6v33100L18trti2_kernel_smallILi20E19rocblas_complex_numIfEPKPS3_EEv13rocblas_fill_17rocblas_diagonal_T1_iil.private_seg_size, 176
	.set _ZN9rocsolver6v33100L18trti2_kernel_smallILi20E19rocblas_complex_numIfEPKPS3_EEv13rocblas_fill_17rocblas_diagonal_T1_iil.uses_vcc, 1
	.set _ZN9rocsolver6v33100L18trti2_kernel_smallILi20E19rocblas_complex_numIfEPKPS3_EEv13rocblas_fill_17rocblas_diagonal_T1_iil.uses_flat_scratch, 0
	.set _ZN9rocsolver6v33100L18trti2_kernel_smallILi20E19rocblas_complex_numIfEPKPS3_EEv13rocblas_fill_17rocblas_diagonal_T1_iil.has_dyn_sized_stack, 0
	.set _ZN9rocsolver6v33100L18trti2_kernel_smallILi20E19rocblas_complex_numIfEPKPS3_EEv13rocblas_fill_17rocblas_diagonal_T1_iil.has_recursion, 0
	.set _ZN9rocsolver6v33100L18trti2_kernel_smallILi20E19rocblas_complex_numIfEPKPS3_EEv13rocblas_fill_17rocblas_diagonal_T1_iil.has_indirect_call, 0
	.section	.AMDGPU.csdata,"",@progbits
; Kernel info:
; codeLenInByte = 15272
; TotalNumSgprs: 27
; NumVgprs: 59
; ScratchSize: 176
; MemoryBound: 0
; FloatMode: 240
; IeeeMode: 1
; LDSByteSize: 320 bytes/workgroup (compile time only)
; SGPRBlocks: 0
; VGPRBlocks: 3
; NumSGPRsForWavesPerEU: 27
; NumVGPRsForWavesPerEU: 59
; NamedBarCnt: 0
; Occupancy: 16
; WaveLimiterHint : 1
; COMPUTE_PGM_RSRC2:SCRATCH_EN: 1
; COMPUTE_PGM_RSRC2:USER_SGPR: 2
; COMPUTE_PGM_RSRC2:TRAP_HANDLER: 0
; COMPUTE_PGM_RSRC2:TGID_X_EN: 1
; COMPUTE_PGM_RSRC2:TGID_Y_EN: 0
; COMPUTE_PGM_RSRC2:TGID_Z_EN: 0
; COMPUTE_PGM_RSRC2:TIDIG_COMP_CNT: 0
	.section	.text._ZN9rocsolver6v33100L18trti2_kernel_smallILi21E19rocblas_complex_numIfEPKPS3_EEv13rocblas_fill_17rocblas_diagonal_T1_iil,"axG",@progbits,_ZN9rocsolver6v33100L18trti2_kernel_smallILi21E19rocblas_complex_numIfEPKPS3_EEv13rocblas_fill_17rocblas_diagonal_T1_iil,comdat
	.globl	_ZN9rocsolver6v33100L18trti2_kernel_smallILi21E19rocblas_complex_numIfEPKPS3_EEv13rocblas_fill_17rocblas_diagonal_T1_iil ; -- Begin function _ZN9rocsolver6v33100L18trti2_kernel_smallILi21E19rocblas_complex_numIfEPKPS3_EEv13rocblas_fill_17rocblas_diagonal_T1_iil
	.p2align	8
	.type	_ZN9rocsolver6v33100L18trti2_kernel_smallILi21E19rocblas_complex_numIfEPKPS3_EEv13rocblas_fill_17rocblas_diagonal_T1_iil,@function
_ZN9rocsolver6v33100L18trti2_kernel_smallILi21E19rocblas_complex_numIfEPKPS3_EEv13rocblas_fill_17rocblas_diagonal_T1_iil: ; @_ZN9rocsolver6v33100L18trti2_kernel_smallILi21E19rocblas_complex_numIfEPKPS3_EEv13rocblas_fill_17rocblas_diagonal_T1_iil
; %bb.0:
	s_mov_b32 s2, exec_lo
	v_cmpx_gt_u32_e32 21, v0
	s_cbranch_execz .LBB84_404
; %bb.1:
	s_clause 0x1
	s_load_b64 s[8:9], s[0:1], 0x10
	s_load_b128 s[4:7], s[0:1], 0x0
	s_wait_xcnt 0x0
	s_bfe_u32 s0, ttmp6, 0x4000c
	s_and_b32 s1, ttmp6, 15
	s_add_co_i32 s0, s0, 1
	s_getreg_b32 s2, hwreg(HW_REG_IB_STS2, 6, 4)
	s_mul_i32 s0, ttmp9, s0
	v_dual_mov_b32 v45, 0 :: v_dual_lshlrev_b32 v44, 3, v0
	s_add_co_i32 s0, s1, s0
	s_wait_kmcnt 0x0
	s_ashr_i32 s1, s8, 31
	s_cmp_eq_u32 s2, 0
	s_cselect_b32 s2, ttmp9, s0
	s_mov_b32 s0, s8
	s_ashr_i32 s3, s2, 31
	s_lshl_b64 s[0:1], s[0:1], 3
	s_lshl_b64 s[2:3], s[2:3], 3
	s_delay_alu instid0(SALU_CYCLE_1)
	s_add_nc_u64 s[2:3], s[6:7], s[2:3]
	s_load_b64 s[2:3], s[2:3], 0x0
	s_wait_kmcnt 0x0
	s_add_nc_u64 s[2:3], s[2:3], s[0:1]
	s_mov_b32 s0, s9
	flat_load_b64 v[6:7], v0, s[2:3] scale_offset
	v_add_nc_u64_e32 v[2:3], s[2:3], v[44:45]
	s_ashr_i32 s1, s9, 31
	s_cmp_lg_u32 s5, 0x84
	s_cselect_b32 s5, -1, 0
	s_delay_alu instid0(SALU_CYCLE_1) | instskip(NEXT) | instid1(VALU_DEP_1)
	s_and_b32 vcc_lo, exec_lo, s5
	v_lshl_add_u64 v[4:5], s[0:1], 3, v[2:3]
	s_mov_b32 s0, -1
	s_wait_loadcnt_dscnt 0x0
	scratch_store_b64 off, v[6:7], off
	flat_load_b64 v[8:9], v[4:5]
	s_wait_xcnt 0x1
	v_add3_u32 v6, s9, s9, v0
	s_wait_loadcnt_dscnt 0x0
	scratch_store_b64 off, v[8:9], off offset:8
	flat_load_b64 v[10:11], v6, s[2:3] scale_offset
	s_wait_xcnt 0x1
	v_add_nc_u32_e32 v8, s9, v6
	s_wait_loadcnt_dscnt 0x0
	scratch_store_b64 off, v[10:11], off offset:16
	flat_load_b64 v[12:13], v8, s[2:3] scale_offset
	s_wait_xcnt 0x1
	v_add_nc_u32_e32 v10, s9, v8
	;; [unrolled: 5-line block ×18, first 2 shown]
	s_wait_loadcnt_dscnt 0x0
	scratch_store_b64 off, v[46:47], off offset:152
	flat_load_b64 v[46:47], v42, s[2:3] scale_offset
	s_wait_loadcnt_dscnt 0x0
	scratch_store_b64 off, v[46:47], off offset:160
	s_cbranch_vccz .LBB84_7
; %bb.2:
	scratch_load_b64 v[46:47], v0, off scale_offset
                                        ; implicit-def: $vgpr51
                                        ; implicit-def: $vgpr48
	s_wait_loadcnt 0x0
	v_cmp_ngt_f32_e64 s0, |v46|, |v47|
	s_wait_xcnt 0x0
	s_and_saveexec_b32 s1, s0
	s_delay_alu instid0(SALU_CYCLE_1)
	s_xor_b32 s0, exec_lo, s1
	s_cbranch_execz .LBB84_4
; %bb.3:
	v_div_scale_f32 v1, null, v47, v47, v46
	v_div_scale_f32 v11, vcc_lo, v46, v47, v46
	s_delay_alu instid0(VALU_DEP_2) | instskip(SKIP_1) | instid1(TRANS32_DEP_1)
	v_rcp_f32_e32 v7, v1
	v_nop
	v_fma_f32 v9, -v1, v7, 1.0
	s_delay_alu instid0(VALU_DEP_1) | instskip(NEXT) | instid1(VALU_DEP_1)
	v_fmac_f32_e32 v7, v9, v7
	v_mul_f32_e32 v9, v11, v7
	s_delay_alu instid0(VALU_DEP_1) | instskip(NEXT) | instid1(VALU_DEP_1)
	v_fma_f32 v13, -v1, v9, v11
	v_fmac_f32_e32 v9, v13, v7
	s_delay_alu instid0(VALU_DEP_1) | instskip(NEXT) | instid1(VALU_DEP_1)
	v_fma_f32 v1, -v1, v9, v11
	v_div_fmas_f32 v1, v1, v7, v9
	s_delay_alu instid0(VALU_DEP_1) | instskip(NEXT) | instid1(VALU_DEP_1)
	v_div_fixup_f32 v1, v1, v47, v46
	v_fmac_f32_e32 v47, v46, v1
	s_delay_alu instid0(VALU_DEP_1) | instskip(NEXT) | instid1(VALU_DEP_1)
	v_div_scale_f32 v7, null, v47, v47, -1.0
	v_rcp_f32_e32 v9, v7
	v_nop
	s_delay_alu instid0(TRANS32_DEP_1) | instskip(NEXT) | instid1(VALU_DEP_1)
	v_fma_f32 v11, -v7, v9, 1.0
	v_fmac_f32_e32 v9, v11, v9
	v_div_scale_f32 v11, vcc_lo, -1.0, v47, -1.0
	s_delay_alu instid0(VALU_DEP_1) | instskip(NEXT) | instid1(VALU_DEP_1)
	v_mul_f32_e32 v13, v11, v9
	v_fma_f32 v15, -v7, v13, v11
	s_delay_alu instid0(VALU_DEP_1) | instskip(NEXT) | instid1(VALU_DEP_1)
	v_fmac_f32_e32 v13, v15, v9
	v_fma_f32 v7, -v7, v13, v11
	s_delay_alu instid0(VALU_DEP_1) | instskip(NEXT) | instid1(VALU_DEP_1)
	v_div_fmas_f32 v7, v7, v9, v13
	v_div_fixup_f32 v51, v7, v47, -1.0
                                        ; implicit-def: $vgpr46_vgpr47
	s_delay_alu instid0(VALU_DEP_1) | instskip(NEXT) | instid1(VALU_DEP_1)
	v_mul_f32_e32 v48, v1, v51
	v_xor_b32_e32 v50, 0x80000000, v48
.LBB84_4:
	s_or_saveexec_b32 s0, s0
	v_lshl_add_u32 v1, v0, 3, 0
	s_xor_b32 exec_lo, exec_lo, s0
	s_cbranch_execz .LBB84_6
; %bb.5:
	v_div_scale_f32 v7, null, v46, v46, v47
	v_div_scale_f32 v13, vcc_lo, v47, v46, v47
	s_delay_alu instid0(VALU_DEP_2) | instskip(SKIP_1) | instid1(TRANS32_DEP_1)
	v_rcp_f32_e32 v9, v7
	v_nop
	v_fma_f32 v11, -v7, v9, 1.0
	s_delay_alu instid0(VALU_DEP_1) | instskip(NEXT) | instid1(VALU_DEP_1)
	v_fmac_f32_e32 v9, v11, v9
	v_mul_f32_e32 v11, v13, v9
	s_delay_alu instid0(VALU_DEP_1) | instskip(NEXT) | instid1(VALU_DEP_1)
	v_fma_f32 v15, -v7, v11, v13
	v_fmac_f32_e32 v11, v15, v9
	s_delay_alu instid0(VALU_DEP_1) | instskip(NEXT) | instid1(VALU_DEP_1)
	v_fma_f32 v7, -v7, v11, v13
	v_div_fmas_f32 v7, v7, v9, v11
	s_delay_alu instid0(VALU_DEP_1) | instskip(NEXT) | instid1(VALU_DEP_1)
	v_div_fixup_f32 v7, v7, v46, v47
	v_fmac_f32_e32 v46, v47, v7
	s_delay_alu instid0(VALU_DEP_1) | instskip(SKIP_1) | instid1(VALU_DEP_2)
	v_div_scale_f32 v9, null, v46, v46, 1.0
	v_div_scale_f32 v15, vcc_lo, 1.0, v46, 1.0
	v_rcp_f32_e32 v11, v9
	v_nop
	s_delay_alu instid0(TRANS32_DEP_1) | instskip(NEXT) | instid1(VALU_DEP_1)
	v_fma_f32 v13, -v9, v11, 1.0
	v_fmac_f32_e32 v11, v13, v11
	s_delay_alu instid0(VALU_DEP_1) | instskip(NEXT) | instid1(VALU_DEP_1)
	v_mul_f32_e32 v13, v15, v11
	v_fma_f32 v17, -v9, v13, v15
	s_delay_alu instid0(VALU_DEP_1) | instskip(NEXT) | instid1(VALU_DEP_1)
	v_fmac_f32_e32 v13, v17, v11
	v_fma_f32 v9, -v9, v13, v15
	s_delay_alu instid0(VALU_DEP_1) | instskip(NEXT) | instid1(VALU_DEP_1)
	v_div_fmas_f32 v9, v9, v11, v13
	v_div_fixup_f32 v50, v9, v46, 1.0
	s_delay_alu instid0(VALU_DEP_1)
	v_xor_b32_e32 v48, 0x80000000, v50
	v_mul_f32_e64 v51, v7, -v50
.LBB84_6:
	s_or_b32 exec_lo, exec_lo, s0
	s_delay_alu instid0(VALU_DEP_1)
	v_xor_b32_e32 v49, 0x80000000, v51
	s_mov_b32 s0, 0
	scratch_store_b64 v1, v[50:51], off
	ds_store_b64 v44, v[48:49]
.LBB84_7:
	s_and_b32 vcc_lo, exec_lo, s0
	s_cbranch_vccz .LBB84_9
; %bb.8:
	s_mov_b64 s[0:1], 0xbf800000
	s_wait_xcnt 0x0
	v_mov_b64_e32 v[46:47], s[0:1]
	ds_store_b64 v44, v[46:47]
.LBB84_9:
	v_dual_ashrrev_i32 v7, 31, v6 :: v_dual_ashrrev_i32 v9, 31, v8
	v_dual_ashrrev_i32 v11, 31, v10 :: v_dual_ashrrev_i32 v13, 31, v12
	v_dual_ashrrev_i32 v15, 31, v14 :: v_dual_ashrrev_i32 v17, 31, v16
	v_dual_ashrrev_i32 v19, 31, v18 :: v_dual_ashrrev_i32 v21, 31, v20
	v_dual_ashrrev_i32 v23, 31, v22 :: v_dual_ashrrev_i32 v25, 31, v24
	v_dual_ashrrev_i32 v27, 31, v26 :: v_dual_ashrrev_i32 v29, 31, v28
	v_dual_ashrrev_i32 v31, 31, v30 :: v_dual_ashrrev_i32 v33, 31, v32
	v_dual_ashrrev_i32 v35, 31, v34 :: v_dual_ashrrev_i32 v37, 31, v36
	v_dual_ashrrev_i32 v39, 31, v38 :: v_dual_ashrrev_i32 v41, 31, v40
	v_dual_ashrrev_i32 v43, 31, v42 :: v_dual_mov_b32 v45, v44
	s_wait_xcnt 0x0
	v_add_nc_u32_e32 v1, 0xb0, v44
	s_cmp_eq_u32 s4, 0x79
	s_cbranch_scc1 .LBB84_13
; %bb.10:
	scratch_load_b64 v[46:47], off, off offset:152
	v_cmp_eq_u32_e64 s0, 20, v0
	s_movk_i32 s1, 0x48
	s_movk_i32 s14, 0x50
	;; [unrolled: 1-line block ×10, first 2 shown]
	s_wait_loadcnt 0x0
	ds_store_b64 v1, v[46:47]
	s_wait_storecnt_dscnt 0x0
	s_barrier_signal -1
	s_barrier_wait -1
	s_wait_xcnt 0x0
	s_and_saveexec_b32 s4, s0
	s_cbranch_execz .LBB84_17
; %bb.11:
	s_and_b32 vcc_lo, exec_lo, s5
	s_cbranch_vccz .LBB84_14
; %bb.12:
	scratch_load_b64 v[46:47], v45, off
	ds_load_b64 v[48:49], v1
	s_wait_loadcnt_dscnt 0x0
	v_pk_mul_f32 v[50:51], v[48:49], v[46:47] op_sel:[1,1] op_sel_hi:[0,1]
	v_pk_mul_f32 v[52:53], v[48:49], v[46:47] op_sel_hi:[1,0]
	s_delay_alu instid0(VALU_DEP_2) | instskip(NEXT) | instid1(VALU_DEP_2)
	v_pk_fma_f32 v[46:47], v[48:49], v[46:47], v[50:51] op_sel_hi:[1,0,1]
	v_sub_f32_e32 v46, v52, v50
	s_cbranch_execz .LBB84_15
	s_branch .LBB84_16
.LBB84_13:
	s_mov_b32 s1, 0
                                        ; implicit-def: $vgpr62
                                        ; implicit-def: $sgpr8
	s_cbranch_execnz .LBB84_206
	s_branch .LBB84_401
.LBB84_14:
                                        ; implicit-def: $vgpr47
.LBB84_15:
	ds_load_b64 v[46:47], v1
.LBB84_16:
	s_wait_dscnt 0x0
	v_dual_mov_b32 v48, 0 :: v_dual_mov_b32 v50, v47
	v_mov_b32_e32 v51, v46
	ds_load_b64 v[48:49], v48 offset:152
	s_wait_dscnt 0x0
	v_pk_mul_f32 v[50:51], v[50:51], v[48:49] op_sel:[0,1]
	s_delay_alu instid0(VALU_DEP_1) | instskip(SKIP_1) | instid1(VALU_DEP_2)
	v_pk_fma_f32 v[52:53], v[46:47], v[48:49], v[50:51] op_sel_hi:[1,0,1]
	v_pk_fma_f32 v[46:47], v[46:47], v[48:49], v[50:51] neg_lo:[0,0,1] neg_hi:[0,0,1]
	v_mov_b32_e32 v47, v53
	scratch_store_b64 off, v[46:47], off offset:152
.LBB84_17:
	s_wait_xcnt 0x0
	s_or_b32 exec_lo, exec_lo, s4
	scratch_load_b64 v[46:47], off, off offset:144
	s_mov_b32 s13, s1
	v_cmp_lt_u32_e64 s1, 18, v0
	s_or_b32 s4, 0, 8
	s_mov_b32 s6, 16
	s_mov_b32 s7, 24
	;; [unrolled: 1-line block ×7, first 2 shown]
	s_wait_loadcnt 0x0
	ds_store_b64 v1, v[46:47]
	s_wait_storecnt_dscnt 0x0
	s_barrier_signal -1
	s_barrier_wait -1
	s_wait_xcnt 0x0
	s_and_saveexec_b32 s23, s1
	s_cbranch_execz .LBB84_25
; %bb.18:
	s_and_not1_b32 vcc_lo, exec_lo, s5
	s_cbranch_vccnz .LBB84_20
; %bb.19:
	scratch_load_b64 v[46:47], v45, off
	ds_load_b64 v[48:49], v1
	s_wait_loadcnt_dscnt 0x0
	v_pk_mul_f32 v[50:51], v[48:49], v[46:47] op_sel:[1,1] op_sel_hi:[0,1]
	s_delay_alu instid0(VALU_DEP_1) | instskip(SKIP_1) | instid1(VALU_DEP_2)
	v_pk_fma_f32 v[52:53], v[48:49], v[46:47], v[50:51] op_sel_hi:[1,0,1]
	v_pk_fma_f32 v[46:47], v[48:49], v[46:47], v[50:51] neg_lo:[0,0,1] neg_hi:[0,0,1]
	v_mov_b32_e32 v47, v53
	s_cbranch_execz .LBB84_21
	s_branch .LBB84_22
.LBB84_20:
                                        ; implicit-def: $vgpr46_vgpr47
.LBB84_21:
	ds_load_b64 v[46:47], v1
.LBB84_22:
	s_and_saveexec_b32 s24, s0
	s_cbranch_execz .LBB84_24
; %bb.23:
	scratch_load_b64 v[48:49], off, off offset:152
	v_mov_b32_e32 v50, 0
	ds_load_b64 v[50:51], v50 offset:328
	s_wait_loadcnt_dscnt 0x0
	v_pk_mul_f32 v[52:53], v[50:51], v[48:49] op_sel:[1,1] op_sel_hi:[0,1]
	s_delay_alu instid0(VALU_DEP_1) | instskip(SKIP_1) | instid1(VALU_DEP_2)
	v_pk_fma_f32 v[54:55], v[50:51], v[48:49], v[52:53] op_sel_hi:[1,0,1]
	v_pk_fma_f32 v[48:49], v[50:51], v[48:49], v[52:53] neg_lo:[0,0,1] neg_hi:[0,0,1]
	v_mov_b32_e32 v49, v55
	s_delay_alu instid0(VALU_DEP_1)
	v_pk_add_f32 v[46:47], v[46:47], v[48:49]
.LBB84_24:
	s_or_b32 exec_lo, exec_lo, s24
	v_mov_b32_e32 v48, 0
	ds_load_b64 v[48:49], v48 offset:144
	s_wait_dscnt 0x0
	v_pk_mul_f32 v[50:51], v[46:47], v[48:49] op_sel:[1,1] op_sel_hi:[0,1]
	s_delay_alu instid0(VALU_DEP_1) | instskip(SKIP_1) | instid1(VALU_DEP_2)
	v_pk_fma_f32 v[52:53], v[46:47], v[48:49], v[50:51] op_sel_hi:[1,0,1]
	v_pk_fma_f32 v[46:47], v[46:47], v[48:49], v[50:51] neg_lo:[0,0,1] neg_hi:[0,0,1]
	v_mov_b32_e32 v47, v53
	scratch_store_b64 off, v[46:47], off offset:144
.LBB84_25:
	s_wait_xcnt 0x0
	s_or_b32 exec_lo, exec_lo, s23
	scratch_load_b64 v[46:47], off, off offset:136
	v_cmp_lt_u32_e64 s0, 17, v0
	s_wait_loadcnt 0x0
	ds_store_b64 v1, v[46:47]
	s_wait_storecnt_dscnt 0x0
	s_barrier_signal -1
	s_barrier_wait -1
	s_wait_xcnt 0x0
	s_and_saveexec_b32 s23, s0
	s_cbranch_execz .LBB84_35
; %bb.26:
	s_and_not1_b32 vcc_lo, exec_lo, s5
	s_cbranch_vccnz .LBB84_28
; %bb.27:
	scratch_load_b64 v[46:47], v45, off
	ds_load_b64 v[48:49], v1
	s_wait_loadcnt_dscnt 0x0
	v_pk_mul_f32 v[50:51], v[48:49], v[46:47] op_sel:[1,1] op_sel_hi:[0,1]
	s_delay_alu instid0(VALU_DEP_1) | instskip(SKIP_1) | instid1(VALU_DEP_2)
	v_pk_fma_f32 v[52:53], v[48:49], v[46:47], v[50:51] op_sel_hi:[1,0,1]
	v_pk_fma_f32 v[46:47], v[48:49], v[46:47], v[50:51] neg_lo:[0,0,1] neg_hi:[0,0,1]
	v_mov_b32_e32 v47, v53
	s_cbranch_execz .LBB84_29
	s_branch .LBB84_30
.LBB84_28:
                                        ; implicit-def: $vgpr46_vgpr47
.LBB84_29:
	ds_load_b64 v[46:47], v1
.LBB84_30:
	s_and_saveexec_b32 s24, s1
	s_cbranch_execz .LBB84_34
; %bb.31:
	v_subrev_nc_u32_e32 v48, 18, v0
	s_movk_i32 s25, 0x140
	s_mov_b32 s1, 0
.LBB84_32:                              ; =>This Inner Loop Header: Depth=1
	scratch_load_b64 v[50:51], off, s22
	v_dual_mov_b32 v49, s25 :: v_dual_add_nc_u32 v48, -1, v48
	s_add_co_i32 s25, s25, 8
	s_wait_xcnt 0x0
	s_add_co_i32 s22, s22, 8
	ds_load_b64 v[52:53], v49
	v_cmp_eq_u32_e32 vcc_lo, 0, v48
	s_or_b32 s1, vcc_lo, s1
	s_wait_loadcnt_dscnt 0x0
	v_pk_mul_f32 v[54:55], v[52:53], v[50:51] op_sel:[1,1] op_sel_hi:[0,1]
	s_delay_alu instid0(VALU_DEP_1) | instskip(SKIP_1) | instid1(VALU_DEP_2)
	v_pk_fma_f32 v[56:57], v[52:53], v[50:51], v[54:55] op_sel_hi:[1,0,1]
	v_pk_fma_f32 v[50:51], v[52:53], v[50:51], v[54:55] neg_lo:[0,0,1] neg_hi:[0,0,1]
	v_mov_b32_e32 v51, v57
	s_delay_alu instid0(VALU_DEP_1)
	v_pk_add_f32 v[46:47], v[46:47], v[50:51]
	s_and_not1_b32 exec_lo, exec_lo, s1
	s_cbranch_execnz .LBB84_32
; %bb.33:
	s_or_b32 exec_lo, exec_lo, s1
.LBB84_34:
	s_delay_alu instid0(SALU_CYCLE_1) | instskip(SKIP_4) | instid1(VALU_DEP_1)
	s_or_b32 exec_lo, exec_lo, s24
	v_mov_b32_e32 v48, 0
	ds_load_b64 v[48:49], v48 offset:136
	s_wait_dscnt 0x0
	v_pk_mul_f32 v[50:51], v[46:47], v[48:49] op_sel:[1,1] op_sel_hi:[0,1]
	v_pk_fma_f32 v[52:53], v[46:47], v[48:49], v[50:51] op_sel_hi:[1,0,1]
	v_pk_fma_f32 v[46:47], v[46:47], v[48:49], v[50:51] neg_lo:[0,0,1] neg_hi:[0,0,1]
	s_delay_alu instid0(VALU_DEP_2)
	v_mov_b32_e32 v47, v53
	scratch_store_b64 off, v[46:47], off offset:136
.LBB84_35:
	s_wait_xcnt 0x0
	s_or_b32 exec_lo, exec_lo, s23
	scratch_load_b64 v[46:47], off, off offset:128
	v_cmp_lt_u32_e64 s1, 16, v0
	s_wait_loadcnt 0x0
	ds_store_b64 v1, v[46:47]
	s_wait_storecnt_dscnt 0x0
	s_barrier_signal -1
	s_barrier_wait -1
	s_wait_xcnt 0x0
	s_and_saveexec_b32 s22, s1
	s_cbranch_execz .LBB84_45
; %bb.36:
	s_and_not1_b32 vcc_lo, exec_lo, s5
	s_cbranch_vccnz .LBB84_38
; %bb.37:
	scratch_load_b64 v[46:47], v45, off
	ds_load_b64 v[48:49], v1
	s_wait_loadcnt_dscnt 0x0
	v_pk_mul_f32 v[50:51], v[48:49], v[46:47] op_sel:[1,1] op_sel_hi:[0,1]
	s_delay_alu instid0(VALU_DEP_1) | instskip(SKIP_1) | instid1(VALU_DEP_2)
	v_pk_fma_f32 v[52:53], v[48:49], v[46:47], v[50:51] op_sel_hi:[1,0,1]
	v_pk_fma_f32 v[46:47], v[48:49], v[46:47], v[50:51] neg_lo:[0,0,1] neg_hi:[0,0,1]
	v_mov_b32_e32 v47, v53
	s_cbranch_execz .LBB84_39
	s_branch .LBB84_40
.LBB84_38:
                                        ; implicit-def: $vgpr46_vgpr47
.LBB84_39:
	ds_load_b64 v[46:47], v1
.LBB84_40:
	s_and_saveexec_b32 s23, s0
	s_cbranch_execz .LBB84_44
; %bb.41:
	v_subrev_nc_u32_e32 v48, 17, v0
	s_movk_i32 s24, 0x138
	s_mov_b32 s0, 0
.LBB84_42:                              ; =>This Inner Loop Header: Depth=1
	scratch_load_b64 v[50:51], off, s21
	v_dual_mov_b32 v49, s24 :: v_dual_add_nc_u32 v48, -1, v48
	s_add_co_i32 s24, s24, 8
	s_wait_xcnt 0x0
	s_add_co_i32 s21, s21, 8
	ds_load_b64 v[52:53], v49
	v_cmp_eq_u32_e32 vcc_lo, 0, v48
	s_or_b32 s0, vcc_lo, s0
	s_wait_loadcnt_dscnt 0x0
	v_pk_mul_f32 v[54:55], v[52:53], v[50:51] op_sel:[1,1] op_sel_hi:[0,1]
	s_delay_alu instid0(VALU_DEP_1) | instskip(SKIP_1) | instid1(VALU_DEP_2)
	v_pk_fma_f32 v[56:57], v[52:53], v[50:51], v[54:55] op_sel_hi:[1,0,1]
	v_pk_fma_f32 v[50:51], v[52:53], v[50:51], v[54:55] neg_lo:[0,0,1] neg_hi:[0,0,1]
	v_mov_b32_e32 v51, v57
	s_delay_alu instid0(VALU_DEP_1)
	v_pk_add_f32 v[46:47], v[46:47], v[50:51]
	s_and_not1_b32 exec_lo, exec_lo, s0
	s_cbranch_execnz .LBB84_42
; %bb.43:
	s_or_b32 exec_lo, exec_lo, s0
.LBB84_44:
	s_delay_alu instid0(SALU_CYCLE_1) | instskip(SKIP_4) | instid1(VALU_DEP_1)
	s_or_b32 exec_lo, exec_lo, s23
	v_mov_b32_e32 v48, 0
	ds_load_b64 v[48:49], v48 offset:128
	s_wait_dscnt 0x0
	v_pk_mul_f32 v[50:51], v[46:47], v[48:49] op_sel:[1,1] op_sel_hi:[0,1]
	v_pk_fma_f32 v[52:53], v[46:47], v[48:49], v[50:51] op_sel_hi:[1,0,1]
	v_pk_fma_f32 v[46:47], v[46:47], v[48:49], v[50:51] neg_lo:[0,0,1] neg_hi:[0,0,1]
	s_delay_alu instid0(VALU_DEP_2)
	v_mov_b32_e32 v47, v53
	scratch_store_b64 off, v[46:47], off offset:128
.LBB84_45:
	s_wait_xcnt 0x0
	s_or_b32 exec_lo, exec_lo, s22
	scratch_load_b64 v[46:47], off, off offset:120
	v_cmp_lt_u32_e64 s0, 15, v0
	s_wait_loadcnt 0x0
	ds_store_b64 v1, v[46:47]
	s_wait_storecnt_dscnt 0x0
	s_barrier_signal -1
	s_barrier_wait -1
	s_wait_xcnt 0x0
	s_and_saveexec_b32 s21, s0
	s_cbranch_execz .LBB84_55
; %bb.46:
	s_and_not1_b32 vcc_lo, exec_lo, s5
	s_cbranch_vccnz .LBB84_48
; %bb.47:
	scratch_load_b64 v[46:47], v45, off
	ds_load_b64 v[48:49], v1
	s_wait_loadcnt_dscnt 0x0
	v_pk_mul_f32 v[50:51], v[48:49], v[46:47] op_sel:[1,1] op_sel_hi:[0,1]
	s_delay_alu instid0(VALU_DEP_1) | instskip(SKIP_1) | instid1(VALU_DEP_2)
	v_pk_fma_f32 v[52:53], v[48:49], v[46:47], v[50:51] op_sel_hi:[1,0,1]
	v_pk_fma_f32 v[46:47], v[48:49], v[46:47], v[50:51] neg_lo:[0,0,1] neg_hi:[0,0,1]
	v_mov_b32_e32 v47, v53
	s_cbranch_execz .LBB84_49
	s_branch .LBB84_50
.LBB84_48:
                                        ; implicit-def: $vgpr46_vgpr47
.LBB84_49:
	ds_load_b64 v[46:47], v1
.LBB84_50:
	s_and_saveexec_b32 s22, s1
	s_cbranch_execz .LBB84_54
; %bb.51:
	v_add_nc_u32_e32 v48, -16, v0
	s_movk_i32 s23, 0x130
	s_mov_b32 s1, 0
.LBB84_52:                              ; =>This Inner Loop Header: Depth=1
	scratch_load_b64 v[50:51], off, s20
	v_dual_mov_b32 v49, s23 :: v_dual_add_nc_u32 v48, -1, v48
	s_add_co_i32 s23, s23, 8
	s_wait_xcnt 0x0
	s_add_co_i32 s20, s20, 8
	ds_load_b64 v[52:53], v49
	v_cmp_eq_u32_e32 vcc_lo, 0, v48
	s_or_b32 s1, vcc_lo, s1
	s_wait_loadcnt_dscnt 0x0
	v_pk_mul_f32 v[54:55], v[52:53], v[50:51] op_sel:[1,1] op_sel_hi:[0,1]
	s_delay_alu instid0(VALU_DEP_1) | instskip(SKIP_1) | instid1(VALU_DEP_2)
	v_pk_fma_f32 v[56:57], v[52:53], v[50:51], v[54:55] op_sel_hi:[1,0,1]
	v_pk_fma_f32 v[50:51], v[52:53], v[50:51], v[54:55] neg_lo:[0,0,1] neg_hi:[0,0,1]
	v_mov_b32_e32 v51, v57
	s_delay_alu instid0(VALU_DEP_1)
	v_pk_add_f32 v[46:47], v[46:47], v[50:51]
	s_and_not1_b32 exec_lo, exec_lo, s1
	s_cbranch_execnz .LBB84_52
; %bb.53:
	s_or_b32 exec_lo, exec_lo, s1
.LBB84_54:
	s_delay_alu instid0(SALU_CYCLE_1) | instskip(SKIP_4) | instid1(VALU_DEP_1)
	s_or_b32 exec_lo, exec_lo, s22
	v_mov_b32_e32 v48, 0
	ds_load_b64 v[48:49], v48 offset:120
	s_wait_dscnt 0x0
	v_pk_mul_f32 v[50:51], v[46:47], v[48:49] op_sel:[1,1] op_sel_hi:[0,1]
	v_pk_fma_f32 v[52:53], v[46:47], v[48:49], v[50:51] op_sel_hi:[1,0,1]
	v_pk_fma_f32 v[46:47], v[46:47], v[48:49], v[50:51] neg_lo:[0,0,1] neg_hi:[0,0,1]
	s_delay_alu instid0(VALU_DEP_2)
	v_mov_b32_e32 v47, v53
	scratch_store_b64 off, v[46:47], off offset:120
.LBB84_55:
	s_wait_xcnt 0x0
	s_or_b32 exec_lo, exec_lo, s21
	scratch_load_b64 v[46:47], off, off offset:112
	v_cmp_lt_u32_e64 s1, 14, v0
	s_wait_loadcnt 0x0
	ds_store_b64 v1, v[46:47]
	s_wait_storecnt_dscnt 0x0
	s_barrier_signal -1
	s_barrier_wait -1
	s_wait_xcnt 0x0
	s_and_saveexec_b32 s20, s1
	s_cbranch_execz .LBB84_65
; %bb.56:
	s_and_not1_b32 vcc_lo, exec_lo, s5
	s_cbranch_vccnz .LBB84_58
; %bb.57:
	scratch_load_b64 v[46:47], v45, off
	ds_load_b64 v[48:49], v1
	s_wait_loadcnt_dscnt 0x0
	v_pk_mul_f32 v[50:51], v[48:49], v[46:47] op_sel:[1,1] op_sel_hi:[0,1]
	s_delay_alu instid0(VALU_DEP_1) | instskip(SKIP_1) | instid1(VALU_DEP_2)
	v_pk_fma_f32 v[52:53], v[48:49], v[46:47], v[50:51] op_sel_hi:[1,0,1]
	v_pk_fma_f32 v[46:47], v[48:49], v[46:47], v[50:51] neg_lo:[0,0,1] neg_hi:[0,0,1]
	v_mov_b32_e32 v47, v53
	s_cbranch_execz .LBB84_59
	s_branch .LBB84_60
.LBB84_58:
                                        ; implicit-def: $vgpr46_vgpr47
.LBB84_59:
	ds_load_b64 v[46:47], v1
.LBB84_60:
	s_and_saveexec_b32 s21, s0
	s_cbranch_execz .LBB84_64
; %bb.61:
	v_add_nc_u32_e32 v48, -15, v0
	s_movk_i32 s22, 0x128
	s_mov_b32 s0, 0
.LBB84_62:                              ; =>This Inner Loop Header: Depth=1
	scratch_load_b64 v[50:51], off, s19
	v_dual_mov_b32 v49, s22 :: v_dual_add_nc_u32 v48, -1, v48
	s_add_co_i32 s22, s22, 8
	s_wait_xcnt 0x0
	s_add_co_i32 s19, s19, 8
	ds_load_b64 v[52:53], v49
	v_cmp_eq_u32_e32 vcc_lo, 0, v48
	s_or_b32 s0, vcc_lo, s0
	s_wait_loadcnt_dscnt 0x0
	v_pk_mul_f32 v[54:55], v[52:53], v[50:51] op_sel:[1,1] op_sel_hi:[0,1]
	s_delay_alu instid0(VALU_DEP_1) | instskip(SKIP_1) | instid1(VALU_DEP_2)
	v_pk_fma_f32 v[56:57], v[52:53], v[50:51], v[54:55] op_sel_hi:[1,0,1]
	v_pk_fma_f32 v[50:51], v[52:53], v[50:51], v[54:55] neg_lo:[0,0,1] neg_hi:[0,0,1]
	v_mov_b32_e32 v51, v57
	s_delay_alu instid0(VALU_DEP_1)
	v_pk_add_f32 v[46:47], v[46:47], v[50:51]
	s_and_not1_b32 exec_lo, exec_lo, s0
	s_cbranch_execnz .LBB84_62
; %bb.63:
	s_or_b32 exec_lo, exec_lo, s0
.LBB84_64:
	s_delay_alu instid0(SALU_CYCLE_1) | instskip(SKIP_4) | instid1(VALU_DEP_1)
	s_or_b32 exec_lo, exec_lo, s21
	v_mov_b32_e32 v48, 0
	ds_load_b64 v[48:49], v48 offset:112
	s_wait_dscnt 0x0
	v_pk_mul_f32 v[50:51], v[46:47], v[48:49] op_sel:[1,1] op_sel_hi:[0,1]
	v_pk_fma_f32 v[52:53], v[46:47], v[48:49], v[50:51] op_sel_hi:[1,0,1]
	v_pk_fma_f32 v[46:47], v[46:47], v[48:49], v[50:51] neg_lo:[0,0,1] neg_hi:[0,0,1]
	s_delay_alu instid0(VALU_DEP_2)
	v_mov_b32_e32 v47, v53
	scratch_store_b64 off, v[46:47], off offset:112
.LBB84_65:
	s_wait_xcnt 0x0
	s_or_b32 exec_lo, exec_lo, s20
	scratch_load_b64 v[46:47], off, off offset:104
	v_cmp_lt_u32_e64 s0, 13, v0
	s_wait_loadcnt 0x0
	ds_store_b64 v1, v[46:47]
	s_wait_storecnt_dscnt 0x0
	s_barrier_signal -1
	s_barrier_wait -1
	s_wait_xcnt 0x0
	s_and_saveexec_b32 s19, s0
	s_cbranch_execz .LBB84_75
; %bb.66:
	s_and_not1_b32 vcc_lo, exec_lo, s5
	s_cbranch_vccnz .LBB84_68
; %bb.67:
	scratch_load_b64 v[46:47], v45, off
	ds_load_b64 v[48:49], v1
	s_wait_loadcnt_dscnt 0x0
	v_pk_mul_f32 v[50:51], v[48:49], v[46:47] op_sel:[1,1] op_sel_hi:[0,1]
	s_delay_alu instid0(VALU_DEP_1) | instskip(SKIP_1) | instid1(VALU_DEP_2)
	v_pk_fma_f32 v[52:53], v[48:49], v[46:47], v[50:51] op_sel_hi:[1,0,1]
	v_pk_fma_f32 v[46:47], v[48:49], v[46:47], v[50:51] neg_lo:[0,0,1] neg_hi:[0,0,1]
	v_mov_b32_e32 v47, v53
	s_cbranch_execz .LBB84_69
	s_branch .LBB84_70
.LBB84_68:
                                        ; implicit-def: $vgpr46_vgpr47
.LBB84_69:
	ds_load_b64 v[46:47], v1
.LBB84_70:
	s_and_saveexec_b32 s20, s1
	s_cbranch_execz .LBB84_74
; %bb.71:
	v_add_nc_u32_e32 v48, -14, v0
	s_movk_i32 s21, 0x120
	s_mov_b32 s1, 0
.LBB84_72:                              ; =>This Inner Loop Header: Depth=1
	scratch_load_b64 v[50:51], off, s18
	v_dual_mov_b32 v49, s21 :: v_dual_add_nc_u32 v48, -1, v48
	s_add_co_i32 s21, s21, 8
	s_wait_xcnt 0x0
	s_add_co_i32 s18, s18, 8
	ds_load_b64 v[52:53], v49
	v_cmp_eq_u32_e32 vcc_lo, 0, v48
	s_or_b32 s1, vcc_lo, s1
	s_wait_loadcnt_dscnt 0x0
	v_pk_mul_f32 v[54:55], v[52:53], v[50:51] op_sel:[1,1] op_sel_hi:[0,1]
	s_delay_alu instid0(VALU_DEP_1) | instskip(SKIP_1) | instid1(VALU_DEP_2)
	v_pk_fma_f32 v[56:57], v[52:53], v[50:51], v[54:55] op_sel_hi:[1,0,1]
	v_pk_fma_f32 v[50:51], v[52:53], v[50:51], v[54:55] neg_lo:[0,0,1] neg_hi:[0,0,1]
	v_mov_b32_e32 v51, v57
	s_delay_alu instid0(VALU_DEP_1)
	v_pk_add_f32 v[46:47], v[46:47], v[50:51]
	s_and_not1_b32 exec_lo, exec_lo, s1
	s_cbranch_execnz .LBB84_72
; %bb.73:
	s_or_b32 exec_lo, exec_lo, s1
.LBB84_74:
	s_delay_alu instid0(SALU_CYCLE_1) | instskip(SKIP_4) | instid1(VALU_DEP_1)
	s_or_b32 exec_lo, exec_lo, s20
	v_mov_b32_e32 v48, 0
	ds_load_b64 v[48:49], v48 offset:104
	s_wait_dscnt 0x0
	v_pk_mul_f32 v[50:51], v[46:47], v[48:49] op_sel:[1,1] op_sel_hi:[0,1]
	v_pk_fma_f32 v[52:53], v[46:47], v[48:49], v[50:51] op_sel_hi:[1,0,1]
	v_pk_fma_f32 v[46:47], v[46:47], v[48:49], v[50:51] neg_lo:[0,0,1] neg_hi:[0,0,1]
	s_delay_alu instid0(VALU_DEP_2)
	v_mov_b32_e32 v47, v53
	scratch_store_b64 off, v[46:47], off offset:104
.LBB84_75:
	s_wait_xcnt 0x0
	s_or_b32 exec_lo, exec_lo, s19
	scratch_load_b64 v[46:47], off, off offset:96
	v_cmp_lt_u32_e64 s1, 12, v0
	s_wait_loadcnt 0x0
	ds_store_b64 v1, v[46:47]
	s_wait_storecnt_dscnt 0x0
	s_barrier_signal -1
	s_barrier_wait -1
	s_wait_xcnt 0x0
	s_and_saveexec_b32 s18, s1
	s_cbranch_execz .LBB84_85
; %bb.76:
	s_and_not1_b32 vcc_lo, exec_lo, s5
	s_cbranch_vccnz .LBB84_78
; %bb.77:
	scratch_load_b64 v[46:47], v45, off
	ds_load_b64 v[48:49], v1
	s_wait_loadcnt_dscnt 0x0
	v_pk_mul_f32 v[50:51], v[48:49], v[46:47] op_sel:[1,1] op_sel_hi:[0,1]
	s_delay_alu instid0(VALU_DEP_1) | instskip(SKIP_1) | instid1(VALU_DEP_2)
	v_pk_fma_f32 v[52:53], v[48:49], v[46:47], v[50:51] op_sel_hi:[1,0,1]
	v_pk_fma_f32 v[46:47], v[48:49], v[46:47], v[50:51] neg_lo:[0,0,1] neg_hi:[0,0,1]
	v_mov_b32_e32 v47, v53
	s_cbranch_execz .LBB84_79
	s_branch .LBB84_80
.LBB84_78:
                                        ; implicit-def: $vgpr46_vgpr47
.LBB84_79:
	ds_load_b64 v[46:47], v1
.LBB84_80:
	s_and_saveexec_b32 s19, s0
	s_cbranch_execz .LBB84_84
; %bb.81:
	v_add_nc_u32_e32 v48, -13, v0
	s_movk_i32 s20, 0x118
	s_mov_b32 s0, 0
.LBB84_82:                              ; =>This Inner Loop Header: Depth=1
	scratch_load_b64 v[50:51], off, s17
	v_dual_mov_b32 v49, s20 :: v_dual_add_nc_u32 v48, -1, v48
	s_add_co_i32 s20, s20, 8
	s_wait_xcnt 0x0
	s_add_co_i32 s17, s17, 8
	ds_load_b64 v[52:53], v49
	v_cmp_eq_u32_e32 vcc_lo, 0, v48
	s_or_b32 s0, vcc_lo, s0
	s_wait_loadcnt_dscnt 0x0
	v_pk_mul_f32 v[54:55], v[52:53], v[50:51] op_sel:[1,1] op_sel_hi:[0,1]
	s_delay_alu instid0(VALU_DEP_1) | instskip(SKIP_1) | instid1(VALU_DEP_2)
	v_pk_fma_f32 v[56:57], v[52:53], v[50:51], v[54:55] op_sel_hi:[1,0,1]
	v_pk_fma_f32 v[50:51], v[52:53], v[50:51], v[54:55] neg_lo:[0,0,1] neg_hi:[0,0,1]
	v_mov_b32_e32 v51, v57
	s_delay_alu instid0(VALU_DEP_1)
	v_pk_add_f32 v[46:47], v[46:47], v[50:51]
	s_and_not1_b32 exec_lo, exec_lo, s0
	s_cbranch_execnz .LBB84_82
; %bb.83:
	s_or_b32 exec_lo, exec_lo, s0
.LBB84_84:
	s_delay_alu instid0(SALU_CYCLE_1) | instskip(SKIP_4) | instid1(VALU_DEP_1)
	s_or_b32 exec_lo, exec_lo, s19
	v_mov_b32_e32 v48, 0
	ds_load_b64 v[48:49], v48 offset:96
	s_wait_dscnt 0x0
	v_pk_mul_f32 v[50:51], v[46:47], v[48:49] op_sel:[1,1] op_sel_hi:[0,1]
	v_pk_fma_f32 v[52:53], v[46:47], v[48:49], v[50:51] op_sel_hi:[1,0,1]
	v_pk_fma_f32 v[46:47], v[46:47], v[48:49], v[50:51] neg_lo:[0,0,1] neg_hi:[0,0,1]
	s_delay_alu instid0(VALU_DEP_2)
	v_mov_b32_e32 v47, v53
	scratch_store_b64 off, v[46:47], off offset:96
.LBB84_85:
	s_wait_xcnt 0x0
	s_or_b32 exec_lo, exec_lo, s18
	scratch_load_b64 v[46:47], off, off offset:88
	v_cmp_lt_u32_e64 s0, 11, v0
	s_wait_loadcnt 0x0
	ds_store_b64 v1, v[46:47]
	s_wait_storecnt_dscnt 0x0
	s_barrier_signal -1
	s_barrier_wait -1
	s_wait_xcnt 0x0
	s_and_saveexec_b32 s17, s0
	s_cbranch_execz .LBB84_95
; %bb.86:
	s_and_not1_b32 vcc_lo, exec_lo, s5
	s_cbranch_vccnz .LBB84_88
; %bb.87:
	scratch_load_b64 v[46:47], v45, off
	ds_load_b64 v[48:49], v1
	s_wait_loadcnt_dscnt 0x0
	v_pk_mul_f32 v[50:51], v[48:49], v[46:47] op_sel:[1,1] op_sel_hi:[0,1]
	s_delay_alu instid0(VALU_DEP_1) | instskip(SKIP_1) | instid1(VALU_DEP_2)
	v_pk_fma_f32 v[52:53], v[48:49], v[46:47], v[50:51] op_sel_hi:[1,0,1]
	v_pk_fma_f32 v[46:47], v[48:49], v[46:47], v[50:51] neg_lo:[0,0,1] neg_hi:[0,0,1]
	v_mov_b32_e32 v47, v53
	s_cbranch_execz .LBB84_89
	s_branch .LBB84_90
.LBB84_88:
                                        ; implicit-def: $vgpr46_vgpr47
.LBB84_89:
	ds_load_b64 v[46:47], v1
.LBB84_90:
	s_and_saveexec_b32 s18, s1
	s_cbranch_execz .LBB84_94
; %bb.91:
	v_add_nc_u32_e32 v48, -12, v0
	s_movk_i32 s19, 0x110
	s_mov_b32 s1, 0
.LBB84_92:                              ; =>This Inner Loop Header: Depth=1
	scratch_load_b64 v[50:51], off, s16
	v_dual_mov_b32 v49, s19 :: v_dual_add_nc_u32 v48, -1, v48
	s_add_co_i32 s19, s19, 8
	s_wait_xcnt 0x0
	s_add_co_i32 s16, s16, 8
	ds_load_b64 v[52:53], v49
	v_cmp_eq_u32_e32 vcc_lo, 0, v48
	s_or_b32 s1, vcc_lo, s1
	s_wait_loadcnt_dscnt 0x0
	v_pk_mul_f32 v[54:55], v[52:53], v[50:51] op_sel:[1,1] op_sel_hi:[0,1]
	s_delay_alu instid0(VALU_DEP_1) | instskip(SKIP_1) | instid1(VALU_DEP_2)
	v_pk_fma_f32 v[56:57], v[52:53], v[50:51], v[54:55] op_sel_hi:[1,0,1]
	v_pk_fma_f32 v[50:51], v[52:53], v[50:51], v[54:55] neg_lo:[0,0,1] neg_hi:[0,0,1]
	v_mov_b32_e32 v51, v57
	s_delay_alu instid0(VALU_DEP_1)
	v_pk_add_f32 v[46:47], v[46:47], v[50:51]
	s_and_not1_b32 exec_lo, exec_lo, s1
	s_cbranch_execnz .LBB84_92
; %bb.93:
	s_or_b32 exec_lo, exec_lo, s1
.LBB84_94:
	s_delay_alu instid0(SALU_CYCLE_1) | instskip(SKIP_4) | instid1(VALU_DEP_1)
	s_or_b32 exec_lo, exec_lo, s18
	v_mov_b32_e32 v48, 0
	ds_load_b64 v[48:49], v48 offset:88
	s_wait_dscnt 0x0
	v_pk_mul_f32 v[50:51], v[46:47], v[48:49] op_sel:[1,1] op_sel_hi:[0,1]
	v_pk_fma_f32 v[52:53], v[46:47], v[48:49], v[50:51] op_sel_hi:[1,0,1]
	v_pk_fma_f32 v[46:47], v[46:47], v[48:49], v[50:51] neg_lo:[0,0,1] neg_hi:[0,0,1]
	s_delay_alu instid0(VALU_DEP_2)
	v_mov_b32_e32 v47, v53
	scratch_store_b64 off, v[46:47], off offset:88
.LBB84_95:
	s_wait_xcnt 0x0
	s_or_b32 exec_lo, exec_lo, s17
	scratch_load_b64 v[46:47], off, off offset:80
	v_cmp_lt_u32_e64 s1, 10, v0
	s_wait_loadcnt 0x0
	ds_store_b64 v1, v[46:47]
	s_wait_storecnt_dscnt 0x0
	s_barrier_signal -1
	s_barrier_wait -1
	s_wait_xcnt 0x0
	s_and_saveexec_b32 s16, s1
	s_cbranch_execz .LBB84_105
; %bb.96:
	s_and_not1_b32 vcc_lo, exec_lo, s5
	s_cbranch_vccnz .LBB84_98
; %bb.97:
	scratch_load_b64 v[46:47], v45, off
	ds_load_b64 v[48:49], v1
	s_wait_loadcnt_dscnt 0x0
	v_pk_mul_f32 v[50:51], v[48:49], v[46:47] op_sel:[1,1] op_sel_hi:[0,1]
	s_delay_alu instid0(VALU_DEP_1) | instskip(SKIP_1) | instid1(VALU_DEP_2)
	v_pk_fma_f32 v[52:53], v[48:49], v[46:47], v[50:51] op_sel_hi:[1,0,1]
	v_pk_fma_f32 v[46:47], v[48:49], v[46:47], v[50:51] neg_lo:[0,0,1] neg_hi:[0,0,1]
	v_mov_b32_e32 v47, v53
	s_cbranch_execz .LBB84_99
	s_branch .LBB84_100
.LBB84_98:
                                        ; implicit-def: $vgpr46_vgpr47
.LBB84_99:
	ds_load_b64 v[46:47], v1
.LBB84_100:
	s_and_saveexec_b32 s17, s0
	s_cbranch_execz .LBB84_104
; %bb.101:
	v_add_nc_u32_e32 v48, -11, v0
	s_movk_i32 s18, 0x108
	s_mov_b32 s0, 0
.LBB84_102:                             ; =>This Inner Loop Header: Depth=1
	scratch_load_b64 v[50:51], off, s15
	v_dual_mov_b32 v49, s18 :: v_dual_add_nc_u32 v48, -1, v48
	s_add_co_i32 s18, s18, 8
	s_wait_xcnt 0x0
	s_add_co_i32 s15, s15, 8
	ds_load_b64 v[52:53], v49
	v_cmp_eq_u32_e32 vcc_lo, 0, v48
	s_or_b32 s0, vcc_lo, s0
	s_wait_loadcnt_dscnt 0x0
	v_pk_mul_f32 v[54:55], v[52:53], v[50:51] op_sel:[1,1] op_sel_hi:[0,1]
	s_delay_alu instid0(VALU_DEP_1) | instskip(SKIP_1) | instid1(VALU_DEP_2)
	v_pk_fma_f32 v[56:57], v[52:53], v[50:51], v[54:55] op_sel_hi:[1,0,1]
	v_pk_fma_f32 v[50:51], v[52:53], v[50:51], v[54:55] neg_lo:[0,0,1] neg_hi:[0,0,1]
	v_mov_b32_e32 v51, v57
	s_delay_alu instid0(VALU_DEP_1)
	v_pk_add_f32 v[46:47], v[46:47], v[50:51]
	s_and_not1_b32 exec_lo, exec_lo, s0
	s_cbranch_execnz .LBB84_102
; %bb.103:
	s_or_b32 exec_lo, exec_lo, s0
.LBB84_104:
	s_delay_alu instid0(SALU_CYCLE_1) | instskip(SKIP_4) | instid1(VALU_DEP_1)
	s_or_b32 exec_lo, exec_lo, s17
	v_mov_b32_e32 v48, 0
	ds_load_b64 v[48:49], v48 offset:80
	s_wait_dscnt 0x0
	v_pk_mul_f32 v[50:51], v[46:47], v[48:49] op_sel:[1,1] op_sel_hi:[0,1]
	v_pk_fma_f32 v[52:53], v[46:47], v[48:49], v[50:51] op_sel_hi:[1,0,1]
	v_pk_fma_f32 v[46:47], v[46:47], v[48:49], v[50:51] neg_lo:[0,0,1] neg_hi:[0,0,1]
	s_delay_alu instid0(VALU_DEP_2)
	v_mov_b32_e32 v47, v53
	scratch_store_b64 off, v[46:47], off offset:80
.LBB84_105:
	s_wait_xcnt 0x0
	s_or_b32 exec_lo, exec_lo, s16
	scratch_load_b64 v[46:47], off, off offset:72
	v_cmp_lt_u32_e64 s0, 9, v0
	s_wait_loadcnt 0x0
	ds_store_b64 v1, v[46:47]
	s_wait_storecnt_dscnt 0x0
	s_barrier_signal -1
	s_barrier_wait -1
	s_wait_xcnt 0x0
	s_and_saveexec_b32 s15, s0
	s_cbranch_execz .LBB84_115
; %bb.106:
	s_and_not1_b32 vcc_lo, exec_lo, s5
	s_cbranch_vccnz .LBB84_108
; %bb.107:
	scratch_load_b64 v[46:47], v45, off
	ds_load_b64 v[48:49], v1
	s_wait_loadcnt_dscnt 0x0
	v_pk_mul_f32 v[50:51], v[48:49], v[46:47] op_sel:[1,1] op_sel_hi:[0,1]
	s_delay_alu instid0(VALU_DEP_1) | instskip(SKIP_1) | instid1(VALU_DEP_2)
	v_pk_fma_f32 v[52:53], v[48:49], v[46:47], v[50:51] op_sel_hi:[1,0,1]
	v_pk_fma_f32 v[46:47], v[48:49], v[46:47], v[50:51] neg_lo:[0,0,1] neg_hi:[0,0,1]
	v_mov_b32_e32 v47, v53
	s_cbranch_execz .LBB84_109
	s_branch .LBB84_110
.LBB84_108:
                                        ; implicit-def: $vgpr46_vgpr47
.LBB84_109:
	ds_load_b64 v[46:47], v1
.LBB84_110:
	s_and_saveexec_b32 s16, s1
	s_cbranch_execz .LBB84_114
; %bb.111:
	v_add_nc_u32_e32 v48, -10, v0
	s_movk_i32 s17, 0x100
	s_mov_b32 s1, 0
.LBB84_112:                             ; =>This Inner Loop Header: Depth=1
	scratch_load_b64 v[50:51], off, s14
	v_dual_mov_b32 v49, s17 :: v_dual_add_nc_u32 v48, -1, v48
	s_add_co_i32 s17, s17, 8
	s_wait_xcnt 0x0
	s_add_co_i32 s14, s14, 8
	ds_load_b64 v[52:53], v49
	v_cmp_eq_u32_e32 vcc_lo, 0, v48
	s_or_b32 s1, vcc_lo, s1
	s_wait_loadcnt_dscnt 0x0
	v_pk_mul_f32 v[54:55], v[52:53], v[50:51] op_sel:[1,1] op_sel_hi:[0,1]
	s_delay_alu instid0(VALU_DEP_1) | instskip(SKIP_1) | instid1(VALU_DEP_2)
	v_pk_fma_f32 v[56:57], v[52:53], v[50:51], v[54:55] op_sel_hi:[1,0,1]
	v_pk_fma_f32 v[50:51], v[52:53], v[50:51], v[54:55] neg_lo:[0,0,1] neg_hi:[0,0,1]
	v_mov_b32_e32 v51, v57
	s_delay_alu instid0(VALU_DEP_1)
	v_pk_add_f32 v[46:47], v[46:47], v[50:51]
	s_and_not1_b32 exec_lo, exec_lo, s1
	s_cbranch_execnz .LBB84_112
; %bb.113:
	s_or_b32 exec_lo, exec_lo, s1
.LBB84_114:
	s_delay_alu instid0(SALU_CYCLE_1) | instskip(SKIP_4) | instid1(VALU_DEP_1)
	s_or_b32 exec_lo, exec_lo, s16
	v_mov_b32_e32 v48, 0
	ds_load_b64 v[48:49], v48 offset:72
	s_wait_dscnt 0x0
	v_pk_mul_f32 v[50:51], v[46:47], v[48:49] op_sel:[1,1] op_sel_hi:[0,1]
	v_pk_fma_f32 v[52:53], v[46:47], v[48:49], v[50:51] op_sel_hi:[1,0,1]
	v_pk_fma_f32 v[46:47], v[46:47], v[48:49], v[50:51] neg_lo:[0,0,1] neg_hi:[0,0,1]
	s_delay_alu instid0(VALU_DEP_2)
	v_mov_b32_e32 v47, v53
	scratch_store_b64 off, v[46:47], off offset:72
.LBB84_115:
	s_wait_xcnt 0x0
	s_or_b32 exec_lo, exec_lo, s15
	scratch_load_b64 v[46:47], off, off offset:64
	v_cmp_lt_u32_e64 s1, 8, v0
	s_wait_loadcnt 0x0
	ds_store_b64 v1, v[46:47]
	s_wait_storecnt_dscnt 0x0
	s_barrier_signal -1
	s_barrier_wait -1
	s_wait_xcnt 0x0
	s_and_saveexec_b32 s14, s1
	s_cbranch_execz .LBB84_125
; %bb.116:
	s_and_not1_b32 vcc_lo, exec_lo, s5
	s_cbranch_vccnz .LBB84_118
; %bb.117:
	scratch_load_b64 v[46:47], v45, off
	ds_load_b64 v[48:49], v1
	s_wait_loadcnt_dscnt 0x0
	v_pk_mul_f32 v[50:51], v[48:49], v[46:47] op_sel:[1,1] op_sel_hi:[0,1]
	s_delay_alu instid0(VALU_DEP_1) | instskip(SKIP_1) | instid1(VALU_DEP_2)
	v_pk_fma_f32 v[52:53], v[48:49], v[46:47], v[50:51] op_sel_hi:[1,0,1]
	v_pk_fma_f32 v[46:47], v[48:49], v[46:47], v[50:51] neg_lo:[0,0,1] neg_hi:[0,0,1]
	v_mov_b32_e32 v47, v53
	s_cbranch_execz .LBB84_119
	s_branch .LBB84_120
.LBB84_118:
                                        ; implicit-def: $vgpr46_vgpr47
.LBB84_119:
	ds_load_b64 v[46:47], v1
.LBB84_120:
	s_and_saveexec_b32 s15, s0
	s_cbranch_execz .LBB84_124
; %bb.121:
	v_add_nc_u32_e32 v48, -9, v0
	s_movk_i32 s16, 0xf8
	s_mov_b32 s0, 0
.LBB84_122:                             ; =>This Inner Loop Header: Depth=1
	scratch_load_b64 v[50:51], off, s13
	v_dual_mov_b32 v49, s16 :: v_dual_add_nc_u32 v48, -1, v48
	s_add_co_i32 s16, s16, 8
	s_wait_xcnt 0x0
	s_add_co_i32 s13, s13, 8
	ds_load_b64 v[52:53], v49
	v_cmp_eq_u32_e32 vcc_lo, 0, v48
	s_or_b32 s0, vcc_lo, s0
	s_wait_loadcnt_dscnt 0x0
	v_pk_mul_f32 v[54:55], v[52:53], v[50:51] op_sel:[1,1] op_sel_hi:[0,1]
	s_delay_alu instid0(VALU_DEP_1) | instskip(SKIP_1) | instid1(VALU_DEP_2)
	v_pk_fma_f32 v[56:57], v[52:53], v[50:51], v[54:55] op_sel_hi:[1,0,1]
	v_pk_fma_f32 v[50:51], v[52:53], v[50:51], v[54:55] neg_lo:[0,0,1] neg_hi:[0,0,1]
	v_mov_b32_e32 v51, v57
	s_delay_alu instid0(VALU_DEP_1)
	v_pk_add_f32 v[46:47], v[46:47], v[50:51]
	s_and_not1_b32 exec_lo, exec_lo, s0
	s_cbranch_execnz .LBB84_122
; %bb.123:
	s_or_b32 exec_lo, exec_lo, s0
.LBB84_124:
	s_delay_alu instid0(SALU_CYCLE_1) | instskip(SKIP_4) | instid1(VALU_DEP_1)
	s_or_b32 exec_lo, exec_lo, s15
	v_mov_b32_e32 v48, 0
	ds_load_b64 v[48:49], v48 offset:64
	s_wait_dscnt 0x0
	v_pk_mul_f32 v[50:51], v[46:47], v[48:49] op_sel:[1,1] op_sel_hi:[0,1]
	v_pk_fma_f32 v[52:53], v[46:47], v[48:49], v[50:51] op_sel_hi:[1,0,1]
	v_pk_fma_f32 v[46:47], v[46:47], v[48:49], v[50:51] neg_lo:[0,0,1] neg_hi:[0,0,1]
	s_delay_alu instid0(VALU_DEP_2)
	v_mov_b32_e32 v47, v53
	scratch_store_b64 off, v[46:47], off offset:64
.LBB84_125:
	s_wait_xcnt 0x0
	s_or_b32 exec_lo, exec_lo, s14
	scratch_load_b64 v[46:47], off, off offset:56
	v_cmp_lt_u32_e64 s0, 7, v0
	s_wait_loadcnt 0x0
	ds_store_b64 v1, v[46:47]
	s_wait_storecnt_dscnt 0x0
	s_barrier_signal -1
	s_barrier_wait -1
	s_wait_xcnt 0x0
	s_and_saveexec_b32 s13, s0
	s_cbranch_execz .LBB84_135
; %bb.126:
	s_and_not1_b32 vcc_lo, exec_lo, s5
	s_cbranch_vccnz .LBB84_128
; %bb.127:
	scratch_load_b64 v[46:47], v45, off
	ds_load_b64 v[48:49], v1
	s_wait_loadcnt_dscnt 0x0
	v_pk_mul_f32 v[50:51], v[48:49], v[46:47] op_sel:[1,1] op_sel_hi:[0,1]
	s_delay_alu instid0(VALU_DEP_1) | instskip(SKIP_1) | instid1(VALU_DEP_2)
	v_pk_fma_f32 v[52:53], v[48:49], v[46:47], v[50:51] op_sel_hi:[1,0,1]
	v_pk_fma_f32 v[46:47], v[48:49], v[46:47], v[50:51] neg_lo:[0,0,1] neg_hi:[0,0,1]
	v_mov_b32_e32 v47, v53
	s_cbranch_execz .LBB84_129
	s_branch .LBB84_130
.LBB84_128:
                                        ; implicit-def: $vgpr46_vgpr47
.LBB84_129:
	ds_load_b64 v[46:47], v1
.LBB84_130:
	s_and_saveexec_b32 s14, s1
	s_cbranch_execz .LBB84_134
; %bb.131:
	v_add_nc_u32_e32 v48, -8, v0
	s_movk_i32 s15, 0xf0
	s_mov_b32 s1, 0
.LBB84_132:                             ; =>This Inner Loop Header: Depth=1
	scratch_load_b64 v[50:51], off, s12
	v_dual_mov_b32 v49, s15 :: v_dual_add_nc_u32 v48, -1, v48
	s_add_co_i32 s15, s15, 8
	s_wait_xcnt 0x0
	s_add_co_i32 s12, s12, 8
	ds_load_b64 v[52:53], v49
	v_cmp_eq_u32_e32 vcc_lo, 0, v48
	s_or_b32 s1, vcc_lo, s1
	s_wait_loadcnt_dscnt 0x0
	v_pk_mul_f32 v[54:55], v[52:53], v[50:51] op_sel:[1,1] op_sel_hi:[0,1]
	s_delay_alu instid0(VALU_DEP_1) | instskip(SKIP_1) | instid1(VALU_DEP_2)
	v_pk_fma_f32 v[56:57], v[52:53], v[50:51], v[54:55] op_sel_hi:[1,0,1]
	v_pk_fma_f32 v[50:51], v[52:53], v[50:51], v[54:55] neg_lo:[0,0,1] neg_hi:[0,0,1]
	v_mov_b32_e32 v51, v57
	s_delay_alu instid0(VALU_DEP_1)
	v_pk_add_f32 v[46:47], v[46:47], v[50:51]
	s_and_not1_b32 exec_lo, exec_lo, s1
	s_cbranch_execnz .LBB84_132
; %bb.133:
	s_or_b32 exec_lo, exec_lo, s1
.LBB84_134:
	s_delay_alu instid0(SALU_CYCLE_1) | instskip(SKIP_4) | instid1(VALU_DEP_1)
	s_or_b32 exec_lo, exec_lo, s14
	v_mov_b32_e32 v48, 0
	ds_load_b64 v[48:49], v48 offset:56
	s_wait_dscnt 0x0
	v_pk_mul_f32 v[50:51], v[46:47], v[48:49] op_sel:[1,1] op_sel_hi:[0,1]
	v_pk_fma_f32 v[52:53], v[46:47], v[48:49], v[50:51] op_sel_hi:[1,0,1]
	v_pk_fma_f32 v[46:47], v[46:47], v[48:49], v[50:51] neg_lo:[0,0,1] neg_hi:[0,0,1]
	s_delay_alu instid0(VALU_DEP_2)
	v_mov_b32_e32 v47, v53
	scratch_store_b64 off, v[46:47], off offset:56
.LBB84_135:
	s_wait_xcnt 0x0
	s_or_b32 exec_lo, exec_lo, s13
	scratch_load_b64 v[46:47], off, off offset:48
	v_cmp_lt_u32_e64 s1, 6, v0
	s_wait_loadcnt 0x0
	ds_store_b64 v1, v[46:47]
	s_wait_storecnt_dscnt 0x0
	s_barrier_signal -1
	s_barrier_wait -1
	s_wait_xcnt 0x0
	s_and_saveexec_b32 s12, s1
	s_cbranch_execz .LBB84_145
; %bb.136:
	s_and_not1_b32 vcc_lo, exec_lo, s5
	s_cbranch_vccnz .LBB84_138
; %bb.137:
	scratch_load_b64 v[46:47], v45, off
	ds_load_b64 v[48:49], v1
	s_wait_loadcnt_dscnt 0x0
	v_pk_mul_f32 v[50:51], v[48:49], v[46:47] op_sel:[1,1] op_sel_hi:[0,1]
	s_delay_alu instid0(VALU_DEP_1) | instskip(SKIP_1) | instid1(VALU_DEP_2)
	v_pk_fma_f32 v[52:53], v[48:49], v[46:47], v[50:51] op_sel_hi:[1,0,1]
	v_pk_fma_f32 v[46:47], v[48:49], v[46:47], v[50:51] neg_lo:[0,0,1] neg_hi:[0,0,1]
	v_mov_b32_e32 v47, v53
	s_cbranch_execz .LBB84_139
	s_branch .LBB84_140
.LBB84_138:
                                        ; implicit-def: $vgpr46_vgpr47
.LBB84_139:
	ds_load_b64 v[46:47], v1
.LBB84_140:
	s_and_saveexec_b32 s13, s0
	s_cbranch_execz .LBB84_144
; %bb.141:
	v_add_nc_u32_e32 v48, -7, v0
	s_movk_i32 s14, 0xe8
	s_mov_b32 s0, 0
.LBB84_142:                             ; =>This Inner Loop Header: Depth=1
	scratch_load_b64 v[50:51], off, s11
	v_dual_mov_b32 v49, s14 :: v_dual_add_nc_u32 v48, -1, v48
	s_add_co_i32 s14, s14, 8
	s_wait_xcnt 0x0
	s_add_co_i32 s11, s11, 8
	ds_load_b64 v[52:53], v49
	v_cmp_eq_u32_e32 vcc_lo, 0, v48
	s_or_b32 s0, vcc_lo, s0
	s_wait_loadcnt_dscnt 0x0
	v_pk_mul_f32 v[54:55], v[52:53], v[50:51] op_sel:[1,1] op_sel_hi:[0,1]
	s_delay_alu instid0(VALU_DEP_1) | instskip(SKIP_1) | instid1(VALU_DEP_2)
	v_pk_fma_f32 v[56:57], v[52:53], v[50:51], v[54:55] op_sel_hi:[1,0,1]
	v_pk_fma_f32 v[50:51], v[52:53], v[50:51], v[54:55] neg_lo:[0,0,1] neg_hi:[0,0,1]
	v_mov_b32_e32 v51, v57
	s_delay_alu instid0(VALU_DEP_1)
	v_pk_add_f32 v[46:47], v[46:47], v[50:51]
	s_and_not1_b32 exec_lo, exec_lo, s0
	s_cbranch_execnz .LBB84_142
; %bb.143:
	s_or_b32 exec_lo, exec_lo, s0
.LBB84_144:
	s_delay_alu instid0(SALU_CYCLE_1) | instskip(SKIP_4) | instid1(VALU_DEP_1)
	s_or_b32 exec_lo, exec_lo, s13
	v_mov_b32_e32 v48, 0
	ds_load_b64 v[48:49], v48 offset:48
	s_wait_dscnt 0x0
	v_pk_mul_f32 v[50:51], v[46:47], v[48:49] op_sel:[1,1] op_sel_hi:[0,1]
	v_pk_fma_f32 v[52:53], v[46:47], v[48:49], v[50:51] op_sel_hi:[1,0,1]
	v_pk_fma_f32 v[46:47], v[46:47], v[48:49], v[50:51] neg_lo:[0,0,1] neg_hi:[0,0,1]
	s_delay_alu instid0(VALU_DEP_2)
	v_mov_b32_e32 v47, v53
	scratch_store_b64 off, v[46:47], off offset:48
.LBB84_145:
	s_wait_xcnt 0x0
	s_or_b32 exec_lo, exec_lo, s12
	scratch_load_b64 v[46:47], off, off offset:40
	v_cmp_lt_u32_e64 s0, 5, v0
	s_wait_loadcnt 0x0
	ds_store_b64 v1, v[46:47]
	s_wait_storecnt_dscnt 0x0
	s_barrier_signal -1
	s_barrier_wait -1
	s_wait_xcnt 0x0
	s_and_saveexec_b32 s11, s0
	s_cbranch_execz .LBB84_155
; %bb.146:
	s_and_not1_b32 vcc_lo, exec_lo, s5
	s_cbranch_vccnz .LBB84_148
; %bb.147:
	scratch_load_b64 v[46:47], v45, off
	ds_load_b64 v[48:49], v1
	s_wait_loadcnt_dscnt 0x0
	v_pk_mul_f32 v[50:51], v[48:49], v[46:47] op_sel:[1,1] op_sel_hi:[0,1]
	s_delay_alu instid0(VALU_DEP_1) | instskip(SKIP_1) | instid1(VALU_DEP_2)
	v_pk_fma_f32 v[52:53], v[48:49], v[46:47], v[50:51] op_sel_hi:[1,0,1]
	v_pk_fma_f32 v[46:47], v[48:49], v[46:47], v[50:51] neg_lo:[0,0,1] neg_hi:[0,0,1]
	v_mov_b32_e32 v47, v53
	s_cbranch_execz .LBB84_149
	s_branch .LBB84_150
.LBB84_148:
                                        ; implicit-def: $vgpr46_vgpr47
.LBB84_149:
	ds_load_b64 v[46:47], v1
.LBB84_150:
	s_and_saveexec_b32 s12, s1
	s_cbranch_execz .LBB84_154
; %bb.151:
	v_add_nc_u32_e32 v48, -6, v0
	s_movk_i32 s13, 0xe0
	s_mov_b32 s1, 0
.LBB84_152:                             ; =>This Inner Loop Header: Depth=1
	scratch_load_b64 v[50:51], off, s10
	v_dual_mov_b32 v49, s13 :: v_dual_add_nc_u32 v48, -1, v48
	s_add_co_i32 s13, s13, 8
	s_wait_xcnt 0x0
	s_add_co_i32 s10, s10, 8
	ds_load_b64 v[52:53], v49
	v_cmp_eq_u32_e32 vcc_lo, 0, v48
	s_or_b32 s1, vcc_lo, s1
	s_wait_loadcnt_dscnt 0x0
	v_pk_mul_f32 v[54:55], v[52:53], v[50:51] op_sel:[1,1] op_sel_hi:[0,1]
	s_delay_alu instid0(VALU_DEP_1) | instskip(SKIP_1) | instid1(VALU_DEP_2)
	v_pk_fma_f32 v[56:57], v[52:53], v[50:51], v[54:55] op_sel_hi:[1,0,1]
	v_pk_fma_f32 v[50:51], v[52:53], v[50:51], v[54:55] neg_lo:[0,0,1] neg_hi:[0,0,1]
	v_mov_b32_e32 v51, v57
	s_delay_alu instid0(VALU_DEP_1)
	v_pk_add_f32 v[46:47], v[46:47], v[50:51]
	s_and_not1_b32 exec_lo, exec_lo, s1
	s_cbranch_execnz .LBB84_152
; %bb.153:
	s_or_b32 exec_lo, exec_lo, s1
.LBB84_154:
	s_delay_alu instid0(SALU_CYCLE_1) | instskip(SKIP_4) | instid1(VALU_DEP_1)
	s_or_b32 exec_lo, exec_lo, s12
	v_mov_b32_e32 v48, 0
	ds_load_b64 v[48:49], v48 offset:40
	s_wait_dscnt 0x0
	v_pk_mul_f32 v[50:51], v[46:47], v[48:49] op_sel:[1,1] op_sel_hi:[0,1]
	v_pk_fma_f32 v[52:53], v[46:47], v[48:49], v[50:51] op_sel_hi:[1,0,1]
	v_pk_fma_f32 v[46:47], v[46:47], v[48:49], v[50:51] neg_lo:[0,0,1] neg_hi:[0,0,1]
	s_delay_alu instid0(VALU_DEP_2)
	v_mov_b32_e32 v47, v53
	scratch_store_b64 off, v[46:47], off offset:40
.LBB84_155:
	s_wait_xcnt 0x0
	s_or_b32 exec_lo, exec_lo, s11
	scratch_load_b64 v[46:47], off, off offset:32
	v_cmp_lt_u32_e64 s1, 4, v0
	s_wait_loadcnt 0x0
	ds_store_b64 v1, v[46:47]
	s_wait_storecnt_dscnt 0x0
	s_barrier_signal -1
	s_barrier_wait -1
	s_wait_xcnt 0x0
	s_and_saveexec_b32 s10, s1
	s_cbranch_execz .LBB84_165
; %bb.156:
	s_and_not1_b32 vcc_lo, exec_lo, s5
	s_cbranch_vccnz .LBB84_158
; %bb.157:
	scratch_load_b64 v[46:47], v45, off
	ds_load_b64 v[48:49], v1
	s_wait_loadcnt_dscnt 0x0
	v_pk_mul_f32 v[50:51], v[48:49], v[46:47] op_sel:[1,1] op_sel_hi:[0,1]
	s_delay_alu instid0(VALU_DEP_1) | instskip(SKIP_1) | instid1(VALU_DEP_2)
	v_pk_fma_f32 v[52:53], v[48:49], v[46:47], v[50:51] op_sel_hi:[1,0,1]
	v_pk_fma_f32 v[46:47], v[48:49], v[46:47], v[50:51] neg_lo:[0,0,1] neg_hi:[0,0,1]
	v_mov_b32_e32 v47, v53
	s_cbranch_execz .LBB84_159
	s_branch .LBB84_160
.LBB84_158:
                                        ; implicit-def: $vgpr46_vgpr47
.LBB84_159:
	ds_load_b64 v[46:47], v1
.LBB84_160:
	s_and_saveexec_b32 s11, s0
	s_cbranch_execz .LBB84_164
; %bb.161:
	v_add_nc_u32_e32 v48, -5, v0
	s_movk_i32 s12, 0xd8
	s_mov_b32 s0, 0
.LBB84_162:                             ; =>This Inner Loop Header: Depth=1
	scratch_load_b64 v[50:51], off, s9
	v_dual_mov_b32 v49, s12 :: v_dual_add_nc_u32 v48, -1, v48
	s_add_co_i32 s12, s12, 8
	s_wait_xcnt 0x0
	s_add_co_i32 s9, s9, 8
	ds_load_b64 v[52:53], v49
	v_cmp_eq_u32_e32 vcc_lo, 0, v48
	s_or_b32 s0, vcc_lo, s0
	s_wait_loadcnt_dscnt 0x0
	v_pk_mul_f32 v[54:55], v[52:53], v[50:51] op_sel:[1,1] op_sel_hi:[0,1]
	s_delay_alu instid0(VALU_DEP_1) | instskip(SKIP_1) | instid1(VALU_DEP_2)
	v_pk_fma_f32 v[56:57], v[52:53], v[50:51], v[54:55] op_sel_hi:[1,0,1]
	v_pk_fma_f32 v[50:51], v[52:53], v[50:51], v[54:55] neg_lo:[0,0,1] neg_hi:[0,0,1]
	v_mov_b32_e32 v51, v57
	s_delay_alu instid0(VALU_DEP_1)
	v_pk_add_f32 v[46:47], v[46:47], v[50:51]
	s_and_not1_b32 exec_lo, exec_lo, s0
	s_cbranch_execnz .LBB84_162
; %bb.163:
	s_or_b32 exec_lo, exec_lo, s0
.LBB84_164:
	s_delay_alu instid0(SALU_CYCLE_1) | instskip(SKIP_4) | instid1(VALU_DEP_1)
	s_or_b32 exec_lo, exec_lo, s11
	v_mov_b32_e32 v48, 0
	ds_load_b64 v[48:49], v48 offset:32
	s_wait_dscnt 0x0
	v_pk_mul_f32 v[50:51], v[46:47], v[48:49] op_sel:[1,1] op_sel_hi:[0,1]
	v_pk_fma_f32 v[52:53], v[46:47], v[48:49], v[50:51] op_sel_hi:[1,0,1]
	v_pk_fma_f32 v[46:47], v[46:47], v[48:49], v[50:51] neg_lo:[0,0,1] neg_hi:[0,0,1]
	s_delay_alu instid0(VALU_DEP_2)
	v_mov_b32_e32 v47, v53
	scratch_store_b64 off, v[46:47], off offset:32
.LBB84_165:
	s_wait_xcnt 0x0
	s_or_b32 exec_lo, exec_lo, s10
	scratch_load_b64 v[46:47], off, off offset:24
	v_cmp_lt_u32_e64 s0, 3, v0
	s_wait_loadcnt 0x0
	ds_store_b64 v1, v[46:47]
	s_wait_storecnt_dscnt 0x0
	s_barrier_signal -1
	s_barrier_wait -1
	s_wait_xcnt 0x0
	s_and_saveexec_b32 s9, s0
	s_cbranch_execz .LBB84_175
; %bb.166:
	s_and_not1_b32 vcc_lo, exec_lo, s5
	s_cbranch_vccnz .LBB84_168
; %bb.167:
	scratch_load_b64 v[46:47], v45, off
	ds_load_b64 v[48:49], v1
	s_wait_loadcnt_dscnt 0x0
	v_pk_mul_f32 v[50:51], v[48:49], v[46:47] op_sel:[1,1] op_sel_hi:[0,1]
	s_delay_alu instid0(VALU_DEP_1) | instskip(SKIP_1) | instid1(VALU_DEP_2)
	v_pk_fma_f32 v[52:53], v[48:49], v[46:47], v[50:51] op_sel_hi:[1,0,1]
	v_pk_fma_f32 v[46:47], v[48:49], v[46:47], v[50:51] neg_lo:[0,0,1] neg_hi:[0,0,1]
	v_mov_b32_e32 v47, v53
	s_cbranch_execz .LBB84_169
	s_branch .LBB84_170
.LBB84_168:
                                        ; implicit-def: $vgpr46_vgpr47
.LBB84_169:
	ds_load_b64 v[46:47], v1
.LBB84_170:
	s_and_saveexec_b32 s10, s1
	s_cbranch_execz .LBB84_174
; %bb.171:
	v_add_nc_u32_e32 v48, -4, v0
	s_movk_i32 s11, 0xd0
	s_mov_b32 s1, 0
.LBB84_172:                             ; =>This Inner Loop Header: Depth=1
	scratch_load_b64 v[50:51], off, s8
	v_dual_mov_b32 v49, s11 :: v_dual_add_nc_u32 v48, -1, v48
	s_add_co_i32 s11, s11, 8
	s_wait_xcnt 0x0
	s_add_co_i32 s8, s8, 8
	ds_load_b64 v[52:53], v49
	v_cmp_eq_u32_e32 vcc_lo, 0, v48
	s_or_b32 s1, vcc_lo, s1
	s_wait_loadcnt_dscnt 0x0
	v_pk_mul_f32 v[54:55], v[52:53], v[50:51] op_sel:[1,1] op_sel_hi:[0,1]
	s_delay_alu instid0(VALU_DEP_1) | instskip(SKIP_1) | instid1(VALU_DEP_2)
	v_pk_fma_f32 v[56:57], v[52:53], v[50:51], v[54:55] op_sel_hi:[1,0,1]
	v_pk_fma_f32 v[50:51], v[52:53], v[50:51], v[54:55] neg_lo:[0,0,1] neg_hi:[0,0,1]
	v_mov_b32_e32 v51, v57
	s_delay_alu instid0(VALU_DEP_1)
	v_pk_add_f32 v[46:47], v[46:47], v[50:51]
	s_and_not1_b32 exec_lo, exec_lo, s1
	s_cbranch_execnz .LBB84_172
; %bb.173:
	s_or_b32 exec_lo, exec_lo, s1
.LBB84_174:
	s_delay_alu instid0(SALU_CYCLE_1) | instskip(SKIP_4) | instid1(VALU_DEP_1)
	s_or_b32 exec_lo, exec_lo, s10
	v_mov_b32_e32 v48, 0
	ds_load_b64 v[48:49], v48 offset:24
	s_wait_dscnt 0x0
	v_pk_mul_f32 v[50:51], v[46:47], v[48:49] op_sel:[1,1] op_sel_hi:[0,1]
	v_pk_fma_f32 v[52:53], v[46:47], v[48:49], v[50:51] op_sel_hi:[1,0,1]
	v_pk_fma_f32 v[46:47], v[46:47], v[48:49], v[50:51] neg_lo:[0,0,1] neg_hi:[0,0,1]
	s_delay_alu instid0(VALU_DEP_2)
	v_mov_b32_e32 v47, v53
	scratch_store_b64 off, v[46:47], off offset:24
.LBB84_175:
	s_wait_xcnt 0x0
	s_or_b32 exec_lo, exec_lo, s9
	scratch_load_b64 v[46:47], off, off offset:16
	v_cmp_lt_u32_e64 s1, 2, v0
	s_wait_loadcnt 0x0
	ds_store_b64 v1, v[46:47]
	s_wait_storecnt_dscnt 0x0
	s_barrier_signal -1
	s_barrier_wait -1
	s_wait_xcnt 0x0
	s_and_saveexec_b32 s8, s1
	s_cbranch_execz .LBB84_185
; %bb.176:
	s_and_not1_b32 vcc_lo, exec_lo, s5
	s_cbranch_vccnz .LBB84_178
; %bb.177:
	scratch_load_b64 v[46:47], v45, off
	ds_load_b64 v[48:49], v1
	s_wait_loadcnt_dscnt 0x0
	v_pk_mul_f32 v[50:51], v[48:49], v[46:47] op_sel:[1,1] op_sel_hi:[0,1]
	s_delay_alu instid0(VALU_DEP_1) | instskip(SKIP_1) | instid1(VALU_DEP_2)
	v_pk_fma_f32 v[52:53], v[48:49], v[46:47], v[50:51] op_sel_hi:[1,0,1]
	v_pk_fma_f32 v[46:47], v[48:49], v[46:47], v[50:51] neg_lo:[0,0,1] neg_hi:[0,0,1]
	v_mov_b32_e32 v47, v53
	s_cbranch_execz .LBB84_179
	s_branch .LBB84_180
.LBB84_178:
                                        ; implicit-def: $vgpr46_vgpr47
.LBB84_179:
	ds_load_b64 v[46:47], v1
.LBB84_180:
	s_and_saveexec_b32 s9, s0
	s_cbranch_execz .LBB84_184
; %bb.181:
	v_add_nc_u32_e32 v48, -3, v0
	s_movk_i32 s10, 0xc8
	s_mov_b32 s0, 0
.LBB84_182:                             ; =>This Inner Loop Header: Depth=1
	scratch_load_b64 v[50:51], off, s7
	v_dual_mov_b32 v49, s10 :: v_dual_add_nc_u32 v48, -1, v48
	s_add_co_i32 s10, s10, 8
	s_wait_xcnt 0x0
	s_add_co_i32 s7, s7, 8
	ds_load_b64 v[52:53], v49
	v_cmp_eq_u32_e32 vcc_lo, 0, v48
	s_or_b32 s0, vcc_lo, s0
	s_wait_loadcnt_dscnt 0x0
	v_pk_mul_f32 v[54:55], v[52:53], v[50:51] op_sel:[1,1] op_sel_hi:[0,1]
	s_delay_alu instid0(VALU_DEP_1) | instskip(SKIP_1) | instid1(VALU_DEP_2)
	v_pk_fma_f32 v[56:57], v[52:53], v[50:51], v[54:55] op_sel_hi:[1,0,1]
	v_pk_fma_f32 v[50:51], v[52:53], v[50:51], v[54:55] neg_lo:[0,0,1] neg_hi:[0,0,1]
	v_mov_b32_e32 v51, v57
	s_delay_alu instid0(VALU_DEP_1)
	v_pk_add_f32 v[46:47], v[46:47], v[50:51]
	s_and_not1_b32 exec_lo, exec_lo, s0
	s_cbranch_execnz .LBB84_182
; %bb.183:
	s_or_b32 exec_lo, exec_lo, s0
.LBB84_184:
	s_delay_alu instid0(SALU_CYCLE_1) | instskip(SKIP_4) | instid1(VALU_DEP_1)
	s_or_b32 exec_lo, exec_lo, s9
	v_mov_b32_e32 v48, 0
	ds_load_b64 v[48:49], v48 offset:16
	s_wait_dscnt 0x0
	v_pk_mul_f32 v[50:51], v[46:47], v[48:49] op_sel:[1,1] op_sel_hi:[0,1]
	v_pk_fma_f32 v[52:53], v[46:47], v[48:49], v[50:51] op_sel_hi:[1,0,1]
	v_pk_fma_f32 v[46:47], v[46:47], v[48:49], v[50:51] neg_lo:[0,0,1] neg_hi:[0,0,1]
	s_delay_alu instid0(VALU_DEP_2)
	v_mov_b32_e32 v47, v53
	scratch_store_b64 off, v[46:47], off offset:16
.LBB84_185:
	s_wait_xcnt 0x0
	s_or_b32 exec_lo, exec_lo, s8
	scratch_load_b64 v[46:47], off, off offset:8
	v_cmp_lt_u32_e64 s0, 1, v0
	s_wait_loadcnt 0x0
	ds_store_b64 v1, v[46:47]
	s_wait_storecnt_dscnt 0x0
	s_barrier_signal -1
	s_barrier_wait -1
	s_wait_xcnt 0x0
	s_and_saveexec_b32 s7, s0
	s_cbranch_execz .LBB84_195
; %bb.186:
	s_and_not1_b32 vcc_lo, exec_lo, s5
	s_cbranch_vccnz .LBB84_188
; %bb.187:
	scratch_load_b64 v[46:47], v45, off
	ds_load_b64 v[48:49], v1
	s_wait_loadcnt_dscnt 0x0
	v_pk_mul_f32 v[50:51], v[48:49], v[46:47] op_sel:[1,1] op_sel_hi:[0,1]
	s_delay_alu instid0(VALU_DEP_1) | instskip(SKIP_1) | instid1(VALU_DEP_2)
	v_pk_fma_f32 v[52:53], v[48:49], v[46:47], v[50:51] op_sel_hi:[1,0,1]
	v_pk_fma_f32 v[46:47], v[48:49], v[46:47], v[50:51] neg_lo:[0,0,1] neg_hi:[0,0,1]
	v_mov_b32_e32 v47, v53
	s_cbranch_execz .LBB84_189
	s_branch .LBB84_190
.LBB84_188:
                                        ; implicit-def: $vgpr46_vgpr47
.LBB84_189:
	ds_load_b64 v[46:47], v1
.LBB84_190:
	s_and_saveexec_b32 s8, s1
	s_cbranch_execz .LBB84_194
; %bb.191:
	v_add_nc_u32_e32 v48, -2, v0
	s_movk_i32 s9, 0xc0
	s_mov_b32 s1, 0
.LBB84_192:                             ; =>This Inner Loop Header: Depth=1
	scratch_load_b64 v[50:51], off, s6
	v_dual_mov_b32 v49, s9 :: v_dual_add_nc_u32 v48, -1, v48
	s_add_co_i32 s9, s9, 8
	s_wait_xcnt 0x0
	s_add_co_i32 s6, s6, 8
	ds_load_b64 v[52:53], v49
	v_cmp_eq_u32_e32 vcc_lo, 0, v48
	s_or_b32 s1, vcc_lo, s1
	s_wait_loadcnt_dscnt 0x0
	v_pk_mul_f32 v[54:55], v[52:53], v[50:51] op_sel:[1,1] op_sel_hi:[0,1]
	s_delay_alu instid0(VALU_DEP_1) | instskip(SKIP_1) | instid1(VALU_DEP_2)
	v_pk_fma_f32 v[56:57], v[52:53], v[50:51], v[54:55] op_sel_hi:[1,0,1]
	v_pk_fma_f32 v[50:51], v[52:53], v[50:51], v[54:55] neg_lo:[0,0,1] neg_hi:[0,0,1]
	v_mov_b32_e32 v51, v57
	s_delay_alu instid0(VALU_DEP_1)
	v_pk_add_f32 v[46:47], v[46:47], v[50:51]
	s_and_not1_b32 exec_lo, exec_lo, s1
	s_cbranch_execnz .LBB84_192
; %bb.193:
	s_or_b32 exec_lo, exec_lo, s1
.LBB84_194:
	s_delay_alu instid0(SALU_CYCLE_1) | instskip(SKIP_4) | instid1(VALU_DEP_1)
	s_or_b32 exec_lo, exec_lo, s8
	v_mov_b32_e32 v48, 0
	ds_load_b64 v[48:49], v48 offset:8
	s_wait_dscnt 0x0
	v_pk_mul_f32 v[50:51], v[46:47], v[48:49] op_sel:[1,1] op_sel_hi:[0,1]
	v_pk_fma_f32 v[52:53], v[46:47], v[48:49], v[50:51] op_sel_hi:[1,0,1]
	v_pk_fma_f32 v[46:47], v[46:47], v[48:49], v[50:51] neg_lo:[0,0,1] neg_hi:[0,0,1]
	s_delay_alu instid0(VALU_DEP_2)
	v_mov_b32_e32 v47, v53
	scratch_store_b64 off, v[46:47], off offset:8
.LBB84_195:
	s_wait_xcnt 0x0
	s_or_b32 exec_lo, exec_lo, s7
	scratch_load_b64 v[46:47], off, off
	s_mov_b32 s6, 0
	s_mov_b32 s1, 0
	s_mov_b32 s7, exec_lo
                                        ; implicit-def: $vgpr62
                                        ; implicit-def: $sgpr8
	s_wait_loadcnt 0x0
	ds_store_b64 v1, v[46:47]
	s_wait_storecnt_dscnt 0x0
	s_barrier_signal -1
	s_barrier_wait -1
	s_wait_xcnt 0x0
	v_cmpx_ne_u32_e32 0, v0
	s_cbranch_execz .LBB84_205
; %bb.196:
	s_and_not1_b32 vcc_lo, exec_lo, s5
	s_cbranch_vccnz .LBB84_198
; %bb.197:
	scratch_load_b64 v[48:49], v45, off
	ds_load_b64 v[50:51], v1
	s_wait_loadcnt_dscnt 0x0
	v_dual_mul_f32 v46, v51, v49 :: v_dual_mul_f32 v47, v50, v49
	s_delay_alu instid0(VALU_DEP_1)
	v_dual_fma_f32 v46, v50, v48, -v46 :: v_dual_fmac_f32 v47, v51, v48
	s_and_not1_b32 vcc_lo, exec_lo, s1
	s_cbranch_vccz .LBB84_199
	s_branch .LBB84_200
.LBB84_198:
                                        ; implicit-def: $vgpr46
.LBB84_199:
	ds_load_b64 v[46:47], v1
.LBB84_200:
	s_and_saveexec_b32 s1, s0
	s_cbranch_execz .LBB84_204
; %bb.201:
	v_add_nc_u32_e32 v48, -1, v0
	s_movk_i32 s8, 0xb8
	s_mov_b32 s0, 0
.LBB84_202:                             ; =>This Inner Loop Header: Depth=1
	scratch_load_b64 v[50:51], off, s4
	v_mov_b32_e32 v49, s8
	s_add_co_i32 s8, s8, 8
	s_wait_xcnt 0x0
	s_add_co_i32 s4, s4, 8
	v_add_nc_u32_e32 v48, -1, v48
	ds_load_b64 v[52:53], v49
	v_cmp_eq_u32_e32 vcc_lo, 0, v48
	s_or_b32 s0, vcc_lo, s0
	s_wait_loadcnt_dscnt 0x0
	v_dual_mul_f32 v49, v53, v51 :: v_dual_mul_f32 v51, v52, v51
	s_delay_alu instid0(VALU_DEP_1) | instskip(NEXT) | instid1(VALU_DEP_1)
	v_dual_fma_f32 v49, v52, v50, -v49 :: v_dual_fmac_f32 v51, v53, v50
	v_dual_add_f32 v46, v46, v49 :: v_dual_add_f32 v47, v47, v51
	s_and_not1_b32 exec_lo, exec_lo, s0
	s_cbranch_execnz .LBB84_202
; %bb.203:
	s_or_b32 exec_lo, exec_lo, s0
.LBB84_204:
	s_delay_alu instid0(SALU_CYCLE_1)
	s_or_b32 exec_lo, exec_lo, s1
	v_mov_b32_e32 v48, 0
	s_mov_b32 s1, exec_lo
	s_or_b32 s8, 0, 4
	ds_load_b64 v[48:49], v48
	s_wait_dscnt 0x0
	v_dual_mul_f32 v50, v47, v49 :: v_dual_mul_f32 v62, v46, v49
	s_delay_alu instid0(VALU_DEP_1) | instskip(NEXT) | instid1(VALU_DEP_2)
	v_fma_f32 v46, v46, v48, -v50
	v_fmac_f32_e32 v62, v47, v48
	scratch_store_b32 off, v46, off
.LBB84_205:
	s_wait_xcnt 0x0
	s_or_b32 exec_lo, exec_lo, s7
	s_delay_alu instid0(SALU_CYCLE_1)
	s_and_b32 vcc_lo, exec_lo, s6
	s_cbranch_vccz .LBB84_401
.LBB84_206:
	scratch_load_b64 v[46:47], off, off offset:8
	v_cmp_eq_u32_e64 s0, 0, v0
	s_wait_loadcnt 0x0
	ds_store_b64 v1, v[46:47]
	s_wait_storecnt_dscnt 0x0
	s_barrier_signal -1
	s_barrier_wait -1
	s_wait_xcnt 0x0
	s_and_saveexec_b32 s4, s0
	s_cbranch_execz .LBB84_212
; %bb.207:
	s_and_b32 vcc_lo, exec_lo, s5
	s_cbranch_vccz .LBB84_209
; %bb.208:
	scratch_load_b64 v[46:47], v45, off
	ds_load_b64 v[48:49], v1
	s_wait_loadcnt_dscnt 0x0
	v_pk_mul_f32 v[50:51], v[48:49], v[46:47] op_sel:[1,1] op_sel_hi:[0,1]
	v_pk_mul_f32 v[52:53], v[48:49], v[46:47] op_sel_hi:[1,0]
	s_delay_alu instid0(VALU_DEP_2) | instskip(NEXT) | instid1(VALU_DEP_2)
	v_pk_fma_f32 v[46:47], v[48:49], v[46:47], v[50:51] op_sel_hi:[1,0,1]
	v_sub_f32_e32 v46, v52, v50
	s_cbranch_execz .LBB84_210
	s_branch .LBB84_211
.LBB84_209:
                                        ; implicit-def: $vgpr47
.LBB84_210:
	ds_load_b64 v[46:47], v1
.LBB84_211:
	s_wait_dscnt 0x0
	v_dual_mov_b32 v48, 0 :: v_dual_mov_b32 v50, v47
	v_mov_b32_e32 v51, v46
	ds_load_b64 v[48:49], v48 offset:8
	s_wait_dscnt 0x0
	v_pk_mul_f32 v[50:51], v[50:51], v[48:49] op_sel:[0,1]
	s_delay_alu instid0(VALU_DEP_1) | instskip(SKIP_1) | instid1(VALU_DEP_2)
	v_pk_fma_f32 v[52:53], v[46:47], v[48:49], v[50:51] op_sel_hi:[1,0,1]
	v_pk_fma_f32 v[46:47], v[46:47], v[48:49], v[50:51] neg_lo:[0,0,1] neg_hi:[0,0,1]
	v_mov_b32_e32 v47, v53
	scratch_store_b64 off, v[46:47], off offset:8
.LBB84_212:
	s_wait_xcnt 0x0
	s_or_b32 exec_lo, exec_lo, s4
	scratch_load_b64 v[46:47], off, off offset:16
	v_cndmask_b32_e64 v48, 0, 1, s5
	s_mov_b32 s4, exec_lo
	s_wait_loadcnt 0x0
	ds_store_b64 v1, v[46:47]
	s_wait_storecnt_dscnt 0x0
	s_barrier_signal -1
	s_barrier_wait -1
	s_wait_xcnt 0x0
	v_cmpx_gt_u32_e32 2, v0
	s_cbranch_execz .LBB84_220
; %bb.213:
	s_and_not1_b32 vcc_lo, exec_lo, s5
	s_cbranch_vccnz .LBB84_215
; %bb.214:
	scratch_load_b64 v[46:47], v45, off
	ds_load_b64 v[50:51], v1
	s_wait_loadcnt_dscnt 0x0
	v_pk_mul_f32 v[52:53], v[50:51], v[46:47] op_sel:[1,1] op_sel_hi:[0,1]
	s_delay_alu instid0(VALU_DEP_1) | instskip(SKIP_1) | instid1(VALU_DEP_2)
	v_pk_fma_f32 v[54:55], v[50:51], v[46:47], v[52:53] op_sel_hi:[1,0,1]
	v_pk_fma_f32 v[46:47], v[50:51], v[46:47], v[52:53] neg_lo:[0,0,1] neg_hi:[0,0,1]
	v_mov_b32_e32 v47, v55
	s_cbranch_execz .LBB84_216
	s_branch .LBB84_217
.LBB84_215:
                                        ; implicit-def: $vgpr46_vgpr47
.LBB84_216:
	ds_load_b64 v[46:47], v1
.LBB84_217:
	s_and_saveexec_b32 s5, s0
	s_cbranch_execz .LBB84_219
; %bb.218:
	scratch_load_b64 v[50:51], off, off offset:8
	v_mov_b32_e32 v49, 0
	ds_load_b64 v[52:53], v49 offset:184
	s_wait_loadcnt_dscnt 0x0
	v_pk_mul_f32 v[54:55], v[52:53], v[50:51] op_sel:[1,1] op_sel_hi:[0,1]
	s_delay_alu instid0(VALU_DEP_1) | instskip(SKIP_1) | instid1(VALU_DEP_2)
	v_pk_fma_f32 v[56:57], v[52:53], v[50:51], v[54:55] op_sel_hi:[1,0,1]
	v_pk_fma_f32 v[50:51], v[52:53], v[50:51], v[54:55] neg_lo:[0,0,1] neg_hi:[0,0,1]
	v_mov_b32_e32 v51, v57
	s_delay_alu instid0(VALU_DEP_1)
	v_pk_add_f32 v[46:47], v[46:47], v[50:51]
.LBB84_219:
	s_or_b32 exec_lo, exec_lo, s5
	v_mov_b32_e32 v49, 0
	ds_load_b64 v[50:51], v49 offset:16
	s_wait_dscnt 0x0
	v_pk_mul_f32 v[52:53], v[46:47], v[50:51] op_sel:[1,1] op_sel_hi:[0,1]
	s_delay_alu instid0(VALU_DEP_1) | instskip(SKIP_1) | instid1(VALU_DEP_2)
	v_pk_fma_f32 v[54:55], v[46:47], v[50:51], v[52:53] op_sel_hi:[1,0,1]
	v_pk_fma_f32 v[46:47], v[46:47], v[50:51], v[52:53] neg_lo:[0,0,1] neg_hi:[0,0,1]
	v_mov_b32_e32 v47, v55
	scratch_store_b64 off, v[46:47], off offset:16
.LBB84_220:
	s_wait_xcnt 0x0
	s_or_b32 exec_lo, exec_lo, s4
	scratch_load_b64 v[46:47], off, off offset:24
	s_mov_b32 s4, exec_lo
	s_wait_loadcnt 0x0
	ds_store_b64 v1, v[46:47]
	s_wait_storecnt_dscnt 0x0
	s_barrier_signal -1
	s_barrier_wait -1
	s_wait_xcnt 0x0
	v_cmpx_gt_u32_e32 3, v0
	s_cbranch_execz .LBB84_230
; %bb.221:
	v_cmp_ne_u32_e32 vcc_lo, 1, v48
	s_cbranch_vccnz .LBB84_223
; %bb.222:
	scratch_load_b64 v[46:47], v45, off
	ds_load_b64 v[50:51], v1
	s_wait_loadcnt_dscnt 0x0
	v_pk_mul_f32 v[52:53], v[50:51], v[46:47] op_sel:[1,1] op_sel_hi:[0,1]
	s_delay_alu instid0(VALU_DEP_1) | instskip(SKIP_1) | instid1(VALU_DEP_2)
	v_pk_fma_f32 v[54:55], v[50:51], v[46:47], v[52:53] op_sel_hi:[1,0,1]
	v_pk_fma_f32 v[46:47], v[50:51], v[46:47], v[52:53] neg_lo:[0,0,1] neg_hi:[0,0,1]
	v_mov_b32_e32 v47, v55
	s_cbranch_execz .LBB84_224
	s_branch .LBB84_225
.LBB84_223:
                                        ; implicit-def: $vgpr46_vgpr47
.LBB84_224:
	ds_load_b64 v[46:47], v1
.LBB84_225:
	s_mov_b32 s5, exec_lo
	v_cmpx_ne_u32_e32 2, v0
	s_cbranch_execz .LBB84_229
; %bb.226:
	scratch_load_b64 v[50:51], v45, off offset:8
	ds_load_b64 v[52:53], v1 offset:8
	s_wait_loadcnt_dscnt 0x0
	v_pk_mul_f32 v[54:55], v[52:53], v[50:51] op_sel:[1,1] op_sel_hi:[0,1]
	s_delay_alu instid0(VALU_DEP_1) | instskip(SKIP_1) | instid1(VALU_DEP_2)
	v_pk_fma_f32 v[56:57], v[52:53], v[50:51], v[54:55] op_sel_hi:[1,0,1]
	v_pk_fma_f32 v[50:51], v[52:53], v[50:51], v[54:55] neg_lo:[0,0,1] neg_hi:[0,0,1]
	v_mov_b32_e32 v51, v57
	s_delay_alu instid0(VALU_DEP_1)
	v_pk_add_f32 v[46:47], v[46:47], v[50:51]
	s_and_saveexec_b32 s6, s0
	s_cbranch_execz .LBB84_228
; %bb.227:
	scratch_load_b64 v[50:51], off, off offset:16
	v_mov_b32_e32 v49, 0
	ds_load_b64 v[52:53], v49 offset:192
	s_wait_loadcnt_dscnt 0x0
	v_pk_mul_f32 v[54:55], v[52:53], v[50:51] op_sel:[1,1] op_sel_hi:[0,1]
	s_delay_alu instid0(VALU_DEP_1) | instskip(SKIP_1) | instid1(VALU_DEP_2)
	v_pk_fma_f32 v[56:57], v[52:53], v[50:51], v[54:55] op_sel_hi:[1,0,1]
	v_pk_fma_f32 v[50:51], v[52:53], v[50:51], v[54:55] neg_lo:[0,0,1] neg_hi:[0,0,1]
	v_mov_b32_e32 v51, v57
	s_delay_alu instid0(VALU_DEP_1)
	v_pk_add_f32 v[46:47], v[46:47], v[50:51]
.LBB84_228:
	s_or_b32 exec_lo, exec_lo, s6
.LBB84_229:
	s_delay_alu instid0(SALU_CYCLE_1) | instskip(SKIP_4) | instid1(VALU_DEP_1)
	s_or_b32 exec_lo, exec_lo, s5
	v_mov_b32_e32 v49, 0
	ds_load_b64 v[50:51], v49 offset:24
	s_wait_dscnt 0x0
	v_pk_mul_f32 v[52:53], v[46:47], v[50:51] op_sel:[1,1] op_sel_hi:[0,1]
	v_pk_fma_f32 v[54:55], v[46:47], v[50:51], v[52:53] op_sel_hi:[1,0,1]
	v_pk_fma_f32 v[46:47], v[46:47], v[50:51], v[52:53] neg_lo:[0,0,1] neg_hi:[0,0,1]
	s_delay_alu instid0(VALU_DEP_2)
	v_mov_b32_e32 v47, v55
	scratch_store_b64 off, v[46:47], off offset:24
.LBB84_230:
	s_wait_xcnt 0x0
	s_or_b32 exec_lo, exec_lo, s4
	scratch_load_b64 v[46:47], off, off offset:32
	s_mov_b32 s0, exec_lo
	s_wait_loadcnt 0x0
	ds_store_b64 v1, v[46:47]
	s_wait_storecnt_dscnt 0x0
	s_barrier_signal -1
	s_barrier_wait -1
	s_wait_xcnt 0x0
	v_cmpx_gt_u32_e32 4, v0
	s_cbranch_execz .LBB84_240
; %bb.231:
	v_cmp_ne_u32_e32 vcc_lo, 1, v48
	s_cbranch_vccnz .LBB84_233
; %bb.232:
	scratch_load_b64 v[46:47], v45, off
	ds_load_b64 v[50:51], v1
	s_wait_loadcnt_dscnt 0x0
	v_pk_mul_f32 v[52:53], v[50:51], v[46:47] op_sel:[1,1] op_sel_hi:[0,1]
	s_delay_alu instid0(VALU_DEP_1) | instskip(SKIP_1) | instid1(VALU_DEP_2)
	v_pk_fma_f32 v[54:55], v[50:51], v[46:47], v[52:53] op_sel_hi:[1,0,1]
	v_pk_fma_f32 v[46:47], v[50:51], v[46:47], v[52:53] neg_lo:[0,0,1] neg_hi:[0,0,1]
	v_mov_b32_e32 v47, v55
	s_cbranch_execz .LBB84_234
	s_branch .LBB84_235
.LBB84_233:
                                        ; implicit-def: $vgpr46_vgpr47
.LBB84_234:
	ds_load_b64 v[46:47], v1
.LBB84_235:
	s_mov_b32 s4, exec_lo
	v_cmpx_ne_u32_e32 3, v0
	s_cbranch_execz .LBB84_239
; %bb.236:
	v_add_nc_u32_e32 v49, 0xb8, v44
	v_add3_u32 v50, 0, v44, 8
	v_mov_b32_e32 v51, v0
	s_mov_b32 s5, 0
.LBB84_237:                             ; =>This Inner Loop Header: Depth=1
	scratch_load_b64 v[52:53], v50, off
	ds_load_b64 v[54:55], v49
	s_wait_xcnt 0x0
	v_dual_add_nc_u32 v49, 8, v49 :: v_dual_add_nc_u32 v50, 8, v50
	s_wait_loadcnt_dscnt 0x0
	v_pk_mul_f32 v[56:57], v[54:55], v[52:53] op_sel:[1,1] op_sel_hi:[0,1]
	s_delay_alu instid0(VALU_DEP_1) | instskip(SKIP_2) | instid1(VALU_DEP_3)
	v_pk_fma_f32 v[58:59], v[54:55], v[52:53], v[56:57] op_sel_hi:[1,0,1]
	v_add_nc_u32_e32 v51, 1, v51
	v_pk_fma_f32 v[52:53], v[54:55], v[52:53], v[56:57] neg_lo:[0,0,1] neg_hi:[0,0,1]
	v_mov_b32_e32 v53, v59
	s_delay_alu instid0(VALU_DEP_3) | instskip(NEXT) | instid1(VALU_DEP_2)
	v_cmp_lt_u32_e32 vcc_lo, 2, v51
	v_pk_add_f32 v[46:47], v[46:47], v[52:53]
	s_or_b32 s5, vcc_lo, s5
	s_delay_alu instid0(SALU_CYCLE_1)
	s_and_not1_b32 exec_lo, exec_lo, s5
	s_cbranch_execnz .LBB84_237
; %bb.238:
	s_or_b32 exec_lo, exec_lo, s5
.LBB84_239:
	s_delay_alu instid0(SALU_CYCLE_1) | instskip(SKIP_4) | instid1(VALU_DEP_1)
	s_or_b32 exec_lo, exec_lo, s4
	v_mov_b32_e32 v49, 0
	ds_load_b64 v[50:51], v49 offset:32
	s_wait_dscnt 0x0
	v_pk_mul_f32 v[52:53], v[46:47], v[50:51] op_sel:[1,1] op_sel_hi:[0,1]
	v_pk_fma_f32 v[54:55], v[46:47], v[50:51], v[52:53] op_sel_hi:[1,0,1]
	v_pk_fma_f32 v[46:47], v[46:47], v[50:51], v[52:53] neg_lo:[0,0,1] neg_hi:[0,0,1]
	s_delay_alu instid0(VALU_DEP_2)
	v_mov_b32_e32 v47, v55
	scratch_store_b64 off, v[46:47], off offset:32
.LBB84_240:
	s_wait_xcnt 0x0
	s_or_b32 exec_lo, exec_lo, s0
	scratch_load_b64 v[46:47], off, off offset:40
	s_mov_b32 s0, exec_lo
	s_wait_loadcnt 0x0
	ds_store_b64 v1, v[46:47]
	s_wait_storecnt_dscnt 0x0
	s_barrier_signal -1
	s_barrier_wait -1
	s_wait_xcnt 0x0
	v_cmpx_gt_u32_e32 5, v0
	s_cbranch_execz .LBB84_250
; %bb.241:
	v_cmp_ne_u32_e32 vcc_lo, 1, v48
	s_cbranch_vccnz .LBB84_243
; %bb.242:
	scratch_load_b64 v[46:47], v45, off
	ds_load_b64 v[50:51], v1
	s_wait_loadcnt_dscnt 0x0
	v_pk_mul_f32 v[52:53], v[50:51], v[46:47] op_sel:[1,1] op_sel_hi:[0,1]
	s_delay_alu instid0(VALU_DEP_1) | instskip(SKIP_1) | instid1(VALU_DEP_2)
	v_pk_fma_f32 v[54:55], v[50:51], v[46:47], v[52:53] op_sel_hi:[1,0,1]
	v_pk_fma_f32 v[46:47], v[50:51], v[46:47], v[52:53] neg_lo:[0,0,1] neg_hi:[0,0,1]
	v_mov_b32_e32 v47, v55
	s_cbranch_execz .LBB84_244
	s_branch .LBB84_245
.LBB84_243:
                                        ; implicit-def: $vgpr46_vgpr47
.LBB84_244:
	ds_load_b64 v[46:47], v1
.LBB84_245:
	s_mov_b32 s4, exec_lo
	v_cmpx_ne_u32_e32 4, v0
	s_cbranch_execz .LBB84_249
; %bb.246:
	v_add_nc_u32_e32 v49, 0xb8, v44
	v_add3_u32 v50, 0, v44, 8
	v_mov_b32_e32 v51, v0
	s_mov_b32 s5, 0
.LBB84_247:                             ; =>This Inner Loop Header: Depth=1
	scratch_load_b64 v[52:53], v50, off
	ds_load_b64 v[54:55], v49
	s_wait_xcnt 0x0
	v_dual_add_nc_u32 v49, 8, v49 :: v_dual_add_nc_u32 v50, 8, v50
	s_wait_loadcnt_dscnt 0x0
	v_pk_mul_f32 v[56:57], v[54:55], v[52:53] op_sel:[1,1] op_sel_hi:[0,1]
	s_delay_alu instid0(VALU_DEP_1) | instskip(SKIP_2) | instid1(VALU_DEP_3)
	v_pk_fma_f32 v[58:59], v[54:55], v[52:53], v[56:57] op_sel_hi:[1,0,1]
	v_add_nc_u32_e32 v51, 1, v51
	v_pk_fma_f32 v[52:53], v[54:55], v[52:53], v[56:57] neg_lo:[0,0,1] neg_hi:[0,0,1]
	v_mov_b32_e32 v53, v59
	s_delay_alu instid0(VALU_DEP_3) | instskip(NEXT) | instid1(VALU_DEP_2)
	v_cmp_lt_u32_e32 vcc_lo, 3, v51
	v_pk_add_f32 v[46:47], v[46:47], v[52:53]
	s_or_b32 s5, vcc_lo, s5
	s_delay_alu instid0(SALU_CYCLE_1)
	s_and_not1_b32 exec_lo, exec_lo, s5
	s_cbranch_execnz .LBB84_247
; %bb.248:
	s_or_b32 exec_lo, exec_lo, s5
.LBB84_249:
	s_delay_alu instid0(SALU_CYCLE_1) | instskip(SKIP_4) | instid1(VALU_DEP_1)
	s_or_b32 exec_lo, exec_lo, s4
	v_mov_b32_e32 v49, 0
	ds_load_b64 v[50:51], v49 offset:40
	s_wait_dscnt 0x0
	v_pk_mul_f32 v[52:53], v[46:47], v[50:51] op_sel:[1,1] op_sel_hi:[0,1]
	v_pk_fma_f32 v[54:55], v[46:47], v[50:51], v[52:53] op_sel_hi:[1,0,1]
	v_pk_fma_f32 v[46:47], v[46:47], v[50:51], v[52:53] neg_lo:[0,0,1] neg_hi:[0,0,1]
	s_delay_alu instid0(VALU_DEP_2)
	v_mov_b32_e32 v47, v55
	scratch_store_b64 off, v[46:47], off offset:40
.LBB84_250:
	s_wait_xcnt 0x0
	s_or_b32 exec_lo, exec_lo, s0
	scratch_load_b64 v[46:47], off, off offset:48
	s_mov_b32 s0, exec_lo
	s_wait_loadcnt 0x0
	ds_store_b64 v1, v[46:47]
	s_wait_storecnt_dscnt 0x0
	s_barrier_signal -1
	s_barrier_wait -1
	s_wait_xcnt 0x0
	v_cmpx_gt_u32_e32 6, v0
	s_cbranch_execz .LBB84_260
; %bb.251:
	v_cmp_ne_u32_e32 vcc_lo, 1, v48
	s_cbranch_vccnz .LBB84_253
; %bb.252:
	scratch_load_b64 v[46:47], v45, off
	ds_load_b64 v[50:51], v1
	s_wait_loadcnt_dscnt 0x0
	v_pk_mul_f32 v[52:53], v[50:51], v[46:47] op_sel:[1,1] op_sel_hi:[0,1]
	s_delay_alu instid0(VALU_DEP_1) | instskip(SKIP_1) | instid1(VALU_DEP_2)
	v_pk_fma_f32 v[54:55], v[50:51], v[46:47], v[52:53] op_sel_hi:[1,0,1]
	v_pk_fma_f32 v[46:47], v[50:51], v[46:47], v[52:53] neg_lo:[0,0,1] neg_hi:[0,0,1]
	v_mov_b32_e32 v47, v55
	s_cbranch_execz .LBB84_254
	s_branch .LBB84_255
.LBB84_253:
                                        ; implicit-def: $vgpr46_vgpr47
.LBB84_254:
	ds_load_b64 v[46:47], v1
.LBB84_255:
	s_mov_b32 s4, exec_lo
	v_cmpx_ne_u32_e32 5, v0
	s_cbranch_execz .LBB84_259
; %bb.256:
	v_add_nc_u32_e32 v49, 0xb8, v44
	v_add3_u32 v50, 0, v44, 8
	v_mov_b32_e32 v51, v0
	s_mov_b32 s5, 0
.LBB84_257:                             ; =>This Inner Loop Header: Depth=1
	scratch_load_b64 v[52:53], v50, off
	ds_load_b64 v[54:55], v49
	s_wait_xcnt 0x0
	v_dual_add_nc_u32 v49, 8, v49 :: v_dual_add_nc_u32 v50, 8, v50
	s_wait_loadcnt_dscnt 0x0
	v_pk_mul_f32 v[56:57], v[54:55], v[52:53] op_sel:[1,1] op_sel_hi:[0,1]
	s_delay_alu instid0(VALU_DEP_1) | instskip(SKIP_2) | instid1(VALU_DEP_3)
	v_pk_fma_f32 v[58:59], v[54:55], v[52:53], v[56:57] op_sel_hi:[1,0,1]
	v_add_nc_u32_e32 v51, 1, v51
	v_pk_fma_f32 v[52:53], v[54:55], v[52:53], v[56:57] neg_lo:[0,0,1] neg_hi:[0,0,1]
	v_mov_b32_e32 v53, v59
	s_delay_alu instid0(VALU_DEP_3) | instskip(NEXT) | instid1(VALU_DEP_2)
	v_cmp_lt_u32_e32 vcc_lo, 4, v51
	v_pk_add_f32 v[46:47], v[46:47], v[52:53]
	s_or_b32 s5, vcc_lo, s5
	s_delay_alu instid0(SALU_CYCLE_1)
	s_and_not1_b32 exec_lo, exec_lo, s5
	s_cbranch_execnz .LBB84_257
; %bb.258:
	s_or_b32 exec_lo, exec_lo, s5
.LBB84_259:
	s_delay_alu instid0(SALU_CYCLE_1) | instskip(SKIP_4) | instid1(VALU_DEP_1)
	s_or_b32 exec_lo, exec_lo, s4
	v_mov_b32_e32 v49, 0
	ds_load_b64 v[50:51], v49 offset:48
	s_wait_dscnt 0x0
	v_pk_mul_f32 v[52:53], v[46:47], v[50:51] op_sel:[1,1] op_sel_hi:[0,1]
	v_pk_fma_f32 v[54:55], v[46:47], v[50:51], v[52:53] op_sel_hi:[1,0,1]
	v_pk_fma_f32 v[46:47], v[46:47], v[50:51], v[52:53] neg_lo:[0,0,1] neg_hi:[0,0,1]
	s_delay_alu instid0(VALU_DEP_2)
	v_mov_b32_e32 v47, v55
	scratch_store_b64 off, v[46:47], off offset:48
.LBB84_260:
	s_wait_xcnt 0x0
	s_or_b32 exec_lo, exec_lo, s0
	scratch_load_b64 v[46:47], off, off offset:56
	s_mov_b32 s0, exec_lo
	s_wait_loadcnt 0x0
	ds_store_b64 v1, v[46:47]
	s_wait_storecnt_dscnt 0x0
	s_barrier_signal -1
	s_barrier_wait -1
	s_wait_xcnt 0x0
	v_cmpx_gt_u32_e32 7, v0
	s_cbranch_execz .LBB84_270
; %bb.261:
	v_cmp_ne_u32_e32 vcc_lo, 1, v48
	s_cbranch_vccnz .LBB84_263
; %bb.262:
	scratch_load_b64 v[46:47], v45, off
	ds_load_b64 v[50:51], v1
	s_wait_loadcnt_dscnt 0x0
	v_pk_mul_f32 v[52:53], v[50:51], v[46:47] op_sel:[1,1] op_sel_hi:[0,1]
	s_delay_alu instid0(VALU_DEP_1) | instskip(SKIP_1) | instid1(VALU_DEP_2)
	v_pk_fma_f32 v[54:55], v[50:51], v[46:47], v[52:53] op_sel_hi:[1,0,1]
	v_pk_fma_f32 v[46:47], v[50:51], v[46:47], v[52:53] neg_lo:[0,0,1] neg_hi:[0,0,1]
	v_mov_b32_e32 v47, v55
	s_cbranch_execz .LBB84_264
	s_branch .LBB84_265
.LBB84_263:
                                        ; implicit-def: $vgpr46_vgpr47
.LBB84_264:
	ds_load_b64 v[46:47], v1
.LBB84_265:
	s_mov_b32 s4, exec_lo
	v_cmpx_ne_u32_e32 6, v0
	s_cbranch_execz .LBB84_269
; %bb.266:
	v_add_nc_u32_e32 v49, 0xb8, v44
	v_add3_u32 v50, 0, v44, 8
	v_mov_b32_e32 v51, v0
	s_mov_b32 s5, 0
.LBB84_267:                             ; =>This Inner Loop Header: Depth=1
	scratch_load_b64 v[52:53], v50, off
	ds_load_b64 v[54:55], v49
	s_wait_xcnt 0x0
	v_dual_add_nc_u32 v49, 8, v49 :: v_dual_add_nc_u32 v50, 8, v50
	s_wait_loadcnt_dscnt 0x0
	v_pk_mul_f32 v[56:57], v[54:55], v[52:53] op_sel:[1,1] op_sel_hi:[0,1]
	s_delay_alu instid0(VALU_DEP_1) | instskip(SKIP_2) | instid1(VALU_DEP_3)
	v_pk_fma_f32 v[58:59], v[54:55], v[52:53], v[56:57] op_sel_hi:[1,0,1]
	v_add_nc_u32_e32 v51, 1, v51
	v_pk_fma_f32 v[52:53], v[54:55], v[52:53], v[56:57] neg_lo:[0,0,1] neg_hi:[0,0,1]
	v_mov_b32_e32 v53, v59
	s_delay_alu instid0(VALU_DEP_3) | instskip(NEXT) | instid1(VALU_DEP_2)
	v_cmp_lt_u32_e32 vcc_lo, 5, v51
	v_pk_add_f32 v[46:47], v[46:47], v[52:53]
	s_or_b32 s5, vcc_lo, s5
	s_delay_alu instid0(SALU_CYCLE_1)
	s_and_not1_b32 exec_lo, exec_lo, s5
	s_cbranch_execnz .LBB84_267
; %bb.268:
	s_or_b32 exec_lo, exec_lo, s5
.LBB84_269:
	s_delay_alu instid0(SALU_CYCLE_1) | instskip(SKIP_4) | instid1(VALU_DEP_1)
	s_or_b32 exec_lo, exec_lo, s4
	v_mov_b32_e32 v49, 0
	ds_load_b64 v[50:51], v49 offset:56
	s_wait_dscnt 0x0
	v_pk_mul_f32 v[52:53], v[46:47], v[50:51] op_sel:[1,1] op_sel_hi:[0,1]
	v_pk_fma_f32 v[54:55], v[46:47], v[50:51], v[52:53] op_sel_hi:[1,0,1]
	v_pk_fma_f32 v[46:47], v[46:47], v[50:51], v[52:53] neg_lo:[0,0,1] neg_hi:[0,0,1]
	s_delay_alu instid0(VALU_DEP_2)
	v_mov_b32_e32 v47, v55
	scratch_store_b64 off, v[46:47], off offset:56
.LBB84_270:
	s_wait_xcnt 0x0
	s_or_b32 exec_lo, exec_lo, s0
	scratch_load_b64 v[46:47], off, off offset:64
	s_mov_b32 s0, exec_lo
	s_wait_loadcnt 0x0
	ds_store_b64 v1, v[46:47]
	s_wait_storecnt_dscnt 0x0
	s_barrier_signal -1
	s_barrier_wait -1
	s_wait_xcnt 0x0
	v_cmpx_gt_u32_e32 8, v0
	s_cbranch_execz .LBB84_280
; %bb.271:
	v_cmp_ne_u32_e32 vcc_lo, 1, v48
	s_cbranch_vccnz .LBB84_273
; %bb.272:
	scratch_load_b64 v[46:47], v45, off
	ds_load_b64 v[50:51], v1
	s_wait_loadcnt_dscnt 0x0
	v_pk_mul_f32 v[52:53], v[50:51], v[46:47] op_sel:[1,1] op_sel_hi:[0,1]
	s_delay_alu instid0(VALU_DEP_1) | instskip(SKIP_1) | instid1(VALU_DEP_2)
	v_pk_fma_f32 v[54:55], v[50:51], v[46:47], v[52:53] op_sel_hi:[1,0,1]
	v_pk_fma_f32 v[46:47], v[50:51], v[46:47], v[52:53] neg_lo:[0,0,1] neg_hi:[0,0,1]
	v_mov_b32_e32 v47, v55
	s_cbranch_execz .LBB84_274
	s_branch .LBB84_275
.LBB84_273:
                                        ; implicit-def: $vgpr46_vgpr47
.LBB84_274:
	ds_load_b64 v[46:47], v1
.LBB84_275:
	s_mov_b32 s4, exec_lo
	v_cmpx_ne_u32_e32 7, v0
	s_cbranch_execz .LBB84_279
; %bb.276:
	v_add_nc_u32_e32 v49, 0xb8, v44
	v_add3_u32 v50, 0, v44, 8
	v_mov_b32_e32 v51, v0
	s_mov_b32 s5, 0
.LBB84_277:                             ; =>This Inner Loop Header: Depth=1
	scratch_load_b64 v[52:53], v50, off
	ds_load_b64 v[54:55], v49
	s_wait_xcnt 0x0
	v_dual_add_nc_u32 v49, 8, v49 :: v_dual_add_nc_u32 v50, 8, v50
	s_wait_loadcnt_dscnt 0x0
	v_pk_mul_f32 v[56:57], v[54:55], v[52:53] op_sel:[1,1] op_sel_hi:[0,1]
	s_delay_alu instid0(VALU_DEP_1) | instskip(SKIP_2) | instid1(VALU_DEP_3)
	v_pk_fma_f32 v[58:59], v[54:55], v[52:53], v[56:57] op_sel_hi:[1,0,1]
	v_add_nc_u32_e32 v51, 1, v51
	v_pk_fma_f32 v[52:53], v[54:55], v[52:53], v[56:57] neg_lo:[0,0,1] neg_hi:[0,0,1]
	v_mov_b32_e32 v53, v59
	s_delay_alu instid0(VALU_DEP_3) | instskip(NEXT) | instid1(VALU_DEP_2)
	v_cmp_lt_u32_e32 vcc_lo, 6, v51
	v_pk_add_f32 v[46:47], v[46:47], v[52:53]
	s_or_b32 s5, vcc_lo, s5
	s_delay_alu instid0(SALU_CYCLE_1)
	s_and_not1_b32 exec_lo, exec_lo, s5
	s_cbranch_execnz .LBB84_277
; %bb.278:
	s_or_b32 exec_lo, exec_lo, s5
.LBB84_279:
	s_delay_alu instid0(SALU_CYCLE_1) | instskip(SKIP_4) | instid1(VALU_DEP_1)
	s_or_b32 exec_lo, exec_lo, s4
	v_mov_b32_e32 v49, 0
	ds_load_b64 v[50:51], v49 offset:64
	s_wait_dscnt 0x0
	v_pk_mul_f32 v[52:53], v[46:47], v[50:51] op_sel:[1,1] op_sel_hi:[0,1]
	v_pk_fma_f32 v[54:55], v[46:47], v[50:51], v[52:53] op_sel_hi:[1,0,1]
	v_pk_fma_f32 v[46:47], v[46:47], v[50:51], v[52:53] neg_lo:[0,0,1] neg_hi:[0,0,1]
	s_delay_alu instid0(VALU_DEP_2)
	v_mov_b32_e32 v47, v55
	scratch_store_b64 off, v[46:47], off offset:64
.LBB84_280:
	s_wait_xcnt 0x0
	s_or_b32 exec_lo, exec_lo, s0
	scratch_load_b64 v[46:47], off, off offset:72
	s_mov_b32 s0, exec_lo
	s_wait_loadcnt 0x0
	ds_store_b64 v1, v[46:47]
	s_wait_storecnt_dscnt 0x0
	s_barrier_signal -1
	s_barrier_wait -1
	s_wait_xcnt 0x0
	v_cmpx_gt_u32_e32 9, v0
	s_cbranch_execz .LBB84_290
; %bb.281:
	v_cmp_ne_u32_e32 vcc_lo, 1, v48
	s_cbranch_vccnz .LBB84_283
; %bb.282:
	scratch_load_b64 v[46:47], v45, off
	ds_load_b64 v[50:51], v1
	s_wait_loadcnt_dscnt 0x0
	v_pk_mul_f32 v[52:53], v[50:51], v[46:47] op_sel:[1,1] op_sel_hi:[0,1]
	s_delay_alu instid0(VALU_DEP_1) | instskip(SKIP_1) | instid1(VALU_DEP_2)
	v_pk_fma_f32 v[54:55], v[50:51], v[46:47], v[52:53] op_sel_hi:[1,0,1]
	v_pk_fma_f32 v[46:47], v[50:51], v[46:47], v[52:53] neg_lo:[0,0,1] neg_hi:[0,0,1]
	v_mov_b32_e32 v47, v55
	s_cbranch_execz .LBB84_284
	s_branch .LBB84_285
.LBB84_283:
                                        ; implicit-def: $vgpr46_vgpr47
.LBB84_284:
	ds_load_b64 v[46:47], v1
.LBB84_285:
	s_mov_b32 s4, exec_lo
	v_cmpx_ne_u32_e32 8, v0
	s_cbranch_execz .LBB84_289
; %bb.286:
	v_add_nc_u32_e32 v49, 0xb8, v44
	v_add3_u32 v50, 0, v44, 8
	v_mov_b32_e32 v51, v0
	s_mov_b32 s5, 0
.LBB84_287:                             ; =>This Inner Loop Header: Depth=1
	scratch_load_b64 v[52:53], v50, off
	ds_load_b64 v[54:55], v49
	s_wait_xcnt 0x0
	v_dual_add_nc_u32 v49, 8, v49 :: v_dual_add_nc_u32 v50, 8, v50
	s_wait_loadcnt_dscnt 0x0
	v_pk_mul_f32 v[56:57], v[54:55], v[52:53] op_sel:[1,1] op_sel_hi:[0,1]
	s_delay_alu instid0(VALU_DEP_1) | instskip(SKIP_2) | instid1(VALU_DEP_3)
	v_pk_fma_f32 v[58:59], v[54:55], v[52:53], v[56:57] op_sel_hi:[1,0,1]
	v_add_nc_u32_e32 v51, 1, v51
	v_pk_fma_f32 v[52:53], v[54:55], v[52:53], v[56:57] neg_lo:[0,0,1] neg_hi:[0,0,1]
	v_mov_b32_e32 v53, v59
	s_delay_alu instid0(VALU_DEP_3) | instskip(NEXT) | instid1(VALU_DEP_2)
	v_cmp_lt_u32_e32 vcc_lo, 7, v51
	v_pk_add_f32 v[46:47], v[46:47], v[52:53]
	s_or_b32 s5, vcc_lo, s5
	s_delay_alu instid0(SALU_CYCLE_1)
	s_and_not1_b32 exec_lo, exec_lo, s5
	s_cbranch_execnz .LBB84_287
; %bb.288:
	s_or_b32 exec_lo, exec_lo, s5
.LBB84_289:
	s_delay_alu instid0(SALU_CYCLE_1) | instskip(SKIP_4) | instid1(VALU_DEP_1)
	s_or_b32 exec_lo, exec_lo, s4
	v_mov_b32_e32 v49, 0
	ds_load_b64 v[50:51], v49 offset:72
	s_wait_dscnt 0x0
	v_pk_mul_f32 v[52:53], v[46:47], v[50:51] op_sel:[1,1] op_sel_hi:[0,1]
	v_pk_fma_f32 v[54:55], v[46:47], v[50:51], v[52:53] op_sel_hi:[1,0,1]
	v_pk_fma_f32 v[46:47], v[46:47], v[50:51], v[52:53] neg_lo:[0,0,1] neg_hi:[0,0,1]
	s_delay_alu instid0(VALU_DEP_2)
	v_mov_b32_e32 v47, v55
	scratch_store_b64 off, v[46:47], off offset:72
.LBB84_290:
	s_wait_xcnt 0x0
	s_or_b32 exec_lo, exec_lo, s0
	scratch_load_b64 v[46:47], off, off offset:80
	s_mov_b32 s0, exec_lo
	s_wait_loadcnt 0x0
	ds_store_b64 v1, v[46:47]
	s_wait_storecnt_dscnt 0x0
	s_barrier_signal -1
	s_barrier_wait -1
	s_wait_xcnt 0x0
	v_cmpx_gt_u32_e32 10, v0
	s_cbranch_execz .LBB84_300
; %bb.291:
	v_cmp_ne_u32_e32 vcc_lo, 1, v48
	s_cbranch_vccnz .LBB84_293
; %bb.292:
	scratch_load_b64 v[46:47], v45, off
	ds_load_b64 v[50:51], v1
	s_wait_loadcnt_dscnt 0x0
	v_pk_mul_f32 v[52:53], v[50:51], v[46:47] op_sel:[1,1] op_sel_hi:[0,1]
	s_delay_alu instid0(VALU_DEP_1) | instskip(SKIP_1) | instid1(VALU_DEP_2)
	v_pk_fma_f32 v[54:55], v[50:51], v[46:47], v[52:53] op_sel_hi:[1,0,1]
	v_pk_fma_f32 v[46:47], v[50:51], v[46:47], v[52:53] neg_lo:[0,0,1] neg_hi:[0,0,1]
	v_mov_b32_e32 v47, v55
	s_cbranch_execz .LBB84_294
	s_branch .LBB84_295
.LBB84_293:
                                        ; implicit-def: $vgpr46_vgpr47
.LBB84_294:
	ds_load_b64 v[46:47], v1
.LBB84_295:
	s_mov_b32 s4, exec_lo
	v_cmpx_ne_u32_e32 9, v0
	s_cbranch_execz .LBB84_299
; %bb.296:
	v_add_nc_u32_e32 v49, 0xb8, v44
	v_add3_u32 v50, 0, v44, 8
	v_mov_b32_e32 v51, v0
	s_mov_b32 s5, 0
.LBB84_297:                             ; =>This Inner Loop Header: Depth=1
	scratch_load_b64 v[52:53], v50, off
	ds_load_b64 v[54:55], v49
	s_wait_xcnt 0x0
	v_dual_add_nc_u32 v49, 8, v49 :: v_dual_add_nc_u32 v50, 8, v50
	s_wait_loadcnt_dscnt 0x0
	v_pk_mul_f32 v[56:57], v[54:55], v[52:53] op_sel:[1,1] op_sel_hi:[0,1]
	s_delay_alu instid0(VALU_DEP_1) | instskip(SKIP_2) | instid1(VALU_DEP_3)
	v_pk_fma_f32 v[58:59], v[54:55], v[52:53], v[56:57] op_sel_hi:[1,0,1]
	v_add_nc_u32_e32 v51, 1, v51
	v_pk_fma_f32 v[52:53], v[54:55], v[52:53], v[56:57] neg_lo:[0,0,1] neg_hi:[0,0,1]
	v_mov_b32_e32 v53, v59
	s_delay_alu instid0(VALU_DEP_3) | instskip(NEXT) | instid1(VALU_DEP_2)
	v_cmp_lt_u32_e32 vcc_lo, 8, v51
	v_pk_add_f32 v[46:47], v[46:47], v[52:53]
	s_or_b32 s5, vcc_lo, s5
	s_delay_alu instid0(SALU_CYCLE_1)
	s_and_not1_b32 exec_lo, exec_lo, s5
	s_cbranch_execnz .LBB84_297
; %bb.298:
	s_or_b32 exec_lo, exec_lo, s5
.LBB84_299:
	s_delay_alu instid0(SALU_CYCLE_1) | instskip(SKIP_4) | instid1(VALU_DEP_1)
	s_or_b32 exec_lo, exec_lo, s4
	v_mov_b32_e32 v49, 0
	ds_load_b64 v[50:51], v49 offset:80
	s_wait_dscnt 0x0
	v_pk_mul_f32 v[52:53], v[46:47], v[50:51] op_sel:[1,1] op_sel_hi:[0,1]
	v_pk_fma_f32 v[54:55], v[46:47], v[50:51], v[52:53] op_sel_hi:[1,0,1]
	v_pk_fma_f32 v[46:47], v[46:47], v[50:51], v[52:53] neg_lo:[0,0,1] neg_hi:[0,0,1]
	s_delay_alu instid0(VALU_DEP_2)
	v_mov_b32_e32 v47, v55
	scratch_store_b64 off, v[46:47], off offset:80
.LBB84_300:
	s_wait_xcnt 0x0
	s_or_b32 exec_lo, exec_lo, s0
	scratch_load_b64 v[46:47], off, off offset:88
	s_mov_b32 s0, exec_lo
	s_wait_loadcnt 0x0
	ds_store_b64 v1, v[46:47]
	s_wait_storecnt_dscnt 0x0
	s_barrier_signal -1
	s_barrier_wait -1
	s_wait_xcnt 0x0
	v_cmpx_gt_u32_e32 11, v0
	s_cbranch_execz .LBB84_310
; %bb.301:
	v_cmp_ne_u32_e32 vcc_lo, 1, v48
	s_cbranch_vccnz .LBB84_303
; %bb.302:
	scratch_load_b64 v[46:47], v45, off
	ds_load_b64 v[50:51], v1
	s_wait_loadcnt_dscnt 0x0
	v_pk_mul_f32 v[52:53], v[50:51], v[46:47] op_sel:[1,1] op_sel_hi:[0,1]
	s_delay_alu instid0(VALU_DEP_1) | instskip(SKIP_1) | instid1(VALU_DEP_2)
	v_pk_fma_f32 v[54:55], v[50:51], v[46:47], v[52:53] op_sel_hi:[1,0,1]
	v_pk_fma_f32 v[46:47], v[50:51], v[46:47], v[52:53] neg_lo:[0,0,1] neg_hi:[0,0,1]
	v_mov_b32_e32 v47, v55
	s_cbranch_execz .LBB84_304
	s_branch .LBB84_305
.LBB84_303:
                                        ; implicit-def: $vgpr46_vgpr47
.LBB84_304:
	ds_load_b64 v[46:47], v1
.LBB84_305:
	s_mov_b32 s4, exec_lo
	v_cmpx_ne_u32_e32 10, v0
	s_cbranch_execz .LBB84_309
; %bb.306:
	v_add_nc_u32_e32 v49, 0xb8, v44
	v_add3_u32 v50, 0, v44, 8
	v_mov_b32_e32 v51, v0
	s_mov_b32 s5, 0
.LBB84_307:                             ; =>This Inner Loop Header: Depth=1
	scratch_load_b64 v[52:53], v50, off
	ds_load_b64 v[54:55], v49
	s_wait_xcnt 0x0
	v_dual_add_nc_u32 v49, 8, v49 :: v_dual_add_nc_u32 v50, 8, v50
	s_wait_loadcnt_dscnt 0x0
	v_pk_mul_f32 v[56:57], v[54:55], v[52:53] op_sel:[1,1] op_sel_hi:[0,1]
	s_delay_alu instid0(VALU_DEP_1) | instskip(SKIP_2) | instid1(VALU_DEP_3)
	v_pk_fma_f32 v[58:59], v[54:55], v[52:53], v[56:57] op_sel_hi:[1,0,1]
	v_add_nc_u32_e32 v51, 1, v51
	v_pk_fma_f32 v[52:53], v[54:55], v[52:53], v[56:57] neg_lo:[0,0,1] neg_hi:[0,0,1]
	v_mov_b32_e32 v53, v59
	s_delay_alu instid0(VALU_DEP_3) | instskip(NEXT) | instid1(VALU_DEP_2)
	v_cmp_lt_u32_e32 vcc_lo, 9, v51
	v_pk_add_f32 v[46:47], v[46:47], v[52:53]
	s_or_b32 s5, vcc_lo, s5
	s_delay_alu instid0(SALU_CYCLE_1)
	s_and_not1_b32 exec_lo, exec_lo, s5
	s_cbranch_execnz .LBB84_307
; %bb.308:
	s_or_b32 exec_lo, exec_lo, s5
.LBB84_309:
	s_delay_alu instid0(SALU_CYCLE_1) | instskip(SKIP_4) | instid1(VALU_DEP_1)
	s_or_b32 exec_lo, exec_lo, s4
	v_mov_b32_e32 v49, 0
	ds_load_b64 v[50:51], v49 offset:88
	s_wait_dscnt 0x0
	v_pk_mul_f32 v[52:53], v[46:47], v[50:51] op_sel:[1,1] op_sel_hi:[0,1]
	v_pk_fma_f32 v[54:55], v[46:47], v[50:51], v[52:53] op_sel_hi:[1,0,1]
	v_pk_fma_f32 v[46:47], v[46:47], v[50:51], v[52:53] neg_lo:[0,0,1] neg_hi:[0,0,1]
	s_delay_alu instid0(VALU_DEP_2)
	v_mov_b32_e32 v47, v55
	scratch_store_b64 off, v[46:47], off offset:88
.LBB84_310:
	s_wait_xcnt 0x0
	s_or_b32 exec_lo, exec_lo, s0
	scratch_load_b64 v[46:47], off, off offset:96
	s_mov_b32 s0, exec_lo
	s_wait_loadcnt 0x0
	ds_store_b64 v1, v[46:47]
	s_wait_storecnt_dscnt 0x0
	s_barrier_signal -1
	s_barrier_wait -1
	s_wait_xcnt 0x0
	v_cmpx_gt_u32_e32 12, v0
	s_cbranch_execz .LBB84_320
; %bb.311:
	v_cmp_ne_u32_e32 vcc_lo, 1, v48
	s_cbranch_vccnz .LBB84_313
; %bb.312:
	scratch_load_b64 v[46:47], v45, off
	ds_load_b64 v[50:51], v1
	s_wait_loadcnt_dscnt 0x0
	v_pk_mul_f32 v[52:53], v[50:51], v[46:47] op_sel:[1,1] op_sel_hi:[0,1]
	s_delay_alu instid0(VALU_DEP_1) | instskip(SKIP_1) | instid1(VALU_DEP_2)
	v_pk_fma_f32 v[54:55], v[50:51], v[46:47], v[52:53] op_sel_hi:[1,0,1]
	v_pk_fma_f32 v[46:47], v[50:51], v[46:47], v[52:53] neg_lo:[0,0,1] neg_hi:[0,0,1]
	v_mov_b32_e32 v47, v55
	s_cbranch_execz .LBB84_314
	s_branch .LBB84_315
.LBB84_313:
                                        ; implicit-def: $vgpr46_vgpr47
.LBB84_314:
	ds_load_b64 v[46:47], v1
.LBB84_315:
	s_mov_b32 s4, exec_lo
	v_cmpx_ne_u32_e32 11, v0
	s_cbranch_execz .LBB84_319
; %bb.316:
	v_add_nc_u32_e32 v49, 0xb8, v44
	v_add3_u32 v50, 0, v44, 8
	v_mov_b32_e32 v51, v0
	s_mov_b32 s5, 0
.LBB84_317:                             ; =>This Inner Loop Header: Depth=1
	scratch_load_b64 v[52:53], v50, off
	ds_load_b64 v[54:55], v49
	s_wait_xcnt 0x0
	v_dual_add_nc_u32 v49, 8, v49 :: v_dual_add_nc_u32 v50, 8, v50
	s_wait_loadcnt_dscnt 0x0
	v_pk_mul_f32 v[56:57], v[54:55], v[52:53] op_sel:[1,1] op_sel_hi:[0,1]
	s_delay_alu instid0(VALU_DEP_1) | instskip(SKIP_2) | instid1(VALU_DEP_3)
	v_pk_fma_f32 v[58:59], v[54:55], v[52:53], v[56:57] op_sel_hi:[1,0,1]
	v_add_nc_u32_e32 v51, 1, v51
	v_pk_fma_f32 v[52:53], v[54:55], v[52:53], v[56:57] neg_lo:[0,0,1] neg_hi:[0,0,1]
	v_mov_b32_e32 v53, v59
	s_delay_alu instid0(VALU_DEP_3) | instskip(NEXT) | instid1(VALU_DEP_2)
	v_cmp_lt_u32_e32 vcc_lo, 10, v51
	v_pk_add_f32 v[46:47], v[46:47], v[52:53]
	s_or_b32 s5, vcc_lo, s5
	s_delay_alu instid0(SALU_CYCLE_1)
	s_and_not1_b32 exec_lo, exec_lo, s5
	s_cbranch_execnz .LBB84_317
; %bb.318:
	s_or_b32 exec_lo, exec_lo, s5
.LBB84_319:
	s_delay_alu instid0(SALU_CYCLE_1) | instskip(SKIP_4) | instid1(VALU_DEP_1)
	s_or_b32 exec_lo, exec_lo, s4
	v_mov_b32_e32 v49, 0
	ds_load_b64 v[50:51], v49 offset:96
	s_wait_dscnt 0x0
	v_pk_mul_f32 v[52:53], v[46:47], v[50:51] op_sel:[1,1] op_sel_hi:[0,1]
	v_pk_fma_f32 v[54:55], v[46:47], v[50:51], v[52:53] op_sel_hi:[1,0,1]
	v_pk_fma_f32 v[46:47], v[46:47], v[50:51], v[52:53] neg_lo:[0,0,1] neg_hi:[0,0,1]
	s_delay_alu instid0(VALU_DEP_2)
	v_mov_b32_e32 v47, v55
	scratch_store_b64 off, v[46:47], off offset:96
.LBB84_320:
	s_wait_xcnt 0x0
	s_or_b32 exec_lo, exec_lo, s0
	scratch_load_b64 v[46:47], off, off offset:104
	s_mov_b32 s0, exec_lo
	s_wait_loadcnt 0x0
	ds_store_b64 v1, v[46:47]
	s_wait_storecnt_dscnt 0x0
	s_barrier_signal -1
	s_barrier_wait -1
	s_wait_xcnt 0x0
	v_cmpx_gt_u32_e32 13, v0
	s_cbranch_execz .LBB84_330
; %bb.321:
	v_cmp_ne_u32_e32 vcc_lo, 1, v48
	s_cbranch_vccnz .LBB84_323
; %bb.322:
	scratch_load_b64 v[46:47], v45, off
	ds_load_b64 v[50:51], v1
	s_wait_loadcnt_dscnt 0x0
	v_pk_mul_f32 v[52:53], v[50:51], v[46:47] op_sel:[1,1] op_sel_hi:[0,1]
	s_delay_alu instid0(VALU_DEP_1) | instskip(SKIP_1) | instid1(VALU_DEP_2)
	v_pk_fma_f32 v[54:55], v[50:51], v[46:47], v[52:53] op_sel_hi:[1,0,1]
	v_pk_fma_f32 v[46:47], v[50:51], v[46:47], v[52:53] neg_lo:[0,0,1] neg_hi:[0,0,1]
	v_mov_b32_e32 v47, v55
	s_cbranch_execz .LBB84_324
	s_branch .LBB84_325
.LBB84_323:
                                        ; implicit-def: $vgpr46_vgpr47
.LBB84_324:
	ds_load_b64 v[46:47], v1
.LBB84_325:
	s_mov_b32 s4, exec_lo
	v_cmpx_ne_u32_e32 12, v0
	s_cbranch_execz .LBB84_329
; %bb.326:
	v_add_nc_u32_e32 v49, 0xb8, v44
	v_add3_u32 v50, 0, v44, 8
	v_mov_b32_e32 v51, v0
	s_mov_b32 s5, 0
.LBB84_327:                             ; =>This Inner Loop Header: Depth=1
	scratch_load_b64 v[52:53], v50, off
	ds_load_b64 v[54:55], v49
	s_wait_xcnt 0x0
	v_dual_add_nc_u32 v49, 8, v49 :: v_dual_add_nc_u32 v50, 8, v50
	s_wait_loadcnt_dscnt 0x0
	v_pk_mul_f32 v[56:57], v[54:55], v[52:53] op_sel:[1,1] op_sel_hi:[0,1]
	s_delay_alu instid0(VALU_DEP_1) | instskip(SKIP_2) | instid1(VALU_DEP_3)
	v_pk_fma_f32 v[58:59], v[54:55], v[52:53], v[56:57] op_sel_hi:[1,0,1]
	v_add_nc_u32_e32 v51, 1, v51
	v_pk_fma_f32 v[52:53], v[54:55], v[52:53], v[56:57] neg_lo:[0,0,1] neg_hi:[0,0,1]
	v_mov_b32_e32 v53, v59
	s_delay_alu instid0(VALU_DEP_3) | instskip(NEXT) | instid1(VALU_DEP_2)
	v_cmp_lt_u32_e32 vcc_lo, 11, v51
	v_pk_add_f32 v[46:47], v[46:47], v[52:53]
	s_or_b32 s5, vcc_lo, s5
	s_delay_alu instid0(SALU_CYCLE_1)
	s_and_not1_b32 exec_lo, exec_lo, s5
	s_cbranch_execnz .LBB84_327
; %bb.328:
	s_or_b32 exec_lo, exec_lo, s5
.LBB84_329:
	s_delay_alu instid0(SALU_CYCLE_1) | instskip(SKIP_4) | instid1(VALU_DEP_1)
	s_or_b32 exec_lo, exec_lo, s4
	v_mov_b32_e32 v49, 0
	ds_load_b64 v[50:51], v49 offset:104
	s_wait_dscnt 0x0
	v_pk_mul_f32 v[52:53], v[46:47], v[50:51] op_sel:[1,1] op_sel_hi:[0,1]
	v_pk_fma_f32 v[54:55], v[46:47], v[50:51], v[52:53] op_sel_hi:[1,0,1]
	v_pk_fma_f32 v[46:47], v[46:47], v[50:51], v[52:53] neg_lo:[0,0,1] neg_hi:[0,0,1]
	s_delay_alu instid0(VALU_DEP_2)
	v_mov_b32_e32 v47, v55
	scratch_store_b64 off, v[46:47], off offset:104
.LBB84_330:
	s_wait_xcnt 0x0
	s_or_b32 exec_lo, exec_lo, s0
	scratch_load_b64 v[46:47], off, off offset:112
	s_mov_b32 s0, exec_lo
	s_wait_loadcnt 0x0
	ds_store_b64 v1, v[46:47]
	s_wait_storecnt_dscnt 0x0
	s_barrier_signal -1
	s_barrier_wait -1
	s_wait_xcnt 0x0
	v_cmpx_gt_u32_e32 14, v0
	s_cbranch_execz .LBB84_340
; %bb.331:
	v_cmp_ne_u32_e32 vcc_lo, 1, v48
	s_cbranch_vccnz .LBB84_333
; %bb.332:
	scratch_load_b64 v[46:47], v45, off
	ds_load_b64 v[50:51], v1
	s_wait_loadcnt_dscnt 0x0
	v_pk_mul_f32 v[52:53], v[50:51], v[46:47] op_sel:[1,1] op_sel_hi:[0,1]
	s_delay_alu instid0(VALU_DEP_1) | instskip(SKIP_1) | instid1(VALU_DEP_2)
	v_pk_fma_f32 v[54:55], v[50:51], v[46:47], v[52:53] op_sel_hi:[1,0,1]
	v_pk_fma_f32 v[46:47], v[50:51], v[46:47], v[52:53] neg_lo:[0,0,1] neg_hi:[0,0,1]
	v_mov_b32_e32 v47, v55
	s_cbranch_execz .LBB84_334
	s_branch .LBB84_335
.LBB84_333:
                                        ; implicit-def: $vgpr46_vgpr47
.LBB84_334:
	ds_load_b64 v[46:47], v1
.LBB84_335:
	s_mov_b32 s4, exec_lo
	v_cmpx_ne_u32_e32 13, v0
	s_cbranch_execz .LBB84_339
; %bb.336:
	v_add_nc_u32_e32 v49, 0xb8, v44
	v_add3_u32 v50, 0, v44, 8
	v_mov_b32_e32 v51, v0
	s_mov_b32 s5, 0
.LBB84_337:                             ; =>This Inner Loop Header: Depth=1
	scratch_load_b64 v[52:53], v50, off
	ds_load_b64 v[54:55], v49
	s_wait_xcnt 0x0
	v_dual_add_nc_u32 v49, 8, v49 :: v_dual_add_nc_u32 v50, 8, v50
	s_wait_loadcnt_dscnt 0x0
	v_pk_mul_f32 v[56:57], v[54:55], v[52:53] op_sel:[1,1] op_sel_hi:[0,1]
	s_delay_alu instid0(VALU_DEP_1) | instskip(SKIP_2) | instid1(VALU_DEP_3)
	v_pk_fma_f32 v[58:59], v[54:55], v[52:53], v[56:57] op_sel_hi:[1,0,1]
	v_add_nc_u32_e32 v51, 1, v51
	v_pk_fma_f32 v[52:53], v[54:55], v[52:53], v[56:57] neg_lo:[0,0,1] neg_hi:[0,0,1]
	v_mov_b32_e32 v53, v59
	s_delay_alu instid0(VALU_DEP_3) | instskip(NEXT) | instid1(VALU_DEP_2)
	v_cmp_lt_u32_e32 vcc_lo, 12, v51
	v_pk_add_f32 v[46:47], v[46:47], v[52:53]
	s_or_b32 s5, vcc_lo, s5
	s_delay_alu instid0(SALU_CYCLE_1)
	s_and_not1_b32 exec_lo, exec_lo, s5
	s_cbranch_execnz .LBB84_337
; %bb.338:
	s_or_b32 exec_lo, exec_lo, s5
.LBB84_339:
	s_delay_alu instid0(SALU_CYCLE_1) | instskip(SKIP_4) | instid1(VALU_DEP_1)
	s_or_b32 exec_lo, exec_lo, s4
	v_mov_b32_e32 v49, 0
	ds_load_b64 v[50:51], v49 offset:112
	s_wait_dscnt 0x0
	v_pk_mul_f32 v[52:53], v[46:47], v[50:51] op_sel:[1,1] op_sel_hi:[0,1]
	v_pk_fma_f32 v[54:55], v[46:47], v[50:51], v[52:53] op_sel_hi:[1,0,1]
	v_pk_fma_f32 v[46:47], v[46:47], v[50:51], v[52:53] neg_lo:[0,0,1] neg_hi:[0,0,1]
	s_delay_alu instid0(VALU_DEP_2)
	v_mov_b32_e32 v47, v55
	scratch_store_b64 off, v[46:47], off offset:112
.LBB84_340:
	s_wait_xcnt 0x0
	s_or_b32 exec_lo, exec_lo, s0
	scratch_load_b64 v[46:47], off, off offset:120
	s_mov_b32 s0, exec_lo
	s_wait_loadcnt 0x0
	ds_store_b64 v1, v[46:47]
	s_wait_storecnt_dscnt 0x0
	s_barrier_signal -1
	s_barrier_wait -1
	s_wait_xcnt 0x0
	v_cmpx_gt_u32_e32 15, v0
	s_cbranch_execz .LBB84_350
; %bb.341:
	v_cmp_ne_u32_e32 vcc_lo, 1, v48
	s_cbranch_vccnz .LBB84_343
; %bb.342:
	scratch_load_b64 v[46:47], v45, off
	ds_load_b64 v[50:51], v1
	s_wait_loadcnt_dscnt 0x0
	v_pk_mul_f32 v[52:53], v[50:51], v[46:47] op_sel:[1,1] op_sel_hi:[0,1]
	s_delay_alu instid0(VALU_DEP_1) | instskip(SKIP_1) | instid1(VALU_DEP_2)
	v_pk_fma_f32 v[54:55], v[50:51], v[46:47], v[52:53] op_sel_hi:[1,0,1]
	v_pk_fma_f32 v[46:47], v[50:51], v[46:47], v[52:53] neg_lo:[0,0,1] neg_hi:[0,0,1]
	v_mov_b32_e32 v47, v55
	s_cbranch_execz .LBB84_344
	s_branch .LBB84_345
.LBB84_343:
                                        ; implicit-def: $vgpr46_vgpr47
.LBB84_344:
	ds_load_b64 v[46:47], v1
.LBB84_345:
	s_mov_b32 s4, exec_lo
	v_cmpx_ne_u32_e32 14, v0
	s_cbranch_execz .LBB84_349
; %bb.346:
	v_add_nc_u32_e32 v49, 0xb8, v44
	v_add3_u32 v50, 0, v44, 8
	v_mov_b32_e32 v51, v0
	s_mov_b32 s5, 0
.LBB84_347:                             ; =>This Inner Loop Header: Depth=1
	scratch_load_b64 v[52:53], v50, off
	ds_load_b64 v[54:55], v49
	s_wait_xcnt 0x0
	v_dual_add_nc_u32 v49, 8, v49 :: v_dual_add_nc_u32 v50, 8, v50
	s_wait_loadcnt_dscnt 0x0
	v_pk_mul_f32 v[56:57], v[54:55], v[52:53] op_sel:[1,1] op_sel_hi:[0,1]
	s_delay_alu instid0(VALU_DEP_1) | instskip(SKIP_2) | instid1(VALU_DEP_3)
	v_pk_fma_f32 v[58:59], v[54:55], v[52:53], v[56:57] op_sel_hi:[1,0,1]
	v_add_nc_u32_e32 v51, 1, v51
	v_pk_fma_f32 v[52:53], v[54:55], v[52:53], v[56:57] neg_lo:[0,0,1] neg_hi:[0,0,1]
	v_mov_b32_e32 v53, v59
	s_delay_alu instid0(VALU_DEP_3) | instskip(NEXT) | instid1(VALU_DEP_2)
	v_cmp_lt_u32_e32 vcc_lo, 13, v51
	v_pk_add_f32 v[46:47], v[46:47], v[52:53]
	s_or_b32 s5, vcc_lo, s5
	s_delay_alu instid0(SALU_CYCLE_1)
	s_and_not1_b32 exec_lo, exec_lo, s5
	s_cbranch_execnz .LBB84_347
; %bb.348:
	s_or_b32 exec_lo, exec_lo, s5
.LBB84_349:
	s_delay_alu instid0(SALU_CYCLE_1) | instskip(SKIP_4) | instid1(VALU_DEP_1)
	s_or_b32 exec_lo, exec_lo, s4
	v_mov_b32_e32 v49, 0
	ds_load_b64 v[50:51], v49 offset:120
	s_wait_dscnt 0x0
	v_pk_mul_f32 v[52:53], v[46:47], v[50:51] op_sel:[1,1] op_sel_hi:[0,1]
	v_pk_fma_f32 v[54:55], v[46:47], v[50:51], v[52:53] op_sel_hi:[1,0,1]
	v_pk_fma_f32 v[46:47], v[46:47], v[50:51], v[52:53] neg_lo:[0,0,1] neg_hi:[0,0,1]
	s_delay_alu instid0(VALU_DEP_2)
	v_mov_b32_e32 v47, v55
	scratch_store_b64 off, v[46:47], off offset:120
.LBB84_350:
	s_wait_xcnt 0x0
	s_or_b32 exec_lo, exec_lo, s0
	scratch_load_b64 v[46:47], off, off offset:128
	s_mov_b32 s0, exec_lo
	s_wait_loadcnt 0x0
	ds_store_b64 v1, v[46:47]
	s_wait_storecnt_dscnt 0x0
	s_barrier_signal -1
	s_barrier_wait -1
	s_wait_xcnt 0x0
	v_cmpx_gt_u32_e32 16, v0
	s_cbranch_execz .LBB84_360
; %bb.351:
	v_cmp_ne_u32_e32 vcc_lo, 1, v48
	s_cbranch_vccnz .LBB84_353
; %bb.352:
	scratch_load_b64 v[46:47], v45, off
	ds_load_b64 v[50:51], v1
	s_wait_loadcnt_dscnt 0x0
	v_pk_mul_f32 v[52:53], v[50:51], v[46:47] op_sel:[1,1] op_sel_hi:[0,1]
	s_delay_alu instid0(VALU_DEP_1) | instskip(SKIP_1) | instid1(VALU_DEP_2)
	v_pk_fma_f32 v[54:55], v[50:51], v[46:47], v[52:53] op_sel_hi:[1,0,1]
	v_pk_fma_f32 v[46:47], v[50:51], v[46:47], v[52:53] neg_lo:[0,0,1] neg_hi:[0,0,1]
	v_mov_b32_e32 v47, v55
	s_cbranch_execz .LBB84_354
	s_branch .LBB84_355
.LBB84_353:
                                        ; implicit-def: $vgpr46_vgpr47
.LBB84_354:
	ds_load_b64 v[46:47], v1
.LBB84_355:
	s_mov_b32 s4, exec_lo
	v_cmpx_ne_u32_e32 15, v0
	s_cbranch_execz .LBB84_359
; %bb.356:
	v_add_nc_u32_e32 v49, 0xb8, v44
	v_add3_u32 v50, 0, v44, 8
	v_mov_b32_e32 v51, v0
	s_mov_b32 s5, 0
.LBB84_357:                             ; =>This Inner Loop Header: Depth=1
	scratch_load_b64 v[52:53], v50, off
	ds_load_b64 v[54:55], v49
	s_wait_xcnt 0x0
	v_dual_add_nc_u32 v49, 8, v49 :: v_dual_add_nc_u32 v50, 8, v50
	s_wait_loadcnt_dscnt 0x0
	v_pk_mul_f32 v[56:57], v[54:55], v[52:53] op_sel:[1,1] op_sel_hi:[0,1]
	s_delay_alu instid0(VALU_DEP_1) | instskip(SKIP_2) | instid1(VALU_DEP_3)
	v_pk_fma_f32 v[58:59], v[54:55], v[52:53], v[56:57] op_sel_hi:[1,0,1]
	v_add_nc_u32_e32 v51, 1, v51
	v_pk_fma_f32 v[52:53], v[54:55], v[52:53], v[56:57] neg_lo:[0,0,1] neg_hi:[0,0,1]
	v_mov_b32_e32 v53, v59
	s_delay_alu instid0(VALU_DEP_3) | instskip(NEXT) | instid1(VALU_DEP_2)
	v_cmp_lt_u32_e32 vcc_lo, 14, v51
	v_pk_add_f32 v[46:47], v[46:47], v[52:53]
	s_or_b32 s5, vcc_lo, s5
	s_delay_alu instid0(SALU_CYCLE_1)
	s_and_not1_b32 exec_lo, exec_lo, s5
	s_cbranch_execnz .LBB84_357
; %bb.358:
	s_or_b32 exec_lo, exec_lo, s5
.LBB84_359:
	s_delay_alu instid0(SALU_CYCLE_1) | instskip(SKIP_4) | instid1(VALU_DEP_1)
	s_or_b32 exec_lo, exec_lo, s4
	v_mov_b32_e32 v49, 0
	ds_load_b64 v[50:51], v49 offset:128
	s_wait_dscnt 0x0
	v_pk_mul_f32 v[52:53], v[46:47], v[50:51] op_sel:[1,1] op_sel_hi:[0,1]
	v_pk_fma_f32 v[54:55], v[46:47], v[50:51], v[52:53] op_sel_hi:[1,0,1]
	v_pk_fma_f32 v[46:47], v[46:47], v[50:51], v[52:53] neg_lo:[0,0,1] neg_hi:[0,0,1]
	s_delay_alu instid0(VALU_DEP_2)
	v_mov_b32_e32 v47, v55
	scratch_store_b64 off, v[46:47], off offset:128
.LBB84_360:
	s_wait_xcnt 0x0
	s_or_b32 exec_lo, exec_lo, s0
	scratch_load_b64 v[46:47], off, off offset:136
	s_mov_b32 s0, exec_lo
	s_wait_loadcnt 0x0
	ds_store_b64 v1, v[46:47]
	s_wait_storecnt_dscnt 0x0
	s_barrier_signal -1
	s_barrier_wait -1
	s_wait_xcnt 0x0
	v_cmpx_gt_u32_e32 17, v0
	s_cbranch_execz .LBB84_370
; %bb.361:
	v_cmp_ne_u32_e32 vcc_lo, 1, v48
	s_cbranch_vccnz .LBB84_363
; %bb.362:
	scratch_load_b64 v[46:47], v45, off
	ds_load_b64 v[50:51], v1
	s_wait_loadcnt_dscnt 0x0
	v_pk_mul_f32 v[52:53], v[50:51], v[46:47] op_sel:[1,1] op_sel_hi:[0,1]
	s_delay_alu instid0(VALU_DEP_1) | instskip(SKIP_1) | instid1(VALU_DEP_2)
	v_pk_fma_f32 v[54:55], v[50:51], v[46:47], v[52:53] op_sel_hi:[1,0,1]
	v_pk_fma_f32 v[46:47], v[50:51], v[46:47], v[52:53] neg_lo:[0,0,1] neg_hi:[0,0,1]
	v_mov_b32_e32 v47, v55
	s_cbranch_execz .LBB84_364
	s_branch .LBB84_365
.LBB84_363:
                                        ; implicit-def: $vgpr46_vgpr47
.LBB84_364:
	ds_load_b64 v[46:47], v1
.LBB84_365:
	s_mov_b32 s4, exec_lo
	v_cmpx_ne_u32_e32 16, v0
	s_cbranch_execz .LBB84_369
; %bb.366:
	v_add_nc_u32_e32 v49, 0xb8, v44
	v_add3_u32 v50, 0, v44, 8
	v_mov_b32_e32 v51, v0
	s_mov_b32 s5, 0
.LBB84_367:                             ; =>This Inner Loop Header: Depth=1
	scratch_load_b64 v[52:53], v50, off
	ds_load_b64 v[54:55], v49
	s_wait_xcnt 0x0
	v_dual_add_nc_u32 v49, 8, v49 :: v_dual_add_nc_u32 v50, 8, v50
	s_wait_loadcnt_dscnt 0x0
	v_pk_mul_f32 v[56:57], v[54:55], v[52:53] op_sel:[1,1] op_sel_hi:[0,1]
	s_delay_alu instid0(VALU_DEP_1) | instskip(SKIP_2) | instid1(VALU_DEP_3)
	v_pk_fma_f32 v[58:59], v[54:55], v[52:53], v[56:57] op_sel_hi:[1,0,1]
	v_add_nc_u32_e32 v51, 1, v51
	v_pk_fma_f32 v[52:53], v[54:55], v[52:53], v[56:57] neg_lo:[0,0,1] neg_hi:[0,0,1]
	v_mov_b32_e32 v53, v59
	s_delay_alu instid0(VALU_DEP_3) | instskip(NEXT) | instid1(VALU_DEP_2)
	v_cmp_lt_u32_e32 vcc_lo, 15, v51
	v_pk_add_f32 v[46:47], v[46:47], v[52:53]
	s_or_b32 s5, vcc_lo, s5
	s_delay_alu instid0(SALU_CYCLE_1)
	s_and_not1_b32 exec_lo, exec_lo, s5
	s_cbranch_execnz .LBB84_367
; %bb.368:
	s_or_b32 exec_lo, exec_lo, s5
.LBB84_369:
	s_delay_alu instid0(SALU_CYCLE_1) | instskip(SKIP_4) | instid1(VALU_DEP_1)
	s_or_b32 exec_lo, exec_lo, s4
	v_mov_b32_e32 v49, 0
	ds_load_b64 v[50:51], v49 offset:136
	s_wait_dscnt 0x0
	v_pk_mul_f32 v[52:53], v[46:47], v[50:51] op_sel:[1,1] op_sel_hi:[0,1]
	v_pk_fma_f32 v[54:55], v[46:47], v[50:51], v[52:53] op_sel_hi:[1,0,1]
	v_pk_fma_f32 v[46:47], v[46:47], v[50:51], v[52:53] neg_lo:[0,0,1] neg_hi:[0,0,1]
	s_delay_alu instid0(VALU_DEP_2)
	v_mov_b32_e32 v47, v55
	scratch_store_b64 off, v[46:47], off offset:136
.LBB84_370:
	s_wait_xcnt 0x0
	s_or_b32 exec_lo, exec_lo, s0
	scratch_load_b64 v[46:47], off, off offset:144
	s_mov_b32 s0, exec_lo
	s_wait_loadcnt 0x0
	ds_store_b64 v1, v[46:47]
	s_wait_storecnt_dscnt 0x0
	s_barrier_signal -1
	s_barrier_wait -1
	s_wait_xcnt 0x0
	v_cmpx_gt_u32_e32 18, v0
	s_cbranch_execz .LBB84_380
; %bb.371:
	v_cmp_ne_u32_e32 vcc_lo, 1, v48
	s_cbranch_vccnz .LBB84_373
; %bb.372:
	scratch_load_b64 v[46:47], v45, off
	ds_load_b64 v[50:51], v1
	s_wait_loadcnt_dscnt 0x0
	v_pk_mul_f32 v[52:53], v[50:51], v[46:47] op_sel:[1,1] op_sel_hi:[0,1]
	s_delay_alu instid0(VALU_DEP_1) | instskip(SKIP_1) | instid1(VALU_DEP_2)
	v_pk_fma_f32 v[54:55], v[50:51], v[46:47], v[52:53] op_sel_hi:[1,0,1]
	v_pk_fma_f32 v[46:47], v[50:51], v[46:47], v[52:53] neg_lo:[0,0,1] neg_hi:[0,0,1]
	v_mov_b32_e32 v47, v55
	s_cbranch_execz .LBB84_374
	s_branch .LBB84_375
.LBB84_373:
                                        ; implicit-def: $vgpr46_vgpr47
.LBB84_374:
	ds_load_b64 v[46:47], v1
.LBB84_375:
	s_mov_b32 s4, exec_lo
	v_cmpx_ne_u32_e32 17, v0
	s_cbranch_execz .LBB84_379
; %bb.376:
	v_add_nc_u32_e32 v49, 0xb8, v44
	v_add3_u32 v50, 0, v44, 8
	v_mov_b32_e32 v51, v0
	s_mov_b32 s5, 0
.LBB84_377:                             ; =>This Inner Loop Header: Depth=1
	scratch_load_b64 v[52:53], v50, off
	ds_load_b64 v[54:55], v49
	s_wait_xcnt 0x0
	v_dual_add_nc_u32 v49, 8, v49 :: v_dual_add_nc_u32 v50, 8, v50
	s_wait_loadcnt_dscnt 0x0
	v_pk_mul_f32 v[56:57], v[54:55], v[52:53] op_sel:[1,1] op_sel_hi:[0,1]
	s_delay_alu instid0(VALU_DEP_1) | instskip(SKIP_2) | instid1(VALU_DEP_3)
	v_pk_fma_f32 v[58:59], v[54:55], v[52:53], v[56:57] op_sel_hi:[1,0,1]
	v_add_nc_u32_e32 v51, 1, v51
	v_pk_fma_f32 v[52:53], v[54:55], v[52:53], v[56:57] neg_lo:[0,0,1] neg_hi:[0,0,1]
	v_mov_b32_e32 v53, v59
	s_delay_alu instid0(VALU_DEP_3) | instskip(NEXT) | instid1(VALU_DEP_2)
	v_cmp_lt_u32_e32 vcc_lo, 16, v51
	v_pk_add_f32 v[46:47], v[46:47], v[52:53]
	s_or_b32 s5, vcc_lo, s5
	s_delay_alu instid0(SALU_CYCLE_1)
	s_and_not1_b32 exec_lo, exec_lo, s5
	s_cbranch_execnz .LBB84_377
; %bb.378:
	s_or_b32 exec_lo, exec_lo, s5
.LBB84_379:
	s_delay_alu instid0(SALU_CYCLE_1) | instskip(SKIP_4) | instid1(VALU_DEP_1)
	s_or_b32 exec_lo, exec_lo, s4
	v_mov_b32_e32 v49, 0
	ds_load_b64 v[50:51], v49 offset:144
	s_wait_dscnt 0x0
	v_pk_mul_f32 v[52:53], v[46:47], v[50:51] op_sel:[1,1] op_sel_hi:[0,1]
	v_pk_fma_f32 v[54:55], v[46:47], v[50:51], v[52:53] op_sel_hi:[1,0,1]
	v_pk_fma_f32 v[46:47], v[46:47], v[50:51], v[52:53] neg_lo:[0,0,1] neg_hi:[0,0,1]
	s_delay_alu instid0(VALU_DEP_2)
	v_mov_b32_e32 v47, v55
	scratch_store_b64 off, v[46:47], off offset:144
.LBB84_380:
	s_wait_xcnt 0x0
	s_or_b32 exec_lo, exec_lo, s0
	scratch_load_b64 v[46:47], off, off offset:152
	v_cmp_gt_u32_e64 s0, 19, v0
	s_wait_loadcnt 0x0
	ds_store_b64 v1, v[46:47]
	s_wait_storecnt_dscnt 0x0
	s_barrier_signal -1
	s_barrier_wait -1
	s_wait_xcnt 0x0
	s_and_saveexec_b32 s4, s0
	s_cbranch_execz .LBB84_390
; %bb.381:
	v_cmp_ne_u32_e32 vcc_lo, 1, v48
	s_cbranch_vccnz .LBB84_383
; %bb.382:
	scratch_load_b64 v[46:47], v45, off
	ds_load_b64 v[50:51], v1
	s_wait_loadcnt_dscnt 0x0
	v_pk_mul_f32 v[52:53], v[50:51], v[46:47] op_sel:[1,1] op_sel_hi:[0,1]
	s_delay_alu instid0(VALU_DEP_1) | instskip(SKIP_1) | instid1(VALU_DEP_2)
	v_pk_fma_f32 v[54:55], v[50:51], v[46:47], v[52:53] op_sel_hi:[1,0,1]
	v_pk_fma_f32 v[46:47], v[50:51], v[46:47], v[52:53] neg_lo:[0,0,1] neg_hi:[0,0,1]
	v_mov_b32_e32 v47, v55
	s_cbranch_execz .LBB84_384
	s_branch .LBB84_385
.LBB84_383:
                                        ; implicit-def: $vgpr46_vgpr47
.LBB84_384:
	ds_load_b64 v[46:47], v1
.LBB84_385:
	s_mov_b32 s5, exec_lo
	v_cmpx_ne_u32_e32 18, v0
	s_cbranch_execz .LBB84_389
; %bb.386:
	v_add_nc_u32_e32 v49, 0xb8, v44
	v_add3_u32 v50, 0, v44, 8
	v_mov_b32_e32 v51, v0
	s_mov_b32 s6, 0
.LBB84_387:                             ; =>This Inner Loop Header: Depth=1
	scratch_load_b64 v[52:53], v50, off
	ds_load_b64 v[54:55], v49
	s_wait_xcnt 0x0
	v_dual_add_nc_u32 v49, 8, v49 :: v_dual_add_nc_u32 v50, 8, v50
	s_wait_loadcnt_dscnt 0x0
	v_pk_mul_f32 v[56:57], v[54:55], v[52:53] op_sel:[1,1] op_sel_hi:[0,1]
	s_delay_alu instid0(VALU_DEP_1) | instskip(SKIP_2) | instid1(VALU_DEP_3)
	v_pk_fma_f32 v[58:59], v[54:55], v[52:53], v[56:57] op_sel_hi:[1,0,1]
	v_add_nc_u32_e32 v51, 1, v51
	v_pk_fma_f32 v[52:53], v[54:55], v[52:53], v[56:57] neg_lo:[0,0,1] neg_hi:[0,0,1]
	v_mov_b32_e32 v53, v59
	s_delay_alu instid0(VALU_DEP_3) | instskip(NEXT) | instid1(VALU_DEP_2)
	v_cmp_lt_u32_e32 vcc_lo, 17, v51
	v_pk_add_f32 v[46:47], v[46:47], v[52:53]
	s_or_b32 s6, vcc_lo, s6
	s_delay_alu instid0(SALU_CYCLE_1)
	s_and_not1_b32 exec_lo, exec_lo, s6
	s_cbranch_execnz .LBB84_387
; %bb.388:
	s_or_b32 exec_lo, exec_lo, s6
.LBB84_389:
	s_delay_alu instid0(SALU_CYCLE_1) | instskip(SKIP_4) | instid1(VALU_DEP_1)
	s_or_b32 exec_lo, exec_lo, s5
	v_mov_b32_e32 v49, 0
	ds_load_b64 v[50:51], v49 offset:152
	s_wait_dscnt 0x0
	v_pk_mul_f32 v[52:53], v[46:47], v[50:51] op_sel:[1,1] op_sel_hi:[0,1]
	v_pk_fma_f32 v[54:55], v[46:47], v[50:51], v[52:53] op_sel_hi:[1,0,1]
	v_pk_fma_f32 v[46:47], v[46:47], v[50:51], v[52:53] neg_lo:[0,0,1] neg_hi:[0,0,1]
	s_delay_alu instid0(VALU_DEP_2)
	v_mov_b32_e32 v47, v55
	scratch_store_b64 off, v[46:47], off offset:152
.LBB84_390:
	s_wait_xcnt 0x0
	s_or_b32 exec_lo, exec_lo, s4
	scratch_load_b64 v[46:47], off, off offset:160
	s_mov_b32 s4, exec_lo
                                        ; implicit-def: $vgpr62
                                        ; implicit-def: $sgpr8
	s_wait_loadcnt 0x0
	ds_store_b64 v1, v[46:47]
	s_wait_storecnt_dscnt 0x0
	s_barrier_signal -1
	s_barrier_wait -1
	s_wait_xcnt 0x0
	v_cmpx_ne_u32_e32 20, v0
	s_cbranch_execz .LBB84_400
; %bb.391:
	v_cmp_ne_u32_e32 vcc_lo, 1, v48
	s_cbranch_vccnz .LBB84_393
; %bb.392:
	scratch_load_b64 v[48:49], v45, off
	ds_load_b64 v[50:51], v1
	s_wait_loadcnt_dscnt 0x0
	v_dual_mul_f32 v45, v51, v49 :: v_dual_mul_f32 v47, v50, v49
	s_delay_alu instid0(VALU_DEP_1)
	v_dual_fma_f32 v46, v50, v48, -v45 :: v_dual_fmac_f32 v47, v51, v48
	s_cbranch_execz .LBB84_394
	s_branch .LBB84_395
.LBB84_393:
                                        ; implicit-def: $vgpr47
.LBB84_394:
	ds_load_b64 v[46:47], v1
.LBB84_395:
	s_and_saveexec_b32 s5, s0
	s_cbranch_execz .LBB84_399
; %bb.396:
	v_add_nc_u32_e32 v1, 0xb8, v44
	v_add3_u32 v44, 0, v44, 8
	s_mov_b32 s0, 0
.LBB84_397:                             ; =>This Inner Loop Header: Depth=1
	scratch_load_b64 v[48:49], v44, off
	ds_load_b64 v[50:51], v1
	v_dual_add_nc_u32 v0, 1, v0 :: v_dual_add_nc_u32 v1, 8, v1
	s_wait_xcnt 0x0
	v_add_nc_u32_e32 v44, 8, v44
	s_delay_alu instid0(VALU_DEP_2) | instskip(SKIP_3) | instid1(VALU_DEP_1)
	v_cmp_lt_u32_e32 vcc_lo, 18, v0
	s_or_b32 s0, vcc_lo, s0
	s_wait_loadcnt_dscnt 0x0
	v_dual_mul_f32 v45, v51, v49 :: v_dual_mul_f32 v49, v50, v49
	v_fmac_f32_e32 v49, v51, v48
	s_delay_alu instid0(VALU_DEP_1) | instskip(NEXT) | instid1(VALU_DEP_1)
	v_dual_fma_f32 v45, v50, v48, -v45 :: v_dual_add_f32 v47, v47, v49
	v_add_f32_e32 v46, v46, v45
	s_and_not1_b32 exec_lo, exec_lo, s0
	s_cbranch_execnz .LBB84_397
; %bb.398:
	s_or_b32 exec_lo, exec_lo, s0
.LBB84_399:
	s_delay_alu instid0(SALU_CYCLE_1)
	s_or_b32 exec_lo, exec_lo, s5
	v_mov_b32_e32 v0, 0
	s_movk_i32 s8, 0xa4
	s_or_b32 s1, s1, exec_lo
	ds_load_b64 v[0:1], v0 offset:160
	s_wait_dscnt 0x0
	v_dual_mul_f32 v44, v47, v1 :: v_dual_mul_f32 v62, v46, v1
	s_delay_alu instid0(VALU_DEP_1)
	v_dual_fma_f32 v1, v46, v0, -v44 :: v_dual_fmac_f32 v62, v47, v0
	scratch_store_b32 off, v1, off offset:160
.LBB84_400:
	s_wait_xcnt 0x0
	s_or_b32 exec_lo, exec_lo, s4
.LBB84_401:
	v_lshl_add_u64 v[60:61], v[6:7], 3, s[2:3]
	v_lshl_add_u64 v[58:59], v[8:9], 3, s[2:3]
	;; [unrolled: 1-line block ×19, first 2 shown]
	s_and_saveexec_b32 s0, s1
	s_cbranch_execz .LBB84_403
; %bb.402:
	scratch_store_b32 off, v62, s8
.LBB84_403:
	s_wait_xcnt 0x0
	s_or_b32 exec_lo, exec_lo, s0
	scratch_load_b64 v[24:25], off, off
	s_wait_loadcnt 0x0
	flat_store_b64 v[2:3], v[24:25]
	scratch_load_b64 v[2:3], off, off offset:8
	s_wait_loadcnt 0x0
	flat_store_b64 v[4:5], v[2:3]
	scratch_load_b64 v[2:3], off, off offset:16
	;; [unrolled: 3-line block ×20, first 2 shown]
	s_wait_loadcnt 0x0
	flat_store_b64 v[0:1], v[2:3]
.LBB84_404:
	s_endpgm
	.section	.rodata,"a",@progbits
	.p2align	6, 0x0
	.amdhsa_kernel _ZN9rocsolver6v33100L18trti2_kernel_smallILi21E19rocblas_complex_numIfEPKPS3_EEv13rocblas_fill_17rocblas_diagonal_T1_iil
		.amdhsa_group_segment_fixed_size 344
		.amdhsa_private_segment_fixed_size 176
		.amdhsa_kernarg_size 32
		.amdhsa_user_sgpr_count 2
		.amdhsa_user_sgpr_dispatch_ptr 0
		.amdhsa_user_sgpr_queue_ptr 0
		.amdhsa_user_sgpr_kernarg_segment_ptr 1
		.amdhsa_user_sgpr_dispatch_id 0
		.amdhsa_user_sgpr_kernarg_preload_length 0
		.amdhsa_user_sgpr_kernarg_preload_offset 0
		.amdhsa_user_sgpr_private_segment_size 0
		.amdhsa_wavefront_size32 1
		.amdhsa_uses_dynamic_stack 0
		.amdhsa_enable_private_segment 1
		.amdhsa_system_sgpr_workgroup_id_x 1
		.amdhsa_system_sgpr_workgroup_id_y 0
		.amdhsa_system_sgpr_workgroup_id_z 0
		.amdhsa_system_sgpr_workgroup_info 0
		.amdhsa_system_vgpr_workitem_id 0
		.amdhsa_next_free_vgpr 63
		.amdhsa_next_free_sgpr 26
		.amdhsa_named_barrier_count 0
		.amdhsa_reserve_vcc 1
		.amdhsa_float_round_mode_32 0
		.amdhsa_float_round_mode_16_64 0
		.amdhsa_float_denorm_mode_32 3
		.amdhsa_float_denorm_mode_16_64 3
		.amdhsa_fp16_overflow 0
		.amdhsa_memory_ordered 1
		.amdhsa_forward_progress 1
		.amdhsa_inst_pref_size 126
		.amdhsa_round_robin_scheduling 0
		.amdhsa_exception_fp_ieee_invalid_op 0
		.amdhsa_exception_fp_denorm_src 0
		.amdhsa_exception_fp_ieee_div_zero 0
		.amdhsa_exception_fp_ieee_overflow 0
		.amdhsa_exception_fp_ieee_underflow 0
		.amdhsa_exception_fp_ieee_inexact 0
		.amdhsa_exception_int_div_zero 0
	.end_amdhsa_kernel
	.section	.text._ZN9rocsolver6v33100L18trti2_kernel_smallILi21E19rocblas_complex_numIfEPKPS3_EEv13rocblas_fill_17rocblas_diagonal_T1_iil,"axG",@progbits,_ZN9rocsolver6v33100L18trti2_kernel_smallILi21E19rocblas_complex_numIfEPKPS3_EEv13rocblas_fill_17rocblas_diagonal_T1_iil,comdat
.Lfunc_end84:
	.size	_ZN9rocsolver6v33100L18trti2_kernel_smallILi21E19rocblas_complex_numIfEPKPS3_EEv13rocblas_fill_17rocblas_diagonal_T1_iil, .Lfunc_end84-_ZN9rocsolver6v33100L18trti2_kernel_smallILi21E19rocblas_complex_numIfEPKPS3_EEv13rocblas_fill_17rocblas_diagonal_T1_iil
                                        ; -- End function
	.set _ZN9rocsolver6v33100L18trti2_kernel_smallILi21E19rocblas_complex_numIfEPKPS3_EEv13rocblas_fill_17rocblas_diagonal_T1_iil.num_vgpr, 63
	.set _ZN9rocsolver6v33100L18trti2_kernel_smallILi21E19rocblas_complex_numIfEPKPS3_EEv13rocblas_fill_17rocblas_diagonal_T1_iil.num_agpr, 0
	.set _ZN9rocsolver6v33100L18trti2_kernel_smallILi21E19rocblas_complex_numIfEPKPS3_EEv13rocblas_fill_17rocblas_diagonal_T1_iil.numbered_sgpr, 26
	.set _ZN9rocsolver6v33100L18trti2_kernel_smallILi21E19rocblas_complex_numIfEPKPS3_EEv13rocblas_fill_17rocblas_diagonal_T1_iil.num_named_barrier, 0
	.set _ZN9rocsolver6v33100L18trti2_kernel_smallILi21E19rocblas_complex_numIfEPKPS3_EEv13rocblas_fill_17rocblas_diagonal_T1_iil.private_seg_size, 176
	.set _ZN9rocsolver6v33100L18trti2_kernel_smallILi21E19rocblas_complex_numIfEPKPS3_EEv13rocblas_fill_17rocblas_diagonal_T1_iil.uses_vcc, 1
	.set _ZN9rocsolver6v33100L18trti2_kernel_smallILi21E19rocblas_complex_numIfEPKPS3_EEv13rocblas_fill_17rocblas_diagonal_T1_iil.uses_flat_scratch, 0
	.set _ZN9rocsolver6v33100L18trti2_kernel_smallILi21E19rocblas_complex_numIfEPKPS3_EEv13rocblas_fill_17rocblas_diagonal_T1_iil.has_dyn_sized_stack, 0
	.set _ZN9rocsolver6v33100L18trti2_kernel_smallILi21E19rocblas_complex_numIfEPKPS3_EEv13rocblas_fill_17rocblas_diagonal_T1_iil.has_recursion, 0
	.set _ZN9rocsolver6v33100L18trti2_kernel_smallILi21E19rocblas_complex_numIfEPKPS3_EEv13rocblas_fill_17rocblas_diagonal_T1_iil.has_indirect_call, 0
	.section	.AMDGPU.csdata,"",@progbits
; Kernel info:
; codeLenInByte = 16048
; TotalNumSgprs: 28
; NumVgprs: 63
; ScratchSize: 176
; MemoryBound: 0
; FloatMode: 240
; IeeeMode: 1
; LDSByteSize: 344 bytes/workgroup (compile time only)
; SGPRBlocks: 0
; VGPRBlocks: 3
; NumSGPRsForWavesPerEU: 28
; NumVGPRsForWavesPerEU: 63
; NamedBarCnt: 0
; Occupancy: 16
; WaveLimiterHint : 1
; COMPUTE_PGM_RSRC2:SCRATCH_EN: 1
; COMPUTE_PGM_RSRC2:USER_SGPR: 2
; COMPUTE_PGM_RSRC2:TRAP_HANDLER: 0
; COMPUTE_PGM_RSRC2:TGID_X_EN: 1
; COMPUTE_PGM_RSRC2:TGID_Y_EN: 0
; COMPUTE_PGM_RSRC2:TGID_Z_EN: 0
; COMPUTE_PGM_RSRC2:TIDIG_COMP_CNT: 0
	.section	.text._ZN9rocsolver6v33100L18trti2_kernel_smallILi22E19rocblas_complex_numIfEPKPS3_EEv13rocblas_fill_17rocblas_diagonal_T1_iil,"axG",@progbits,_ZN9rocsolver6v33100L18trti2_kernel_smallILi22E19rocblas_complex_numIfEPKPS3_EEv13rocblas_fill_17rocblas_diagonal_T1_iil,comdat
	.globl	_ZN9rocsolver6v33100L18trti2_kernel_smallILi22E19rocblas_complex_numIfEPKPS3_EEv13rocblas_fill_17rocblas_diagonal_T1_iil ; -- Begin function _ZN9rocsolver6v33100L18trti2_kernel_smallILi22E19rocblas_complex_numIfEPKPS3_EEv13rocblas_fill_17rocblas_diagonal_T1_iil
	.p2align	8
	.type	_ZN9rocsolver6v33100L18trti2_kernel_smallILi22E19rocblas_complex_numIfEPKPS3_EEv13rocblas_fill_17rocblas_diagonal_T1_iil,@function
_ZN9rocsolver6v33100L18trti2_kernel_smallILi22E19rocblas_complex_numIfEPKPS3_EEv13rocblas_fill_17rocblas_diagonal_T1_iil: ; @_ZN9rocsolver6v33100L18trti2_kernel_smallILi22E19rocblas_complex_numIfEPKPS3_EEv13rocblas_fill_17rocblas_diagonal_T1_iil
; %bb.0:
	s_mov_b32 s2, exec_lo
	v_cmpx_gt_u32_e32 22, v0
	s_cbranch_execz .LBB85_424
; %bb.1:
	s_clause 0x1
	s_load_b64 s[2:3], s[0:1], 0x10
	s_load_b128 s[4:7], s[0:1], 0x0
	s_wait_xcnt 0x0
	s_bfe_u32 s0, ttmp6, 0x4000c
	s_and_b32 s1, ttmp6, 15
	s_add_co_i32 s0, s0, 1
	s_getreg_b32 s8, hwreg(HW_REG_IB_STS2, 6, 4)
	s_mul_i32 s0, ttmp9, s0
	v_dual_mov_b32 v47, 0 :: v_dual_lshlrev_b32 v46, 3, v0
	s_add_co_i32 s0, s1, s0
	s_wait_kmcnt 0x0
	s_ashr_i32 s1, s2, 31
	s_cmp_eq_u32 s8, 0
	s_cselect_b32 s8, ttmp9, s0
	s_mov_b32 s0, s2
	s_ashr_i32 s9, s8, 31
	s_lshl_b64 s[0:1], s[0:1], 3
	s_lshl_b64 s[8:9], s[8:9], 3
	s_delay_alu instid0(SALU_CYCLE_1)
	s_add_nc_u64 s[6:7], s[6:7], s[8:9]
	s_load_b64 s[6:7], s[6:7], 0x0
	s_wait_kmcnt 0x0
	s_add_nc_u64 s[6:7], s[6:7], s[0:1]
	s_mov_b32 s0, s3
	flat_load_b64 v[6:7], v0, s[6:7] scale_offset
	v_add_nc_u64_e32 v[2:3], s[6:7], v[46:47]
	s_ashr_i32 s1, s3, 31
	s_cmp_lg_u32 s5, 0x84
	s_delay_alu instid0(VALU_DEP_1)
	v_lshl_add_u64 v[4:5], s[0:1], 3, v[2:3]
	s_mov_b32 s0, -1
	s_wait_loadcnt_dscnt 0x0
	scratch_store_b64 off, v[6:7], off
	flat_load_b64 v[8:9], v[4:5]
	s_wait_xcnt 0x1
	v_add3_u32 v6, s3, s3, v0
	s_wait_loadcnt_dscnt 0x0
	scratch_store_b64 off, v[8:9], off offset:8
	flat_load_b64 v[10:11], v6, s[6:7] scale_offset
	s_wait_xcnt 0x1
	v_add_nc_u32_e32 v8, s3, v6
	s_wait_loadcnt_dscnt 0x0
	scratch_store_b64 off, v[10:11], off offset:16
	flat_load_b64 v[12:13], v8, s[6:7] scale_offset
	s_wait_xcnt 0x1
	v_add_nc_u32_e32 v10, s3, v8
	;; [unrolled: 5-line block ×19, first 2 shown]
	s_cselect_b32 s3, -1, 0
	s_delay_alu instid0(SALU_CYCLE_1)
	s_and_b32 vcc_lo, exec_lo, s3
	s_wait_loadcnt_dscnt 0x0
	scratch_store_b64 off, v[48:49], off offset:160
	flat_load_b64 v[48:49], v44, s[6:7] scale_offset
	s_wait_loadcnt_dscnt 0x0
	scratch_store_b64 off, v[48:49], off offset:168
	s_cbranch_vccz .LBB85_7
; %bb.2:
	scratch_load_b64 v[48:49], v0, off scale_offset
                                        ; implicit-def: $vgpr53
                                        ; implicit-def: $vgpr50
	s_wait_loadcnt 0x0
	v_cmp_ngt_f32_e64 s0, |v48|, |v49|
	s_wait_xcnt 0x0
	s_and_saveexec_b32 s1, s0
	s_delay_alu instid0(SALU_CYCLE_1)
	s_xor_b32 s0, exec_lo, s1
	s_cbranch_execz .LBB85_4
; %bb.3:
	v_div_scale_f32 v1, null, v49, v49, v48
	v_div_scale_f32 v11, vcc_lo, v48, v49, v48
	s_delay_alu instid0(VALU_DEP_2) | instskip(SKIP_1) | instid1(TRANS32_DEP_1)
	v_rcp_f32_e32 v7, v1
	v_nop
	v_fma_f32 v9, -v1, v7, 1.0
	s_delay_alu instid0(VALU_DEP_1) | instskip(NEXT) | instid1(VALU_DEP_1)
	v_fmac_f32_e32 v7, v9, v7
	v_mul_f32_e32 v9, v11, v7
	s_delay_alu instid0(VALU_DEP_1) | instskip(NEXT) | instid1(VALU_DEP_1)
	v_fma_f32 v13, -v1, v9, v11
	v_fmac_f32_e32 v9, v13, v7
	s_delay_alu instid0(VALU_DEP_1) | instskip(NEXT) | instid1(VALU_DEP_1)
	v_fma_f32 v1, -v1, v9, v11
	v_div_fmas_f32 v1, v1, v7, v9
	s_delay_alu instid0(VALU_DEP_1) | instskip(NEXT) | instid1(VALU_DEP_1)
	v_div_fixup_f32 v1, v1, v49, v48
	v_fmac_f32_e32 v49, v48, v1
	s_delay_alu instid0(VALU_DEP_1) | instskip(NEXT) | instid1(VALU_DEP_1)
	v_div_scale_f32 v7, null, v49, v49, -1.0
	v_rcp_f32_e32 v9, v7
	v_nop
	s_delay_alu instid0(TRANS32_DEP_1) | instskip(NEXT) | instid1(VALU_DEP_1)
	v_fma_f32 v11, -v7, v9, 1.0
	v_fmac_f32_e32 v9, v11, v9
	v_div_scale_f32 v11, vcc_lo, -1.0, v49, -1.0
	s_delay_alu instid0(VALU_DEP_1) | instskip(NEXT) | instid1(VALU_DEP_1)
	v_mul_f32_e32 v13, v11, v9
	v_fma_f32 v15, -v7, v13, v11
	s_delay_alu instid0(VALU_DEP_1) | instskip(NEXT) | instid1(VALU_DEP_1)
	v_fmac_f32_e32 v13, v15, v9
	v_fma_f32 v7, -v7, v13, v11
	s_delay_alu instid0(VALU_DEP_1) | instskip(NEXT) | instid1(VALU_DEP_1)
	v_div_fmas_f32 v7, v7, v9, v13
	v_div_fixup_f32 v53, v7, v49, -1.0
                                        ; implicit-def: $vgpr48_vgpr49
	s_delay_alu instid0(VALU_DEP_1) | instskip(NEXT) | instid1(VALU_DEP_1)
	v_mul_f32_e32 v50, v1, v53
	v_xor_b32_e32 v52, 0x80000000, v50
.LBB85_4:
	s_or_saveexec_b32 s0, s0
	v_lshl_add_u32 v1, v0, 3, 0
	s_xor_b32 exec_lo, exec_lo, s0
	s_cbranch_execz .LBB85_6
; %bb.5:
	v_div_scale_f32 v7, null, v48, v48, v49
	v_div_scale_f32 v13, vcc_lo, v49, v48, v49
	s_delay_alu instid0(VALU_DEP_2) | instskip(SKIP_1) | instid1(TRANS32_DEP_1)
	v_rcp_f32_e32 v9, v7
	v_nop
	v_fma_f32 v11, -v7, v9, 1.0
	s_delay_alu instid0(VALU_DEP_1) | instskip(NEXT) | instid1(VALU_DEP_1)
	v_fmac_f32_e32 v9, v11, v9
	v_mul_f32_e32 v11, v13, v9
	s_delay_alu instid0(VALU_DEP_1) | instskip(NEXT) | instid1(VALU_DEP_1)
	v_fma_f32 v15, -v7, v11, v13
	v_fmac_f32_e32 v11, v15, v9
	s_delay_alu instid0(VALU_DEP_1) | instskip(NEXT) | instid1(VALU_DEP_1)
	v_fma_f32 v7, -v7, v11, v13
	v_div_fmas_f32 v7, v7, v9, v11
	s_delay_alu instid0(VALU_DEP_1) | instskip(NEXT) | instid1(VALU_DEP_1)
	v_div_fixup_f32 v7, v7, v48, v49
	v_fmac_f32_e32 v48, v49, v7
	s_delay_alu instid0(VALU_DEP_1) | instskip(SKIP_1) | instid1(VALU_DEP_2)
	v_div_scale_f32 v9, null, v48, v48, 1.0
	v_div_scale_f32 v15, vcc_lo, 1.0, v48, 1.0
	v_rcp_f32_e32 v11, v9
	v_nop
	s_delay_alu instid0(TRANS32_DEP_1) | instskip(NEXT) | instid1(VALU_DEP_1)
	v_fma_f32 v13, -v9, v11, 1.0
	v_fmac_f32_e32 v11, v13, v11
	s_delay_alu instid0(VALU_DEP_1) | instskip(NEXT) | instid1(VALU_DEP_1)
	v_mul_f32_e32 v13, v15, v11
	v_fma_f32 v17, -v9, v13, v15
	s_delay_alu instid0(VALU_DEP_1) | instskip(NEXT) | instid1(VALU_DEP_1)
	v_fmac_f32_e32 v13, v17, v11
	v_fma_f32 v9, -v9, v13, v15
	s_delay_alu instid0(VALU_DEP_1) | instskip(NEXT) | instid1(VALU_DEP_1)
	v_div_fmas_f32 v9, v9, v11, v13
	v_div_fixup_f32 v52, v9, v48, 1.0
	s_delay_alu instid0(VALU_DEP_1)
	v_xor_b32_e32 v50, 0x80000000, v52
	v_mul_f32_e64 v53, v7, -v52
.LBB85_6:
	s_or_b32 exec_lo, exec_lo, s0
	s_delay_alu instid0(VALU_DEP_1)
	v_xor_b32_e32 v51, 0x80000000, v53
	s_mov_b32 s0, 0
	scratch_store_b64 v1, v[52:53], off
	ds_store_b64 v46, v[50:51]
.LBB85_7:
	s_and_b32 vcc_lo, exec_lo, s0
	s_cbranch_vccz .LBB85_9
; %bb.8:
	s_mov_b64 s[0:1], 0xbf800000
	s_wait_xcnt 0x0
	v_mov_b64_e32 v[48:49], s[0:1]
	ds_store_b64 v46, v[48:49]
.LBB85_9:
	v_dual_ashrrev_i32 v7, 31, v6 :: v_dual_ashrrev_i32 v9, 31, v8
	v_dual_ashrrev_i32 v11, 31, v10 :: v_dual_ashrrev_i32 v13, 31, v12
	;; [unrolled: 1-line block ×10, first 2 shown]
	s_wait_xcnt 0x0
	v_add_nc_u32_e32 v1, 0xb0, v46
	v_mov_b32_e32 v47, v46
	s_cmp_eq_u32 s4, 0x79
	s_cbranch_scc1 .LBB85_13
; %bb.10:
	scratch_load_b64 v[48:49], off, off offset:160
	v_cmp_eq_u32_e64 s0, 21, v0
	s_movk_i32 s1, 0x48
	s_movk_i32 s14, 0x50
	;; [unrolled: 1-line block ×11, first 2 shown]
	s_wait_loadcnt 0x0
	ds_store_b64 v1, v[48:49]
	s_wait_storecnt_dscnt 0x0
	s_barrier_signal -1
	s_barrier_wait -1
	s_wait_xcnt 0x0
	s_and_saveexec_b32 s2, s0
	s_cbranch_execz .LBB85_17
; %bb.11:
	s_and_b32 vcc_lo, exec_lo, s3
	s_cbranch_vccz .LBB85_14
; %bb.12:
	scratch_load_b64 v[48:49], v47, off
	ds_load_b64 v[50:51], v1
	s_wait_loadcnt_dscnt 0x0
	v_pk_mul_f32 v[52:53], v[50:51], v[48:49] op_sel:[1,1] op_sel_hi:[0,1]
	v_pk_mul_f32 v[54:55], v[50:51], v[48:49] op_sel_hi:[1,0]
	s_delay_alu instid0(VALU_DEP_2) | instskip(NEXT) | instid1(VALU_DEP_2)
	v_pk_fma_f32 v[48:49], v[50:51], v[48:49], v[52:53] op_sel_hi:[1,0,1]
	v_sub_f32_e32 v48, v54, v52
	s_cbranch_execz .LBB85_15
	s_branch .LBB85_16
.LBB85_13:
	s_mov_b32 s1, 0
                                        ; implicit-def: $vgpr64
                                        ; implicit-def: $sgpr8
	s_cbranch_execnz .LBB85_216
	s_branch .LBB85_421
.LBB85_14:
                                        ; implicit-def: $vgpr49
.LBB85_15:
	ds_load_b64 v[48:49], v1
.LBB85_16:
	s_wait_dscnt 0x0
	v_dual_mov_b32 v50, 0 :: v_dual_mov_b32 v52, v49
	v_mov_b32_e32 v53, v48
	ds_load_b64 v[50:51], v50 offset:160
	s_wait_dscnt 0x0
	v_pk_mul_f32 v[52:53], v[52:53], v[50:51] op_sel:[0,1]
	s_delay_alu instid0(VALU_DEP_1) | instskip(SKIP_1) | instid1(VALU_DEP_2)
	v_pk_fma_f32 v[54:55], v[48:49], v[50:51], v[52:53] op_sel_hi:[1,0,1]
	v_pk_fma_f32 v[48:49], v[48:49], v[50:51], v[52:53] neg_lo:[0,0,1] neg_hi:[0,0,1]
	v_mov_b32_e32 v49, v55
	scratch_store_b64 off, v[48:49], off offset:160
.LBB85_17:
	s_wait_xcnt 0x0
	s_or_b32 exec_lo, exec_lo, s2
	scratch_load_b64 v[48:49], off, off offset:152
	s_mov_b32 s13, s1
	v_cmp_lt_u32_e64 s1, 19, v0
	s_or_b32 s4, 0, 8
	s_mov_b32 s5, 16
	s_mov_b32 s8, 24
	;; [unrolled: 1-line block ×7, first 2 shown]
	s_wait_loadcnt 0x0
	ds_store_b64 v1, v[48:49]
	s_wait_storecnt_dscnt 0x0
	s_barrier_signal -1
	s_barrier_wait -1
	s_wait_xcnt 0x0
	s_and_saveexec_b32 s24, s1
	s_cbranch_execz .LBB85_25
; %bb.18:
	s_and_not1_b32 vcc_lo, exec_lo, s3
	s_cbranch_vccnz .LBB85_20
; %bb.19:
	scratch_load_b64 v[48:49], v47, off
	ds_load_b64 v[50:51], v1
	s_wait_loadcnt_dscnt 0x0
	v_pk_mul_f32 v[52:53], v[50:51], v[48:49] op_sel:[1,1] op_sel_hi:[0,1]
	s_delay_alu instid0(VALU_DEP_1) | instskip(SKIP_1) | instid1(VALU_DEP_2)
	v_pk_fma_f32 v[54:55], v[50:51], v[48:49], v[52:53] op_sel_hi:[1,0,1]
	v_pk_fma_f32 v[48:49], v[50:51], v[48:49], v[52:53] neg_lo:[0,0,1] neg_hi:[0,0,1]
	v_mov_b32_e32 v49, v55
	s_cbranch_execz .LBB85_21
	s_branch .LBB85_22
.LBB85_20:
                                        ; implicit-def: $vgpr48_vgpr49
.LBB85_21:
	ds_load_b64 v[48:49], v1
.LBB85_22:
	s_and_saveexec_b32 s25, s0
	s_cbranch_execz .LBB85_24
; %bb.23:
	scratch_load_b64 v[50:51], off, off offset:160
	v_mov_b32_e32 v52, 0
	ds_load_b64 v[52:53], v52 offset:336
	s_wait_loadcnt_dscnt 0x0
	v_pk_mul_f32 v[54:55], v[52:53], v[50:51] op_sel:[1,1] op_sel_hi:[0,1]
	s_delay_alu instid0(VALU_DEP_1) | instskip(SKIP_1) | instid1(VALU_DEP_2)
	v_pk_fma_f32 v[56:57], v[52:53], v[50:51], v[54:55] op_sel_hi:[1,0,1]
	v_pk_fma_f32 v[50:51], v[52:53], v[50:51], v[54:55] neg_lo:[0,0,1] neg_hi:[0,0,1]
	v_mov_b32_e32 v51, v57
	s_delay_alu instid0(VALU_DEP_1)
	v_pk_add_f32 v[48:49], v[48:49], v[50:51]
.LBB85_24:
	s_or_b32 exec_lo, exec_lo, s25
	v_mov_b32_e32 v50, 0
	ds_load_b64 v[50:51], v50 offset:152
	s_wait_dscnt 0x0
	v_pk_mul_f32 v[52:53], v[48:49], v[50:51] op_sel:[1,1] op_sel_hi:[0,1]
	s_delay_alu instid0(VALU_DEP_1) | instskip(SKIP_1) | instid1(VALU_DEP_2)
	v_pk_fma_f32 v[54:55], v[48:49], v[50:51], v[52:53] op_sel_hi:[1,0,1]
	v_pk_fma_f32 v[48:49], v[48:49], v[50:51], v[52:53] neg_lo:[0,0,1] neg_hi:[0,0,1]
	v_mov_b32_e32 v49, v55
	scratch_store_b64 off, v[48:49], off offset:152
.LBB85_25:
	s_wait_xcnt 0x0
	s_or_b32 exec_lo, exec_lo, s24
	scratch_load_b64 v[48:49], off, off offset:144
	v_cmp_lt_u32_e64 s0, 18, v0
	s_wait_loadcnt 0x0
	ds_store_b64 v1, v[48:49]
	s_wait_storecnt_dscnt 0x0
	s_barrier_signal -1
	s_barrier_wait -1
	s_wait_xcnt 0x0
	s_and_saveexec_b32 s24, s0
	s_cbranch_execz .LBB85_35
; %bb.26:
	s_and_not1_b32 vcc_lo, exec_lo, s3
	s_cbranch_vccnz .LBB85_28
; %bb.27:
	scratch_load_b64 v[48:49], v47, off
	ds_load_b64 v[50:51], v1
	s_wait_loadcnt_dscnt 0x0
	v_pk_mul_f32 v[52:53], v[50:51], v[48:49] op_sel:[1,1] op_sel_hi:[0,1]
	s_delay_alu instid0(VALU_DEP_1) | instskip(SKIP_1) | instid1(VALU_DEP_2)
	v_pk_fma_f32 v[54:55], v[50:51], v[48:49], v[52:53] op_sel_hi:[1,0,1]
	v_pk_fma_f32 v[48:49], v[50:51], v[48:49], v[52:53] neg_lo:[0,0,1] neg_hi:[0,0,1]
	v_mov_b32_e32 v49, v55
	s_cbranch_execz .LBB85_29
	s_branch .LBB85_30
.LBB85_28:
                                        ; implicit-def: $vgpr48_vgpr49
.LBB85_29:
	ds_load_b64 v[48:49], v1
.LBB85_30:
	s_and_saveexec_b32 s25, s1
	s_cbranch_execz .LBB85_34
; %bb.31:
	v_subrev_nc_u32_e32 v50, 19, v0
	s_movk_i32 s26, 0x148
	s_mov_b32 s1, 0
.LBB85_32:                              ; =>This Inner Loop Header: Depth=1
	scratch_load_b64 v[52:53], off, s23
	v_dual_mov_b32 v51, s26 :: v_dual_add_nc_u32 v50, -1, v50
	s_add_co_i32 s26, s26, 8
	s_wait_xcnt 0x0
	s_add_co_i32 s23, s23, 8
	ds_load_b64 v[54:55], v51
	v_cmp_eq_u32_e32 vcc_lo, 0, v50
	s_or_b32 s1, vcc_lo, s1
	s_wait_loadcnt_dscnt 0x0
	v_pk_mul_f32 v[56:57], v[54:55], v[52:53] op_sel:[1,1] op_sel_hi:[0,1]
	s_delay_alu instid0(VALU_DEP_1) | instskip(SKIP_1) | instid1(VALU_DEP_2)
	v_pk_fma_f32 v[58:59], v[54:55], v[52:53], v[56:57] op_sel_hi:[1,0,1]
	v_pk_fma_f32 v[52:53], v[54:55], v[52:53], v[56:57] neg_lo:[0,0,1] neg_hi:[0,0,1]
	v_mov_b32_e32 v53, v59
	s_delay_alu instid0(VALU_DEP_1)
	v_pk_add_f32 v[48:49], v[48:49], v[52:53]
	s_and_not1_b32 exec_lo, exec_lo, s1
	s_cbranch_execnz .LBB85_32
; %bb.33:
	s_or_b32 exec_lo, exec_lo, s1
.LBB85_34:
	s_delay_alu instid0(SALU_CYCLE_1) | instskip(SKIP_4) | instid1(VALU_DEP_1)
	s_or_b32 exec_lo, exec_lo, s25
	v_mov_b32_e32 v50, 0
	ds_load_b64 v[50:51], v50 offset:144
	s_wait_dscnt 0x0
	v_pk_mul_f32 v[52:53], v[48:49], v[50:51] op_sel:[1,1] op_sel_hi:[0,1]
	v_pk_fma_f32 v[54:55], v[48:49], v[50:51], v[52:53] op_sel_hi:[1,0,1]
	v_pk_fma_f32 v[48:49], v[48:49], v[50:51], v[52:53] neg_lo:[0,0,1] neg_hi:[0,0,1]
	s_delay_alu instid0(VALU_DEP_2)
	v_mov_b32_e32 v49, v55
	scratch_store_b64 off, v[48:49], off offset:144
.LBB85_35:
	s_wait_xcnt 0x0
	s_or_b32 exec_lo, exec_lo, s24
	scratch_load_b64 v[48:49], off, off offset:136
	v_cmp_lt_u32_e64 s1, 17, v0
	s_wait_loadcnt 0x0
	ds_store_b64 v1, v[48:49]
	s_wait_storecnt_dscnt 0x0
	s_barrier_signal -1
	s_barrier_wait -1
	s_wait_xcnt 0x0
	s_and_saveexec_b32 s23, s1
	s_cbranch_execz .LBB85_45
; %bb.36:
	s_and_not1_b32 vcc_lo, exec_lo, s3
	s_cbranch_vccnz .LBB85_38
; %bb.37:
	scratch_load_b64 v[48:49], v47, off
	ds_load_b64 v[50:51], v1
	s_wait_loadcnt_dscnt 0x0
	v_pk_mul_f32 v[52:53], v[50:51], v[48:49] op_sel:[1,1] op_sel_hi:[0,1]
	s_delay_alu instid0(VALU_DEP_1) | instskip(SKIP_1) | instid1(VALU_DEP_2)
	v_pk_fma_f32 v[54:55], v[50:51], v[48:49], v[52:53] op_sel_hi:[1,0,1]
	v_pk_fma_f32 v[48:49], v[50:51], v[48:49], v[52:53] neg_lo:[0,0,1] neg_hi:[0,0,1]
	v_mov_b32_e32 v49, v55
	s_cbranch_execz .LBB85_39
	s_branch .LBB85_40
.LBB85_38:
                                        ; implicit-def: $vgpr48_vgpr49
.LBB85_39:
	ds_load_b64 v[48:49], v1
.LBB85_40:
	s_and_saveexec_b32 s24, s0
	s_cbranch_execz .LBB85_44
; %bb.41:
	v_subrev_nc_u32_e32 v50, 18, v0
	s_movk_i32 s25, 0x140
	s_mov_b32 s0, 0
.LBB85_42:                              ; =>This Inner Loop Header: Depth=1
	scratch_load_b64 v[52:53], off, s22
	v_dual_mov_b32 v51, s25 :: v_dual_add_nc_u32 v50, -1, v50
	s_add_co_i32 s25, s25, 8
	s_wait_xcnt 0x0
	s_add_co_i32 s22, s22, 8
	ds_load_b64 v[54:55], v51
	v_cmp_eq_u32_e32 vcc_lo, 0, v50
	s_or_b32 s0, vcc_lo, s0
	s_wait_loadcnt_dscnt 0x0
	v_pk_mul_f32 v[56:57], v[54:55], v[52:53] op_sel:[1,1] op_sel_hi:[0,1]
	s_delay_alu instid0(VALU_DEP_1) | instskip(SKIP_1) | instid1(VALU_DEP_2)
	v_pk_fma_f32 v[58:59], v[54:55], v[52:53], v[56:57] op_sel_hi:[1,0,1]
	v_pk_fma_f32 v[52:53], v[54:55], v[52:53], v[56:57] neg_lo:[0,0,1] neg_hi:[0,0,1]
	v_mov_b32_e32 v53, v59
	s_delay_alu instid0(VALU_DEP_1)
	v_pk_add_f32 v[48:49], v[48:49], v[52:53]
	s_and_not1_b32 exec_lo, exec_lo, s0
	s_cbranch_execnz .LBB85_42
; %bb.43:
	s_or_b32 exec_lo, exec_lo, s0
.LBB85_44:
	s_delay_alu instid0(SALU_CYCLE_1) | instskip(SKIP_4) | instid1(VALU_DEP_1)
	s_or_b32 exec_lo, exec_lo, s24
	v_mov_b32_e32 v50, 0
	ds_load_b64 v[50:51], v50 offset:136
	s_wait_dscnt 0x0
	v_pk_mul_f32 v[52:53], v[48:49], v[50:51] op_sel:[1,1] op_sel_hi:[0,1]
	v_pk_fma_f32 v[54:55], v[48:49], v[50:51], v[52:53] op_sel_hi:[1,0,1]
	v_pk_fma_f32 v[48:49], v[48:49], v[50:51], v[52:53] neg_lo:[0,0,1] neg_hi:[0,0,1]
	s_delay_alu instid0(VALU_DEP_2)
	v_mov_b32_e32 v49, v55
	scratch_store_b64 off, v[48:49], off offset:136
.LBB85_45:
	s_wait_xcnt 0x0
	s_or_b32 exec_lo, exec_lo, s23
	scratch_load_b64 v[48:49], off, off offset:128
	v_cmp_lt_u32_e64 s0, 16, v0
	s_wait_loadcnt 0x0
	ds_store_b64 v1, v[48:49]
	s_wait_storecnt_dscnt 0x0
	s_barrier_signal -1
	s_barrier_wait -1
	s_wait_xcnt 0x0
	s_and_saveexec_b32 s22, s0
	s_cbranch_execz .LBB85_55
; %bb.46:
	s_and_not1_b32 vcc_lo, exec_lo, s3
	s_cbranch_vccnz .LBB85_48
; %bb.47:
	scratch_load_b64 v[48:49], v47, off
	ds_load_b64 v[50:51], v1
	s_wait_loadcnt_dscnt 0x0
	v_pk_mul_f32 v[52:53], v[50:51], v[48:49] op_sel:[1,1] op_sel_hi:[0,1]
	s_delay_alu instid0(VALU_DEP_1) | instskip(SKIP_1) | instid1(VALU_DEP_2)
	v_pk_fma_f32 v[54:55], v[50:51], v[48:49], v[52:53] op_sel_hi:[1,0,1]
	v_pk_fma_f32 v[48:49], v[50:51], v[48:49], v[52:53] neg_lo:[0,0,1] neg_hi:[0,0,1]
	v_mov_b32_e32 v49, v55
	s_cbranch_execz .LBB85_49
	s_branch .LBB85_50
.LBB85_48:
                                        ; implicit-def: $vgpr48_vgpr49
.LBB85_49:
	ds_load_b64 v[48:49], v1
.LBB85_50:
	s_and_saveexec_b32 s23, s1
	s_cbranch_execz .LBB85_54
; %bb.51:
	v_subrev_nc_u32_e32 v50, 17, v0
	s_movk_i32 s24, 0x138
	s_mov_b32 s1, 0
.LBB85_52:                              ; =>This Inner Loop Header: Depth=1
	scratch_load_b64 v[52:53], off, s21
	v_dual_mov_b32 v51, s24 :: v_dual_add_nc_u32 v50, -1, v50
	s_add_co_i32 s24, s24, 8
	s_wait_xcnt 0x0
	s_add_co_i32 s21, s21, 8
	ds_load_b64 v[54:55], v51
	v_cmp_eq_u32_e32 vcc_lo, 0, v50
	s_or_b32 s1, vcc_lo, s1
	s_wait_loadcnt_dscnt 0x0
	v_pk_mul_f32 v[56:57], v[54:55], v[52:53] op_sel:[1,1] op_sel_hi:[0,1]
	s_delay_alu instid0(VALU_DEP_1) | instskip(SKIP_1) | instid1(VALU_DEP_2)
	v_pk_fma_f32 v[58:59], v[54:55], v[52:53], v[56:57] op_sel_hi:[1,0,1]
	v_pk_fma_f32 v[52:53], v[54:55], v[52:53], v[56:57] neg_lo:[0,0,1] neg_hi:[0,0,1]
	v_mov_b32_e32 v53, v59
	s_delay_alu instid0(VALU_DEP_1)
	v_pk_add_f32 v[48:49], v[48:49], v[52:53]
	s_and_not1_b32 exec_lo, exec_lo, s1
	s_cbranch_execnz .LBB85_52
; %bb.53:
	s_or_b32 exec_lo, exec_lo, s1
.LBB85_54:
	s_delay_alu instid0(SALU_CYCLE_1) | instskip(SKIP_4) | instid1(VALU_DEP_1)
	s_or_b32 exec_lo, exec_lo, s23
	v_mov_b32_e32 v50, 0
	ds_load_b64 v[50:51], v50 offset:128
	s_wait_dscnt 0x0
	v_pk_mul_f32 v[52:53], v[48:49], v[50:51] op_sel:[1,1] op_sel_hi:[0,1]
	v_pk_fma_f32 v[54:55], v[48:49], v[50:51], v[52:53] op_sel_hi:[1,0,1]
	v_pk_fma_f32 v[48:49], v[48:49], v[50:51], v[52:53] neg_lo:[0,0,1] neg_hi:[0,0,1]
	s_delay_alu instid0(VALU_DEP_2)
	v_mov_b32_e32 v49, v55
	scratch_store_b64 off, v[48:49], off offset:128
.LBB85_55:
	s_wait_xcnt 0x0
	s_or_b32 exec_lo, exec_lo, s22
	scratch_load_b64 v[48:49], off, off offset:120
	v_cmp_lt_u32_e64 s1, 15, v0
	s_wait_loadcnt 0x0
	ds_store_b64 v1, v[48:49]
	s_wait_storecnt_dscnt 0x0
	s_barrier_signal -1
	s_barrier_wait -1
	s_wait_xcnt 0x0
	s_and_saveexec_b32 s21, s1
	s_cbranch_execz .LBB85_65
; %bb.56:
	s_and_not1_b32 vcc_lo, exec_lo, s3
	s_cbranch_vccnz .LBB85_58
; %bb.57:
	scratch_load_b64 v[48:49], v47, off
	ds_load_b64 v[50:51], v1
	s_wait_loadcnt_dscnt 0x0
	v_pk_mul_f32 v[52:53], v[50:51], v[48:49] op_sel:[1,1] op_sel_hi:[0,1]
	s_delay_alu instid0(VALU_DEP_1) | instskip(SKIP_1) | instid1(VALU_DEP_2)
	v_pk_fma_f32 v[54:55], v[50:51], v[48:49], v[52:53] op_sel_hi:[1,0,1]
	v_pk_fma_f32 v[48:49], v[50:51], v[48:49], v[52:53] neg_lo:[0,0,1] neg_hi:[0,0,1]
	v_mov_b32_e32 v49, v55
	s_cbranch_execz .LBB85_59
	s_branch .LBB85_60
.LBB85_58:
                                        ; implicit-def: $vgpr48_vgpr49
.LBB85_59:
	ds_load_b64 v[48:49], v1
.LBB85_60:
	s_and_saveexec_b32 s22, s0
	s_cbranch_execz .LBB85_64
; %bb.61:
	v_add_nc_u32_e32 v50, -16, v0
	s_movk_i32 s23, 0x130
	s_mov_b32 s0, 0
.LBB85_62:                              ; =>This Inner Loop Header: Depth=1
	scratch_load_b64 v[52:53], off, s20
	v_dual_mov_b32 v51, s23 :: v_dual_add_nc_u32 v50, -1, v50
	s_add_co_i32 s23, s23, 8
	s_wait_xcnt 0x0
	s_add_co_i32 s20, s20, 8
	ds_load_b64 v[54:55], v51
	v_cmp_eq_u32_e32 vcc_lo, 0, v50
	s_or_b32 s0, vcc_lo, s0
	s_wait_loadcnt_dscnt 0x0
	v_pk_mul_f32 v[56:57], v[54:55], v[52:53] op_sel:[1,1] op_sel_hi:[0,1]
	s_delay_alu instid0(VALU_DEP_1) | instskip(SKIP_1) | instid1(VALU_DEP_2)
	v_pk_fma_f32 v[58:59], v[54:55], v[52:53], v[56:57] op_sel_hi:[1,0,1]
	v_pk_fma_f32 v[52:53], v[54:55], v[52:53], v[56:57] neg_lo:[0,0,1] neg_hi:[0,0,1]
	v_mov_b32_e32 v53, v59
	s_delay_alu instid0(VALU_DEP_1)
	v_pk_add_f32 v[48:49], v[48:49], v[52:53]
	s_and_not1_b32 exec_lo, exec_lo, s0
	s_cbranch_execnz .LBB85_62
; %bb.63:
	s_or_b32 exec_lo, exec_lo, s0
.LBB85_64:
	s_delay_alu instid0(SALU_CYCLE_1) | instskip(SKIP_4) | instid1(VALU_DEP_1)
	s_or_b32 exec_lo, exec_lo, s22
	v_mov_b32_e32 v50, 0
	ds_load_b64 v[50:51], v50 offset:120
	s_wait_dscnt 0x0
	v_pk_mul_f32 v[52:53], v[48:49], v[50:51] op_sel:[1,1] op_sel_hi:[0,1]
	v_pk_fma_f32 v[54:55], v[48:49], v[50:51], v[52:53] op_sel_hi:[1,0,1]
	v_pk_fma_f32 v[48:49], v[48:49], v[50:51], v[52:53] neg_lo:[0,0,1] neg_hi:[0,0,1]
	s_delay_alu instid0(VALU_DEP_2)
	v_mov_b32_e32 v49, v55
	scratch_store_b64 off, v[48:49], off offset:120
.LBB85_65:
	s_wait_xcnt 0x0
	s_or_b32 exec_lo, exec_lo, s21
	scratch_load_b64 v[48:49], off, off offset:112
	v_cmp_lt_u32_e64 s0, 14, v0
	s_wait_loadcnt 0x0
	ds_store_b64 v1, v[48:49]
	s_wait_storecnt_dscnt 0x0
	s_barrier_signal -1
	s_barrier_wait -1
	s_wait_xcnt 0x0
	s_and_saveexec_b32 s20, s0
	s_cbranch_execz .LBB85_75
; %bb.66:
	s_and_not1_b32 vcc_lo, exec_lo, s3
	s_cbranch_vccnz .LBB85_68
; %bb.67:
	scratch_load_b64 v[48:49], v47, off
	ds_load_b64 v[50:51], v1
	s_wait_loadcnt_dscnt 0x0
	v_pk_mul_f32 v[52:53], v[50:51], v[48:49] op_sel:[1,1] op_sel_hi:[0,1]
	s_delay_alu instid0(VALU_DEP_1) | instskip(SKIP_1) | instid1(VALU_DEP_2)
	v_pk_fma_f32 v[54:55], v[50:51], v[48:49], v[52:53] op_sel_hi:[1,0,1]
	v_pk_fma_f32 v[48:49], v[50:51], v[48:49], v[52:53] neg_lo:[0,0,1] neg_hi:[0,0,1]
	v_mov_b32_e32 v49, v55
	s_cbranch_execz .LBB85_69
	s_branch .LBB85_70
.LBB85_68:
                                        ; implicit-def: $vgpr48_vgpr49
.LBB85_69:
	ds_load_b64 v[48:49], v1
.LBB85_70:
	s_and_saveexec_b32 s21, s1
	s_cbranch_execz .LBB85_74
; %bb.71:
	v_add_nc_u32_e32 v50, -15, v0
	s_movk_i32 s22, 0x128
	s_mov_b32 s1, 0
.LBB85_72:                              ; =>This Inner Loop Header: Depth=1
	scratch_load_b64 v[52:53], off, s19
	v_dual_mov_b32 v51, s22 :: v_dual_add_nc_u32 v50, -1, v50
	s_add_co_i32 s22, s22, 8
	s_wait_xcnt 0x0
	s_add_co_i32 s19, s19, 8
	ds_load_b64 v[54:55], v51
	v_cmp_eq_u32_e32 vcc_lo, 0, v50
	s_or_b32 s1, vcc_lo, s1
	s_wait_loadcnt_dscnt 0x0
	v_pk_mul_f32 v[56:57], v[54:55], v[52:53] op_sel:[1,1] op_sel_hi:[0,1]
	s_delay_alu instid0(VALU_DEP_1) | instskip(SKIP_1) | instid1(VALU_DEP_2)
	v_pk_fma_f32 v[58:59], v[54:55], v[52:53], v[56:57] op_sel_hi:[1,0,1]
	v_pk_fma_f32 v[52:53], v[54:55], v[52:53], v[56:57] neg_lo:[0,0,1] neg_hi:[0,0,1]
	v_mov_b32_e32 v53, v59
	s_delay_alu instid0(VALU_DEP_1)
	v_pk_add_f32 v[48:49], v[48:49], v[52:53]
	s_and_not1_b32 exec_lo, exec_lo, s1
	s_cbranch_execnz .LBB85_72
; %bb.73:
	s_or_b32 exec_lo, exec_lo, s1
.LBB85_74:
	s_delay_alu instid0(SALU_CYCLE_1) | instskip(SKIP_4) | instid1(VALU_DEP_1)
	s_or_b32 exec_lo, exec_lo, s21
	v_mov_b32_e32 v50, 0
	ds_load_b64 v[50:51], v50 offset:112
	s_wait_dscnt 0x0
	v_pk_mul_f32 v[52:53], v[48:49], v[50:51] op_sel:[1,1] op_sel_hi:[0,1]
	v_pk_fma_f32 v[54:55], v[48:49], v[50:51], v[52:53] op_sel_hi:[1,0,1]
	v_pk_fma_f32 v[48:49], v[48:49], v[50:51], v[52:53] neg_lo:[0,0,1] neg_hi:[0,0,1]
	s_delay_alu instid0(VALU_DEP_2)
	v_mov_b32_e32 v49, v55
	scratch_store_b64 off, v[48:49], off offset:112
.LBB85_75:
	s_wait_xcnt 0x0
	s_or_b32 exec_lo, exec_lo, s20
	scratch_load_b64 v[48:49], off, off offset:104
	v_cmp_lt_u32_e64 s1, 13, v0
	s_wait_loadcnt 0x0
	ds_store_b64 v1, v[48:49]
	s_wait_storecnt_dscnt 0x0
	s_barrier_signal -1
	s_barrier_wait -1
	s_wait_xcnt 0x0
	s_and_saveexec_b32 s19, s1
	s_cbranch_execz .LBB85_85
; %bb.76:
	s_and_not1_b32 vcc_lo, exec_lo, s3
	s_cbranch_vccnz .LBB85_78
; %bb.77:
	scratch_load_b64 v[48:49], v47, off
	ds_load_b64 v[50:51], v1
	s_wait_loadcnt_dscnt 0x0
	v_pk_mul_f32 v[52:53], v[50:51], v[48:49] op_sel:[1,1] op_sel_hi:[0,1]
	s_delay_alu instid0(VALU_DEP_1) | instskip(SKIP_1) | instid1(VALU_DEP_2)
	v_pk_fma_f32 v[54:55], v[50:51], v[48:49], v[52:53] op_sel_hi:[1,0,1]
	v_pk_fma_f32 v[48:49], v[50:51], v[48:49], v[52:53] neg_lo:[0,0,1] neg_hi:[0,0,1]
	v_mov_b32_e32 v49, v55
	s_cbranch_execz .LBB85_79
	s_branch .LBB85_80
.LBB85_78:
                                        ; implicit-def: $vgpr48_vgpr49
.LBB85_79:
	ds_load_b64 v[48:49], v1
.LBB85_80:
	s_and_saveexec_b32 s20, s0
	s_cbranch_execz .LBB85_84
; %bb.81:
	v_add_nc_u32_e32 v50, -14, v0
	s_movk_i32 s21, 0x120
	s_mov_b32 s0, 0
.LBB85_82:                              ; =>This Inner Loop Header: Depth=1
	scratch_load_b64 v[52:53], off, s18
	v_dual_mov_b32 v51, s21 :: v_dual_add_nc_u32 v50, -1, v50
	s_add_co_i32 s21, s21, 8
	s_wait_xcnt 0x0
	s_add_co_i32 s18, s18, 8
	ds_load_b64 v[54:55], v51
	v_cmp_eq_u32_e32 vcc_lo, 0, v50
	s_or_b32 s0, vcc_lo, s0
	s_wait_loadcnt_dscnt 0x0
	v_pk_mul_f32 v[56:57], v[54:55], v[52:53] op_sel:[1,1] op_sel_hi:[0,1]
	s_delay_alu instid0(VALU_DEP_1) | instskip(SKIP_1) | instid1(VALU_DEP_2)
	v_pk_fma_f32 v[58:59], v[54:55], v[52:53], v[56:57] op_sel_hi:[1,0,1]
	v_pk_fma_f32 v[52:53], v[54:55], v[52:53], v[56:57] neg_lo:[0,0,1] neg_hi:[0,0,1]
	v_mov_b32_e32 v53, v59
	s_delay_alu instid0(VALU_DEP_1)
	v_pk_add_f32 v[48:49], v[48:49], v[52:53]
	s_and_not1_b32 exec_lo, exec_lo, s0
	s_cbranch_execnz .LBB85_82
; %bb.83:
	s_or_b32 exec_lo, exec_lo, s0
.LBB85_84:
	s_delay_alu instid0(SALU_CYCLE_1) | instskip(SKIP_4) | instid1(VALU_DEP_1)
	s_or_b32 exec_lo, exec_lo, s20
	v_mov_b32_e32 v50, 0
	ds_load_b64 v[50:51], v50 offset:104
	s_wait_dscnt 0x0
	v_pk_mul_f32 v[52:53], v[48:49], v[50:51] op_sel:[1,1] op_sel_hi:[0,1]
	v_pk_fma_f32 v[54:55], v[48:49], v[50:51], v[52:53] op_sel_hi:[1,0,1]
	v_pk_fma_f32 v[48:49], v[48:49], v[50:51], v[52:53] neg_lo:[0,0,1] neg_hi:[0,0,1]
	s_delay_alu instid0(VALU_DEP_2)
	v_mov_b32_e32 v49, v55
	scratch_store_b64 off, v[48:49], off offset:104
.LBB85_85:
	s_wait_xcnt 0x0
	s_or_b32 exec_lo, exec_lo, s19
	scratch_load_b64 v[48:49], off, off offset:96
	v_cmp_lt_u32_e64 s0, 12, v0
	s_wait_loadcnt 0x0
	ds_store_b64 v1, v[48:49]
	s_wait_storecnt_dscnt 0x0
	s_barrier_signal -1
	s_barrier_wait -1
	s_wait_xcnt 0x0
	s_and_saveexec_b32 s18, s0
	s_cbranch_execz .LBB85_95
; %bb.86:
	s_and_not1_b32 vcc_lo, exec_lo, s3
	s_cbranch_vccnz .LBB85_88
; %bb.87:
	scratch_load_b64 v[48:49], v47, off
	ds_load_b64 v[50:51], v1
	s_wait_loadcnt_dscnt 0x0
	v_pk_mul_f32 v[52:53], v[50:51], v[48:49] op_sel:[1,1] op_sel_hi:[0,1]
	s_delay_alu instid0(VALU_DEP_1) | instskip(SKIP_1) | instid1(VALU_DEP_2)
	v_pk_fma_f32 v[54:55], v[50:51], v[48:49], v[52:53] op_sel_hi:[1,0,1]
	v_pk_fma_f32 v[48:49], v[50:51], v[48:49], v[52:53] neg_lo:[0,0,1] neg_hi:[0,0,1]
	v_mov_b32_e32 v49, v55
	s_cbranch_execz .LBB85_89
	s_branch .LBB85_90
.LBB85_88:
                                        ; implicit-def: $vgpr48_vgpr49
.LBB85_89:
	ds_load_b64 v[48:49], v1
.LBB85_90:
	s_and_saveexec_b32 s19, s1
	s_cbranch_execz .LBB85_94
; %bb.91:
	v_add_nc_u32_e32 v50, -13, v0
	s_movk_i32 s20, 0x118
	s_mov_b32 s1, 0
.LBB85_92:                              ; =>This Inner Loop Header: Depth=1
	scratch_load_b64 v[52:53], off, s17
	v_dual_mov_b32 v51, s20 :: v_dual_add_nc_u32 v50, -1, v50
	s_add_co_i32 s20, s20, 8
	s_wait_xcnt 0x0
	s_add_co_i32 s17, s17, 8
	ds_load_b64 v[54:55], v51
	v_cmp_eq_u32_e32 vcc_lo, 0, v50
	s_or_b32 s1, vcc_lo, s1
	s_wait_loadcnt_dscnt 0x0
	v_pk_mul_f32 v[56:57], v[54:55], v[52:53] op_sel:[1,1] op_sel_hi:[0,1]
	s_delay_alu instid0(VALU_DEP_1) | instskip(SKIP_1) | instid1(VALU_DEP_2)
	v_pk_fma_f32 v[58:59], v[54:55], v[52:53], v[56:57] op_sel_hi:[1,0,1]
	v_pk_fma_f32 v[52:53], v[54:55], v[52:53], v[56:57] neg_lo:[0,0,1] neg_hi:[0,0,1]
	v_mov_b32_e32 v53, v59
	s_delay_alu instid0(VALU_DEP_1)
	v_pk_add_f32 v[48:49], v[48:49], v[52:53]
	s_and_not1_b32 exec_lo, exec_lo, s1
	s_cbranch_execnz .LBB85_92
; %bb.93:
	s_or_b32 exec_lo, exec_lo, s1
.LBB85_94:
	s_delay_alu instid0(SALU_CYCLE_1) | instskip(SKIP_4) | instid1(VALU_DEP_1)
	s_or_b32 exec_lo, exec_lo, s19
	v_mov_b32_e32 v50, 0
	ds_load_b64 v[50:51], v50 offset:96
	s_wait_dscnt 0x0
	v_pk_mul_f32 v[52:53], v[48:49], v[50:51] op_sel:[1,1] op_sel_hi:[0,1]
	v_pk_fma_f32 v[54:55], v[48:49], v[50:51], v[52:53] op_sel_hi:[1,0,1]
	v_pk_fma_f32 v[48:49], v[48:49], v[50:51], v[52:53] neg_lo:[0,0,1] neg_hi:[0,0,1]
	s_delay_alu instid0(VALU_DEP_2)
	v_mov_b32_e32 v49, v55
	scratch_store_b64 off, v[48:49], off offset:96
.LBB85_95:
	s_wait_xcnt 0x0
	s_or_b32 exec_lo, exec_lo, s18
	scratch_load_b64 v[48:49], off, off offset:88
	v_cmp_lt_u32_e64 s1, 11, v0
	s_wait_loadcnt 0x0
	ds_store_b64 v1, v[48:49]
	s_wait_storecnt_dscnt 0x0
	s_barrier_signal -1
	s_barrier_wait -1
	s_wait_xcnt 0x0
	s_and_saveexec_b32 s17, s1
	s_cbranch_execz .LBB85_105
; %bb.96:
	s_and_not1_b32 vcc_lo, exec_lo, s3
	s_cbranch_vccnz .LBB85_98
; %bb.97:
	scratch_load_b64 v[48:49], v47, off
	ds_load_b64 v[50:51], v1
	s_wait_loadcnt_dscnt 0x0
	v_pk_mul_f32 v[52:53], v[50:51], v[48:49] op_sel:[1,1] op_sel_hi:[0,1]
	s_delay_alu instid0(VALU_DEP_1) | instskip(SKIP_1) | instid1(VALU_DEP_2)
	v_pk_fma_f32 v[54:55], v[50:51], v[48:49], v[52:53] op_sel_hi:[1,0,1]
	v_pk_fma_f32 v[48:49], v[50:51], v[48:49], v[52:53] neg_lo:[0,0,1] neg_hi:[0,0,1]
	v_mov_b32_e32 v49, v55
	s_cbranch_execz .LBB85_99
	s_branch .LBB85_100
.LBB85_98:
                                        ; implicit-def: $vgpr48_vgpr49
.LBB85_99:
	ds_load_b64 v[48:49], v1
.LBB85_100:
	s_and_saveexec_b32 s18, s0
	s_cbranch_execz .LBB85_104
; %bb.101:
	v_add_nc_u32_e32 v50, -12, v0
	s_movk_i32 s19, 0x110
	s_mov_b32 s0, 0
.LBB85_102:                             ; =>This Inner Loop Header: Depth=1
	scratch_load_b64 v[52:53], off, s16
	v_dual_mov_b32 v51, s19 :: v_dual_add_nc_u32 v50, -1, v50
	s_add_co_i32 s19, s19, 8
	s_wait_xcnt 0x0
	s_add_co_i32 s16, s16, 8
	ds_load_b64 v[54:55], v51
	v_cmp_eq_u32_e32 vcc_lo, 0, v50
	s_or_b32 s0, vcc_lo, s0
	s_wait_loadcnt_dscnt 0x0
	v_pk_mul_f32 v[56:57], v[54:55], v[52:53] op_sel:[1,1] op_sel_hi:[0,1]
	s_delay_alu instid0(VALU_DEP_1) | instskip(SKIP_1) | instid1(VALU_DEP_2)
	v_pk_fma_f32 v[58:59], v[54:55], v[52:53], v[56:57] op_sel_hi:[1,0,1]
	v_pk_fma_f32 v[52:53], v[54:55], v[52:53], v[56:57] neg_lo:[0,0,1] neg_hi:[0,0,1]
	v_mov_b32_e32 v53, v59
	s_delay_alu instid0(VALU_DEP_1)
	v_pk_add_f32 v[48:49], v[48:49], v[52:53]
	s_and_not1_b32 exec_lo, exec_lo, s0
	s_cbranch_execnz .LBB85_102
; %bb.103:
	s_or_b32 exec_lo, exec_lo, s0
.LBB85_104:
	s_delay_alu instid0(SALU_CYCLE_1) | instskip(SKIP_4) | instid1(VALU_DEP_1)
	s_or_b32 exec_lo, exec_lo, s18
	v_mov_b32_e32 v50, 0
	ds_load_b64 v[50:51], v50 offset:88
	s_wait_dscnt 0x0
	v_pk_mul_f32 v[52:53], v[48:49], v[50:51] op_sel:[1,1] op_sel_hi:[0,1]
	v_pk_fma_f32 v[54:55], v[48:49], v[50:51], v[52:53] op_sel_hi:[1,0,1]
	v_pk_fma_f32 v[48:49], v[48:49], v[50:51], v[52:53] neg_lo:[0,0,1] neg_hi:[0,0,1]
	s_delay_alu instid0(VALU_DEP_2)
	v_mov_b32_e32 v49, v55
	scratch_store_b64 off, v[48:49], off offset:88
.LBB85_105:
	s_wait_xcnt 0x0
	s_or_b32 exec_lo, exec_lo, s17
	scratch_load_b64 v[48:49], off, off offset:80
	v_cmp_lt_u32_e64 s0, 10, v0
	s_wait_loadcnt 0x0
	ds_store_b64 v1, v[48:49]
	s_wait_storecnt_dscnt 0x0
	s_barrier_signal -1
	s_barrier_wait -1
	s_wait_xcnt 0x0
	s_and_saveexec_b32 s16, s0
	s_cbranch_execz .LBB85_115
; %bb.106:
	s_and_not1_b32 vcc_lo, exec_lo, s3
	s_cbranch_vccnz .LBB85_108
; %bb.107:
	scratch_load_b64 v[48:49], v47, off
	ds_load_b64 v[50:51], v1
	s_wait_loadcnt_dscnt 0x0
	v_pk_mul_f32 v[52:53], v[50:51], v[48:49] op_sel:[1,1] op_sel_hi:[0,1]
	s_delay_alu instid0(VALU_DEP_1) | instskip(SKIP_1) | instid1(VALU_DEP_2)
	v_pk_fma_f32 v[54:55], v[50:51], v[48:49], v[52:53] op_sel_hi:[1,0,1]
	v_pk_fma_f32 v[48:49], v[50:51], v[48:49], v[52:53] neg_lo:[0,0,1] neg_hi:[0,0,1]
	v_mov_b32_e32 v49, v55
	s_cbranch_execz .LBB85_109
	s_branch .LBB85_110
.LBB85_108:
                                        ; implicit-def: $vgpr48_vgpr49
.LBB85_109:
	ds_load_b64 v[48:49], v1
.LBB85_110:
	s_and_saveexec_b32 s17, s1
	s_cbranch_execz .LBB85_114
; %bb.111:
	v_add_nc_u32_e32 v50, -11, v0
	s_movk_i32 s18, 0x108
	s_mov_b32 s1, 0
.LBB85_112:                             ; =>This Inner Loop Header: Depth=1
	scratch_load_b64 v[52:53], off, s15
	v_dual_mov_b32 v51, s18 :: v_dual_add_nc_u32 v50, -1, v50
	s_add_co_i32 s18, s18, 8
	s_wait_xcnt 0x0
	s_add_co_i32 s15, s15, 8
	ds_load_b64 v[54:55], v51
	v_cmp_eq_u32_e32 vcc_lo, 0, v50
	s_or_b32 s1, vcc_lo, s1
	s_wait_loadcnt_dscnt 0x0
	v_pk_mul_f32 v[56:57], v[54:55], v[52:53] op_sel:[1,1] op_sel_hi:[0,1]
	s_delay_alu instid0(VALU_DEP_1) | instskip(SKIP_1) | instid1(VALU_DEP_2)
	v_pk_fma_f32 v[58:59], v[54:55], v[52:53], v[56:57] op_sel_hi:[1,0,1]
	v_pk_fma_f32 v[52:53], v[54:55], v[52:53], v[56:57] neg_lo:[0,0,1] neg_hi:[0,0,1]
	v_mov_b32_e32 v53, v59
	s_delay_alu instid0(VALU_DEP_1)
	v_pk_add_f32 v[48:49], v[48:49], v[52:53]
	s_and_not1_b32 exec_lo, exec_lo, s1
	s_cbranch_execnz .LBB85_112
; %bb.113:
	s_or_b32 exec_lo, exec_lo, s1
.LBB85_114:
	s_delay_alu instid0(SALU_CYCLE_1) | instskip(SKIP_4) | instid1(VALU_DEP_1)
	s_or_b32 exec_lo, exec_lo, s17
	v_mov_b32_e32 v50, 0
	ds_load_b64 v[50:51], v50 offset:80
	s_wait_dscnt 0x0
	v_pk_mul_f32 v[52:53], v[48:49], v[50:51] op_sel:[1,1] op_sel_hi:[0,1]
	v_pk_fma_f32 v[54:55], v[48:49], v[50:51], v[52:53] op_sel_hi:[1,0,1]
	v_pk_fma_f32 v[48:49], v[48:49], v[50:51], v[52:53] neg_lo:[0,0,1] neg_hi:[0,0,1]
	s_delay_alu instid0(VALU_DEP_2)
	v_mov_b32_e32 v49, v55
	scratch_store_b64 off, v[48:49], off offset:80
.LBB85_115:
	s_wait_xcnt 0x0
	s_or_b32 exec_lo, exec_lo, s16
	scratch_load_b64 v[48:49], off, off offset:72
	v_cmp_lt_u32_e64 s1, 9, v0
	s_wait_loadcnt 0x0
	ds_store_b64 v1, v[48:49]
	s_wait_storecnt_dscnt 0x0
	s_barrier_signal -1
	s_barrier_wait -1
	s_wait_xcnt 0x0
	s_and_saveexec_b32 s15, s1
	s_cbranch_execz .LBB85_125
; %bb.116:
	s_and_not1_b32 vcc_lo, exec_lo, s3
	s_cbranch_vccnz .LBB85_118
; %bb.117:
	scratch_load_b64 v[48:49], v47, off
	ds_load_b64 v[50:51], v1
	s_wait_loadcnt_dscnt 0x0
	v_pk_mul_f32 v[52:53], v[50:51], v[48:49] op_sel:[1,1] op_sel_hi:[0,1]
	s_delay_alu instid0(VALU_DEP_1) | instskip(SKIP_1) | instid1(VALU_DEP_2)
	v_pk_fma_f32 v[54:55], v[50:51], v[48:49], v[52:53] op_sel_hi:[1,0,1]
	v_pk_fma_f32 v[48:49], v[50:51], v[48:49], v[52:53] neg_lo:[0,0,1] neg_hi:[0,0,1]
	v_mov_b32_e32 v49, v55
	s_cbranch_execz .LBB85_119
	s_branch .LBB85_120
.LBB85_118:
                                        ; implicit-def: $vgpr48_vgpr49
.LBB85_119:
	ds_load_b64 v[48:49], v1
.LBB85_120:
	s_and_saveexec_b32 s16, s0
	s_cbranch_execz .LBB85_124
; %bb.121:
	v_add_nc_u32_e32 v50, -10, v0
	s_movk_i32 s17, 0x100
	s_mov_b32 s0, 0
.LBB85_122:                             ; =>This Inner Loop Header: Depth=1
	scratch_load_b64 v[52:53], off, s14
	v_dual_mov_b32 v51, s17 :: v_dual_add_nc_u32 v50, -1, v50
	s_add_co_i32 s17, s17, 8
	s_wait_xcnt 0x0
	s_add_co_i32 s14, s14, 8
	ds_load_b64 v[54:55], v51
	v_cmp_eq_u32_e32 vcc_lo, 0, v50
	s_or_b32 s0, vcc_lo, s0
	s_wait_loadcnt_dscnt 0x0
	v_pk_mul_f32 v[56:57], v[54:55], v[52:53] op_sel:[1,1] op_sel_hi:[0,1]
	s_delay_alu instid0(VALU_DEP_1) | instskip(SKIP_1) | instid1(VALU_DEP_2)
	v_pk_fma_f32 v[58:59], v[54:55], v[52:53], v[56:57] op_sel_hi:[1,0,1]
	v_pk_fma_f32 v[52:53], v[54:55], v[52:53], v[56:57] neg_lo:[0,0,1] neg_hi:[0,0,1]
	v_mov_b32_e32 v53, v59
	s_delay_alu instid0(VALU_DEP_1)
	v_pk_add_f32 v[48:49], v[48:49], v[52:53]
	s_and_not1_b32 exec_lo, exec_lo, s0
	s_cbranch_execnz .LBB85_122
; %bb.123:
	s_or_b32 exec_lo, exec_lo, s0
.LBB85_124:
	s_delay_alu instid0(SALU_CYCLE_1) | instskip(SKIP_4) | instid1(VALU_DEP_1)
	s_or_b32 exec_lo, exec_lo, s16
	v_mov_b32_e32 v50, 0
	ds_load_b64 v[50:51], v50 offset:72
	s_wait_dscnt 0x0
	v_pk_mul_f32 v[52:53], v[48:49], v[50:51] op_sel:[1,1] op_sel_hi:[0,1]
	v_pk_fma_f32 v[54:55], v[48:49], v[50:51], v[52:53] op_sel_hi:[1,0,1]
	v_pk_fma_f32 v[48:49], v[48:49], v[50:51], v[52:53] neg_lo:[0,0,1] neg_hi:[0,0,1]
	s_delay_alu instid0(VALU_DEP_2)
	v_mov_b32_e32 v49, v55
	scratch_store_b64 off, v[48:49], off offset:72
.LBB85_125:
	s_wait_xcnt 0x0
	s_or_b32 exec_lo, exec_lo, s15
	scratch_load_b64 v[48:49], off, off offset:64
	v_cmp_lt_u32_e64 s0, 8, v0
	s_wait_loadcnt 0x0
	ds_store_b64 v1, v[48:49]
	s_wait_storecnt_dscnt 0x0
	s_barrier_signal -1
	s_barrier_wait -1
	s_wait_xcnt 0x0
	s_and_saveexec_b32 s14, s0
	s_cbranch_execz .LBB85_135
; %bb.126:
	s_and_not1_b32 vcc_lo, exec_lo, s3
	s_cbranch_vccnz .LBB85_128
; %bb.127:
	scratch_load_b64 v[48:49], v47, off
	ds_load_b64 v[50:51], v1
	s_wait_loadcnt_dscnt 0x0
	v_pk_mul_f32 v[52:53], v[50:51], v[48:49] op_sel:[1,1] op_sel_hi:[0,1]
	s_delay_alu instid0(VALU_DEP_1) | instskip(SKIP_1) | instid1(VALU_DEP_2)
	v_pk_fma_f32 v[54:55], v[50:51], v[48:49], v[52:53] op_sel_hi:[1,0,1]
	v_pk_fma_f32 v[48:49], v[50:51], v[48:49], v[52:53] neg_lo:[0,0,1] neg_hi:[0,0,1]
	v_mov_b32_e32 v49, v55
	s_cbranch_execz .LBB85_129
	s_branch .LBB85_130
.LBB85_128:
                                        ; implicit-def: $vgpr48_vgpr49
.LBB85_129:
	ds_load_b64 v[48:49], v1
.LBB85_130:
	s_and_saveexec_b32 s15, s1
	s_cbranch_execz .LBB85_134
; %bb.131:
	v_add_nc_u32_e32 v50, -9, v0
	s_movk_i32 s16, 0xf8
	s_mov_b32 s1, 0
.LBB85_132:                             ; =>This Inner Loop Header: Depth=1
	scratch_load_b64 v[52:53], off, s13
	v_dual_mov_b32 v51, s16 :: v_dual_add_nc_u32 v50, -1, v50
	s_add_co_i32 s16, s16, 8
	s_wait_xcnt 0x0
	s_add_co_i32 s13, s13, 8
	ds_load_b64 v[54:55], v51
	v_cmp_eq_u32_e32 vcc_lo, 0, v50
	s_or_b32 s1, vcc_lo, s1
	s_wait_loadcnt_dscnt 0x0
	v_pk_mul_f32 v[56:57], v[54:55], v[52:53] op_sel:[1,1] op_sel_hi:[0,1]
	s_delay_alu instid0(VALU_DEP_1) | instskip(SKIP_1) | instid1(VALU_DEP_2)
	v_pk_fma_f32 v[58:59], v[54:55], v[52:53], v[56:57] op_sel_hi:[1,0,1]
	v_pk_fma_f32 v[52:53], v[54:55], v[52:53], v[56:57] neg_lo:[0,0,1] neg_hi:[0,0,1]
	v_mov_b32_e32 v53, v59
	s_delay_alu instid0(VALU_DEP_1)
	v_pk_add_f32 v[48:49], v[48:49], v[52:53]
	s_and_not1_b32 exec_lo, exec_lo, s1
	s_cbranch_execnz .LBB85_132
; %bb.133:
	s_or_b32 exec_lo, exec_lo, s1
.LBB85_134:
	s_delay_alu instid0(SALU_CYCLE_1) | instskip(SKIP_4) | instid1(VALU_DEP_1)
	s_or_b32 exec_lo, exec_lo, s15
	v_mov_b32_e32 v50, 0
	ds_load_b64 v[50:51], v50 offset:64
	s_wait_dscnt 0x0
	v_pk_mul_f32 v[52:53], v[48:49], v[50:51] op_sel:[1,1] op_sel_hi:[0,1]
	v_pk_fma_f32 v[54:55], v[48:49], v[50:51], v[52:53] op_sel_hi:[1,0,1]
	v_pk_fma_f32 v[48:49], v[48:49], v[50:51], v[52:53] neg_lo:[0,0,1] neg_hi:[0,0,1]
	s_delay_alu instid0(VALU_DEP_2)
	v_mov_b32_e32 v49, v55
	scratch_store_b64 off, v[48:49], off offset:64
.LBB85_135:
	s_wait_xcnt 0x0
	s_or_b32 exec_lo, exec_lo, s14
	scratch_load_b64 v[48:49], off, off offset:56
	v_cmp_lt_u32_e64 s1, 7, v0
	s_wait_loadcnt 0x0
	ds_store_b64 v1, v[48:49]
	s_wait_storecnt_dscnt 0x0
	s_barrier_signal -1
	s_barrier_wait -1
	s_wait_xcnt 0x0
	s_and_saveexec_b32 s13, s1
	s_cbranch_execz .LBB85_145
; %bb.136:
	s_and_not1_b32 vcc_lo, exec_lo, s3
	s_cbranch_vccnz .LBB85_138
; %bb.137:
	scratch_load_b64 v[48:49], v47, off
	ds_load_b64 v[50:51], v1
	s_wait_loadcnt_dscnt 0x0
	v_pk_mul_f32 v[52:53], v[50:51], v[48:49] op_sel:[1,1] op_sel_hi:[0,1]
	s_delay_alu instid0(VALU_DEP_1) | instskip(SKIP_1) | instid1(VALU_DEP_2)
	v_pk_fma_f32 v[54:55], v[50:51], v[48:49], v[52:53] op_sel_hi:[1,0,1]
	v_pk_fma_f32 v[48:49], v[50:51], v[48:49], v[52:53] neg_lo:[0,0,1] neg_hi:[0,0,1]
	v_mov_b32_e32 v49, v55
	s_cbranch_execz .LBB85_139
	s_branch .LBB85_140
.LBB85_138:
                                        ; implicit-def: $vgpr48_vgpr49
.LBB85_139:
	ds_load_b64 v[48:49], v1
.LBB85_140:
	s_and_saveexec_b32 s14, s0
	s_cbranch_execz .LBB85_144
; %bb.141:
	v_add_nc_u32_e32 v50, -8, v0
	s_movk_i32 s15, 0xf0
	s_mov_b32 s0, 0
.LBB85_142:                             ; =>This Inner Loop Header: Depth=1
	scratch_load_b64 v[52:53], off, s12
	v_dual_mov_b32 v51, s15 :: v_dual_add_nc_u32 v50, -1, v50
	s_add_co_i32 s15, s15, 8
	s_wait_xcnt 0x0
	s_add_co_i32 s12, s12, 8
	ds_load_b64 v[54:55], v51
	v_cmp_eq_u32_e32 vcc_lo, 0, v50
	s_or_b32 s0, vcc_lo, s0
	s_wait_loadcnt_dscnt 0x0
	v_pk_mul_f32 v[56:57], v[54:55], v[52:53] op_sel:[1,1] op_sel_hi:[0,1]
	s_delay_alu instid0(VALU_DEP_1) | instskip(SKIP_1) | instid1(VALU_DEP_2)
	v_pk_fma_f32 v[58:59], v[54:55], v[52:53], v[56:57] op_sel_hi:[1,0,1]
	v_pk_fma_f32 v[52:53], v[54:55], v[52:53], v[56:57] neg_lo:[0,0,1] neg_hi:[0,0,1]
	v_mov_b32_e32 v53, v59
	s_delay_alu instid0(VALU_DEP_1)
	v_pk_add_f32 v[48:49], v[48:49], v[52:53]
	s_and_not1_b32 exec_lo, exec_lo, s0
	s_cbranch_execnz .LBB85_142
; %bb.143:
	s_or_b32 exec_lo, exec_lo, s0
.LBB85_144:
	s_delay_alu instid0(SALU_CYCLE_1) | instskip(SKIP_4) | instid1(VALU_DEP_1)
	s_or_b32 exec_lo, exec_lo, s14
	v_mov_b32_e32 v50, 0
	ds_load_b64 v[50:51], v50 offset:56
	s_wait_dscnt 0x0
	v_pk_mul_f32 v[52:53], v[48:49], v[50:51] op_sel:[1,1] op_sel_hi:[0,1]
	v_pk_fma_f32 v[54:55], v[48:49], v[50:51], v[52:53] op_sel_hi:[1,0,1]
	v_pk_fma_f32 v[48:49], v[48:49], v[50:51], v[52:53] neg_lo:[0,0,1] neg_hi:[0,0,1]
	s_delay_alu instid0(VALU_DEP_2)
	v_mov_b32_e32 v49, v55
	scratch_store_b64 off, v[48:49], off offset:56
.LBB85_145:
	s_wait_xcnt 0x0
	s_or_b32 exec_lo, exec_lo, s13
	scratch_load_b64 v[48:49], off, off offset:48
	v_cmp_lt_u32_e64 s0, 6, v0
	s_wait_loadcnt 0x0
	ds_store_b64 v1, v[48:49]
	s_wait_storecnt_dscnt 0x0
	s_barrier_signal -1
	s_barrier_wait -1
	s_wait_xcnt 0x0
	s_and_saveexec_b32 s12, s0
	s_cbranch_execz .LBB85_155
; %bb.146:
	s_and_not1_b32 vcc_lo, exec_lo, s3
	s_cbranch_vccnz .LBB85_148
; %bb.147:
	scratch_load_b64 v[48:49], v47, off
	ds_load_b64 v[50:51], v1
	s_wait_loadcnt_dscnt 0x0
	v_pk_mul_f32 v[52:53], v[50:51], v[48:49] op_sel:[1,1] op_sel_hi:[0,1]
	s_delay_alu instid0(VALU_DEP_1) | instskip(SKIP_1) | instid1(VALU_DEP_2)
	v_pk_fma_f32 v[54:55], v[50:51], v[48:49], v[52:53] op_sel_hi:[1,0,1]
	v_pk_fma_f32 v[48:49], v[50:51], v[48:49], v[52:53] neg_lo:[0,0,1] neg_hi:[0,0,1]
	v_mov_b32_e32 v49, v55
	s_cbranch_execz .LBB85_149
	s_branch .LBB85_150
.LBB85_148:
                                        ; implicit-def: $vgpr48_vgpr49
.LBB85_149:
	ds_load_b64 v[48:49], v1
.LBB85_150:
	s_and_saveexec_b32 s13, s1
	s_cbranch_execz .LBB85_154
; %bb.151:
	v_add_nc_u32_e32 v50, -7, v0
	s_movk_i32 s14, 0xe8
	s_mov_b32 s1, 0
.LBB85_152:                             ; =>This Inner Loop Header: Depth=1
	scratch_load_b64 v[52:53], off, s11
	v_dual_mov_b32 v51, s14 :: v_dual_add_nc_u32 v50, -1, v50
	s_add_co_i32 s14, s14, 8
	s_wait_xcnt 0x0
	s_add_co_i32 s11, s11, 8
	ds_load_b64 v[54:55], v51
	v_cmp_eq_u32_e32 vcc_lo, 0, v50
	s_or_b32 s1, vcc_lo, s1
	s_wait_loadcnt_dscnt 0x0
	v_pk_mul_f32 v[56:57], v[54:55], v[52:53] op_sel:[1,1] op_sel_hi:[0,1]
	s_delay_alu instid0(VALU_DEP_1) | instskip(SKIP_1) | instid1(VALU_DEP_2)
	v_pk_fma_f32 v[58:59], v[54:55], v[52:53], v[56:57] op_sel_hi:[1,0,1]
	v_pk_fma_f32 v[52:53], v[54:55], v[52:53], v[56:57] neg_lo:[0,0,1] neg_hi:[0,0,1]
	v_mov_b32_e32 v53, v59
	s_delay_alu instid0(VALU_DEP_1)
	v_pk_add_f32 v[48:49], v[48:49], v[52:53]
	s_and_not1_b32 exec_lo, exec_lo, s1
	s_cbranch_execnz .LBB85_152
; %bb.153:
	s_or_b32 exec_lo, exec_lo, s1
.LBB85_154:
	s_delay_alu instid0(SALU_CYCLE_1) | instskip(SKIP_4) | instid1(VALU_DEP_1)
	s_or_b32 exec_lo, exec_lo, s13
	v_mov_b32_e32 v50, 0
	ds_load_b64 v[50:51], v50 offset:48
	s_wait_dscnt 0x0
	v_pk_mul_f32 v[52:53], v[48:49], v[50:51] op_sel:[1,1] op_sel_hi:[0,1]
	v_pk_fma_f32 v[54:55], v[48:49], v[50:51], v[52:53] op_sel_hi:[1,0,1]
	v_pk_fma_f32 v[48:49], v[48:49], v[50:51], v[52:53] neg_lo:[0,0,1] neg_hi:[0,0,1]
	s_delay_alu instid0(VALU_DEP_2)
	v_mov_b32_e32 v49, v55
	scratch_store_b64 off, v[48:49], off offset:48
.LBB85_155:
	s_wait_xcnt 0x0
	s_or_b32 exec_lo, exec_lo, s12
	scratch_load_b64 v[48:49], off, off offset:40
	v_cmp_lt_u32_e64 s1, 5, v0
	s_wait_loadcnt 0x0
	ds_store_b64 v1, v[48:49]
	s_wait_storecnt_dscnt 0x0
	s_barrier_signal -1
	s_barrier_wait -1
	s_wait_xcnt 0x0
	s_and_saveexec_b32 s11, s1
	s_cbranch_execz .LBB85_165
; %bb.156:
	s_and_not1_b32 vcc_lo, exec_lo, s3
	s_cbranch_vccnz .LBB85_158
; %bb.157:
	scratch_load_b64 v[48:49], v47, off
	ds_load_b64 v[50:51], v1
	s_wait_loadcnt_dscnt 0x0
	v_pk_mul_f32 v[52:53], v[50:51], v[48:49] op_sel:[1,1] op_sel_hi:[0,1]
	s_delay_alu instid0(VALU_DEP_1) | instskip(SKIP_1) | instid1(VALU_DEP_2)
	v_pk_fma_f32 v[54:55], v[50:51], v[48:49], v[52:53] op_sel_hi:[1,0,1]
	v_pk_fma_f32 v[48:49], v[50:51], v[48:49], v[52:53] neg_lo:[0,0,1] neg_hi:[0,0,1]
	v_mov_b32_e32 v49, v55
	s_cbranch_execz .LBB85_159
	s_branch .LBB85_160
.LBB85_158:
                                        ; implicit-def: $vgpr48_vgpr49
.LBB85_159:
	ds_load_b64 v[48:49], v1
.LBB85_160:
	s_and_saveexec_b32 s12, s0
	s_cbranch_execz .LBB85_164
; %bb.161:
	v_add_nc_u32_e32 v50, -6, v0
	s_movk_i32 s13, 0xe0
	s_mov_b32 s0, 0
.LBB85_162:                             ; =>This Inner Loop Header: Depth=1
	scratch_load_b64 v[52:53], off, s10
	v_dual_mov_b32 v51, s13 :: v_dual_add_nc_u32 v50, -1, v50
	s_add_co_i32 s13, s13, 8
	s_wait_xcnt 0x0
	s_add_co_i32 s10, s10, 8
	ds_load_b64 v[54:55], v51
	v_cmp_eq_u32_e32 vcc_lo, 0, v50
	s_or_b32 s0, vcc_lo, s0
	s_wait_loadcnt_dscnt 0x0
	v_pk_mul_f32 v[56:57], v[54:55], v[52:53] op_sel:[1,1] op_sel_hi:[0,1]
	s_delay_alu instid0(VALU_DEP_1) | instskip(SKIP_1) | instid1(VALU_DEP_2)
	v_pk_fma_f32 v[58:59], v[54:55], v[52:53], v[56:57] op_sel_hi:[1,0,1]
	v_pk_fma_f32 v[52:53], v[54:55], v[52:53], v[56:57] neg_lo:[0,0,1] neg_hi:[0,0,1]
	v_mov_b32_e32 v53, v59
	s_delay_alu instid0(VALU_DEP_1)
	v_pk_add_f32 v[48:49], v[48:49], v[52:53]
	s_and_not1_b32 exec_lo, exec_lo, s0
	s_cbranch_execnz .LBB85_162
; %bb.163:
	s_or_b32 exec_lo, exec_lo, s0
.LBB85_164:
	s_delay_alu instid0(SALU_CYCLE_1) | instskip(SKIP_4) | instid1(VALU_DEP_1)
	s_or_b32 exec_lo, exec_lo, s12
	v_mov_b32_e32 v50, 0
	ds_load_b64 v[50:51], v50 offset:40
	s_wait_dscnt 0x0
	v_pk_mul_f32 v[52:53], v[48:49], v[50:51] op_sel:[1,1] op_sel_hi:[0,1]
	v_pk_fma_f32 v[54:55], v[48:49], v[50:51], v[52:53] op_sel_hi:[1,0,1]
	v_pk_fma_f32 v[48:49], v[48:49], v[50:51], v[52:53] neg_lo:[0,0,1] neg_hi:[0,0,1]
	s_delay_alu instid0(VALU_DEP_2)
	v_mov_b32_e32 v49, v55
	scratch_store_b64 off, v[48:49], off offset:40
.LBB85_165:
	s_wait_xcnt 0x0
	s_or_b32 exec_lo, exec_lo, s11
	scratch_load_b64 v[48:49], off, off offset:32
	v_cmp_lt_u32_e64 s0, 4, v0
	s_wait_loadcnt 0x0
	ds_store_b64 v1, v[48:49]
	s_wait_storecnt_dscnt 0x0
	s_barrier_signal -1
	s_barrier_wait -1
	s_wait_xcnt 0x0
	s_and_saveexec_b32 s10, s0
	s_cbranch_execz .LBB85_175
; %bb.166:
	s_and_not1_b32 vcc_lo, exec_lo, s3
	s_cbranch_vccnz .LBB85_168
; %bb.167:
	scratch_load_b64 v[48:49], v47, off
	ds_load_b64 v[50:51], v1
	s_wait_loadcnt_dscnt 0x0
	v_pk_mul_f32 v[52:53], v[50:51], v[48:49] op_sel:[1,1] op_sel_hi:[0,1]
	s_delay_alu instid0(VALU_DEP_1) | instskip(SKIP_1) | instid1(VALU_DEP_2)
	v_pk_fma_f32 v[54:55], v[50:51], v[48:49], v[52:53] op_sel_hi:[1,0,1]
	v_pk_fma_f32 v[48:49], v[50:51], v[48:49], v[52:53] neg_lo:[0,0,1] neg_hi:[0,0,1]
	v_mov_b32_e32 v49, v55
	s_cbranch_execz .LBB85_169
	s_branch .LBB85_170
.LBB85_168:
                                        ; implicit-def: $vgpr48_vgpr49
.LBB85_169:
	ds_load_b64 v[48:49], v1
.LBB85_170:
	s_and_saveexec_b32 s11, s1
	s_cbranch_execz .LBB85_174
; %bb.171:
	v_add_nc_u32_e32 v50, -5, v0
	s_movk_i32 s12, 0xd8
	s_mov_b32 s1, 0
.LBB85_172:                             ; =>This Inner Loop Header: Depth=1
	scratch_load_b64 v[52:53], off, s9
	v_dual_mov_b32 v51, s12 :: v_dual_add_nc_u32 v50, -1, v50
	s_add_co_i32 s12, s12, 8
	s_wait_xcnt 0x0
	s_add_co_i32 s9, s9, 8
	ds_load_b64 v[54:55], v51
	v_cmp_eq_u32_e32 vcc_lo, 0, v50
	s_or_b32 s1, vcc_lo, s1
	s_wait_loadcnt_dscnt 0x0
	v_pk_mul_f32 v[56:57], v[54:55], v[52:53] op_sel:[1,1] op_sel_hi:[0,1]
	s_delay_alu instid0(VALU_DEP_1) | instskip(SKIP_1) | instid1(VALU_DEP_2)
	v_pk_fma_f32 v[58:59], v[54:55], v[52:53], v[56:57] op_sel_hi:[1,0,1]
	v_pk_fma_f32 v[52:53], v[54:55], v[52:53], v[56:57] neg_lo:[0,0,1] neg_hi:[0,0,1]
	v_mov_b32_e32 v53, v59
	s_delay_alu instid0(VALU_DEP_1)
	v_pk_add_f32 v[48:49], v[48:49], v[52:53]
	s_and_not1_b32 exec_lo, exec_lo, s1
	s_cbranch_execnz .LBB85_172
; %bb.173:
	s_or_b32 exec_lo, exec_lo, s1
.LBB85_174:
	s_delay_alu instid0(SALU_CYCLE_1) | instskip(SKIP_4) | instid1(VALU_DEP_1)
	s_or_b32 exec_lo, exec_lo, s11
	v_mov_b32_e32 v50, 0
	ds_load_b64 v[50:51], v50 offset:32
	s_wait_dscnt 0x0
	v_pk_mul_f32 v[52:53], v[48:49], v[50:51] op_sel:[1,1] op_sel_hi:[0,1]
	v_pk_fma_f32 v[54:55], v[48:49], v[50:51], v[52:53] op_sel_hi:[1,0,1]
	v_pk_fma_f32 v[48:49], v[48:49], v[50:51], v[52:53] neg_lo:[0,0,1] neg_hi:[0,0,1]
	s_delay_alu instid0(VALU_DEP_2)
	v_mov_b32_e32 v49, v55
	scratch_store_b64 off, v[48:49], off offset:32
.LBB85_175:
	s_wait_xcnt 0x0
	s_or_b32 exec_lo, exec_lo, s10
	scratch_load_b64 v[48:49], off, off offset:24
	v_cmp_lt_u32_e64 s1, 3, v0
	s_wait_loadcnt 0x0
	ds_store_b64 v1, v[48:49]
	s_wait_storecnt_dscnt 0x0
	s_barrier_signal -1
	s_barrier_wait -1
	s_wait_xcnt 0x0
	s_and_saveexec_b32 s9, s1
	s_cbranch_execz .LBB85_185
; %bb.176:
	s_and_not1_b32 vcc_lo, exec_lo, s3
	s_cbranch_vccnz .LBB85_178
; %bb.177:
	scratch_load_b64 v[48:49], v47, off
	ds_load_b64 v[50:51], v1
	s_wait_loadcnt_dscnt 0x0
	v_pk_mul_f32 v[52:53], v[50:51], v[48:49] op_sel:[1,1] op_sel_hi:[0,1]
	s_delay_alu instid0(VALU_DEP_1) | instskip(SKIP_1) | instid1(VALU_DEP_2)
	v_pk_fma_f32 v[54:55], v[50:51], v[48:49], v[52:53] op_sel_hi:[1,0,1]
	v_pk_fma_f32 v[48:49], v[50:51], v[48:49], v[52:53] neg_lo:[0,0,1] neg_hi:[0,0,1]
	v_mov_b32_e32 v49, v55
	s_cbranch_execz .LBB85_179
	s_branch .LBB85_180
.LBB85_178:
                                        ; implicit-def: $vgpr48_vgpr49
.LBB85_179:
	ds_load_b64 v[48:49], v1
.LBB85_180:
	s_and_saveexec_b32 s10, s0
	s_cbranch_execz .LBB85_184
; %bb.181:
	v_add_nc_u32_e32 v50, -4, v0
	s_movk_i32 s11, 0xd0
	s_mov_b32 s0, 0
.LBB85_182:                             ; =>This Inner Loop Header: Depth=1
	scratch_load_b64 v[52:53], off, s2
	v_dual_mov_b32 v51, s11 :: v_dual_add_nc_u32 v50, -1, v50
	s_add_co_i32 s11, s11, 8
	s_wait_xcnt 0x0
	s_add_co_i32 s2, s2, 8
	ds_load_b64 v[54:55], v51
	v_cmp_eq_u32_e32 vcc_lo, 0, v50
	s_or_b32 s0, vcc_lo, s0
	s_wait_loadcnt_dscnt 0x0
	v_pk_mul_f32 v[56:57], v[54:55], v[52:53] op_sel:[1,1] op_sel_hi:[0,1]
	s_delay_alu instid0(VALU_DEP_1) | instskip(SKIP_1) | instid1(VALU_DEP_2)
	v_pk_fma_f32 v[58:59], v[54:55], v[52:53], v[56:57] op_sel_hi:[1,0,1]
	v_pk_fma_f32 v[52:53], v[54:55], v[52:53], v[56:57] neg_lo:[0,0,1] neg_hi:[0,0,1]
	v_mov_b32_e32 v53, v59
	s_delay_alu instid0(VALU_DEP_1)
	v_pk_add_f32 v[48:49], v[48:49], v[52:53]
	s_and_not1_b32 exec_lo, exec_lo, s0
	s_cbranch_execnz .LBB85_182
; %bb.183:
	s_or_b32 exec_lo, exec_lo, s0
.LBB85_184:
	s_delay_alu instid0(SALU_CYCLE_1) | instskip(SKIP_4) | instid1(VALU_DEP_1)
	s_or_b32 exec_lo, exec_lo, s10
	v_mov_b32_e32 v50, 0
	ds_load_b64 v[50:51], v50 offset:24
	s_wait_dscnt 0x0
	v_pk_mul_f32 v[52:53], v[48:49], v[50:51] op_sel:[1,1] op_sel_hi:[0,1]
	v_pk_fma_f32 v[54:55], v[48:49], v[50:51], v[52:53] op_sel_hi:[1,0,1]
	v_pk_fma_f32 v[48:49], v[48:49], v[50:51], v[52:53] neg_lo:[0,0,1] neg_hi:[0,0,1]
	s_delay_alu instid0(VALU_DEP_2)
	v_mov_b32_e32 v49, v55
	scratch_store_b64 off, v[48:49], off offset:24
.LBB85_185:
	s_wait_xcnt 0x0
	s_or_b32 exec_lo, exec_lo, s9
	scratch_load_b64 v[48:49], off, off offset:16
	v_cmp_lt_u32_e64 s2, 2, v0
	s_wait_loadcnt 0x0
	ds_store_b64 v1, v[48:49]
	s_wait_storecnt_dscnt 0x0
	s_barrier_signal -1
	s_barrier_wait -1
	s_wait_xcnt 0x0
	s_and_saveexec_b32 s0, s2
	s_cbranch_execz .LBB85_195
; %bb.186:
	s_and_not1_b32 vcc_lo, exec_lo, s3
	s_cbranch_vccnz .LBB85_188
; %bb.187:
	scratch_load_b64 v[48:49], v47, off
	ds_load_b64 v[50:51], v1
	s_wait_loadcnt_dscnt 0x0
	v_pk_mul_f32 v[52:53], v[50:51], v[48:49] op_sel:[1,1] op_sel_hi:[0,1]
	s_delay_alu instid0(VALU_DEP_1) | instskip(SKIP_1) | instid1(VALU_DEP_2)
	v_pk_fma_f32 v[54:55], v[50:51], v[48:49], v[52:53] op_sel_hi:[1,0,1]
	v_pk_fma_f32 v[48:49], v[50:51], v[48:49], v[52:53] neg_lo:[0,0,1] neg_hi:[0,0,1]
	v_mov_b32_e32 v49, v55
	s_cbranch_execz .LBB85_189
	s_branch .LBB85_190
.LBB85_188:
                                        ; implicit-def: $vgpr48_vgpr49
.LBB85_189:
	ds_load_b64 v[48:49], v1
.LBB85_190:
	s_and_saveexec_b32 s9, s1
	s_cbranch_execz .LBB85_194
; %bb.191:
	v_add_nc_u32_e32 v50, -3, v0
	s_movk_i32 s10, 0xc8
	s_mov_b32 s1, 0
.LBB85_192:                             ; =>This Inner Loop Header: Depth=1
	scratch_load_b64 v[52:53], off, s8
	v_dual_mov_b32 v51, s10 :: v_dual_add_nc_u32 v50, -1, v50
	s_add_co_i32 s10, s10, 8
	s_wait_xcnt 0x0
	s_add_co_i32 s8, s8, 8
	ds_load_b64 v[54:55], v51
	v_cmp_eq_u32_e32 vcc_lo, 0, v50
	s_or_b32 s1, vcc_lo, s1
	s_wait_loadcnt_dscnt 0x0
	v_pk_mul_f32 v[56:57], v[54:55], v[52:53] op_sel:[1,1] op_sel_hi:[0,1]
	s_delay_alu instid0(VALU_DEP_1) | instskip(SKIP_1) | instid1(VALU_DEP_2)
	v_pk_fma_f32 v[58:59], v[54:55], v[52:53], v[56:57] op_sel_hi:[1,0,1]
	v_pk_fma_f32 v[52:53], v[54:55], v[52:53], v[56:57] neg_lo:[0,0,1] neg_hi:[0,0,1]
	v_mov_b32_e32 v53, v59
	s_delay_alu instid0(VALU_DEP_1)
	v_pk_add_f32 v[48:49], v[48:49], v[52:53]
	s_and_not1_b32 exec_lo, exec_lo, s1
	s_cbranch_execnz .LBB85_192
; %bb.193:
	s_or_b32 exec_lo, exec_lo, s1
.LBB85_194:
	s_delay_alu instid0(SALU_CYCLE_1) | instskip(SKIP_4) | instid1(VALU_DEP_1)
	s_or_b32 exec_lo, exec_lo, s9
	v_mov_b32_e32 v50, 0
	ds_load_b64 v[50:51], v50 offset:16
	s_wait_dscnt 0x0
	v_pk_mul_f32 v[52:53], v[48:49], v[50:51] op_sel:[1,1] op_sel_hi:[0,1]
	v_pk_fma_f32 v[54:55], v[48:49], v[50:51], v[52:53] op_sel_hi:[1,0,1]
	v_pk_fma_f32 v[48:49], v[48:49], v[50:51], v[52:53] neg_lo:[0,0,1] neg_hi:[0,0,1]
	s_delay_alu instid0(VALU_DEP_2)
	v_mov_b32_e32 v49, v55
	scratch_store_b64 off, v[48:49], off offset:16
.LBB85_195:
	s_wait_xcnt 0x0
	s_or_b32 exec_lo, exec_lo, s0
	scratch_load_b64 v[48:49], off, off offset:8
	v_cmp_lt_u32_e64 s0, 1, v0
	s_wait_loadcnt 0x0
	ds_store_b64 v1, v[48:49]
	s_wait_storecnt_dscnt 0x0
	s_barrier_signal -1
	s_barrier_wait -1
	s_wait_xcnt 0x0
	s_and_saveexec_b32 s1, s0
	s_cbranch_execz .LBB85_205
; %bb.196:
	s_and_not1_b32 vcc_lo, exec_lo, s3
	s_cbranch_vccnz .LBB85_198
; %bb.197:
	scratch_load_b64 v[48:49], v47, off
	ds_load_b64 v[50:51], v1
	s_wait_loadcnt_dscnt 0x0
	v_pk_mul_f32 v[52:53], v[50:51], v[48:49] op_sel:[1,1] op_sel_hi:[0,1]
	s_delay_alu instid0(VALU_DEP_1) | instskip(SKIP_1) | instid1(VALU_DEP_2)
	v_pk_fma_f32 v[54:55], v[50:51], v[48:49], v[52:53] op_sel_hi:[1,0,1]
	v_pk_fma_f32 v[48:49], v[50:51], v[48:49], v[52:53] neg_lo:[0,0,1] neg_hi:[0,0,1]
	v_mov_b32_e32 v49, v55
	s_cbranch_execz .LBB85_199
	s_branch .LBB85_200
.LBB85_198:
                                        ; implicit-def: $vgpr48_vgpr49
.LBB85_199:
	ds_load_b64 v[48:49], v1
.LBB85_200:
	s_and_saveexec_b32 s8, s2
	s_cbranch_execz .LBB85_204
; %bb.201:
	v_add_nc_u32_e32 v50, -2, v0
	s_movk_i32 s9, 0xc0
	s_mov_b32 s2, 0
.LBB85_202:                             ; =>This Inner Loop Header: Depth=1
	scratch_load_b64 v[52:53], off, s5
	v_dual_mov_b32 v51, s9 :: v_dual_add_nc_u32 v50, -1, v50
	s_add_co_i32 s9, s9, 8
	s_wait_xcnt 0x0
	s_add_co_i32 s5, s5, 8
	ds_load_b64 v[54:55], v51
	v_cmp_eq_u32_e32 vcc_lo, 0, v50
	s_or_b32 s2, vcc_lo, s2
	s_wait_loadcnt_dscnt 0x0
	v_pk_mul_f32 v[56:57], v[54:55], v[52:53] op_sel:[1,1] op_sel_hi:[0,1]
	s_delay_alu instid0(VALU_DEP_1) | instskip(SKIP_1) | instid1(VALU_DEP_2)
	v_pk_fma_f32 v[58:59], v[54:55], v[52:53], v[56:57] op_sel_hi:[1,0,1]
	v_pk_fma_f32 v[52:53], v[54:55], v[52:53], v[56:57] neg_lo:[0,0,1] neg_hi:[0,0,1]
	v_mov_b32_e32 v53, v59
	s_delay_alu instid0(VALU_DEP_1)
	v_pk_add_f32 v[48:49], v[48:49], v[52:53]
	s_and_not1_b32 exec_lo, exec_lo, s2
	s_cbranch_execnz .LBB85_202
; %bb.203:
	s_or_b32 exec_lo, exec_lo, s2
.LBB85_204:
	s_delay_alu instid0(SALU_CYCLE_1) | instskip(SKIP_4) | instid1(VALU_DEP_1)
	s_or_b32 exec_lo, exec_lo, s8
	v_mov_b32_e32 v50, 0
	ds_load_b64 v[50:51], v50 offset:8
	s_wait_dscnt 0x0
	v_pk_mul_f32 v[52:53], v[48:49], v[50:51] op_sel:[1,1] op_sel_hi:[0,1]
	v_pk_fma_f32 v[54:55], v[48:49], v[50:51], v[52:53] op_sel_hi:[1,0,1]
	v_pk_fma_f32 v[48:49], v[48:49], v[50:51], v[52:53] neg_lo:[0,0,1] neg_hi:[0,0,1]
	s_delay_alu instid0(VALU_DEP_2)
	v_mov_b32_e32 v49, v55
	scratch_store_b64 off, v[48:49], off offset:8
.LBB85_205:
	s_wait_xcnt 0x0
	s_or_b32 exec_lo, exec_lo, s1
	scratch_load_b64 v[48:49], off, off
	s_mov_b32 s2, 0
	s_mov_b32 s1, 0
	s_mov_b32 s5, exec_lo
                                        ; implicit-def: $vgpr64
                                        ; implicit-def: $sgpr8
	s_wait_loadcnt 0x0
	ds_store_b64 v1, v[48:49]
	s_wait_storecnt_dscnt 0x0
	s_barrier_signal -1
	s_barrier_wait -1
	s_wait_xcnt 0x0
	v_cmpx_ne_u32_e32 0, v0
	s_cbranch_execz .LBB85_215
; %bb.206:
	s_and_not1_b32 vcc_lo, exec_lo, s3
	s_cbranch_vccnz .LBB85_208
; %bb.207:
	scratch_load_b64 v[50:51], v47, off
	ds_load_b64 v[52:53], v1
	s_wait_loadcnt_dscnt 0x0
	v_dual_mul_f32 v48, v53, v51 :: v_dual_mul_f32 v49, v52, v51
	s_delay_alu instid0(VALU_DEP_1)
	v_dual_fma_f32 v48, v52, v50, -v48 :: v_dual_fmac_f32 v49, v53, v50
	s_and_not1_b32 vcc_lo, exec_lo, s1
	s_cbranch_vccz .LBB85_209
	s_branch .LBB85_210
.LBB85_208:
                                        ; implicit-def: $vgpr48
.LBB85_209:
	ds_load_b64 v[48:49], v1
.LBB85_210:
	s_and_saveexec_b32 s1, s0
	s_cbranch_execz .LBB85_214
; %bb.211:
	v_add_nc_u32_e32 v50, -1, v0
	s_movk_i32 s8, 0xb8
	s_mov_b32 s0, 0
.LBB85_212:                             ; =>This Inner Loop Header: Depth=1
	scratch_load_b64 v[52:53], off, s4
	v_mov_b32_e32 v51, s8
	s_add_co_i32 s8, s8, 8
	s_wait_xcnt 0x0
	s_add_co_i32 s4, s4, 8
	v_add_nc_u32_e32 v50, -1, v50
	ds_load_b64 v[54:55], v51
	v_cmp_eq_u32_e32 vcc_lo, 0, v50
	s_or_b32 s0, vcc_lo, s0
	s_wait_loadcnt_dscnt 0x0
	v_dual_mul_f32 v51, v55, v53 :: v_dual_mul_f32 v53, v54, v53
	s_delay_alu instid0(VALU_DEP_1) | instskip(NEXT) | instid1(VALU_DEP_1)
	v_dual_fma_f32 v51, v54, v52, -v51 :: v_dual_fmac_f32 v53, v55, v52
	v_dual_add_f32 v48, v48, v51 :: v_dual_add_f32 v49, v49, v53
	s_and_not1_b32 exec_lo, exec_lo, s0
	s_cbranch_execnz .LBB85_212
; %bb.213:
	s_or_b32 exec_lo, exec_lo, s0
.LBB85_214:
	s_delay_alu instid0(SALU_CYCLE_1)
	s_or_b32 exec_lo, exec_lo, s1
	v_mov_b32_e32 v50, 0
	s_mov_b32 s1, exec_lo
	s_or_b32 s8, 0, 4
	ds_load_b64 v[50:51], v50
	s_wait_dscnt 0x0
	v_dual_mul_f32 v52, v49, v51 :: v_dual_mul_f32 v64, v48, v51
	s_delay_alu instid0(VALU_DEP_1) | instskip(NEXT) | instid1(VALU_DEP_2)
	v_fma_f32 v48, v48, v50, -v52
	v_fmac_f32_e32 v64, v49, v50
	scratch_store_b32 off, v48, off
.LBB85_215:
	s_wait_xcnt 0x0
	s_or_b32 exec_lo, exec_lo, s5
	s_delay_alu instid0(SALU_CYCLE_1)
	s_and_b32 vcc_lo, exec_lo, s2
	s_cbranch_vccz .LBB85_421
.LBB85_216:
	scratch_load_b64 v[48:49], off, off offset:8
	v_cmp_eq_u32_e64 s0, 0, v0
	s_wait_loadcnt 0x0
	ds_store_b64 v1, v[48:49]
	s_wait_storecnt_dscnt 0x0
	s_barrier_signal -1
	s_barrier_wait -1
	s_wait_xcnt 0x0
	s_and_saveexec_b32 s2, s0
	s_cbranch_execz .LBB85_222
; %bb.217:
	s_and_b32 vcc_lo, exec_lo, s3
	s_cbranch_vccz .LBB85_219
; %bb.218:
	scratch_load_b64 v[48:49], v47, off
	ds_load_b64 v[50:51], v1
	s_wait_loadcnt_dscnt 0x0
	v_pk_mul_f32 v[52:53], v[50:51], v[48:49] op_sel:[1,1] op_sel_hi:[0,1]
	v_pk_mul_f32 v[54:55], v[50:51], v[48:49] op_sel_hi:[1,0]
	s_delay_alu instid0(VALU_DEP_2) | instskip(NEXT) | instid1(VALU_DEP_2)
	v_pk_fma_f32 v[48:49], v[50:51], v[48:49], v[52:53] op_sel_hi:[1,0,1]
	v_sub_f32_e32 v48, v54, v52
	s_cbranch_execz .LBB85_220
	s_branch .LBB85_221
.LBB85_219:
                                        ; implicit-def: $vgpr49
.LBB85_220:
	ds_load_b64 v[48:49], v1
.LBB85_221:
	s_wait_dscnt 0x0
	v_dual_mov_b32 v50, 0 :: v_dual_mov_b32 v52, v49
	v_mov_b32_e32 v53, v48
	ds_load_b64 v[50:51], v50 offset:8
	s_wait_dscnt 0x0
	v_pk_mul_f32 v[52:53], v[52:53], v[50:51] op_sel:[0,1]
	s_delay_alu instid0(VALU_DEP_1) | instskip(SKIP_1) | instid1(VALU_DEP_2)
	v_pk_fma_f32 v[54:55], v[48:49], v[50:51], v[52:53] op_sel_hi:[1,0,1]
	v_pk_fma_f32 v[48:49], v[48:49], v[50:51], v[52:53] neg_lo:[0,0,1] neg_hi:[0,0,1]
	v_mov_b32_e32 v49, v55
	scratch_store_b64 off, v[48:49], off offset:8
.LBB85_222:
	s_wait_xcnt 0x0
	s_or_b32 exec_lo, exec_lo, s2
	scratch_load_b64 v[48:49], off, off offset:16
	v_cndmask_b32_e64 v50, 0, 1, s3
	s_mov_b32 s2, exec_lo
	s_wait_loadcnt 0x0
	ds_store_b64 v1, v[48:49]
	s_wait_storecnt_dscnt 0x0
	s_barrier_signal -1
	s_barrier_wait -1
	s_wait_xcnt 0x0
	v_cmpx_gt_u32_e32 2, v0
	s_cbranch_execz .LBB85_230
; %bb.223:
	s_and_not1_b32 vcc_lo, exec_lo, s3
	s_cbranch_vccnz .LBB85_225
; %bb.224:
	scratch_load_b64 v[48:49], v47, off
	ds_load_b64 v[52:53], v1
	s_wait_loadcnt_dscnt 0x0
	v_pk_mul_f32 v[54:55], v[52:53], v[48:49] op_sel:[1,1] op_sel_hi:[0,1]
	s_delay_alu instid0(VALU_DEP_1) | instskip(SKIP_1) | instid1(VALU_DEP_2)
	v_pk_fma_f32 v[56:57], v[52:53], v[48:49], v[54:55] op_sel_hi:[1,0,1]
	v_pk_fma_f32 v[48:49], v[52:53], v[48:49], v[54:55] neg_lo:[0,0,1] neg_hi:[0,0,1]
	v_mov_b32_e32 v49, v57
	s_cbranch_execz .LBB85_226
	s_branch .LBB85_227
.LBB85_225:
                                        ; implicit-def: $vgpr48_vgpr49
.LBB85_226:
	ds_load_b64 v[48:49], v1
.LBB85_227:
	s_and_saveexec_b32 s3, s0
	s_cbranch_execz .LBB85_229
; %bb.228:
	scratch_load_b64 v[52:53], off, off offset:8
	v_mov_b32_e32 v51, 0
	ds_load_b64 v[54:55], v51 offset:184
	s_wait_loadcnt_dscnt 0x0
	v_pk_mul_f32 v[56:57], v[54:55], v[52:53] op_sel:[1,1] op_sel_hi:[0,1]
	s_delay_alu instid0(VALU_DEP_1) | instskip(SKIP_1) | instid1(VALU_DEP_2)
	v_pk_fma_f32 v[58:59], v[54:55], v[52:53], v[56:57] op_sel_hi:[1,0,1]
	v_pk_fma_f32 v[52:53], v[54:55], v[52:53], v[56:57] neg_lo:[0,0,1] neg_hi:[0,0,1]
	v_mov_b32_e32 v53, v59
	s_delay_alu instid0(VALU_DEP_1)
	v_pk_add_f32 v[48:49], v[48:49], v[52:53]
.LBB85_229:
	s_or_b32 exec_lo, exec_lo, s3
	v_mov_b32_e32 v51, 0
	ds_load_b64 v[52:53], v51 offset:16
	s_wait_dscnt 0x0
	v_pk_mul_f32 v[54:55], v[48:49], v[52:53] op_sel:[1,1] op_sel_hi:[0,1]
	s_delay_alu instid0(VALU_DEP_1) | instskip(SKIP_1) | instid1(VALU_DEP_2)
	v_pk_fma_f32 v[56:57], v[48:49], v[52:53], v[54:55] op_sel_hi:[1,0,1]
	v_pk_fma_f32 v[48:49], v[48:49], v[52:53], v[54:55] neg_lo:[0,0,1] neg_hi:[0,0,1]
	v_mov_b32_e32 v49, v57
	scratch_store_b64 off, v[48:49], off offset:16
.LBB85_230:
	s_wait_xcnt 0x0
	s_or_b32 exec_lo, exec_lo, s2
	scratch_load_b64 v[48:49], off, off offset:24
	s_mov_b32 s2, exec_lo
	s_wait_loadcnt 0x0
	ds_store_b64 v1, v[48:49]
	s_wait_storecnt_dscnt 0x0
	s_barrier_signal -1
	s_barrier_wait -1
	s_wait_xcnt 0x0
	v_cmpx_gt_u32_e32 3, v0
	s_cbranch_execz .LBB85_240
; %bb.231:
	v_cmp_ne_u32_e32 vcc_lo, 1, v50
	s_cbranch_vccnz .LBB85_233
; %bb.232:
	scratch_load_b64 v[48:49], v47, off
	ds_load_b64 v[52:53], v1
	s_wait_loadcnt_dscnt 0x0
	v_pk_mul_f32 v[54:55], v[52:53], v[48:49] op_sel:[1,1] op_sel_hi:[0,1]
	s_delay_alu instid0(VALU_DEP_1) | instskip(SKIP_1) | instid1(VALU_DEP_2)
	v_pk_fma_f32 v[56:57], v[52:53], v[48:49], v[54:55] op_sel_hi:[1,0,1]
	v_pk_fma_f32 v[48:49], v[52:53], v[48:49], v[54:55] neg_lo:[0,0,1] neg_hi:[0,0,1]
	v_mov_b32_e32 v49, v57
	s_cbranch_execz .LBB85_234
	s_branch .LBB85_235
.LBB85_233:
                                        ; implicit-def: $vgpr48_vgpr49
.LBB85_234:
	ds_load_b64 v[48:49], v1
.LBB85_235:
	s_mov_b32 s3, exec_lo
	v_cmpx_ne_u32_e32 2, v0
	s_cbranch_execz .LBB85_239
; %bb.236:
	scratch_load_b64 v[52:53], v47, off offset:8
	ds_load_b64 v[54:55], v1 offset:8
	s_wait_loadcnt_dscnt 0x0
	v_pk_mul_f32 v[56:57], v[54:55], v[52:53] op_sel:[1,1] op_sel_hi:[0,1]
	s_delay_alu instid0(VALU_DEP_1) | instskip(SKIP_1) | instid1(VALU_DEP_2)
	v_pk_fma_f32 v[58:59], v[54:55], v[52:53], v[56:57] op_sel_hi:[1,0,1]
	v_pk_fma_f32 v[52:53], v[54:55], v[52:53], v[56:57] neg_lo:[0,0,1] neg_hi:[0,0,1]
	v_mov_b32_e32 v53, v59
	s_delay_alu instid0(VALU_DEP_1)
	v_pk_add_f32 v[48:49], v[48:49], v[52:53]
	s_and_saveexec_b32 s4, s0
	s_cbranch_execz .LBB85_238
; %bb.237:
	scratch_load_b64 v[52:53], off, off offset:16
	v_mov_b32_e32 v51, 0
	ds_load_b64 v[54:55], v51 offset:192
	s_wait_loadcnt_dscnt 0x0
	v_pk_mul_f32 v[56:57], v[54:55], v[52:53] op_sel:[1,1] op_sel_hi:[0,1]
	s_delay_alu instid0(VALU_DEP_1) | instskip(SKIP_1) | instid1(VALU_DEP_2)
	v_pk_fma_f32 v[58:59], v[54:55], v[52:53], v[56:57] op_sel_hi:[1,0,1]
	v_pk_fma_f32 v[52:53], v[54:55], v[52:53], v[56:57] neg_lo:[0,0,1] neg_hi:[0,0,1]
	v_mov_b32_e32 v53, v59
	s_delay_alu instid0(VALU_DEP_1)
	v_pk_add_f32 v[48:49], v[48:49], v[52:53]
.LBB85_238:
	s_or_b32 exec_lo, exec_lo, s4
.LBB85_239:
	s_delay_alu instid0(SALU_CYCLE_1) | instskip(SKIP_4) | instid1(VALU_DEP_1)
	s_or_b32 exec_lo, exec_lo, s3
	v_mov_b32_e32 v51, 0
	ds_load_b64 v[52:53], v51 offset:24
	s_wait_dscnt 0x0
	v_pk_mul_f32 v[54:55], v[48:49], v[52:53] op_sel:[1,1] op_sel_hi:[0,1]
	v_pk_fma_f32 v[56:57], v[48:49], v[52:53], v[54:55] op_sel_hi:[1,0,1]
	v_pk_fma_f32 v[48:49], v[48:49], v[52:53], v[54:55] neg_lo:[0,0,1] neg_hi:[0,0,1]
	s_delay_alu instid0(VALU_DEP_2)
	v_mov_b32_e32 v49, v57
	scratch_store_b64 off, v[48:49], off offset:24
.LBB85_240:
	s_wait_xcnt 0x0
	s_or_b32 exec_lo, exec_lo, s2
	scratch_load_b64 v[48:49], off, off offset:32
	s_mov_b32 s0, exec_lo
	s_wait_loadcnt 0x0
	ds_store_b64 v1, v[48:49]
	s_wait_storecnt_dscnt 0x0
	s_barrier_signal -1
	s_barrier_wait -1
	s_wait_xcnt 0x0
	v_cmpx_gt_u32_e32 4, v0
	s_cbranch_execz .LBB85_250
; %bb.241:
	v_cmp_ne_u32_e32 vcc_lo, 1, v50
	s_cbranch_vccnz .LBB85_243
; %bb.242:
	scratch_load_b64 v[48:49], v47, off
	ds_load_b64 v[52:53], v1
	s_wait_loadcnt_dscnt 0x0
	v_pk_mul_f32 v[54:55], v[52:53], v[48:49] op_sel:[1,1] op_sel_hi:[0,1]
	s_delay_alu instid0(VALU_DEP_1) | instskip(SKIP_1) | instid1(VALU_DEP_2)
	v_pk_fma_f32 v[56:57], v[52:53], v[48:49], v[54:55] op_sel_hi:[1,0,1]
	v_pk_fma_f32 v[48:49], v[52:53], v[48:49], v[54:55] neg_lo:[0,0,1] neg_hi:[0,0,1]
	v_mov_b32_e32 v49, v57
	s_cbranch_execz .LBB85_244
	s_branch .LBB85_245
.LBB85_243:
                                        ; implicit-def: $vgpr48_vgpr49
.LBB85_244:
	ds_load_b64 v[48:49], v1
.LBB85_245:
	s_mov_b32 s2, exec_lo
	v_cmpx_ne_u32_e32 3, v0
	s_cbranch_execz .LBB85_249
; %bb.246:
	v_add_nc_u32_e32 v51, 0xb8, v46
	v_add3_u32 v52, 0, v46, 8
	v_mov_b32_e32 v53, v0
	s_mov_b32 s3, 0
.LBB85_247:                             ; =>This Inner Loop Header: Depth=1
	scratch_load_b64 v[54:55], v52, off
	ds_load_b64 v[56:57], v51
	s_wait_xcnt 0x0
	v_dual_add_nc_u32 v51, 8, v51 :: v_dual_add_nc_u32 v52, 8, v52
	s_wait_loadcnt_dscnt 0x0
	v_pk_mul_f32 v[58:59], v[56:57], v[54:55] op_sel:[1,1] op_sel_hi:[0,1]
	s_delay_alu instid0(VALU_DEP_1) | instskip(SKIP_2) | instid1(VALU_DEP_3)
	v_pk_fma_f32 v[60:61], v[56:57], v[54:55], v[58:59] op_sel_hi:[1,0,1]
	v_add_nc_u32_e32 v53, 1, v53
	v_pk_fma_f32 v[54:55], v[56:57], v[54:55], v[58:59] neg_lo:[0,0,1] neg_hi:[0,0,1]
	v_mov_b32_e32 v55, v61
	s_delay_alu instid0(VALU_DEP_3) | instskip(NEXT) | instid1(VALU_DEP_2)
	v_cmp_lt_u32_e32 vcc_lo, 2, v53
	v_pk_add_f32 v[48:49], v[48:49], v[54:55]
	s_or_b32 s3, vcc_lo, s3
	s_delay_alu instid0(SALU_CYCLE_1)
	s_and_not1_b32 exec_lo, exec_lo, s3
	s_cbranch_execnz .LBB85_247
; %bb.248:
	s_or_b32 exec_lo, exec_lo, s3
.LBB85_249:
	s_delay_alu instid0(SALU_CYCLE_1) | instskip(SKIP_4) | instid1(VALU_DEP_1)
	s_or_b32 exec_lo, exec_lo, s2
	v_mov_b32_e32 v51, 0
	ds_load_b64 v[52:53], v51 offset:32
	s_wait_dscnt 0x0
	v_pk_mul_f32 v[54:55], v[48:49], v[52:53] op_sel:[1,1] op_sel_hi:[0,1]
	v_pk_fma_f32 v[56:57], v[48:49], v[52:53], v[54:55] op_sel_hi:[1,0,1]
	v_pk_fma_f32 v[48:49], v[48:49], v[52:53], v[54:55] neg_lo:[0,0,1] neg_hi:[0,0,1]
	s_delay_alu instid0(VALU_DEP_2)
	v_mov_b32_e32 v49, v57
	scratch_store_b64 off, v[48:49], off offset:32
.LBB85_250:
	s_wait_xcnt 0x0
	s_or_b32 exec_lo, exec_lo, s0
	scratch_load_b64 v[48:49], off, off offset:40
	s_mov_b32 s0, exec_lo
	s_wait_loadcnt 0x0
	ds_store_b64 v1, v[48:49]
	s_wait_storecnt_dscnt 0x0
	s_barrier_signal -1
	s_barrier_wait -1
	s_wait_xcnt 0x0
	v_cmpx_gt_u32_e32 5, v0
	s_cbranch_execz .LBB85_260
; %bb.251:
	v_cmp_ne_u32_e32 vcc_lo, 1, v50
	s_cbranch_vccnz .LBB85_253
; %bb.252:
	scratch_load_b64 v[48:49], v47, off
	ds_load_b64 v[52:53], v1
	s_wait_loadcnt_dscnt 0x0
	v_pk_mul_f32 v[54:55], v[52:53], v[48:49] op_sel:[1,1] op_sel_hi:[0,1]
	s_delay_alu instid0(VALU_DEP_1) | instskip(SKIP_1) | instid1(VALU_DEP_2)
	v_pk_fma_f32 v[56:57], v[52:53], v[48:49], v[54:55] op_sel_hi:[1,0,1]
	v_pk_fma_f32 v[48:49], v[52:53], v[48:49], v[54:55] neg_lo:[0,0,1] neg_hi:[0,0,1]
	v_mov_b32_e32 v49, v57
	s_cbranch_execz .LBB85_254
	s_branch .LBB85_255
.LBB85_253:
                                        ; implicit-def: $vgpr48_vgpr49
.LBB85_254:
	ds_load_b64 v[48:49], v1
.LBB85_255:
	s_mov_b32 s2, exec_lo
	v_cmpx_ne_u32_e32 4, v0
	s_cbranch_execz .LBB85_259
; %bb.256:
	v_add_nc_u32_e32 v51, 0xb8, v46
	v_add3_u32 v52, 0, v46, 8
	v_mov_b32_e32 v53, v0
	s_mov_b32 s3, 0
.LBB85_257:                             ; =>This Inner Loop Header: Depth=1
	scratch_load_b64 v[54:55], v52, off
	ds_load_b64 v[56:57], v51
	s_wait_xcnt 0x0
	v_dual_add_nc_u32 v51, 8, v51 :: v_dual_add_nc_u32 v52, 8, v52
	s_wait_loadcnt_dscnt 0x0
	v_pk_mul_f32 v[58:59], v[56:57], v[54:55] op_sel:[1,1] op_sel_hi:[0,1]
	s_delay_alu instid0(VALU_DEP_1) | instskip(SKIP_2) | instid1(VALU_DEP_3)
	v_pk_fma_f32 v[60:61], v[56:57], v[54:55], v[58:59] op_sel_hi:[1,0,1]
	v_add_nc_u32_e32 v53, 1, v53
	v_pk_fma_f32 v[54:55], v[56:57], v[54:55], v[58:59] neg_lo:[0,0,1] neg_hi:[0,0,1]
	v_mov_b32_e32 v55, v61
	s_delay_alu instid0(VALU_DEP_3) | instskip(NEXT) | instid1(VALU_DEP_2)
	v_cmp_lt_u32_e32 vcc_lo, 3, v53
	v_pk_add_f32 v[48:49], v[48:49], v[54:55]
	s_or_b32 s3, vcc_lo, s3
	s_delay_alu instid0(SALU_CYCLE_1)
	s_and_not1_b32 exec_lo, exec_lo, s3
	s_cbranch_execnz .LBB85_257
; %bb.258:
	s_or_b32 exec_lo, exec_lo, s3
.LBB85_259:
	s_delay_alu instid0(SALU_CYCLE_1) | instskip(SKIP_4) | instid1(VALU_DEP_1)
	s_or_b32 exec_lo, exec_lo, s2
	v_mov_b32_e32 v51, 0
	ds_load_b64 v[52:53], v51 offset:40
	s_wait_dscnt 0x0
	v_pk_mul_f32 v[54:55], v[48:49], v[52:53] op_sel:[1,1] op_sel_hi:[0,1]
	v_pk_fma_f32 v[56:57], v[48:49], v[52:53], v[54:55] op_sel_hi:[1,0,1]
	v_pk_fma_f32 v[48:49], v[48:49], v[52:53], v[54:55] neg_lo:[0,0,1] neg_hi:[0,0,1]
	s_delay_alu instid0(VALU_DEP_2)
	v_mov_b32_e32 v49, v57
	scratch_store_b64 off, v[48:49], off offset:40
.LBB85_260:
	s_wait_xcnt 0x0
	s_or_b32 exec_lo, exec_lo, s0
	scratch_load_b64 v[48:49], off, off offset:48
	s_mov_b32 s0, exec_lo
	s_wait_loadcnt 0x0
	ds_store_b64 v1, v[48:49]
	s_wait_storecnt_dscnt 0x0
	s_barrier_signal -1
	s_barrier_wait -1
	s_wait_xcnt 0x0
	v_cmpx_gt_u32_e32 6, v0
	s_cbranch_execz .LBB85_270
; %bb.261:
	v_cmp_ne_u32_e32 vcc_lo, 1, v50
	s_cbranch_vccnz .LBB85_263
; %bb.262:
	scratch_load_b64 v[48:49], v47, off
	ds_load_b64 v[52:53], v1
	s_wait_loadcnt_dscnt 0x0
	v_pk_mul_f32 v[54:55], v[52:53], v[48:49] op_sel:[1,1] op_sel_hi:[0,1]
	s_delay_alu instid0(VALU_DEP_1) | instskip(SKIP_1) | instid1(VALU_DEP_2)
	v_pk_fma_f32 v[56:57], v[52:53], v[48:49], v[54:55] op_sel_hi:[1,0,1]
	v_pk_fma_f32 v[48:49], v[52:53], v[48:49], v[54:55] neg_lo:[0,0,1] neg_hi:[0,0,1]
	v_mov_b32_e32 v49, v57
	s_cbranch_execz .LBB85_264
	s_branch .LBB85_265
.LBB85_263:
                                        ; implicit-def: $vgpr48_vgpr49
.LBB85_264:
	ds_load_b64 v[48:49], v1
.LBB85_265:
	s_mov_b32 s2, exec_lo
	v_cmpx_ne_u32_e32 5, v0
	s_cbranch_execz .LBB85_269
; %bb.266:
	v_add_nc_u32_e32 v51, 0xb8, v46
	v_add3_u32 v52, 0, v46, 8
	v_mov_b32_e32 v53, v0
	s_mov_b32 s3, 0
.LBB85_267:                             ; =>This Inner Loop Header: Depth=1
	scratch_load_b64 v[54:55], v52, off
	ds_load_b64 v[56:57], v51
	s_wait_xcnt 0x0
	v_dual_add_nc_u32 v51, 8, v51 :: v_dual_add_nc_u32 v52, 8, v52
	s_wait_loadcnt_dscnt 0x0
	v_pk_mul_f32 v[58:59], v[56:57], v[54:55] op_sel:[1,1] op_sel_hi:[0,1]
	s_delay_alu instid0(VALU_DEP_1) | instskip(SKIP_2) | instid1(VALU_DEP_3)
	v_pk_fma_f32 v[60:61], v[56:57], v[54:55], v[58:59] op_sel_hi:[1,0,1]
	v_add_nc_u32_e32 v53, 1, v53
	v_pk_fma_f32 v[54:55], v[56:57], v[54:55], v[58:59] neg_lo:[0,0,1] neg_hi:[0,0,1]
	v_mov_b32_e32 v55, v61
	s_delay_alu instid0(VALU_DEP_3) | instskip(NEXT) | instid1(VALU_DEP_2)
	v_cmp_lt_u32_e32 vcc_lo, 4, v53
	v_pk_add_f32 v[48:49], v[48:49], v[54:55]
	s_or_b32 s3, vcc_lo, s3
	s_delay_alu instid0(SALU_CYCLE_1)
	s_and_not1_b32 exec_lo, exec_lo, s3
	s_cbranch_execnz .LBB85_267
; %bb.268:
	s_or_b32 exec_lo, exec_lo, s3
.LBB85_269:
	s_delay_alu instid0(SALU_CYCLE_1) | instskip(SKIP_4) | instid1(VALU_DEP_1)
	s_or_b32 exec_lo, exec_lo, s2
	v_mov_b32_e32 v51, 0
	ds_load_b64 v[52:53], v51 offset:48
	s_wait_dscnt 0x0
	v_pk_mul_f32 v[54:55], v[48:49], v[52:53] op_sel:[1,1] op_sel_hi:[0,1]
	v_pk_fma_f32 v[56:57], v[48:49], v[52:53], v[54:55] op_sel_hi:[1,0,1]
	v_pk_fma_f32 v[48:49], v[48:49], v[52:53], v[54:55] neg_lo:[0,0,1] neg_hi:[0,0,1]
	s_delay_alu instid0(VALU_DEP_2)
	v_mov_b32_e32 v49, v57
	scratch_store_b64 off, v[48:49], off offset:48
.LBB85_270:
	s_wait_xcnt 0x0
	s_or_b32 exec_lo, exec_lo, s0
	scratch_load_b64 v[48:49], off, off offset:56
	s_mov_b32 s0, exec_lo
	s_wait_loadcnt 0x0
	ds_store_b64 v1, v[48:49]
	s_wait_storecnt_dscnt 0x0
	s_barrier_signal -1
	s_barrier_wait -1
	s_wait_xcnt 0x0
	v_cmpx_gt_u32_e32 7, v0
	s_cbranch_execz .LBB85_280
; %bb.271:
	v_cmp_ne_u32_e32 vcc_lo, 1, v50
	s_cbranch_vccnz .LBB85_273
; %bb.272:
	scratch_load_b64 v[48:49], v47, off
	ds_load_b64 v[52:53], v1
	s_wait_loadcnt_dscnt 0x0
	v_pk_mul_f32 v[54:55], v[52:53], v[48:49] op_sel:[1,1] op_sel_hi:[0,1]
	s_delay_alu instid0(VALU_DEP_1) | instskip(SKIP_1) | instid1(VALU_DEP_2)
	v_pk_fma_f32 v[56:57], v[52:53], v[48:49], v[54:55] op_sel_hi:[1,0,1]
	v_pk_fma_f32 v[48:49], v[52:53], v[48:49], v[54:55] neg_lo:[0,0,1] neg_hi:[0,0,1]
	v_mov_b32_e32 v49, v57
	s_cbranch_execz .LBB85_274
	s_branch .LBB85_275
.LBB85_273:
                                        ; implicit-def: $vgpr48_vgpr49
.LBB85_274:
	ds_load_b64 v[48:49], v1
.LBB85_275:
	s_mov_b32 s2, exec_lo
	v_cmpx_ne_u32_e32 6, v0
	s_cbranch_execz .LBB85_279
; %bb.276:
	v_add_nc_u32_e32 v51, 0xb8, v46
	v_add3_u32 v52, 0, v46, 8
	v_mov_b32_e32 v53, v0
	s_mov_b32 s3, 0
.LBB85_277:                             ; =>This Inner Loop Header: Depth=1
	scratch_load_b64 v[54:55], v52, off
	ds_load_b64 v[56:57], v51
	s_wait_xcnt 0x0
	v_dual_add_nc_u32 v51, 8, v51 :: v_dual_add_nc_u32 v52, 8, v52
	s_wait_loadcnt_dscnt 0x0
	v_pk_mul_f32 v[58:59], v[56:57], v[54:55] op_sel:[1,1] op_sel_hi:[0,1]
	s_delay_alu instid0(VALU_DEP_1) | instskip(SKIP_2) | instid1(VALU_DEP_3)
	v_pk_fma_f32 v[60:61], v[56:57], v[54:55], v[58:59] op_sel_hi:[1,0,1]
	v_add_nc_u32_e32 v53, 1, v53
	v_pk_fma_f32 v[54:55], v[56:57], v[54:55], v[58:59] neg_lo:[0,0,1] neg_hi:[0,0,1]
	v_mov_b32_e32 v55, v61
	s_delay_alu instid0(VALU_DEP_3) | instskip(NEXT) | instid1(VALU_DEP_2)
	v_cmp_lt_u32_e32 vcc_lo, 5, v53
	v_pk_add_f32 v[48:49], v[48:49], v[54:55]
	s_or_b32 s3, vcc_lo, s3
	s_delay_alu instid0(SALU_CYCLE_1)
	s_and_not1_b32 exec_lo, exec_lo, s3
	s_cbranch_execnz .LBB85_277
; %bb.278:
	s_or_b32 exec_lo, exec_lo, s3
.LBB85_279:
	s_delay_alu instid0(SALU_CYCLE_1) | instskip(SKIP_4) | instid1(VALU_DEP_1)
	s_or_b32 exec_lo, exec_lo, s2
	v_mov_b32_e32 v51, 0
	ds_load_b64 v[52:53], v51 offset:56
	s_wait_dscnt 0x0
	v_pk_mul_f32 v[54:55], v[48:49], v[52:53] op_sel:[1,1] op_sel_hi:[0,1]
	v_pk_fma_f32 v[56:57], v[48:49], v[52:53], v[54:55] op_sel_hi:[1,0,1]
	v_pk_fma_f32 v[48:49], v[48:49], v[52:53], v[54:55] neg_lo:[0,0,1] neg_hi:[0,0,1]
	s_delay_alu instid0(VALU_DEP_2)
	v_mov_b32_e32 v49, v57
	scratch_store_b64 off, v[48:49], off offset:56
.LBB85_280:
	s_wait_xcnt 0x0
	s_or_b32 exec_lo, exec_lo, s0
	scratch_load_b64 v[48:49], off, off offset:64
	s_mov_b32 s0, exec_lo
	s_wait_loadcnt 0x0
	ds_store_b64 v1, v[48:49]
	s_wait_storecnt_dscnt 0x0
	s_barrier_signal -1
	s_barrier_wait -1
	s_wait_xcnt 0x0
	v_cmpx_gt_u32_e32 8, v0
	s_cbranch_execz .LBB85_290
; %bb.281:
	v_cmp_ne_u32_e32 vcc_lo, 1, v50
	s_cbranch_vccnz .LBB85_283
; %bb.282:
	scratch_load_b64 v[48:49], v47, off
	ds_load_b64 v[52:53], v1
	s_wait_loadcnt_dscnt 0x0
	v_pk_mul_f32 v[54:55], v[52:53], v[48:49] op_sel:[1,1] op_sel_hi:[0,1]
	s_delay_alu instid0(VALU_DEP_1) | instskip(SKIP_1) | instid1(VALU_DEP_2)
	v_pk_fma_f32 v[56:57], v[52:53], v[48:49], v[54:55] op_sel_hi:[1,0,1]
	v_pk_fma_f32 v[48:49], v[52:53], v[48:49], v[54:55] neg_lo:[0,0,1] neg_hi:[0,0,1]
	v_mov_b32_e32 v49, v57
	s_cbranch_execz .LBB85_284
	s_branch .LBB85_285
.LBB85_283:
                                        ; implicit-def: $vgpr48_vgpr49
.LBB85_284:
	ds_load_b64 v[48:49], v1
.LBB85_285:
	s_mov_b32 s2, exec_lo
	v_cmpx_ne_u32_e32 7, v0
	s_cbranch_execz .LBB85_289
; %bb.286:
	v_add_nc_u32_e32 v51, 0xb8, v46
	v_add3_u32 v52, 0, v46, 8
	v_mov_b32_e32 v53, v0
	s_mov_b32 s3, 0
.LBB85_287:                             ; =>This Inner Loop Header: Depth=1
	scratch_load_b64 v[54:55], v52, off
	ds_load_b64 v[56:57], v51
	s_wait_xcnt 0x0
	v_dual_add_nc_u32 v51, 8, v51 :: v_dual_add_nc_u32 v52, 8, v52
	s_wait_loadcnt_dscnt 0x0
	v_pk_mul_f32 v[58:59], v[56:57], v[54:55] op_sel:[1,1] op_sel_hi:[0,1]
	s_delay_alu instid0(VALU_DEP_1) | instskip(SKIP_2) | instid1(VALU_DEP_3)
	v_pk_fma_f32 v[60:61], v[56:57], v[54:55], v[58:59] op_sel_hi:[1,0,1]
	v_add_nc_u32_e32 v53, 1, v53
	v_pk_fma_f32 v[54:55], v[56:57], v[54:55], v[58:59] neg_lo:[0,0,1] neg_hi:[0,0,1]
	v_mov_b32_e32 v55, v61
	s_delay_alu instid0(VALU_DEP_3) | instskip(NEXT) | instid1(VALU_DEP_2)
	v_cmp_lt_u32_e32 vcc_lo, 6, v53
	v_pk_add_f32 v[48:49], v[48:49], v[54:55]
	s_or_b32 s3, vcc_lo, s3
	s_delay_alu instid0(SALU_CYCLE_1)
	s_and_not1_b32 exec_lo, exec_lo, s3
	s_cbranch_execnz .LBB85_287
; %bb.288:
	s_or_b32 exec_lo, exec_lo, s3
.LBB85_289:
	s_delay_alu instid0(SALU_CYCLE_1) | instskip(SKIP_4) | instid1(VALU_DEP_1)
	s_or_b32 exec_lo, exec_lo, s2
	v_mov_b32_e32 v51, 0
	ds_load_b64 v[52:53], v51 offset:64
	s_wait_dscnt 0x0
	v_pk_mul_f32 v[54:55], v[48:49], v[52:53] op_sel:[1,1] op_sel_hi:[0,1]
	v_pk_fma_f32 v[56:57], v[48:49], v[52:53], v[54:55] op_sel_hi:[1,0,1]
	v_pk_fma_f32 v[48:49], v[48:49], v[52:53], v[54:55] neg_lo:[0,0,1] neg_hi:[0,0,1]
	s_delay_alu instid0(VALU_DEP_2)
	v_mov_b32_e32 v49, v57
	scratch_store_b64 off, v[48:49], off offset:64
.LBB85_290:
	s_wait_xcnt 0x0
	s_or_b32 exec_lo, exec_lo, s0
	scratch_load_b64 v[48:49], off, off offset:72
	s_mov_b32 s0, exec_lo
	s_wait_loadcnt 0x0
	ds_store_b64 v1, v[48:49]
	s_wait_storecnt_dscnt 0x0
	s_barrier_signal -1
	s_barrier_wait -1
	s_wait_xcnt 0x0
	v_cmpx_gt_u32_e32 9, v0
	s_cbranch_execz .LBB85_300
; %bb.291:
	v_cmp_ne_u32_e32 vcc_lo, 1, v50
	s_cbranch_vccnz .LBB85_293
; %bb.292:
	scratch_load_b64 v[48:49], v47, off
	ds_load_b64 v[52:53], v1
	s_wait_loadcnt_dscnt 0x0
	v_pk_mul_f32 v[54:55], v[52:53], v[48:49] op_sel:[1,1] op_sel_hi:[0,1]
	s_delay_alu instid0(VALU_DEP_1) | instskip(SKIP_1) | instid1(VALU_DEP_2)
	v_pk_fma_f32 v[56:57], v[52:53], v[48:49], v[54:55] op_sel_hi:[1,0,1]
	v_pk_fma_f32 v[48:49], v[52:53], v[48:49], v[54:55] neg_lo:[0,0,1] neg_hi:[0,0,1]
	v_mov_b32_e32 v49, v57
	s_cbranch_execz .LBB85_294
	s_branch .LBB85_295
.LBB85_293:
                                        ; implicit-def: $vgpr48_vgpr49
.LBB85_294:
	ds_load_b64 v[48:49], v1
.LBB85_295:
	s_mov_b32 s2, exec_lo
	v_cmpx_ne_u32_e32 8, v0
	s_cbranch_execz .LBB85_299
; %bb.296:
	v_add_nc_u32_e32 v51, 0xb8, v46
	v_add3_u32 v52, 0, v46, 8
	v_mov_b32_e32 v53, v0
	s_mov_b32 s3, 0
.LBB85_297:                             ; =>This Inner Loop Header: Depth=1
	scratch_load_b64 v[54:55], v52, off
	ds_load_b64 v[56:57], v51
	s_wait_xcnt 0x0
	v_dual_add_nc_u32 v51, 8, v51 :: v_dual_add_nc_u32 v52, 8, v52
	s_wait_loadcnt_dscnt 0x0
	v_pk_mul_f32 v[58:59], v[56:57], v[54:55] op_sel:[1,1] op_sel_hi:[0,1]
	s_delay_alu instid0(VALU_DEP_1) | instskip(SKIP_2) | instid1(VALU_DEP_3)
	v_pk_fma_f32 v[60:61], v[56:57], v[54:55], v[58:59] op_sel_hi:[1,0,1]
	v_add_nc_u32_e32 v53, 1, v53
	v_pk_fma_f32 v[54:55], v[56:57], v[54:55], v[58:59] neg_lo:[0,0,1] neg_hi:[0,0,1]
	v_mov_b32_e32 v55, v61
	s_delay_alu instid0(VALU_DEP_3) | instskip(NEXT) | instid1(VALU_DEP_2)
	v_cmp_lt_u32_e32 vcc_lo, 7, v53
	v_pk_add_f32 v[48:49], v[48:49], v[54:55]
	s_or_b32 s3, vcc_lo, s3
	s_delay_alu instid0(SALU_CYCLE_1)
	s_and_not1_b32 exec_lo, exec_lo, s3
	s_cbranch_execnz .LBB85_297
; %bb.298:
	s_or_b32 exec_lo, exec_lo, s3
.LBB85_299:
	s_delay_alu instid0(SALU_CYCLE_1) | instskip(SKIP_4) | instid1(VALU_DEP_1)
	s_or_b32 exec_lo, exec_lo, s2
	v_mov_b32_e32 v51, 0
	ds_load_b64 v[52:53], v51 offset:72
	s_wait_dscnt 0x0
	v_pk_mul_f32 v[54:55], v[48:49], v[52:53] op_sel:[1,1] op_sel_hi:[0,1]
	v_pk_fma_f32 v[56:57], v[48:49], v[52:53], v[54:55] op_sel_hi:[1,0,1]
	v_pk_fma_f32 v[48:49], v[48:49], v[52:53], v[54:55] neg_lo:[0,0,1] neg_hi:[0,0,1]
	s_delay_alu instid0(VALU_DEP_2)
	v_mov_b32_e32 v49, v57
	scratch_store_b64 off, v[48:49], off offset:72
.LBB85_300:
	s_wait_xcnt 0x0
	s_or_b32 exec_lo, exec_lo, s0
	scratch_load_b64 v[48:49], off, off offset:80
	s_mov_b32 s0, exec_lo
	s_wait_loadcnt 0x0
	ds_store_b64 v1, v[48:49]
	s_wait_storecnt_dscnt 0x0
	s_barrier_signal -1
	s_barrier_wait -1
	s_wait_xcnt 0x0
	v_cmpx_gt_u32_e32 10, v0
	s_cbranch_execz .LBB85_310
; %bb.301:
	v_cmp_ne_u32_e32 vcc_lo, 1, v50
	s_cbranch_vccnz .LBB85_303
; %bb.302:
	scratch_load_b64 v[48:49], v47, off
	ds_load_b64 v[52:53], v1
	s_wait_loadcnt_dscnt 0x0
	v_pk_mul_f32 v[54:55], v[52:53], v[48:49] op_sel:[1,1] op_sel_hi:[0,1]
	s_delay_alu instid0(VALU_DEP_1) | instskip(SKIP_1) | instid1(VALU_DEP_2)
	v_pk_fma_f32 v[56:57], v[52:53], v[48:49], v[54:55] op_sel_hi:[1,0,1]
	v_pk_fma_f32 v[48:49], v[52:53], v[48:49], v[54:55] neg_lo:[0,0,1] neg_hi:[0,0,1]
	v_mov_b32_e32 v49, v57
	s_cbranch_execz .LBB85_304
	s_branch .LBB85_305
.LBB85_303:
                                        ; implicit-def: $vgpr48_vgpr49
.LBB85_304:
	ds_load_b64 v[48:49], v1
.LBB85_305:
	s_mov_b32 s2, exec_lo
	v_cmpx_ne_u32_e32 9, v0
	s_cbranch_execz .LBB85_309
; %bb.306:
	v_add_nc_u32_e32 v51, 0xb8, v46
	v_add3_u32 v52, 0, v46, 8
	v_mov_b32_e32 v53, v0
	s_mov_b32 s3, 0
.LBB85_307:                             ; =>This Inner Loop Header: Depth=1
	scratch_load_b64 v[54:55], v52, off
	ds_load_b64 v[56:57], v51
	s_wait_xcnt 0x0
	v_dual_add_nc_u32 v51, 8, v51 :: v_dual_add_nc_u32 v52, 8, v52
	s_wait_loadcnt_dscnt 0x0
	v_pk_mul_f32 v[58:59], v[56:57], v[54:55] op_sel:[1,1] op_sel_hi:[0,1]
	s_delay_alu instid0(VALU_DEP_1) | instskip(SKIP_2) | instid1(VALU_DEP_3)
	v_pk_fma_f32 v[60:61], v[56:57], v[54:55], v[58:59] op_sel_hi:[1,0,1]
	v_add_nc_u32_e32 v53, 1, v53
	v_pk_fma_f32 v[54:55], v[56:57], v[54:55], v[58:59] neg_lo:[0,0,1] neg_hi:[0,0,1]
	v_mov_b32_e32 v55, v61
	s_delay_alu instid0(VALU_DEP_3) | instskip(NEXT) | instid1(VALU_DEP_2)
	v_cmp_lt_u32_e32 vcc_lo, 8, v53
	v_pk_add_f32 v[48:49], v[48:49], v[54:55]
	s_or_b32 s3, vcc_lo, s3
	s_delay_alu instid0(SALU_CYCLE_1)
	s_and_not1_b32 exec_lo, exec_lo, s3
	s_cbranch_execnz .LBB85_307
; %bb.308:
	s_or_b32 exec_lo, exec_lo, s3
.LBB85_309:
	s_delay_alu instid0(SALU_CYCLE_1) | instskip(SKIP_4) | instid1(VALU_DEP_1)
	s_or_b32 exec_lo, exec_lo, s2
	v_mov_b32_e32 v51, 0
	ds_load_b64 v[52:53], v51 offset:80
	s_wait_dscnt 0x0
	v_pk_mul_f32 v[54:55], v[48:49], v[52:53] op_sel:[1,1] op_sel_hi:[0,1]
	v_pk_fma_f32 v[56:57], v[48:49], v[52:53], v[54:55] op_sel_hi:[1,0,1]
	v_pk_fma_f32 v[48:49], v[48:49], v[52:53], v[54:55] neg_lo:[0,0,1] neg_hi:[0,0,1]
	s_delay_alu instid0(VALU_DEP_2)
	v_mov_b32_e32 v49, v57
	scratch_store_b64 off, v[48:49], off offset:80
.LBB85_310:
	s_wait_xcnt 0x0
	s_or_b32 exec_lo, exec_lo, s0
	scratch_load_b64 v[48:49], off, off offset:88
	s_mov_b32 s0, exec_lo
	s_wait_loadcnt 0x0
	ds_store_b64 v1, v[48:49]
	s_wait_storecnt_dscnt 0x0
	s_barrier_signal -1
	s_barrier_wait -1
	s_wait_xcnt 0x0
	v_cmpx_gt_u32_e32 11, v0
	s_cbranch_execz .LBB85_320
; %bb.311:
	v_cmp_ne_u32_e32 vcc_lo, 1, v50
	s_cbranch_vccnz .LBB85_313
; %bb.312:
	scratch_load_b64 v[48:49], v47, off
	ds_load_b64 v[52:53], v1
	s_wait_loadcnt_dscnt 0x0
	v_pk_mul_f32 v[54:55], v[52:53], v[48:49] op_sel:[1,1] op_sel_hi:[0,1]
	s_delay_alu instid0(VALU_DEP_1) | instskip(SKIP_1) | instid1(VALU_DEP_2)
	v_pk_fma_f32 v[56:57], v[52:53], v[48:49], v[54:55] op_sel_hi:[1,0,1]
	v_pk_fma_f32 v[48:49], v[52:53], v[48:49], v[54:55] neg_lo:[0,0,1] neg_hi:[0,0,1]
	v_mov_b32_e32 v49, v57
	s_cbranch_execz .LBB85_314
	s_branch .LBB85_315
.LBB85_313:
                                        ; implicit-def: $vgpr48_vgpr49
.LBB85_314:
	ds_load_b64 v[48:49], v1
.LBB85_315:
	s_mov_b32 s2, exec_lo
	v_cmpx_ne_u32_e32 10, v0
	s_cbranch_execz .LBB85_319
; %bb.316:
	v_add_nc_u32_e32 v51, 0xb8, v46
	v_add3_u32 v52, 0, v46, 8
	v_mov_b32_e32 v53, v0
	s_mov_b32 s3, 0
.LBB85_317:                             ; =>This Inner Loop Header: Depth=1
	scratch_load_b64 v[54:55], v52, off
	ds_load_b64 v[56:57], v51
	s_wait_xcnt 0x0
	v_dual_add_nc_u32 v51, 8, v51 :: v_dual_add_nc_u32 v52, 8, v52
	s_wait_loadcnt_dscnt 0x0
	v_pk_mul_f32 v[58:59], v[56:57], v[54:55] op_sel:[1,1] op_sel_hi:[0,1]
	s_delay_alu instid0(VALU_DEP_1) | instskip(SKIP_2) | instid1(VALU_DEP_3)
	v_pk_fma_f32 v[60:61], v[56:57], v[54:55], v[58:59] op_sel_hi:[1,0,1]
	v_add_nc_u32_e32 v53, 1, v53
	v_pk_fma_f32 v[54:55], v[56:57], v[54:55], v[58:59] neg_lo:[0,0,1] neg_hi:[0,0,1]
	v_mov_b32_e32 v55, v61
	s_delay_alu instid0(VALU_DEP_3) | instskip(NEXT) | instid1(VALU_DEP_2)
	v_cmp_lt_u32_e32 vcc_lo, 9, v53
	v_pk_add_f32 v[48:49], v[48:49], v[54:55]
	s_or_b32 s3, vcc_lo, s3
	s_delay_alu instid0(SALU_CYCLE_1)
	s_and_not1_b32 exec_lo, exec_lo, s3
	s_cbranch_execnz .LBB85_317
; %bb.318:
	s_or_b32 exec_lo, exec_lo, s3
.LBB85_319:
	s_delay_alu instid0(SALU_CYCLE_1) | instskip(SKIP_4) | instid1(VALU_DEP_1)
	s_or_b32 exec_lo, exec_lo, s2
	v_mov_b32_e32 v51, 0
	ds_load_b64 v[52:53], v51 offset:88
	s_wait_dscnt 0x0
	v_pk_mul_f32 v[54:55], v[48:49], v[52:53] op_sel:[1,1] op_sel_hi:[0,1]
	v_pk_fma_f32 v[56:57], v[48:49], v[52:53], v[54:55] op_sel_hi:[1,0,1]
	v_pk_fma_f32 v[48:49], v[48:49], v[52:53], v[54:55] neg_lo:[0,0,1] neg_hi:[0,0,1]
	s_delay_alu instid0(VALU_DEP_2)
	v_mov_b32_e32 v49, v57
	scratch_store_b64 off, v[48:49], off offset:88
.LBB85_320:
	s_wait_xcnt 0x0
	s_or_b32 exec_lo, exec_lo, s0
	scratch_load_b64 v[48:49], off, off offset:96
	s_mov_b32 s0, exec_lo
	s_wait_loadcnt 0x0
	ds_store_b64 v1, v[48:49]
	s_wait_storecnt_dscnt 0x0
	s_barrier_signal -1
	s_barrier_wait -1
	s_wait_xcnt 0x0
	v_cmpx_gt_u32_e32 12, v0
	s_cbranch_execz .LBB85_330
; %bb.321:
	v_cmp_ne_u32_e32 vcc_lo, 1, v50
	s_cbranch_vccnz .LBB85_323
; %bb.322:
	scratch_load_b64 v[48:49], v47, off
	ds_load_b64 v[52:53], v1
	s_wait_loadcnt_dscnt 0x0
	v_pk_mul_f32 v[54:55], v[52:53], v[48:49] op_sel:[1,1] op_sel_hi:[0,1]
	s_delay_alu instid0(VALU_DEP_1) | instskip(SKIP_1) | instid1(VALU_DEP_2)
	v_pk_fma_f32 v[56:57], v[52:53], v[48:49], v[54:55] op_sel_hi:[1,0,1]
	v_pk_fma_f32 v[48:49], v[52:53], v[48:49], v[54:55] neg_lo:[0,0,1] neg_hi:[0,0,1]
	v_mov_b32_e32 v49, v57
	s_cbranch_execz .LBB85_324
	s_branch .LBB85_325
.LBB85_323:
                                        ; implicit-def: $vgpr48_vgpr49
.LBB85_324:
	ds_load_b64 v[48:49], v1
.LBB85_325:
	s_mov_b32 s2, exec_lo
	v_cmpx_ne_u32_e32 11, v0
	s_cbranch_execz .LBB85_329
; %bb.326:
	v_add_nc_u32_e32 v51, 0xb8, v46
	v_add3_u32 v52, 0, v46, 8
	v_mov_b32_e32 v53, v0
	s_mov_b32 s3, 0
.LBB85_327:                             ; =>This Inner Loop Header: Depth=1
	scratch_load_b64 v[54:55], v52, off
	ds_load_b64 v[56:57], v51
	s_wait_xcnt 0x0
	v_dual_add_nc_u32 v51, 8, v51 :: v_dual_add_nc_u32 v52, 8, v52
	s_wait_loadcnt_dscnt 0x0
	v_pk_mul_f32 v[58:59], v[56:57], v[54:55] op_sel:[1,1] op_sel_hi:[0,1]
	s_delay_alu instid0(VALU_DEP_1) | instskip(SKIP_2) | instid1(VALU_DEP_3)
	v_pk_fma_f32 v[60:61], v[56:57], v[54:55], v[58:59] op_sel_hi:[1,0,1]
	v_add_nc_u32_e32 v53, 1, v53
	v_pk_fma_f32 v[54:55], v[56:57], v[54:55], v[58:59] neg_lo:[0,0,1] neg_hi:[0,0,1]
	v_mov_b32_e32 v55, v61
	s_delay_alu instid0(VALU_DEP_3) | instskip(NEXT) | instid1(VALU_DEP_2)
	v_cmp_lt_u32_e32 vcc_lo, 10, v53
	v_pk_add_f32 v[48:49], v[48:49], v[54:55]
	s_or_b32 s3, vcc_lo, s3
	s_delay_alu instid0(SALU_CYCLE_1)
	s_and_not1_b32 exec_lo, exec_lo, s3
	s_cbranch_execnz .LBB85_327
; %bb.328:
	s_or_b32 exec_lo, exec_lo, s3
.LBB85_329:
	s_delay_alu instid0(SALU_CYCLE_1) | instskip(SKIP_4) | instid1(VALU_DEP_1)
	s_or_b32 exec_lo, exec_lo, s2
	v_mov_b32_e32 v51, 0
	ds_load_b64 v[52:53], v51 offset:96
	s_wait_dscnt 0x0
	v_pk_mul_f32 v[54:55], v[48:49], v[52:53] op_sel:[1,1] op_sel_hi:[0,1]
	v_pk_fma_f32 v[56:57], v[48:49], v[52:53], v[54:55] op_sel_hi:[1,0,1]
	v_pk_fma_f32 v[48:49], v[48:49], v[52:53], v[54:55] neg_lo:[0,0,1] neg_hi:[0,0,1]
	s_delay_alu instid0(VALU_DEP_2)
	v_mov_b32_e32 v49, v57
	scratch_store_b64 off, v[48:49], off offset:96
.LBB85_330:
	s_wait_xcnt 0x0
	s_or_b32 exec_lo, exec_lo, s0
	scratch_load_b64 v[48:49], off, off offset:104
	s_mov_b32 s0, exec_lo
	s_wait_loadcnt 0x0
	ds_store_b64 v1, v[48:49]
	s_wait_storecnt_dscnt 0x0
	s_barrier_signal -1
	s_barrier_wait -1
	s_wait_xcnt 0x0
	v_cmpx_gt_u32_e32 13, v0
	s_cbranch_execz .LBB85_340
; %bb.331:
	v_cmp_ne_u32_e32 vcc_lo, 1, v50
	s_cbranch_vccnz .LBB85_333
; %bb.332:
	scratch_load_b64 v[48:49], v47, off
	ds_load_b64 v[52:53], v1
	s_wait_loadcnt_dscnt 0x0
	v_pk_mul_f32 v[54:55], v[52:53], v[48:49] op_sel:[1,1] op_sel_hi:[0,1]
	s_delay_alu instid0(VALU_DEP_1) | instskip(SKIP_1) | instid1(VALU_DEP_2)
	v_pk_fma_f32 v[56:57], v[52:53], v[48:49], v[54:55] op_sel_hi:[1,0,1]
	v_pk_fma_f32 v[48:49], v[52:53], v[48:49], v[54:55] neg_lo:[0,0,1] neg_hi:[0,0,1]
	v_mov_b32_e32 v49, v57
	s_cbranch_execz .LBB85_334
	s_branch .LBB85_335
.LBB85_333:
                                        ; implicit-def: $vgpr48_vgpr49
.LBB85_334:
	ds_load_b64 v[48:49], v1
.LBB85_335:
	s_mov_b32 s2, exec_lo
	v_cmpx_ne_u32_e32 12, v0
	s_cbranch_execz .LBB85_339
; %bb.336:
	v_add_nc_u32_e32 v51, 0xb8, v46
	v_add3_u32 v52, 0, v46, 8
	v_mov_b32_e32 v53, v0
	s_mov_b32 s3, 0
.LBB85_337:                             ; =>This Inner Loop Header: Depth=1
	scratch_load_b64 v[54:55], v52, off
	ds_load_b64 v[56:57], v51
	s_wait_xcnt 0x0
	v_dual_add_nc_u32 v51, 8, v51 :: v_dual_add_nc_u32 v52, 8, v52
	s_wait_loadcnt_dscnt 0x0
	v_pk_mul_f32 v[58:59], v[56:57], v[54:55] op_sel:[1,1] op_sel_hi:[0,1]
	s_delay_alu instid0(VALU_DEP_1) | instskip(SKIP_2) | instid1(VALU_DEP_3)
	v_pk_fma_f32 v[60:61], v[56:57], v[54:55], v[58:59] op_sel_hi:[1,0,1]
	v_add_nc_u32_e32 v53, 1, v53
	v_pk_fma_f32 v[54:55], v[56:57], v[54:55], v[58:59] neg_lo:[0,0,1] neg_hi:[0,0,1]
	v_mov_b32_e32 v55, v61
	s_delay_alu instid0(VALU_DEP_3) | instskip(NEXT) | instid1(VALU_DEP_2)
	v_cmp_lt_u32_e32 vcc_lo, 11, v53
	v_pk_add_f32 v[48:49], v[48:49], v[54:55]
	s_or_b32 s3, vcc_lo, s3
	s_delay_alu instid0(SALU_CYCLE_1)
	s_and_not1_b32 exec_lo, exec_lo, s3
	s_cbranch_execnz .LBB85_337
; %bb.338:
	s_or_b32 exec_lo, exec_lo, s3
.LBB85_339:
	s_delay_alu instid0(SALU_CYCLE_1) | instskip(SKIP_4) | instid1(VALU_DEP_1)
	s_or_b32 exec_lo, exec_lo, s2
	v_mov_b32_e32 v51, 0
	ds_load_b64 v[52:53], v51 offset:104
	s_wait_dscnt 0x0
	v_pk_mul_f32 v[54:55], v[48:49], v[52:53] op_sel:[1,1] op_sel_hi:[0,1]
	v_pk_fma_f32 v[56:57], v[48:49], v[52:53], v[54:55] op_sel_hi:[1,0,1]
	v_pk_fma_f32 v[48:49], v[48:49], v[52:53], v[54:55] neg_lo:[0,0,1] neg_hi:[0,0,1]
	s_delay_alu instid0(VALU_DEP_2)
	v_mov_b32_e32 v49, v57
	scratch_store_b64 off, v[48:49], off offset:104
.LBB85_340:
	s_wait_xcnt 0x0
	s_or_b32 exec_lo, exec_lo, s0
	scratch_load_b64 v[48:49], off, off offset:112
	s_mov_b32 s0, exec_lo
	s_wait_loadcnt 0x0
	ds_store_b64 v1, v[48:49]
	s_wait_storecnt_dscnt 0x0
	s_barrier_signal -1
	s_barrier_wait -1
	s_wait_xcnt 0x0
	v_cmpx_gt_u32_e32 14, v0
	s_cbranch_execz .LBB85_350
; %bb.341:
	v_cmp_ne_u32_e32 vcc_lo, 1, v50
	s_cbranch_vccnz .LBB85_343
; %bb.342:
	scratch_load_b64 v[48:49], v47, off
	ds_load_b64 v[52:53], v1
	s_wait_loadcnt_dscnt 0x0
	v_pk_mul_f32 v[54:55], v[52:53], v[48:49] op_sel:[1,1] op_sel_hi:[0,1]
	s_delay_alu instid0(VALU_DEP_1) | instskip(SKIP_1) | instid1(VALU_DEP_2)
	v_pk_fma_f32 v[56:57], v[52:53], v[48:49], v[54:55] op_sel_hi:[1,0,1]
	v_pk_fma_f32 v[48:49], v[52:53], v[48:49], v[54:55] neg_lo:[0,0,1] neg_hi:[0,0,1]
	v_mov_b32_e32 v49, v57
	s_cbranch_execz .LBB85_344
	s_branch .LBB85_345
.LBB85_343:
                                        ; implicit-def: $vgpr48_vgpr49
.LBB85_344:
	ds_load_b64 v[48:49], v1
.LBB85_345:
	s_mov_b32 s2, exec_lo
	v_cmpx_ne_u32_e32 13, v0
	s_cbranch_execz .LBB85_349
; %bb.346:
	v_add_nc_u32_e32 v51, 0xb8, v46
	v_add3_u32 v52, 0, v46, 8
	v_mov_b32_e32 v53, v0
	s_mov_b32 s3, 0
.LBB85_347:                             ; =>This Inner Loop Header: Depth=1
	scratch_load_b64 v[54:55], v52, off
	ds_load_b64 v[56:57], v51
	s_wait_xcnt 0x0
	v_dual_add_nc_u32 v51, 8, v51 :: v_dual_add_nc_u32 v52, 8, v52
	s_wait_loadcnt_dscnt 0x0
	v_pk_mul_f32 v[58:59], v[56:57], v[54:55] op_sel:[1,1] op_sel_hi:[0,1]
	s_delay_alu instid0(VALU_DEP_1) | instskip(SKIP_2) | instid1(VALU_DEP_3)
	v_pk_fma_f32 v[60:61], v[56:57], v[54:55], v[58:59] op_sel_hi:[1,0,1]
	v_add_nc_u32_e32 v53, 1, v53
	v_pk_fma_f32 v[54:55], v[56:57], v[54:55], v[58:59] neg_lo:[0,0,1] neg_hi:[0,0,1]
	v_mov_b32_e32 v55, v61
	s_delay_alu instid0(VALU_DEP_3) | instskip(NEXT) | instid1(VALU_DEP_2)
	v_cmp_lt_u32_e32 vcc_lo, 12, v53
	v_pk_add_f32 v[48:49], v[48:49], v[54:55]
	s_or_b32 s3, vcc_lo, s3
	s_delay_alu instid0(SALU_CYCLE_1)
	s_and_not1_b32 exec_lo, exec_lo, s3
	s_cbranch_execnz .LBB85_347
; %bb.348:
	s_or_b32 exec_lo, exec_lo, s3
.LBB85_349:
	s_delay_alu instid0(SALU_CYCLE_1) | instskip(SKIP_4) | instid1(VALU_DEP_1)
	s_or_b32 exec_lo, exec_lo, s2
	v_mov_b32_e32 v51, 0
	ds_load_b64 v[52:53], v51 offset:112
	s_wait_dscnt 0x0
	v_pk_mul_f32 v[54:55], v[48:49], v[52:53] op_sel:[1,1] op_sel_hi:[0,1]
	v_pk_fma_f32 v[56:57], v[48:49], v[52:53], v[54:55] op_sel_hi:[1,0,1]
	v_pk_fma_f32 v[48:49], v[48:49], v[52:53], v[54:55] neg_lo:[0,0,1] neg_hi:[0,0,1]
	s_delay_alu instid0(VALU_DEP_2)
	v_mov_b32_e32 v49, v57
	scratch_store_b64 off, v[48:49], off offset:112
.LBB85_350:
	s_wait_xcnt 0x0
	s_or_b32 exec_lo, exec_lo, s0
	scratch_load_b64 v[48:49], off, off offset:120
	s_mov_b32 s0, exec_lo
	s_wait_loadcnt 0x0
	ds_store_b64 v1, v[48:49]
	s_wait_storecnt_dscnt 0x0
	s_barrier_signal -1
	s_barrier_wait -1
	s_wait_xcnt 0x0
	v_cmpx_gt_u32_e32 15, v0
	s_cbranch_execz .LBB85_360
; %bb.351:
	v_cmp_ne_u32_e32 vcc_lo, 1, v50
	s_cbranch_vccnz .LBB85_353
; %bb.352:
	scratch_load_b64 v[48:49], v47, off
	ds_load_b64 v[52:53], v1
	s_wait_loadcnt_dscnt 0x0
	v_pk_mul_f32 v[54:55], v[52:53], v[48:49] op_sel:[1,1] op_sel_hi:[0,1]
	s_delay_alu instid0(VALU_DEP_1) | instskip(SKIP_1) | instid1(VALU_DEP_2)
	v_pk_fma_f32 v[56:57], v[52:53], v[48:49], v[54:55] op_sel_hi:[1,0,1]
	v_pk_fma_f32 v[48:49], v[52:53], v[48:49], v[54:55] neg_lo:[0,0,1] neg_hi:[0,0,1]
	v_mov_b32_e32 v49, v57
	s_cbranch_execz .LBB85_354
	s_branch .LBB85_355
.LBB85_353:
                                        ; implicit-def: $vgpr48_vgpr49
.LBB85_354:
	ds_load_b64 v[48:49], v1
.LBB85_355:
	s_mov_b32 s2, exec_lo
	v_cmpx_ne_u32_e32 14, v0
	s_cbranch_execz .LBB85_359
; %bb.356:
	v_add_nc_u32_e32 v51, 0xb8, v46
	v_add3_u32 v52, 0, v46, 8
	v_mov_b32_e32 v53, v0
	s_mov_b32 s3, 0
.LBB85_357:                             ; =>This Inner Loop Header: Depth=1
	scratch_load_b64 v[54:55], v52, off
	ds_load_b64 v[56:57], v51
	s_wait_xcnt 0x0
	v_dual_add_nc_u32 v51, 8, v51 :: v_dual_add_nc_u32 v52, 8, v52
	s_wait_loadcnt_dscnt 0x0
	v_pk_mul_f32 v[58:59], v[56:57], v[54:55] op_sel:[1,1] op_sel_hi:[0,1]
	s_delay_alu instid0(VALU_DEP_1) | instskip(SKIP_2) | instid1(VALU_DEP_3)
	v_pk_fma_f32 v[60:61], v[56:57], v[54:55], v[58:59] op_sel_hi:[1,0,1]
	v_add_nc_u32_e32 v53, 1, v53
	v_pk_fma_f32 v[54:55], v[56:57], v[54:55], v[58:59] neg_lo:[0,0,1] neg_hi:[0,0,1]
	v_mov_b32_e32 v55, v61
	s_delay_alu instid0(VALU_DEP_3) | instskip(NEXT) | instid1(VALU_DEP_2)
	v_cmp_lt_u32_e32 vcc_lo, 13, v53
	v_pk_add_f32 v[48:49], v[48:49], v[54:55]
	s_or_b32 s3, vcc_lo, s3
	s_delay_alu instid0(SALU_CYCLE_1)
	s_and_not1_b32 exec_lo, exec_lo, s3
	s_cbranch_execnz .LBB85_357
; %bb.358:
	s_or_b32 exec_lo, exec_lo, s3
.LBB85_359:
	s_delay_alu instid0(SALU_CYCLE_1) | instskip(SKIP_4) | instid1(VALU_DEP_1)
	s_or_b32 exec_lo, exec_lo, s2
	v_mov_b32_e32 v51, 0
	ds_load_b64 v[52:53], v51 offset:120
	s_wait_dscnt 0x0
	v_pk_mul_f32 v[54:55], v[48:49], v[52:53] op_sel:[1,1] op_sel_hi:[0,1]
	v_pk_fma_f32 v[56:57], v[48:49], v[52:53], v[54:55] op_sel_hi:[1,0,1]
	v_pk_fma_f32 v[48:49], v[48:49], v[52:53], v[54:55] neg_lo:[0,0,1] neg_hi:[0,0,1]
	s_delay_alu instid0(VALU_DEP_2)
	v_mov_b32_e32 v49, v57
	scratch_store_b64 off, v[48:49], off offset:120
.LBB85_360:
	s_wait_xcnt 0x0
	s_or_b32 exec_lo, exec_lo, s0
	scratch_load_b64 v[48:49], off, off offset:128
	s_mov_b32 s0, exec_lo
	s_wait_loadcnt 0x0
	ds_store_b64 v1, v[48:49]
	s_wait_storecnt_dscnt 0x0
	s_barrier_signal -1
	s_barrier_wait -1
	s_wait_xcnt 0x0
	v_cmpx_gt_u32_e32 16, v0
	s_cbranch_execz .LBB85_370
; %bb.361:
	v_cmp_ne_u32_e32 vcc_lo, 1, v50
	s_cbranch_vccnz .LBB85_363
; %bb.362:
	scratch_load_b64 v[48:49], v47, off
	ds_load_b64 v[52:53], v1
	s_wait_loadcnt_dscnt 0x0
	v_pk_mul_f32 v[54:55], v[52:53], v[48:49] op_sel:[1,1] op_sel_hi:[0,1]
	s_delay_alu instid0(VALU_DEP_1) | instskip(SKIP_1) | instid1(VALU_DEP_2)
	v_pk_fma_f32 v[56:57], v[52:53], v[48:49], v[54:55] op_sel_hi:[1,0,1]
	v_pk_fma_f32 v[48:49], v[52:53], v[48:49], v[54:55] neg_lo:[0,0,1] neg_hi:[0,0,1]
	v_mov_b32_e32 v49, v57
	s_cbranch_execz .LBB85_364
	s_branch .LBB85_365
.LBB85_363:
                                        ; implicit-def: $vgpr48_vgpr49
.LBB85_364:
	ds_load_b64 v[48:49], v1
.LBB85_365:
	s_mov_b32 s2, exec_lo
	v_cmpx_ne_u32_e32 15, v0
	s_cbranch_execz .LBB85_369
; %bb.366:
	v_add_nc_u32_e32 v51, 0xb8, v46
	v_add3_u32 v52, 0, v46, 8
	v_mov_b32_e32 v53, v0
	s_mov_b32 s3, 0
.LBB85_367:                             ; =>This Inner Loop Header: Depth=1
	scratch_load_b64 v[54:55], v52, off
	ds_load_b64 v[56:57], v51
	s_wait_xcnt 0x0
	v_dual_add_nc_u32 v51, 8, v51 :: v_dual_add_nc_u32 v52, 8, v52
	s_wait_loadcnt_dscnt 0x0
	v_pk_mul_f32 v[58:59], v[56:57], v[54:55] op_sel:[1,1] op_sel_hi:[0,1]
	s_delay_alu instid0(VALU_DEP_1) | instskip(SKIP_2) | instid1(VALU_DEP_3)
	v_pk_fma_f32 v[60:61], v[56:57], v[54:55], v[58:59] op_sel_hi:[1,0,1]
	v_add_nc_u32_e32 v53, 1, v53
	v_pk_fma_f32 v[54:55], v[56:57], v[54:55], v[58:59] neg_lo:[0,0,1] neg_hi:[0,0,1]
	v_mov_b32_e32 v55, v61
	s_delay_alu instid0(VALU_DEP_3) | instskip(NEXT) | instid1(VALU_DEP_2)
	v_cmp_lt_u32_e32 vcc_lo, 14, v53
	v_pk_add_f32 v[48:49], v[48:49], v[54:55]
	s_or_b32 s3, vcc_lo, s3
	s_delay_alu instid0(SALU_CYCLE_1)
	s_and_not1_b32 exec_lo, exec_lo, s3
	s_cbranch_execnz .LBB85_367
; %bb.368:
	s_or_b32 exec_lo, exec_lo, s3
.LBB85_369:
	s_delay_alu instid0(SALU_CYCLE_1) | instskip(SKIP_4) | instid1(VALU_DEP_1)
	s_or_b32 exec_lo, exec_lo, s2
	v_mov_b32_e32 v51, 0
	ds_load_b64 v[52:53], v51 offset:128
	s_wait_dscnt 0x0
	v_pk_mul_f32 v[54:55], v[48:49], v[52:53] op_sel:[1,1] op_sel_hi:[0,1]
	v_pk_fma_f32 v[56:57], v[48:49], v[52:53], v[54:55] op_sel_hi:[1,0,1]
	v_pk_fma_f32 v[48:49], v[48:49], v[52:53], v[54:55] neg_lo:[0,0,1] neg_hi:[0,0,1]
	s_delay_alu instid0(VALU_DEP_2)
	v_mov_b32_e32 v49, v57
	scratch_store_b64 off, v[48:49], off offset:128
.LBB85_370:
	s_wait_xcnt 0x0
	s_or_b32 exec_lo, exec_lo, s0
	scratch_load_b64 v[48:49], off, off offset:136
	s_mov_b32 s0, exec_lo
	s_wait_loadcnt 0x0
	ds_store_b64 v1, v[48:49]
	s_wait_storecnt_dscnt 0x0
	s_barrier_signal -1
	s_barrier_wait -1
	s_wait_xcnt 0x0
	v_cmpx_gt_u32_e32 17, v0
	s_cbranch_execz .LBB85_380
; %bb.371:
	v_cmp_ne_u32_e32 vcc_lo, 1, v50
	s_cbranch_vccnz .LBB85_373
; %bb.372:
	scratch_load_b64 v[48:49], v47, off
	ds_load_b64 v[52:53], v1
	s_wait_loadcnt_dscnt 0x0
	v_pk_mul_f32 v[54:55], v[52:53], v[48:49] op_sel:[1,1] op_sel_hi:[0,1]
	s_delay_alu instid0(VALU_DEP_1) | instskip(SKIP_1) | instid1(VALU_DEP_2)
	v_pk_fma_f32 v[56:57], v[52:53], v[48:49], v[54:55] op_sel_hi:[1,0,1]
	v_pk_fma_f32 v[48:49], v[52:53], v[48:49], v[54:55] neg_lo:[0,0,1] neg_hi:[0,0,1]
	v_mov_b32_e32 v49, v57
	s_cbranch_execz .LBB85_374
	s_branch .LBB85_375
.LBB85_373:
                                        ; implicit-def: $vgpr48_vgpr49
.LBB85_374:
	ds_load_b64 v[48:49], v1
.LBB85_375:
	s_mov_b32 s2, exec_lo
	v_cmpx_ne_u32_e32 16, v0
	s_cbranch_execz .LBB85_379
; %bb.376:
	v_add_nc_u32_e32 v51, 0xb8, v46
	v_add3_u32 v52, 0, v46, 8
	v_mov_b32_e32 v53, v0
	s_mov_b32 s3, 0
.LBB85_377:                             ; =>This Inner Loop Header: Depth=1
	scratch_load_b64 v[54:55], v52, off
	ds_load_b64 v[56:57], v51
	s_wait_xcnt 0x0
	v_dual_add_nc_u32 v51, 8, v51 :: v_dual_add_nc_u32 v52, 8, v52
	s_wait_loadcnt_dscnt 0x0
	v_pk_mul_f32 v[58:59], v[56:57], v[54:55] op_sel:[1,1] op_sel_hi:[0,1]
	s_delay_alu instid0(VALU_DEP_1) | instskip(SKIP_2) | instid1(VALU_DEP_3)
	v_pk_fma_f32 v[60:61], v[56:57], v[54:55], v[58:59] op_sel_hi:[1,0,1]
	v_add_nc_u32_e32 v53, 1, v53
	v_pk_fma_f32 v[54:55], v[56:57], v[54:55], v[58:59] neg_lo:[0,0,1] neg_hi:[0,0,1]
	v_mov_b32_e32 v55, v61
	s_delay_alu instid0(VALU_DEP_3) | instskip(NEXT) | instid1(VALU_DEP_2)
	v_cmp_lt_u32_e32 vcc_lo, 15, v53
	v_pk_add_f32 v[48:49], v[48:49], v[54:55]
	s_or_b32 s3, vcc_lo, s3
	s_delay_alu instid0(SALU_CYCLE_1)
	s_and_not1_b32 exec_lo, exec_lo, s3
	s_cbranch_execnz .LBB85_377
; %bb.378:
	s_or_b32 exec_lo, exec_lo, s3
.LBB85_379:
	s_delay_alu instid0(SALU_CYCLE_1) | instskip(SKIP_4) | instid1(VALU_DEP_1)
	s_or_b32 exec_lo, exec_lo, s2
	v_mov_b32_e32 v51, 0
	ds_load_b64 v[52:53], v51 offset:136
	s_wait_dscnt 0x0
	v_pk_mul_f32 v[54:55], v[48:49], v[52:53] op_sel:[1,1] op_sel_hi:[0,1]
	v_pk_fma_f32 v[56:57], v[48:49], v[52:53], v[54:55] op_sel_hi:[1,0,1]
	v_pk_fma_f32 v[48:49], v[48:49], v[52:53], v[54:55] neg_lo:[0,0,1] neg_hi:[0,0,1]
	s_delay_alu instid0(VALU_DEP_2)
	v_mov_b32_e32 v49, v57
	scratch_store_b64 off, v[48:49], off offset:136
.LBB85_380:
	s_wait_xcnt 0x0
	s_or_b32 exec_lo, exec_lo, s0
	scratch_load_b64 v[48:49], off, off offset:144
	s_mov_b32 s0, exec_lo
	s_wait_loadcnt 0x0
	ds_store_b64 v1, v[48:49]
	s_wait_storecnt_dscnt 0x0
	s_barrier_signal -1
	s_barrier_wait -1
	s_wait_xcnt 0x0
	v_cmpx_gt_u32_e32 18, v0
	s_cbranch_execz .LBB85_390
; %bb.381:
	v_cmp_ne_u32_e32 vcc_lo, 1, v50
	s_cbranch_vccnz .LBB85_383
; %bb.382:
	scratch_load_b64 v[48:49], v47, off
	ds_load_b64 v[52:53], v1
	s_wait_loadcnt_dscnt 0x0
	v_pk_mul_f32 v[54:55], v[52:53], v[48:49] op_sel:[1,1] op_sel_hi:[0,1]
	s_delay_alu instid0(VALU_DEP_1) | instskip(SKIP_1) | instid1(VALU_DEP_2)
	v_pk_fma_f32 v[56:57], v[52:53], v[48:49], v[54:55] op_sel_hi:[1,0,1]
	v_pk_fma_f32 v[48:49], v[52:53], v[48:49], v[54:55] neg_lo:[0,0,1] neg_hi:[0,0,1]
	v_mov_b32_e32 v49, v57
	s_cbranch_execz .LBB85_384
	s_branch .LBB85_385
.LBB85_383:
                                        ; implicit-def: $vgpr48_vgpr49
.LBB85_384:
	ds_load_b64 v[48:49], v1
.LBB85_385:
	s_mov_b32 s2, exec_lo
	v_cmpx_ne_u32_e32 17, v0
	s_cbranch_execz .LBB85_389
; %bb.386:
	v_add_nc_u32_e32 v51, 0xb8, v46
	v_add3_u32 v52, 0, v46, 8
	v_mov_b32_e32 v53, v0
	s_mov_b32 s3, 0
.LBB85_387:                             ; =>This Inner Loop Header: Depth=1
	scratch_load_b64 v[54:55], v52, off
	ds_load_b64 v[56:57], v51
	s_wait_xcnt 0x0
	v_dual_add_nc_u32 v51, 8, v51 :: v_dual_add_nc_u32 v52, 8, v52
	s_wait_loadcnt_dscnt 0x0
	v_pk_mul_f32 v[58:59], v[56:57], v[54:55] op_sel:[1,1] op_sel_hi:[0,1]
	s_delay_alu instid0(VALU_DEP_1) | instskip(SKIP_2) | instid1(VALU_DEP_3)
	v_pk_fma_f32 v[60:61], v[56:57], v[54:55], v[58:59] op_sel_hi:[1,0,1]
	v_add_nc_u32_e32 v53, 1, v53
	v_pk_fma_f32 v[54:55], v[56:57], v[54:55], v[58:59] neg_lo:[0,0,1] neg_hi:[0,0,1]
	v_mov_b32_e32 v55, v61
	s_delay_alu instid0(VALU_DEP_3) | instskip(NEXT) | instid1(VALU_DEP_2)
	v_cmp_lt_u32_e32 vcc_lo, 16, v53
	v_pk_add_f32 v[48:49], v[48:49], v[54:55]
	s_or_b32 s3, vcc_lo, s3
	s_delay_alu instid0(SALU_CYCLE_1)
	s_and_not1_b32 exec_lo, exec_lo, s3
	s_cbranch_execnz .LBB85_387
; %bb.388:
	s_or_b32 exec_lo, exec_lo, s3
.LBB85_389:
	s_delay_alu instid0(SALU_CYCLE_1) | instskip(SKIP_4) | instid1(VALU_DEP_1)
	s_or_b32 exec_lo, exec_lo, s2
	v_mov_b32_e32 v51, 0
	ds_load_b64 v[52:53], v51 offset:144
	s_wait_dscnt 0x0
	v_pk_mul_f32 v[54:55], v[48:49], v[52:53] op_sel:[1,1] op_sel_hi:[0,1]
	v_pk_fma_f32 v[56:57], v[48:49], v[52:53], v[54:55] op_sel_hi:[1,0,1]
	v_pk_fma_f32 v[48:49], v[48:49], v[52:53], v[54:55] neg_lo:[0,0,1] neg_hi:[0,0,1]
	s_delay_alu instid0(VALU_DEP_2)
	v_mov_b32_e32 v49, v57
	scratch_store_b64 off, v[48:49], off offset:144
.LBB85_390:
	s_wait_xcnt 0x0
	s_or_b32 exec_lo, exec_lo, s0
	scratch_load_b64 v[48:49], off, off offset:152
	s_mov_b32 s0, exec_lo
	s_wait_loadcnt 0x0
	ds_store_b64 v1, v[48:49]
	s_wait_storecnt_dscnt 0x0
	s_barrier_signal -1
	s_barrier_wait -1
	s_wait_xcnt 0x0
	v_cmpx_gt_u32_e32 19, v0
	s_cbranch_execz .LBB85_400
; %bb.391:
	v_cmp_ne_u32_e32 vcc_lo, 1, v50
	s_cbranch_vccnz .LBB85_393
; %bb.392:
	scratch_load_b64 v[48:49], v47, off
	ds_load_b64 v[52:53], v1
	s_wait_loadcnt_dscnt 0x0
	v_pk_mul_f32 v[54:55], v[52:53], v[48:49] op_sel:[1,1] op_sel_hi:[0,1]
	s_delay_alu instid0(VALU_DEP_1) | instskip(SKIP_1) | instid1(VALU_DEP_2)
	v_pk_fma_f32 v[56:57], v[52:53], v[48:49], v[54:55] op_sel_hi:[1,0,1]
	v_pk_fma_f32 v[48:49], v[52:53], v[48:49], v[54:55] neg_lo:[0,0,1] neg_hi:[0,0,1]
	v_mov_b32_e32 v49, v57
	s_cbranch_execz .LBB85_394
	s_branch .LBB85_395
.LBB85_393:
                                        ; implicit-def: $vgpr48_vgpr49
.LBB85_394:
	ds_load_b64 v[48:49], v1
.LBB85_395:
	s_mov_b32 s2, exec_lo
	v_cmpx_ne_u32_e32 18, v0
	s_cbranch_execz .LBB85_399
; %bb.396:
	v_add_nc_u32_e32 v51, 0xb8, v46
	v_add3_u32 v52, 0, v46, 8
	v_mov_b32_e32 v53, v0
	s_mov_b32 s3, 0
.LBB85_397:                             ; =>This Inner Loop Header: Depth=1
	scratch_load_b64 v[54:55], v52, off
	ds_load_b64 v[56:57], v51
	s_wait_xcnt 0x0
	v_dual_add_nc_u32 v51, 8, v51 :: v_dual_add_nc_u32 v52, 8, v52
	s_wait_loadcnt_dscnt 0x0
	v_pk_mul_f32 v[58:59], v[56:57], v[54:55] op_sel:[1,1] op_sel_hi:[0,1]
	s_delay_alu instid0(VALU_DEP_1) | instskip(SKIP_2) | instid1(VALU_DEP_3)
	v_pk_fma_f32 v[60:61], v[56:57], v[54:55], v[58:59] op_sel_hi:[1,0,1]
	v_add_nc_u32_e32 v53, 1, v53
	v_pk_fma_f32 v[54:55], v[56:57], v[54:55], v[58:59] neg_lo:[0,0,1] neg_hi:[0,0,1]
	v_mov_b32_e32 v55, v61
	s_delay_alu instid0(VALU_DEP_3) | instskip(NEXT) | instid1(VALU_DEP_2)
	v_cmp_lt_u32_e32 vcc_lo, 17, v53
	v_pk_add_f32 v[48:49], v[48:49], v[54:55]
	s_or_b32 s3, vcc_lo, s3
	s_delay_alu instid0(SALU_CYCLE_1)
	s_and_not1_b32 exec_lo, exec_lo, s3
	s_cbranch_execnz .LBB85_397
; %bb.398:
	s_or_b32 exec_lo, exec_lo, s3
.LBB85_399:
	s_delay_alu instid0(SALU_CYCLE_1) | instskip(SKIP_4) | instid1(VALU_DEP_1)
	s_or_b32 exec_lo, exec_lo, s2
	v_mov_b32_e32 v51, 0
	ds_load_b64 v[52:53], v51 offset:152
	s_wait_dscnt 0x0
	v_pk_mul_f32 v[54:55], v[48:49], v[52:53] op_sel:[1,1] op_sel_hi:[0,1]
	v_pk_fma_f32 v[56:57], v[48:49], v[52:53], v[54:55] op_sel_hi:[1,0,1]
	v_pk_fma_f32 v[48:49], v[48:49], v[52:53], v[54:55] neg_lo:[0,0,1] neg_hi:[0,0,1]
	s_delay_alu instid0(VALU_DEP_2)
	v_mov_b32_e32 v49, v57
	scratch_store_b64 off, v[48:49], off offset:152
.LBB85_400:
	s_wait_xcnt 0x0
	s_or_b32 exec_lo, exec_lo, s0
	scratch_load_b64 v[48:49], off, off offset:160
	v_cmp_gt_u32_e64 s0, 20, v0
	s_wait_loadcnt 0x0
	ds_store_b64 v1, v[48:49]
	s_wait_storecnt_dscnt 0x0
	s_barrier_signal -1
	s_barrier_wait -1
	s_wait_xcnt 0x0
	s_and_saveexec_b32 s2, s0
	s_cbranch_execz .LBB85_410
; %bb.401:
	v_cmp_ne_u32_e32 vcc_lo, 1, v50
	s_cbranch_vccnz .LBB85_403
; %bb.402:
	scratch_load_b64 v[48:49], v47, off
	ds_load_b64 v[52:53], v1
	s_wait_loadcnt_dscnt 0x0
	v_pk_mul_f32 v[54:55], v[52:53], v[48:49] op_sel:[1,1] op_sel_hi:[0,1]
	s_delay_alu instid0(VALU_DEP_1) | instskip(SKIP_1) | instid1(VALU_DEP_2)
	v_pk_fma_f32 v[56:57], v[52:53], v[48:49], v[54:55] op_sel_hi:[1,0,1]
	v_pk_fma_f32 v[48:49], v[52:53], v[48:49], v[54:55] neg_lo:[0,0,1] neg_hi:[0,0,1]
	v_mov_b32_e32 v49, v57
	s_cbranch_execz .LBB85_404
	s_branch .LBB85_405
.LBB85_403:
                                        ; implicit-def: $vgpr48_vgpr49
.LBB85_404:
	ds_load_b64 v[48:49], v1
.LBB85_405:
	s_mov_b32 s3, exec_lo
	v_cmpx_ne_u32_e32 19, v0
	s_cbranch_execz .LBB85_409
; %bb.406:
	v_add_nc_u32_e32 v51, 0xb8, v46
	v_add3_u32 v52, 0, v46, 8
	v_mov_b32_e32 v53, v0
	s_mov_b32 s4, 0
.LBB85_407:                             ; =>This Inner Loop Header: Depth=1
	scratch_load_b64 v[54:55], v52, off
	ds_load_b64 v[56:57], v51
	s_wait_xcnt 0x0
	v_dual_add_nc_u32 v51, 8, v51 :: v_dual_add_nc_u32 v52, 8, v52
	s_wait_loadcnt_dscnt 0x0
	v_pk_mul_f32 v[58:59], v[56:57], v[54:55] op_sel:[1,1] op_sel_hi:[0,1]
	s_delay_alu instid0(VALU_DEP_1) | instskip(SKIP_2) | instid1(VALU_DEP_3)
	v_pk_fma_f32 v[60:61], v[56:57], v[54:55], v[58:59] op_sel_hi:[1,0,1]
	v_add_nc_u32_e32 v53, 1, v53
	v_pk_fma_f32 v[54:55], v[56:57], v[54:55], v[58:59] neg_lo:[0,0,1] neg_hi:[0,0,1]
	v_mov_b32_e32 v55, v61
	s_delay_alu instid0(VALU_DEP_3) | instskip(NEXT) | instid1(VALU_DEP_2)
	v_cmp_lt_u32_e32 vcc_lo, 18, v53
	v_pk_add_f32 v[48:49], v[48:49], v[54:55]
	s_or_b32 s4, vcc_lo, s4
	s_delay_alu instid0(SALU_CYCLE_1)
	s_and_not1_b32 exec_lo, exec_lo, s4
	s_cbranch_execnz .LBB85_407
; %bb.408:
	s_or_b32 exec_lo, exec_lo, s4
.LBB85_409:
	s_delay_alu instid0(SALU_CYCLE_1) | instskip(SKIP_4) | instid1(VALU_DEP_1)
	s_or_b32 exec_lo, exec_lo, s3
	v_mov_b32_e32 v51, 0
	ds_load_b64 v[52:53], v51 offset:160
	s_wait_dscnt 0x0
	v_pk_mul_f32 v[54:55], v[48:49], v[52:53] op_sel:[1,1] op_sel_hi:[0,1]
	v_pk_fma_f32 v[56:57], v[48:49], v[52:53], v[54:55] op_sel_hi:[1,0,1]
	v_pk_fma_f32 v[48:49], v[48:49], v[52:53], v[54:55] neg_lo:[0,0,1] neg_hi:[0,0,1]
	s_delay_alu instid0(VALU_DEP_2)
	v_mov_b32_e32 v49, v57
	scratch_store_b64 off, v[48:49], off offset:160
.LBB85_410:
	s_wait_xcnt 0x0
	s_or_b32 exec_lo, exec_lo, s2
	scratch_load_b64 v[48:49], off, off offset:168
	s_mov_b32 s2, exec_lo
                                        ; implicit-def: $vgpr64
                                        ; implicit-def: $sgpr8
	s_wait_loadcnt 0x0
	ds_store_b64 v1, v[48:49]
	s_wait_storecnt_dscnt 0x0
	s_barrier_signal -1
	s_barrier_wait -1
	s_wait_xcnt 0x0
	v_cmpx_ne_u32_e32 21, v0
	s_cbranch_execz .LBB85_420
; %bb.411:
	v_cmp_ne_u32_e32 vcc_lo, 1, v50
	s_cbranch_vccnz .LBB85_413
; %bb.412:
	scratch_load_b64 v[50:51], v47, off
	ds_load_b64 v[52:53], v1
	s_wait_loadcnt_dscnt 0x0
	v_dual_mul_f32 v47, v53, v51 :: v_dual_mul_f32 v49, v52, v51
	s_delay_alu instid0(VALU_DEP_1)
	v_dual_fma_f32 v48, v52, v50, -v47 :: v_dual_fmac_f32 v49, v53, v50
	s_cbranch_execz .LBB85_414
	s_branch .LBB85_415
.LBB85_413:
                                        ; implicit-def: $vgpr49
.LBB85_414:
	ds_load_b64 v[48:49], v1
.LBB85_415:
	s_and_saveexec_b32 s3, s0
	s_cbranch_execz .LBB85_419
; %bb.416:
	v_add_nc_u32_e32 v1, 0xb8, v46
	v_add3_u32 v46, 0, v46, 8
	s_mov_b32 s0, 0
.LBB85_417:                             ; =>This Inner Loop Header: Depth=1
	scratch_load_b64 v[50:51], v46, off
	ds_load_b64 v[52:53], v1
	s_wait_loadcnt_dscnt 0x0
	v_dual_add_nc_u32 v1, 8, v1 :: v_dual_mul_f32 v47, v53, v51
	v_dual_mul_f32 v51, v52, v51 :: v_dual_add_nc_u32 v0, 1, v0
	s_delay_alu instid0(VALU_DEP_2) | instskip(NEXT) | instid1(VALU_DEP_2)
	v_fma_f32 v47, v52, v50, -v47
	v_fmac_f32_e32 v51, v53, v50
	s_delay_alu instid0(VALU_DEP_3) | instskip(NEXT) | instid1(VALU_DEP_3)
	v_cmp_lt_u32_e32 vcc_lo, 19, v0
	v_dual_add_nc_u32 v46, 8, v46 :: v_dual_add_f32 v48, v48, v47
	s_delay_alu instid0(VALU_DEP_3) | instskip(SKIP_1) | instid1(SALU_CYCLE_1)
	v_add_f32_e32 v49, v49, v51
	s_or_b32 s0, vcc_lo, s0
	s_and_not1_b32 exec_lo, exec_lo, s0
	s_cbranch_execnz .LBB85_417
; %bb.418:
	s_or_b32 exec_lo, exec_lo, s0
.LBB85_419:
	s_delay_alu instid0(SALU_CYCLE_1)
	s_or_b32 exec_lo, exec_lo, s3
	v_mov_b32_e32 v0, 0
	s_movk_i32 s8, 0xac
	s_or_b32 s1, s1, exec_lo
	ds_load_b64 v[0:1], v0 offset:168
	s_wait_dscnt 0x0
	v_dual_mul_f32 v46, v49, v1 :: v_dual_mul_f32 v64, v48, v1
	s_delay_alu instid0(VALU_DEP_1)
	v_dual_fma_f32 v1, v48, v0, -v46 :: v_dual_fmac_f32 v64, v49, v0
	scratch_store_b32 off, v1, off offset:168
.LBB85_420:
	s_wait_xcnt 0x0
	s_or_b32 exec_lo, exec_lo, s2
.LBB85_421:
	v_lshl_add_u64 v[62:63], v[6:7], 3, s[6:7]
	v_lshl_add_u64 v[60:61], v[8:9], 3, s[6:7]
	;; [unrolled: 1-line block ×20, first 2 shown]
	s_and_saveexec_b32 s0, s1
	s_cbranch_execz .LBB85_423
; %bb.422:
	scratch_store_b32 off, v64, s8
.LBB85_423:
	s_wait_xcnt 0x0
	s_or_b32 exec_lo, exec_lo, s0
	scratch_load_b64 v[26:27], off, off
	s_wait_loadcnt 0x0
	flat_store_b64 v[2:3], v[26:27]
	scratch_load_b64 v[2:3], off, off offset:8
	s_wait_loadcnt 0x0
	flat_store_b64 v[4:5], v[2:3]
	scratch_load_b64 v[2:3], off, off offset:16
	;; [unrolled: 3-line block ×21, first 2 shown]
	s_wait_loadcnt 0x0
	flat_store_b64 v[0:1], v[2:3]
.LBB85_424:
	s_sendmsg sendmsg(MSG_DEALLOC_VGPRS)
	s_endpgm
	.section	.rodata,"a",@progbits
	.p2align	6, 0x0
	.amdhsa_kernel _ZN9rocsolver6v33100L18trti2_kernel_smallILi22E19rocblas_complex_numIfEPKPS3_EEv13rocblas_fill_17rocblas_diagonal_T1_iil
		.amdhsa_group_segment_fixed_size 352
		.amdhsa_private_segment_fixed_size 192
		.amdhsa_kernarg_size 32
		.amdhsa_user_sgpr_count 2
		.amdhsa_user_sgpr_dispatch_ptr 0
		.amdhsa_user_sgpr_queue_ptr 0
		.amdhsa_user_sgpr_kernarg_segment_ptr 1
		.amdhsa_user_sgpr_dispatch_id 0
		.amdhsa_user_sgpr_kernarg_preload_length 0
		.amdhsa_user_sgpr_kernarg_preload_offset 0
		.amdhsa_user_sgpr_private_segment_size 0
		.amdhsa_wavefront_size32 1
		.amdhsa_uses_dynamic_stack 0
		.amdhsa_enable_private_segment 1
		.amdhsa_system_sgpr_workgroup_id_x 1
		.amdhsa_system_sgpr_workgroup_id_y 0
		.amdhsa_system_sgpr_workgroup_id_z 0
		.amdhsa_system_sgpr_workgroup_info 0
		.amdhsa_system_vgpr_workitem_id 0
		.amdhsa_next_free_vgpr 65
		.amdhsa_next_free_sgpr 27
		.amdhsa_named_barrier_count 0
		.amdhsa_reserve_vcc 1
		.amdhsa_float_round_mode_32 0
		.amdhsa_float_round_mode_16_64 0
		.amdhsa_float_denorm_mode_32 3
		.amdhsa_float_denorm_mode_16_64 3
		.amdhsa_fp16_overflow 0
		.amdhsa_memory_ordered 1
		.amdhsa_forward_progress 1
		.amdhsa_inst_pref_size 132
		.amdhsa_round_robin_scheduling 0
		.amdhsa_exception_fp_ieee_invalid_op 0
		.amdhsa_exception_fp_denorm_src 0
		.amdhsa_exception_fp_ieee_div_zero 0
		.amdhsa_exception_fp_ieee_overflow 0
		.amdhsa_exception_fp_ieee_underflow 0
		.amdhsa_exception_fp_ieee_inexact 0
		.amdhsa_exception_int_div_zero 0
	.end_amdhsa_kernel
	.section	.text._ZN9rocsolver6v33100L18trti2_kernel_smallILi22E19rocblas_complex_numIfEPKPS3_EEv13rocblas_fill_17rocblas_diagonal_T1_iil,"axG",@progbits,_ZN9rocsolver6v33100L18trti2_kernel_smallILi22E19rocblas_complex_numIfEPKPS3_EEv13rocblas_fill_17rocblas_diagonal_T1_iil,comdat
.Lfunc_end85:
	.size	_ZN9rocsolver6v33100L18trti2_kernel_smallILi22E19rocblas_complex_numIfEPKPS3_EEv13rocblas_fill_17rocblas_diagonal_T1_iil, .Lfunc_end85-_ZN9rocsolver6v33100L18trti2_kernel_smallILi22E19rocblas_complex_numIfEPKPS3_EEv13rocblas_fill_17rocblas_diagonal_T1_iil
                                        ; -- End function
	.set _ZN9rocsolver6v33100L18trti2_kernel_smallILi22E19rocblas_complex_numIfEPKPS3_EEv13rocblas_fill_17rocblas_diagonal_T1_iil.num_vgpr, 65
	.set _ZN9rocsolver6v33100L18trti2_kernel_smallILi22E19rocblas_complex_numIfEPKPS3_EEv13rocblas_fill_17rocblas_diagonal_T1_iil.num_agpr, 0
	.set _ZN9rocsolver6v33100L18trti2_kernel_smallILi22E19rocblas_complex_numIfEPKPS3_EEv13rocblas_fill_17rocblas_diagonal_T1_iil.numbered_sgpr, 27
	.set _ZN9rocsolver6v33100L18trti2_kernel_smallILi22E19rocblas_complex_numIfEPKPS3_EEv13rocblas_fill_17rocblas_diagonal_T1_iil.num_named_barrier, 0
	.set _ZN9rocsolver6v33100L18trti2_kernel_smallILi22E19rocblas_complex_numIfEPKPS3_EEv13rocblas_fill_17rocblas_diagonal_T1_iil.private_seg_size, 192
	.set _ZN9rocsolver6v33100L18trti2_kernel_smallILi22E19rocblas_complex_numIfEPKPS3_EEv13rocblas_fill_17rocblas_diagonal_T1_iil.uses_vcc, 1
	.set _ZN9rocsolver6v33100L18trti2_kernel_smallILi22E19rocblas_complex_numIfEPKPS3_EEv13rocblas_fill_17rocblas_diagonal_T1_iil.uses_flat_scratch, 0
	.set _ZN9rocsolver6v33100L18trti2_kernel_smallILi22E19rocblas_complex_numIfEPKPS3_EEv13rocblas_fill_17rocblas_diagonal_T1_iil.has_dyn_sized_stack, 0
	.set _ZN9rocsolver6v33100L18trti2_kernel_smallILi22E19rocblas_complex_numIfEPKPS3_EEv13rocblas_fill_17rocblas_diagonal_T1_iil.has_recursion, 0
	.set _ZN9rocsolver6v33100L18trti2_kernel_smallILi22E19rocblas_complex_numIfEPKPS3_EEv13rocblas_fill_17rocblas_diagonal_T1_iil.has_indirect_call, 0
	.section	.AMDGPU.csdata,"",@progbits
; Kernel info:
; codeLenInByte = 16832
; TotalNumSgprs: 29
; NumVgprs: 65
; ScratchSize: 192
; MemoryBound: 0
; FloatMode: 240
; IeeeMode: 1
; LDSByteSize: 352 bytes/workgroup (compile time only)
; SGPRBlocks: 0
; VGPRBlocks: 4
; NumSGPRsForWavesPerEU: 29
; NumVGPRsForWavesPerEU: 65
; NamedBarCnt: 0
; Occupancy: 12
; WaveLimiterHint : 1
; COMPUTE_PGM_RSRC2:SCRATCH_EN: 1
; COMPUTE_PGM_RSRC2:USER_SGPR: 2
; COMPUTE_PGM_RSRC2:TRAP_HANDLER: 0
; COMPUTE_PGM_RSRC2:TGID_X_EN: 1
; COMPUTE_PGM_RSRC2:TGID_Y_EN: 0
; COMPUTE_PGM_RSRC2:TGID_Z_EN: 0
; COMPUTE_PGM_RSRC2:TIDIG_COMP_CNT: 0
	.section	.text._ZN9rocsolver6v33100L18trti2_kernel_smallILi23E19rocblas_complex_numIfEPKPS3_EEv13rocblas_fill_17rocblas_diagonal_T1_iil,"axG",@progbits,_ZN9rocsolver6v33100L18trti2_kernel_smallILi23E19rocblas_complex_numIfEPKPS3_EEv13rocblas_fill_17rocblas_diagonal_T1_iil,comdat
	.globl	_ZN9rocsolver6v33100L18trti2_kernel_smallILi23E19rocblas_complex_numIfEPKPS3_EEv13rocblas_fill_17rocblas_diagonal_T1_iil ; -- Begin function _ZN9rocsolver6v33100L18trti2_kernel_smallILi23E19rocblas_complex_numIfEPKPS3_EEv13rocblas_fill_17rocblas_diagonal_T1_iil
	.p2align	8
	.type	_ZN9rocsolver6v33100L18trti2_kernel_smallILi23E19rocblas_complex_numIfEPKPS3_EEv13rocblas_fill_17rocblas_diagonal_T1_iil,@function
_ZN9rocsolver6v33100L18trti2_kernel_smallILi23E19rocblas_complex_numIfEPKPS3_EEv13rocblas_fill_17rocblas_diagonal_T1_iil: ; @_ZN9rocsolver6v33100L18trti2_kernel_smallILi23E19rocblas_complex_numIfEPKPS3_EEv13rocblas_fill_17rocblas_diagonal_T1_iil
; %bb.0:
	s_mov_b32 s2, exec_lo
	v_cmpx_gt_u32_e32 23, v0
	s_cbranch_execz .LBB86_444
; %bb.1:
	s_clause 0x1
	s_load_b64 s[8:9], s[0:1], 0x10
	s_load_b128 s[4:7], s[0:1], 0x0
	s_wait_xcnt 0x0
	s_bfe_u32 s0, ttmp6, 0x4000c
	s_and_b32 s1, ttmp6, 15
	s_add_co_i32 s0, s0, 1
	s_getreg_b32 s2, hwreg(HW_REG_IB_STS2, 6, 4)
	s_mul_i32 s0, ttmp9, s0
	v_dual_mov_b32 v49, 0 :: v_dual_lshlrev_b32 v48, 3, v0
	s_add_co_i32 s0, s1, s0
	s_wait_kmcnt 0x0
	s_ashr_i32 s1, s8, 31
	s_cmp_eq_u32 s2, 0
	s_cselect_b32 s2, ttmp9, s0
	s_mov_b32 s0, s8
	s_ashr_i32 s3, s2, 31
	s_lshl_b64 s[0:1], s[0:1], 3
	s_lshl_b64 s[2:3], s[2:3], 3
	s_delay_alu instid0(SALU_CYCLE_1)
	s_add_nc_u64 s[2:3], s[6:7], s[2:3]
	s_load_b64 s[2:3], s[2:3], 0x0
	s_wait_kmcnt 0x0
	s_add_nc_u64 s[2:3], s[2:3], s[0:1]
	s_mov_b32 s0, s9
	flat_load_b64 v[6:7], v0, s[2:3] scale_offset
	v_add_nc_u64_e32 v[2:3], s[2:3], v[48:49]
	s_ashr_i32 s1, s9, 31
	s_cmp_lg_u32 s5, 0x84
	s_cselect_b32 s5, -1, 0
	s_delay_alu instid0(SALU_CYCLE_1) | instskip(NEXT) | instid1(VALU_DEP_1)
	s_and_b32 vcc_lo, exec_lo, s5
	v_lshl_add_u64 v[4:5], s[0:1], 3, v[2:3]
	s_mov_b32 s0, -1
	s_wait_loadcnt_dscnt 0x0
	scratch_store_b64 off, v[6:7], off
	flat_load_b64 v[8:9], v[4:5]
	s_wait_xcnt 0x1
	v_add3_u32 v6, s9, s9, v0
	s_wait_loadcnt_dscnt 0x0
	scratch_store_b64 off, v[8:9], off offset:8
	flat_load_b64 v[10:11], v6, s[2:3] scale_offset
	s_wait_xcnt 0x1
	v_add_nc_u32_e32 v8, s9, v6
	s_wait_loadcnt_dscnt 0x0
	scratch_store_b64 off, v[10:11], off offset:16
	flat_load_b64 v[12:13], v8, s[2:3] scale_offset
	s_wait_xcnt 0x1
	v_add_nc_u32_e32 v10, s9, v8
	;; [unrolled: 5-line block ×20, first 2 shown]
	s_wait_loadcnt_dscnt 0x0
	scratch_store_b64 off, v[50:51], off offset:168
	flat_load_b64 v[50:51], v46, s[2:3] scale_offset
	s_wait_loadcnt_dscnt 0x0
	scratch_store_b64 off, v[50:51], off offset:176
	s_cbranch_vccz .LBB86_7
; %bb.2:
	scratch_load_b64 v[50:51], v0, off scale_offset
                                        ; implicit-def: $vgpr55
                                        ; implicit-def: $vgpr52
	s_wait_loadcnt 0x0
	v_cmp_ngt_f32_e64 s0, |v50|, |v51|
	s_wait_xcnt 0x0
	s_and_saveexec_b32 s1, s0
	s_delay_alu instid0(SALU_CYCLE_1)
	s_xor_b32 s0, exec_lo, s1
	s_cbranch_execz .LBB86_4
; %bb.3:
	v_div_scale_f32 v1, null, v51, v51, v50
	v_div_scale_f32 v11, vcc_lo, v50, v51, v50
	s_delay_alu instid0(VALU_DEP_2) | instskip(SKIP_1) | instid1(TRANS32_DEP_1)
	v_rcp_f32_e32 v7, v1
	v_nop
	v_fma_f32 v9, -v1, v7, 1.0
	s_delay_alu instid0(VALU_DEP_1) | instskip(NEXT) | instid1(VALU_DEP_1)
	v_fmac_f32_e32 v7, v9, v7
	v_mul_f32_e32 v9, v11, v7
	s_delay_alu instid0(VALU_DEP_1) | instskip(NEXT) | instid1(VALU_DEP_1)
	v_fma_f32 v13, -v1, v9, v11
	v_fmac_f32_e32 v9, v13, v7
	s_delay_alu instid0(VALU_DEP_1) | instskip(NEXT) | instid1(VALU_DEP_1)
	v_fma_f32 v1, -v1, v9, v11
	v_div_fmas_f32 v1, v1, v7, v9
	s_delay_alu instid0(VALU_DEP_1) | instskip(NEXT) | instid1(VALU_DEP_1)
	v_div_fixup_f32 v1, v1, v51, v50
	v_fmac_f32_e32 v51, v50, v1
	s_delay_alu instid0(VALU_DEP_1) | instskip(NEXT) | instid1(VALU_DEP_1)
	v_div_scale_f32 v7, null, v51, v51, -1.0
	v_rcp_f32_e32 v9, v7
	v_nop
	s_delay_alu instid0(TRANS32_DEP_1) | instskip(NEXT) | instid1(VALU_DEP_1)
	v_fma_f32 v11, -v7, v9, 1.0
	v_fmac_f32_e32 v9, v11, v9
	v_div_scale_f32 v11, vcc_lo, -1.0, v51, -1.0
	s_delay_alu instid0(VALU_DEP_1) | instskip(NEXT) | instid1(VALU_DEP_1)
	v_mul_f32_e32 v13, v11, v9
	v_fma_f32 v15, -v7, v13, v11
	s_delay_alu instid0(VALU_DEP_1) | instskip(NEXT) | instid1(VALU_DEP_1)
	v_fmac_f32_e32 v13, v15, v9
	v_fma_f32 v7, -v7, v13, v11
	s_delay_alu instid0(VALU_DEP_1) | instskip(NEXT) | instid1(VALU_DEP_1)
	v_div_fmas_f32 v7, v7, v9, v13
	v_div_fixup_f32 v55, v7, v51, -1.0
                                        ; implicit-def: $vgpr50_vgpr51
	s_delay_alu instid0(VALU_DEP_1) | instskip(NEXT) | instid1(VALU_DEP_1)
	v_mul_f32_e32 v52, v1, v55
	v_xor_b32_e32 v54, 0x80000000, v52
.LBB86_4:
	s_or_saveexec_b32 s0, s0
	v_lshl_add_u32 v1, v0, 3, 0
	s_xor_b32 exec_lo, exec_lo, s0
	s_cbranch_execz .LBB86_6
; %bb.5:
	v_div_scale_f32 v7, null, v50, v50, v51
	v_div_scale_f32 v13, vcc_lo, v51, v50, v51
	s_delay_alu instid0(VALU_DEP_2) | instskip(SKIP_1) | instid1(TRANS32_DEP_1)
	v_rcp_f32_e32 v9, v7
	v_nop
	v_fma_f32 v11, -v7, v9, 1.0
	s_delay_alu instid0(VALU_DEP_1) | instskip(NEXT) | instid1(VALU_DEP_1)
	v_fmac_f32_e32 v9, v11, v9
	v_mul_f32_e32 v11, v13, v9
	s_delay_alu instid0(VALU_DEP_1) | instskip(NEXT) | instid1(VALU_DEP_1)
	v_fma_f32 v15, -v7, v11, v13
	v_fmac_f32_e32 v11, v15, v9
	s_delay_alu instid0(VALU_DEP_1) | instskip(NEXT) | instid1(VALU_DEP_1)
	v_fma_f32 v7, -v7, v11, v13
	v_div_fmas_f32 v7, v7, v9, v11
	s_delay_alu instid0(VALU_DEP_1) | instskip(NEXT) | instid1(VALU_DEP_1)
	v_div_fixup_f32 v7, v7, v50, v51
	v_fmac_f32_e32 v50, v51, v7
	s_delay_alu instid0(VALU_DEP_1) | instskip(SKIP_1) | instid1(VALU_DEP_2)
	v_div_scale_f32 v9, null, v50, v50, 1.0
	v_div_scale_f32 v15, vcc_lo, 1.0, v50, 1.0
	v_rcp_f32_e32 v11, v9
	v_nop
	s_delay_alu instid0(TRANS32_DEP_1) | instskip(NEXT) | instid1(VALU_DEP_1)
	v_fma_f32 v13, -v9, v11, 1.0
	v_fmac_f32_e32 v11, v13, v11
	s_delay_alu instid0(VALU_DEP_1) | instskip(NEXT) | instid1(VALU_DEP_1)
	v_mul_f32_e32 v13, v15, v11
	v_fma_f32 v17, -v9, v13, v15
	s_delay_alu instid0(VALU_DEP_1) | instskip(NEXT) | instid1(VALU_DEP_1)
	v_fmac_f32_e32 v13, v17, v11
	v_fma_f32 v9, -v9, v13, v15
	s_delay_alu instid0(VALU_DEP_1) | instskip(NEXT) | instid1(VALU_DEP_1)
	v_div_fmas_f32 v9, v9, v11, v13
	v_div_fixup_f32 v54, v9, v50, 1.0
	s_delay_alu instid0(VALU_DEP_1)
	v_xor_b32_e32 v52, 0x80000000, v54
	v_mul_f32_e64 v55, v7, -v54
.LBB86_6:
	s_or_b32 exec_lo, exec_lo, s0
	s_delay_alu instid0(VALU_DEP_1)
	v_xor_b32_e32 v53, 0x80000000, v55
	s_mov_b32 s0, 0
	scratch_store_b64 v1, v[54:55], off
	ds_store_b64 v48, v[52:53]
.LBB86_7:
	s_and_b32 vcc_lo, exec_lo, s0
	s_cbranch_vccz .LBB86_9
; %bb.8:
	s_mov_b64 s[0:1], 0xbf800000
	s_wait_xcnt 0x0
	v_mov_b64_e32 v[50:51], s[0:1]
	ds_store_b64 v48, v[50:51]
.LBB86_9:
	v_dual_ashrrev_i32 v7, 31, v6 :: v_dual_ashrrev_i32 v9, 31, v8
	v_dual_ashrrev_i32 v11, 31, v10 :: v_dual_ashrrev_i32 v13, 31, v12
	;; [unrolled: 1-line block ×10, first 2 shown]
	v_dual_ashrrev_i32 v47, 31, v46 :: v_dual_mov_b32 v49, v48
	s_wait_xcnt 0x0
	v_add_nc_u32_e32 v1, 0xc0, v48
	s_cmp_eq_u32 s4, 0x79
	s_cbranch_scc1 .LBB86_13
; %bb.10:
	scratch_load_b64 v[50:51], off, off offset:168
	v_cmp_eq_u32_e64 s0, 22, v0
	s_movk_i32 s1, 0x48
	s_movk_i32 s14, 0x50
	;; [unrolled: 1-line block ×12, first 2 shown]
	s_wait_loadcnt 0x0
	ds_store_b64 v1, v[50:51]
	s_wait_storecnt_dscnt 0x0
	s_barrier_signal -1
	s_barrier_wait -1
	s_wait_xcnt 0x0
	s_and_saveexec_b32 s4, s0
	s_cbranch_execz .LBB86_17
; %bb.11:
	s_and_b32 vcc_lo, exec_lo, s5
	s_cbranch_vccz .LBB86_14
; %bb.12:
	scratch_load_b64 v[50:51], v49, off
	ds_load_b64 v[52:53], v1
	s_wait_loadcnt_dscnt 0x0
	v_pk_mul_f32 v[54:55], v[52:53], v[50:51] op_sel:[1,1] op_sel_hi:[0,1]
	v_pk_mul_f32 v[56:57], v[52:53], v[50:51] op_sel_hi:[1,0]
	s_delay_alu instid0(VALU_DEP_2) | instskip(NEXT) | instid1(VALU_DEP_2)
	v_pk_fma_f32 v[50:51], v[52:53], v[50:51], v[54:55] op_sel_hi:[1,0,1]
	v_sub_f32_e32 v50, v56, v54
	s_cbranch_execz .LBB86_15
	s_branch .LBB86_16
.LBB86_13:
	s_mov_b32 s1, 0
                                        ; implicit-def: $vgpr68
                                        ; implicit-def: $sgpr7
	s_cbranch_execnz .LBB86_226
	s_branch .LBB86_441
.LBB86_14:
                                        ; implicit-def: $vgpr51
.LBB86_15:
	ds_load_b64 v[50:51], v1
.LBB86_16:
	s_wait_dscnt 0x0
	v_dual_mov_b32 v52, 0 :: v_dual_mov_b32 v54, v51
	v_mov_b32_e32 v55, v50
	ds_load_b64 v[52:53], v52 offset:168
	s_wait_dscnt 0x0
	v_pk_mul_f32 v[54:55], v[54:55], v[52:53] op_sel:[0,1]
	s_delay_alu instid0(VALU_DEP_1) | instskip(SKIP_1) | instid1(VALU_DEP_2)
	v_pk_fma_f32 v[56:57], v[50:51], v[52:53], v[54:55] op_sel_hi:[1,0,1]
	v_pk_fma_f32 v[50:51], v[50:51], v[52:53], v[54:55] neg_lo:[0,0,1] neg_hi:[0,0,1]
	v_mov_b32_e32 v51, v57
	scratch_store_b64 off, v[50:51], off offset:168
.LBB86_17:
	s_wait_xcnt 0x0
	s_or_b32 exec_lo, exec_lo, s4
	scratch_load_b64 v[50:51], off, off offset:160
	s_mov_b32 s13, s1
	v_cmp_lt_u32_e64 s1, 20, v0
	s_or_b32 s4, 0, 8
	s_mov_b32 s6, 16
	s_mov_b32 s7, 24
	;; [unrolled: 1-line block ×7, first 2 shown]
	s_wait_loadcnt 0x0
	ds_store_b64 v1, v[50:51]
	s_wait_storecnt_dscnt 0x0
	s_barrier_signal -1
	s_barrier_wait -1
	s_wait_xcnt 0x0
	s_and_saveexec_b32 s25, s1
	s_cbranch_execz .LBB86_25
; %bb.18:
	s_and_not1_b32 vcc_lo, exec_lo, s5
	s_cbranch_vccnz .LBB86_20
; %bb.19:
	scratch_load_b64 v[50:51], v49, off
	ds_load_b64 v[52:53], v1
	s_wait_loadcnt_dscnt 0x0
	v_pk_mul_f32 v[54:55], v[52:53], v[50:51] op_sel:[1,1] op_sel_hi:[0,1]
	s_delay_alu instid0(VALU_DEP_1) | instskip(SKIP_1) | instid1(VALU_DEP_2)
	v_pk_fma_f32 v[56:57], v[52:53], v[50:51], v[54:55] op_sel_hi:[1,0,1]
	v_pk_fma_f32 v[50:51], v[52:53], v[50:51], v[54:55] neg_lo:[0,0,1] neg_hi:[0,0,1]
	v_mov_b32_e32 v51, v57
	s_cbranch_execz .LBB86_21
	s_branch .LBB86_22
.LBB86_20:
                                        ; implicit-def: $vgpr50_vgpr51
.LBB86_21:
	ds_load_b64 v[50:51], v1
.LBB86_22:
	s_and_saveexec_b32 s26, s0
	s_cbranch_execz .LBB86_24
; %bb.23:
	scratch_load_b64 v[52:53], off, off offset:168
	v_mov_b32_e32 v54, 0
	ds_load_b64 v[54:55], v54 offset:360
	s_wait_loadcnt_dscnt 0x0
	v_pk_mul_f32 v[56:57], v[54:55], v[52:53] op_sel:[1,1] op_sel_hi:[0,1]
	s_delay_alu instid0(VALU_DEP_1) | instskip(SKIP_1) | instid1(VALU_DEP_2)
	v_pk_fma_f32 v[58:59], v[54:55], v[52:53], v[56:57] op_sel_hi:[1,0,1]
	v_pk_fma_f32 v[52:53], v[54:55], v[52:53], v[56:57] neg_lo:[0,0,1] neg_hi:[0,0,1]
	v_mov_b32_e32 v53, v59
	s_delay_alu instid0(VALU_DEP_1)
	v_pk_add_f32 v[50:51], v[50:51], v[52:53]
.LBB86_24:
	s_or_b32 exec_lo, exec_lo, s26
	v_mov_b32_e32 v52, 0
	ds_load_b64 v[52:53], v52 offset:160
	s_wait_dscnt 0x0
	v_pk_mul_f32 v[54:55], v[50:51], v[52:53] op_sel:[1,1] op_sel_hi:[0,1]
	s_delay_alu instid0(VALU_DEP_1) | instskip(SKIP_1) | instid1(VALU_DEP_2)
	v_pk_fma_f32 v[56:57], v[50:51], v[52:53], v[54:55] op_sel_hi:[1,0,1]
	v_pk_fma_f32 v[50:51], v[50:51], v[52:53], v[54:55] neg_lo:[0,0,1] neg_hi:[0,0,1]
	v_mov_b32_e32 v51, v57
	scratch_store_b64 off, v[50:51], off offset:160
.LBB86_25:
	s_wait_xcnt 0x0
	s_or_b32 exec_lo, exec_lo, s25
	scratch_load_b64 v[50:51], off, off offset:152
	v_cmp_lt_u32_e64 s0, 19, v0
	s_wait_loadcnt 0x0
	ds_store_b64 v1, v[50:51]
	s_wait_storecnt_dscnt 0x0
	s_barrier_signal -1
	s_barrier_wait -1
	s_wait_xcnt 0x0
	s_and_saveexec_b32 s25, s0
	s_cbranch_execz .LBB86_35
; %bb.26:
	s_and_not1_b32 vcc_lo, exec_lo, s5
	s_cbranch_vccnz .LBB86_28
; %bb.27:
	scratch_load_b64 v[50:51], v49, off
	ds_load_b64 v[52:53], v1
	s_wait_loadcnt_dscnt 0x0
	v_pk_mul_f32 v[54:55], v[52:53], v[50:51] op_sel:[1,1] op_sel_hi:[0,1]
	s_delay_alu instid0(VALU_DEP_1) | instskip(SKIP_1) | instid1(VALU_DEP_2)
	v_pk_fma_f32 v[56:57], v[52:53], v[50:51], v[54:55] op_sel_hi:[1,0,1]
	v_pk_fma_f32 v[50:51], v[52:53], v[50:51], v[54:55] neg_lo:[0,0,1] neg_hi:[0,0,1]
	v_mov_b32_e32 v51, v57
	s_cbranch_execz .LBB86_29
	s_branch .LBB86_30
.LBB86_28:
                                        ; implicit-def: $vgpr50_vgpr51
.LBB86_29:
	ds_load_b64 v[50:51], v1
.LBB86_30:
	s_and_saveexec_b32 s26, s1
	s_cbranch_execz .LBB86_34
; %bb.31:
	v_subrev_nc_u32_e32 v52, 20, v0
	s_movk_i32 s27, 0x160
	s_mov_b32 s1, 0
.LBB86_32:                              ; =>This Inner Loop Header: Depth=1
	scratch_load_b64 v[54:55], off, s24
	v_dual_mov_b32 v53, s27 :: v_dual_add_nc_u32 v52, -1, v52
	s_add_co_i32 s27, s27, 8
	s_wait_xcnt 0x0
	s_add_co_i32 s24, s24, 8
	ds_load_b64 v[56:57], v53
	v_cmp_eq_u32_e32 vcc_lo, 0, v52
	s_or_b32 s1, vcc_lo, s1
	s_wait_loadcnt_dscnt 0x0
	v_pk_mul_f32 v[58:59], v[56:57], v[54:55] op_sel:[1,1] op_sel_hi:[0,1]
	s_delay_alu instid0(VALU_DEP_1) | instskip(SKIP_1) | instid1(VALU_DEP_2)
	v_pk_fma_f32 v[60:61], v[56:57], v[54:55], v[58:59] op_sel_hi:[1,0,1]
	v_pk_fma_f32 v[54:55], v[56:57], v[54:55], v[58:59] neg_lo:[0,0,1] neg_hi:[0,0,1]
	v_mov_b32_e32 v55, v61
	s_delay_alu instid0(VALU_DEP_1)
	v_pk_add_f32 v[50:51], v[50:51], v[54:55]
	s_and_not1_b32 exec_lo, exec_lo, s1
	s_cbranch_execnz .LBB86_32
; %bb.33:
	s_or_b32 exec_lo, exec_lo, s1
.LBB86_34:
	s_delay_alu instid0(SALU_CYCLE_1) | instskip(SKIP_4) | instid1(VALU_DEP_1)
	s_or_b32 exec_lo, exec_lo, s26
	v_mov_b32_e32 v52, 0
	ds_load_b64 v[52:53], v52 offset:152
	s_wait_dscnt 0x0
	v_pk_mul_f32 v[54:55], v[50:51], v[52:53] op_sel:[1,1] op_sel_hi:[0,1]
	v_pk_fma_f32 v[56:57], v[50:51], v[52:53], v[54:55] op_sel_hi:[1,0,1]
	v_pk_fma_f32 v[50:51], v[50:51], v[52:53], v[54:55] neg_lo:[0,0,1] neg_hi:[0,0,1]
	s_delay_alu instid0(VALU_DEP_2)
	v_mov_b32_e32 v51, v57
	scratch_store_b64 off, v[50:51], off offset:152
.LBB86_35:
	s_wait_xcnt 0x0
	s_or_b32 exec_lo, exec_lo, s25
	scratch_load_b64 v[50:51], off, off offset:144
	v_cmp_lt_u32_e64 s1, 18, v0
	s_wait_loadcnt 0x0
	ds_store_b64 v1, v[50:51]
	s_wait_storecnt_dscnt 0x0
	s_barrier_signal -1
	s_barrier_wait -1
	s_wait_xcnt 0x0
	s_and_saveexec_b32 s24, s1
	s_cbranch_execz .LBB86_45
; %bb.36:
	s_and_not1_b32 vcc_lo, exec_lo, s5
	s_cbranch_vccnz .LBB86_38
; %bb.37:
	scratch_load_b64 v[50:51], v49, off
	ds_load_b64 v[52:53], v1
	s_wait_loadcnt_dscnt 0x0
	v_pk_mul_f32 v[54:55], v[52:53], v[50:51] op_sel:[1,1] op_sel_hi:[0,1]
	s_delay_alu instid0(VALU_DEP_1) | instskip(SKIP_1) | instid1(VALU_DEP_2)
	v_pk_fma_f32 v[56:57], v[52:53], v[50:51], v[54:55] op_sel_hi:[1,0,1]
	v_pk_fma_f32 v[50:51], v[52:53], v[50:51], v[54:55] neg_lo:[0,0,1] neg_hi:[0,0,1]
	v_mov_b32_e32 v51, v57
	s_cbranch_execz .LBB86_39
	s_branch .LBB86_40
.LBB86_38:
                                        ; implicit-def: $vgpr50_vgpr51
.LBB86_39:
	ds_load_b64 v[50:51], v1
.LBB86_40:
	s_and_saveexec_b32 s25, s0
	s_cbranch_execz .LBB86_44
; %bb.41:
	v_subrev_nc_u32_e32 v52, 19, v0
	s_movk_i32 s26, 0x158
	s_mov_b32 s0, 0
.LBB86_42:                              ; =>This Inner Loop Header: Depth=1
	scratch_load_b64 v[54:55], off, s23
	v_dual_mov_b32 v53, s26 :: v_dual_add_nc_u32 v52, -1, v52
	s_add_co_i32 s26, s26, 8
	s_wait_xcnt 0x0
	s_add_co_i32 s23, s23, 8
	ds_load_b64 v[56:57], v53
	v_cmp_eq_u32_e32 vcc_lo, 0, v52
	s_or_b32 s0, vcc_lo, s0
	s_wait_loadcnt_dscnt 0x0
	v_pk_mul_f32 v[58:59], v[56:57], v[54:55] op_sel:[1,1] op_sel_hi:[0,1]
	s_delay_alu instid0(VALU_DEP_1) | instskip(SKIP_1) | instid1(VALU_DEP_2)
	v_pk_fma_f32 v[60:61], v[56:57], v[54:55], v[58:59] op_sel_hi:[1,0,1]
	v_pk_fma_f32 v[54:55], v[56:57], v[54:55], v[58:59] neg_lo:[0,0,1] neg_hi:[0,0,1]
	v_mov_b32_e32 v55, v61
	s_delay_alu instid0(VALU_DEP_1)
	v_pk_add_f32 v[50:51], v[50:51], v[54:55]
	s_and_not1_b32 exec_lo, exec_lo, s0
	s_cbranch_execnz .LBB86_42
; %bb.43:
	s_or_b32 exec_lo, exec_lo, s0
.LBB86_44:
	s_delay_alu instid0(SALU_CYCLE_1) | instskip(SKIP_4) | instid1(VALU_DEP_1)
	s_or_b32 exec_lo, exec_lo, s25
	v_mov_b32_e32 v52, 0
	ds_load_b64 v[52:53], v52 offset:144
	s_wait_dscnt 0x0
	v_pk_mul_f32 v[54:55], v[50:51], v[52:53] op_sel:[1,1] op_sel_hi:[0,1]
	v_pk_fma_f32 v[56:57], v[50:51], v[52:53], v[54:55] op_sel_hi:[1,0,1]
	v_pk_fma_f32 v[50:51], v[50:51], v[52:53], v[54:55] neg_lo:[0,0,1] neg_hi:[0,0,1]
	s_delay_alu instid0(VALU_DEP_2)
	v_mov_b32_e32 v51, v57
	scratch_store_b64 off, v[50:51], off offset:144
.LBB86_45:
	s_wait_xcnt 0x0
	s_or_b32 exec_lo, exec_lo, s24
	scratch_load_b64 v[50:51], off, off offset:136
	v_cmp_lt_u32_e64 s0, 17, v0
	s_wait_loadcnt 0x0
	ds_store_b64 v1, v[50:51]
	s_wait_storecnt_dscnt 0x0
	s_barrier_signal -1
	s_barrier_wait -1
	s_wait_xcnt 0x0
	s_and_saveexec_b32 s23, s0
	s_cbranch_execz .LBB86_55
; %bb.46:
	s_and_not1_b32 vcc_lo, exec_lo, s5
	s_cbranch_vccnz .LBB86_48
; %bb.47:
	scratch_load_b64 v[50:51], v49, off
	ds_load_b64 v[52:53], v1
	s_wait_loadcnt_dscnt 0x0
	v_pk_mul_f32 v[54:55], v[52:53], v[50:51] op_sel:[1,1] op_sel_hi:[0,1]
	s_delay_alu instid0(VALU_DEP_1) | instskip(SKIP_1) | instid1(VALU_DEP_2)
	v_pk_fma_f32 v[56:57], v[52:53], v[50:51], v[54:55] op_sel_hi:[1,0,1]
	v_pk_fma_f32 v[50:51], v[52:53], v[50:51], v[54:55] neg_lo:[0,0,1] neg_hi:[0,0,1]
	v_mov_b32_e32 v51, v57
	s_cbranch_execz .LBB86_49
	s_branch .LBB86_50
.LBB86_48:
                                        ; implicit-def: $vgpr50_vgpr51
.LBB86_49:
	ds_load_b64 v[50:51], v1
.LBB86_50:
	s_and_saveexec_b32 s24, s1
	s_cbranch_execz .LBB86_54
; %bb.51:
	v_subrev_nc_u32_e32 v52, 18, v0
	s_movk_i32 s25, 0x150
	s_mov_b32 s1, 0
.LBB86_52:                              ; =>This Inner Loop Header: Depth=1
	scratch_load_b64 v[54:55], off, s22
	v_dual_mov_b32 v53, s25 :: v_dual_add_nc_u32 v52, -1, v52
	s_add_co_i32 s25, s25, 8
	s_wait_xcnt 0x0
	s_add_co_i32 s22, s22, 8
	ds_load_b64 v[56:57], v53
	v_cmp_eq_u32_e32 vcc_lo, 0, v52
	s_or_b32 s1, vcc_lo, s1
	s_wait_loadcnt_dscnt 0x0
	v_pk_mul_f32 v[58:59], v[56:57], v[54:55] op_sel:[1,1] op_sel_hi:[0,1]
	s_delay_alu instid0(VALU_DEP_1) | instskip(SKIP_1) | instid1(VALU_DEP_2)
	v_pk_fma_f32 v[60:61], v[56:57], v[54:55], v[58:59] op_sel_hi:[1,0,1]
	v_pk_fma_f32 v[54:55], v[56:57], v[54:55], v[58:59] neg_lo:[0,0,1] neg_hi:[0,0,1]
	v_mov_b32_e32 v55, v61
	s_delay_alu instid0(VALU_DEP_1)
	v_pk_add_f32 v[50:51], v[50:51], v[54:55]
	s_and_not1_b32 exec_lo, exec_lo, s1
	s_cbranch_execnz .LBB86_52
; %bb.53:
	s_or_b32 exec_lo, exec_lo, s1
.LBB86_54:
	s_delay_alu instid0(SALU_CYCLE_1) | instskip(SKIP_4) | instid1(VALU_DEP_1)
	s_or_b32 exec_lo, exec_lo, s24
	v_mov_b32_e32 v52, 0
	ds_load_b64 v[52:53], v52 offset:136
	s_wait_dscnt 0x0
	v_pk_mul_f32 v[54:55], v[50:51], v[52:53] op_sel:[1,1] op_sel_hi:[0,1]
	v_pk_fma_f32 v[56:57], v[50:51], v[52:53], v[54:55] op_sel_hi:[1,0,1]
	v_pk_fma_f32 v[50:51], v[50:51], v[52:53], v[54:55] neg_lo:[0,0,1] neg_hi:[0,0,1]
	s_delay_alu instid0(VALU_DEP_2)
	v_mov_b32_e32 v51, v57
	scratch_store_b64 off, v[50:51], off offset:136
.LBB86_55:
	s_wait_xcnt 0x0
	s_or_b32 exec_lo, exec_lo, s23
	scratch_load_b64 v[50:51], off, off offset:128
	v_cmp_lt_u32_e64 s1, 16, v0
	s_wait_loadcnt 0x0
	ds_store_b64 v1, v[50:51]
	s_wait_storecnt_dscnt 0x0
	s_barrier_signal -1
	s_barrier_wait -1
	s_wait_xcnt 0x0
	s_and_saveexec_b32 s22, s1
	s_cbranch_execz .LBB86_65
; %bb.56:
	s_and_not1_b32 vcc_lo, exec_lo, s5
	s_cbranch_vccnz .LBB86_58
; %bb.57:
	scratch_load_b64 v[50:51], v49, off
	ds_load_b64 v[52:53], v1
	s_wait_loadcnt_dscnt 0x0
	v_pk_mul_f32 v[54:55], v[52:53], v[50:51] op_sel:[1,1] op_sel_hi:[0,1]
	s_delay_alu instid0(VALU_DEP_1) | instskip(SKIP_1) | instid1(VALU_DEP_2)
	v_pk_fma_f32 v[56:57], v[52:53], v[50:51], v[54:55] op_sel_hi:[1,0,1]
	v_pk_fma_f32 v[50:51], v[52:53], v[50:51], v[54:55] neg_lo:[0,0,1] neg_hi:[0,0,1]
	v_mov_b32_e32 v51, v57
	s_cbranch_execz .LBB86_59
	s_branch .LBB86_60
.LBB86_58:
                                        ; implicit-def: $vgpr50_vgpr51
.LBB86_59:
	ds_load_b64 v[50:51], v1
.LBB86_60:
	s_and_saveexec_b32 s23, s0
	s_cbranch_execz .LBB86_64
; %bb.61:
	v_subrev_nc_u32_e32 v52, 17, v0
	s_movk_i32 s24, 0x148
	s_mov_b32 s0, 0
.LBB86_62:                              ; =>This Inner Loop Header: Depth=1
	scratch_load_b64 v[54:55], off, s21
	v_dual_mov_b32 v53, s24 :: v_dual_add_nc_u32 v52, -1, v52
	s_add_co_i32 s24, s24, 8
	s_wait_xcnt 0x0
	s_add_co_i32 s21, s21, 8
	ds_load_b64 v[56:57], v53
	v_cmp_eq_u32_e32 vcc_lo, 0, v52
	s_or_b32 s0, vcc_lo, s0
	s_wait_loadcnt_dscnt 0x0
	v_pk_mul_f32 v[58:59], v[56:57], v[54:55] op_sel:[1,1] op_sel_hi:[0,1]
	s_delay_alu instid0(VALU_DEP_1) | instskip(SKIP_1) | instid1(VALU_DEP_2)
	v_pk_fma_f32 v[60:61], v[56:57], v[54:55], v[58:59] op_sel_hi:[1,0,1]
	v_pk_fma_f32 v[54:55], v[56:57], v[54:55], v[58:59] neg_lo:[0,0,1] neg_hi:[0,0,1]
	v_mov_b32_e32 v55, v61
	s_delay_alu instid0(VALU_DEP_1)
	v_pk_add_f32 v[50:51], v[50:51], v[54:55]
	s_and_not1_b32 exec_lo, exec_lo, s0
	s_cbranch_execnz .LBB86_62
; %bb.63:
	s_or_b32 exec_lo, exec_lo, s0
.LBB86_64:
	s_delay_alu instid0(SALU_CYCLE_1) | instskip(SKIP_4) | instid1(VALU_DEP_1)
	s_or_b32 exec_lo, exec_lo, s23
	v_mov_b32_e32 v52, 0
	ds_load_b64 v[52:53], v52 offset:128
	s_wait_dscnt 0x0
	v_pk_mul_f32 v[54:55], v[50:51], v[52:53] op_sel:[1,1] op_sel_hi:[0,1]
	v_pk_fma_f32 v[56:57], v[50:51], v[52:53], v[54:55] op_sel_hi:[1,0,1]
	v_pk_fma_f32 v[50:51], v[50:51], v[52:53], v[54:55] neg_lo:[0,0,1] neg_hi:[0,0,1]
	s_delay_alu instid0(VALU_DEP_2)
	v_mov_b32_e32 v51, v57
	scratch_store_b64 off, v[50:51], off offset:128
.LBB86_65:
	s_wait_xcnt 0x0
	s_or_b32 exec_lo, exec_lo, s22
	scratch_load_b64 v[50:51], off, off offset:120
	v_cmp_lt_u32_e64 s0, 15, v0
	s_wait_loadcnt 0x0
	ds_store_b64 v1, v[50:51]
	s_wait_storecnt_dscnt 0x0
	s_barrier_signal -1
	s_barrier_wait -1
	s_wait_xcnt 0x0
	s_and_saveexec_b32 s21, s0
	s_cbranch_execz .LBB86_75
; %bb.66:
	s_and_not1_b32 vcc_lo, exec_lo, s5
	s_cbranch_vccnz .LBB86_68
; %bb.67:
	scratch_load_b64 v[50:51], v49, off
	ds_load_b64 v[52:53], v1
	s_wait_loadcnt_dscnt 0x0
	v_pk_mul_f32 v[54:55], v[52:53], v[50:51] op_sel:[1,1] op_sel_hi:[0,1]
	s_delay_alu instid0(VALU_DEP_1) | instskip(SKIP_1) | instid1(VALU_DEP_2)
	v_pk_fma_f32 v[56:57], v[52:53], v[50:51], v[54:55] op_sel_hi:[1,0,1]
	v_pk_fma_f32 v[50:51], v[52:53], v[50:51], v[54:55] neg_lo:[0,0,1] neg_hi:[0,0,1]
	v_mov_b32_e32 v51, v57
	s_cbranch_execz .LBB86_69
	s_branch .LBB86_70
.LBB86_68:
                                        ; implicit-def: $vgpr50_vgpr51
.LBB86_69:
	ds_load_b64 v[50:51], v1
.LBB86_70:
	s_and_saveexec_b32 s22, s1
	s_cbranch_execz .LBB86_74
; %bb.71:
	v_add_nc_u32_e32 v52, -16, v0
	s_movk_i32 s23, 0x140
	s_mov_b32 s1, 0
.LBB86_72:                              ; =>This Inner Loop Header: Depth=1
	scratch_load_b64 v[54:55], off, s20
	v_dual_mov_b32 v53, s23 :: v_dual_add_nc_u32 v52, -1, v52
	s_add_co_i32 s23, s23, 8
	s_wait_xcnt 0x0
	s_add_co_i32 s20, s20, 8
	ds_load_b64 v[56:57], v53
	v_cmp_eq_u32_e32 vcc_lo, 0, v52
	s_or_b32 s1, vcc_lo, s1
	s_wait_loadcnt_dscnt 0x0
	v_pk_mul_f32 v[58:59], v[56:57], v[54:55] op_sel:[1,1] op_sel_hi:[0,1]
	s_delay_alu instid0(VALU_DEP_1) | instskip(SKIP_1) | instid1(VALU_DEP_2)
	v_pk_fma_f32 v[60:61], v[56:57], v[54:55], v[58:59] op_sel_hi:[1,0,1]
	v_pk_fma_f32 v[54:55], v[56:57], v[54:55], v[58:59] neg_lo:[0,0,1] neg_hi:[0,0,1]
	v_mov_b32_e32 v55, v61
	s_delay_alu instid0(VALU_DEP_1)
	v_pk_add_f32 v[50:51], v[50:51], v[54:55]
	s_and_not1_b32 exec_lo, exec_lo, s1
	s_cbranch_execnz .LBB86_72
; %bb.73:
	s_or_b32 exec_lo, exec_lo, s1
.LBB86_74:
	s_delay_alu instid0(SALU_CYCLE_1) | instskip(SKIP_4) | instid1(VALU_DEP_1)
	s_or_b32 exec_lo, exec_lo, s22
	v_mov_b32_e32 v52, 0
	ds_load_b64 v[52:53], v52 offset:120
	s_wait_dscnt 0x0
	v_pk_mul_f32 v[54:55], v[50:51], v[52:53] op_sel:[1,1] op_sel_hi:[0,1]
	v_pk_fma_f32 v[56:57], v[50:51], v[52:53], v[54:55] op_sel_hi:[1,0,1]
	v_pk_fma_f32 v[50:51], v[50:51], v[52:53], v[54:55] neg_lo:[0,0,1] neg_hi:[0,0,1]
	s_delay_alu instid0(VALU_DEP_2)
	v_mov_b32_e32 v51, v57
	scratch_store_b64 off, v[50:51], off offset:120
.LBB86_75:
	s_wait_xcnt 0x0
	s_or_b32 exec_lo, exec_lo, s21
	scratch_load_b64 v[50:51], off, off offset:112
	v_cmp_lt_u32_e64 s1, 14, v0
	s_wait_loadcnt 0x0
	ds_store_b64 v1, v[50:51]
	s_wait_storecnt_dscnt 0x0
	s_barrier_signal -1
	s_barrier_wait -1
	s_wait_xcnt 0x0
	s_and_saveexec_b32 s20, s1
	s_cbranch_execz .LBB86_85
; %bb.76:
	s_and_not1_b32 vcc_lo, exec_lo, s5
	s_cbranch_vccnz .LBB86_78
; %bb.77:
	scratch_load_b64 v[50:51], v49, off
	ds_load_b64 v[52:53], v1
	s_wait_loadcnt_dscnt 0x0
	v_pk_mul_f32 v[54:55], v[52:53], v[50:51] op_sel:[1,1] op_sel_hi:[0,1]
	s_delay_alu instid0(VALU_DEP_1) | instskip(SKIP_1) | instid1(VALU_DEP_2)
	v_pk_fma_f32 v[56:57], v[52:53], v[50:51], v[54:55] op_sel_hi:[1,0,1]
	v_pk_fma_f32 v[50:51], v[52:53], v[50:51], v[54:55] neg_lo:[0,0,1] neg_hi:[0,0,1]
	v_mov_b32_e32 v51, v57
	s_cbranch_execz .LBB86_79
	s_branch .LBB86_80
.LBB86_78:
                                        ; implicit-def: $vgpr50_vgpr51
.LBB86_79:
	ds_load_b64 v[50:51], v1
.LBB86_80:
	s_and_saveexec_b32 s21, s0
	s_cbranch_execz .LBB86_84
; %bb.81:
	v_add_nc_u32_e32 v52, -15, v0
	s_movk_i32 s22, 0x138
	s_mov_b32 s0, 0
.LBB86_82:                              ; =>This Inner Loop Header: Depth=1
	scratch_load_b64 v[54:55], off, s19
	v_dual_mov_b32 v53, s22 :: v_dual_add_nc_u32 v52, -1, v52
	s_add_co_i32 s22, s22, 8
	s_wait_xcnt 0x0
	s_add_co_i32 s19, s19, 8
	ds_load_b64 v[56:57], v53
	v_cmp_eq_u32_e32 vcc_lo, 0, v52
	s_or_b32 s0, vcc_lo, s0
	s_wait_loadcnt_dscnt 0x0
	v_pk_mul_f32 v[58:59], v[56:57], v[54:55] op_sel:[1,1] op_sel_hi:[0,1]
	s_delay_alu instid0(VALU_DEP_1) | instskip(SKIP_1) | instid1(VALU_DEP_2)
	v_pk_fma_f32 v[60:61], v[56:57], v[54:55], v[58:59] op_sel_hi:[1,0,1]
	v_pk_fma_f32 v[54:55], v[56:57], v[54:55], v[58:59] neg_lo:[0,0,1] neg_hi:[0,0,1]
	v_mov_b32_e32 v55, v61
	s_delay_alu instid0(VALU_DEP_1)
	v_pk_add_f32 v[50:51], v[50:51], v[54:55]
	s_and_not1_b32 exec_lo, exec_lo, s0
	s_cbranch_execnz .LBB86_82
; %bb.83:
	s_or_b32 exec_lo, exec_lo, s0
.LBB86_84:
	s_delay_alu instid0(SALU_CYCLE_1) | instskip(SKIP_4) | instid1(VALU_DEP_1)
	s_or_b32 exec_lo, exec_lo, s21
	v_mov_b32_e32 v52, 0
	ds_load_b64 v[52:53], v52 offset:112
	s_wait_dscnt 0x0
	v_pk_mul_f32 v[54:55], v[50:51], v[52:53] op_sel:[1,1] op_sel_hi:[0,1]
	v_pk_fma_f32 v[56:57], v[50:51], v[52:53], v[54:55] op_sel_hi:[1,0,1]
	v_pk_fma_f32 v[50:51], v[50:51], v[52:53], v[54:55] neg_lo:[0,0,1] neg_hi:[0,0,1]
	s_delay_alu instid0(VALU_DEP_2)
	v_mov_b32_e32 v51, v57
	scratch_store_b64 off, v[50:51], off offset:112
.LBB86_85:
	s_wait_xcnt 0x0
	s_or_b32 exec_lo, exec_lo, s20
	scratch_load_b64 v[50:51], off, off offset:104
	v_cmp_lt_u32_e64 s0, 13, v0
	s_wait_loadcnt 0x0
	ds_store_b64 v1, v[50:51]
	s_wait_storecnt_dscnt 0x0
	s_barrier_signal -1
	s_barrier_wait -1
	s_wait_xcnt 0x0
	s_and_saveexec_b32 s19, s0
	s_cbranch_execz .LBB86_95
; %bb.86:
	s_and_not1_b32 vcc_lo, exec_lo, s5
	s_cbranch_vccnz .LBB86_88
; %bb.87:
	scratch_load_b64 v[50:51], v49, off
	ds_load_b64 v[52:53], v1
	s_wait_loadcnt_dscnt 0x0
	v_pk_mul_f32 v[54:55], v[52:53], v[50:51] op_sel:[1,1] op_sel_hi:[0,1]
	s_delay_alu instid0(VALU_DEP_1) | instskip(SKIP_1) | instid1(VALU_DEP_2)
	v_pk_fma_f32 v[56:57], v[52:53], v[50:51], v[54:55] op_sel_hi:[1,0,1]
	v_pk_fma_f32 v[50:51], v[52:53], v[50:51], v[54:55] neg_lo:[0,0,1] neg_hi:[0,0,1]
	v_mov_b32_e32 v51, v57
	s_cbranch_execz .LBB86_89
	s_branch .LBB86_90
.LBB86_88:
                                        ; implicit-def: $vgpr50_vgpr51
.LBB86_89:
	ds_load_b64 v[50:51], v1
.LBB86_90:
	s_and_saveexec_b32 s20, s1
	s_cbranch_execz .LBB86_94
; %bb.91:
	v_add_nc_u32_e32 v52, -14, v0
	s_movk_i32 s21, 0x130
	s_mov_b32 s1, 0
.LBB86_92:                              ; =>This Inner Loop Header: Depth=1
	scratch_load_b64 v[54:55], off, s18
	v_dual_mov_b32 v53, s21 :: v_dual_add_nc_u32 v52, -1, v52
	s_add_co_i32 s21, s21, 8
	s_wait_xcnt 0x0
	s_add_co_i32 s18, s18, 8
	ds_load_b64 v[56:57], v53
	v_cmp_eq_u32_e32 vcc_lo, 0, v52
	s_or_b32 s1, vcc_lo, s1
	s_wait_loadcnt_dscnt 0x0
	v_pk_mul_f32 v[58:59], v[56:57], v[54:55] op_sel:[1,1] op_sel_hi:[0,1]
	s_delay_alu instid0(VALU_DEP_1) | instskip(SKIP_1) | instid1(VALU_DEP_2)
	v_pk_fma_f32 v[60:61], v[56:57], v[54:55], v[58:59] op_sel_hi:[1,0,1]
	v_pk_fma_f32 v[54:55], v[56:57], v[54:55], v[58:59] neg_lo:[0,0,1] neg_hi:[0,0,1]
	v_mov_b32_e32 v55, v61
	s_delay_alu instid0(VALU_DEP_1)
	v_pk_add_f32 v[50:51], v[50:51], v[54:55]
	s_and_not1_b32 exec_lo, exec_lo, s1
	s_cbranch_execnz .LBB86_92
; %bb.93:
	s_or_b32 exec_lo, exec_lo, s1
.LBB86_94:
	s_delay_alu instid0(SALU_CYCLE_1) | instskip(SKIP_4) | instid1(VALU_DEP_1)
	s_or_b32 exec_lo, exec_lo, s20
	v_mov_b32_e32 v52, 0
	ds_load_b64 v[52:53], v52 offset:104
	s_wait_dscnt 0x0
	v_pk_mul_f32 v[54:55], v[50:51], v[52:53] op_sel:[1,1] op_sel_hi:[0,1]
	v_pk_fma_f32 v[56:57], v[50:51], v[52:53], v[54:55] op_sel_hi:[1,0,1]
	v_pk_fma_f32 v[50:51], v[50:51], v[52:53], v[54:55] neg_lo:[0,0,1] neg_hi:[0,0,1]
	s_delay_alu instid0(VALU_DEP_2)
	v_mov_b32_e32 v51, v57
	scratch_store_b64 off, v[50:51], off offset:104
.LBB86_95:
	s_wait_xcnt 0x0
	s_or_b32 exec_lo, exec_lo, s19
	scratch_load_b64 v[50:51], off, off offset:96
	v_cmp_lt_u32_e64 s1, 12, v0
	s_wait_loadcnt 0x0
	ds_store_b64 v1, v[50:51]
	s_wait_storecnt_dscnt 0x0
	s_barrier_signal -1
	s_barrier_wait -1
	s_wait_xcnt 0x0
	s_and_saveexec_b32 s18, s1
	s_cbranch_execz .LBB86_105
; %bb.96:
	s_and_not1_b32 vcc_lo, exec_lo, s5
	s_cbranch_vccnz .LBB86_98
; %bb.97:
	scratch_load_b64 v[50:51], v49, off
	ds_load_b64 v[52:53], v1
	s_wait_loadcnt_dscnt 0x0
	v_pk_mul_f32 v[54:55], v[52:53], v[50:51] op_sel:[1,1] op_sel_hi:[0,1]
	s_delay_alu instid0(VALU_DEP_1) | instskip(SKIP_1) | instid1(VALU_DEP_2)
	v_pk_fma_f32 v[56:57], v[52:53], v[50:51], v[54:55] op_sel_hi:[1,0,1]
	v_pk_fma_f32 v[50:51], v[52:53], v[50:51], v[54:55] neg_lo:[0,0,1] neg_hi:[0,0,1]
	v_mov_b32_e32 v51, v57
	s_cbranch_execz .LBB86_99
	s_branch .LBB86_100
.LBB86_98:
                                        ; implicit-def: $vgpr50_vgpr51
.LBB86_99:
	ds_load_b64 v[50:51], v1
.LBB86_100:
	s_and_saveexec_b32 s19, s0
	s_cbranch_execz .LBB86_104
; %bb.101:
	v_add_nc_u32_e32 v52, -13, v0
	s_movk_i32 s20, 0x128
	s_mov_b32 s0, 0
.LBB86_102:                             ; =>This Inner Loop Header: Depth=1
	scratch_load_b64 v[54:55], off, s17
	v_dual_mov_b32 v53, s20 :: v_dual_add_nc_u32 v52, -1, v52
	s_add_co_i32 s20, s20, 8
	s_wait_xcnt 0x0
	s_add_co_i32 s17, s17, 8
	ds_load_b64 v[56:57], v53
	v_cmp_eq_u32_e32 vcc_lo, 0, v52
	s_or_b32 s0, vcc_lo, s0
	s_wait_loadcnt_dscnt 0x0
	v_pk_mul_f32 v[58:59], v[56:57], v[54:55] op_sel:[1,1] op_sel_hi:[0,1]
	s_delay_alu instid0(VALU_DEP_1) | instskip(SKIP_1) | instid1(VALU_DEP_2)
	v_pk_fma_f32 v[60:61], v[56:57], v[54:55], v[58:59] op_sel_hi:[1,0,1]
	v_pk_fma_f32 v[54:55], v[56:57], v[54:55], v[58:59] neg_lo:[0,0,1] neg_hi:[0,0,1]
	v_mov_b32_e32 v55, v61
	s_delay_alu instid0(VALU_DEP_1)
	v_pk_add_f32 v[50:51], v[50:51], v[54:55]
	s_and_not1_b32 exec_lo, exec_lo, s0
	s_cbranch_execnz .LBB86_102
; %bb.103:
	s_or_b32 exec_lo, exec_lo, s0
.LBB86_104:
	s_delay_alu instid0(SALU_CYCLE_1) | instskip(SKIP_4) | instid1(VALU_DEP_1)
	s_or_b32 exec_lo, exec_lo, s19
	v_mov_b32_e32 v52, 0
	ds_load_b64 v[52:53], v52 offset:96
	s_wait_dscnt 0x0
	v_pk_mul_f32 v[54:55], v[50:51], v[52:53] op_sel:[1,1] op_sel_hi:[0,1]
	v_pk_fma_f32 v[56:57], v[50:51], v[52:53], v[54:55] op_sel_hi:[1,0,1]
	v_pk_fma_f32 v[50:51], v[50:51], v[52:53], v[54:55] neg_lo:[0,0,1] neg_hi:[0,0,1]
	s_delay_alu instid0(VALU_DEP_2)
	v_mov_b32_e32 v51, v57
	scratch_store_b64 off, v[50:51], off offset:96
.LBB86_105:
	s_wait_xcnt 0x0
	s_or_b32 exec_lo, exec_lo, s18
	scratch_load_b64 v[50:51], off, off offset:88
	v_cmp_lt_u32_e64 s0, 11, v0
	s_wait_loadcnt 0x0
	ds_store_b64 v1, v[50:51]
	s_wait_storecnt_dscnt 0x0
	s_barrier_signal -1
	s_barrier_wait -1
	s_wait_xcnt 0x0
	s_and_saveexec_b32 s17, s0
	s_cbranch_execz .LBB86_115
; %bb.106:
	s_and_not1_b32 vcc_lo, exec_lo, s5
	s_cbranch_vccnz .LBB86_108
; %bb.107:
	scratch_load_b64 v[50:51], v49, off
	ds_load_b64 v[52:53], v1
	s_wait_loadcnt_dscnt 0x0
	v_pk_mul_f32 v[54:55], v[52:53], v[50:51] op_sel:[1,1] op_sel_hi:[0,1]
	s_delay_alu instid0(VALU_DEP_1) | instskip(SKIP_1) | instid1(VALU_DEP_2)
	v_pk_fma_f32 v[56:57], v[52:53], v[50:51], v[54:55] op_sel_hi:[1,0,1]
	v_pk_fma_f32 v[50:51], v[52:53], v[50:51], v[54:55] neg_lo:[0,0,1] neg_hi:[0,0,1]
	v_mov_b32_e32 v51, v57
	s_cbranch_execz .LBB86_109
	s_branch .LBB86_110
.LBB86_108:
                                        ; implicit-def: $vgpr50_vgpr51
.LBB86_109:
	ds_load_b64 v[50:51], v1
.LBB86_110:
	s_and_saveexec_b32 s18, s1
	s_cbranch_execz .LBB86_114
; %bb.111:
	v_add_nc_u32_e32 v52, -12, v0
	s_movk_i32 s19, 0x120
	s_mov_b32 s1, 0
.LBB86_112:                             ; =>This Inner Loop Header: Depth=1
	scratch_load_b64 v[54:55], off, s16
	v_dual_mov_b32 v53, s19 :: v_dual_add_nc_u32 v52, -1, v52
	s_add_co_i32 s19, s19, 8
	s_wait_xcnt 0x0
	s_add_co_i32 s16, s16, 8
	ds_load_b64 v[56:57], v53
	v_cmp_eq_u32_e32 vcc_lo, 0, v52
	s_or_b32 s1, vcc_lo, s1
	s_wait_loadcnt_dscnt 0x0
	v_pk_mul_f32 v[58:59], v[56:57], v[54:55] op_sel:[1,1] op_sel_hi:[0,1]
	s_delay_alu instid0(VALU_DEP_1) | instskip(SKIP_1) | instid1(VALU_DEP_2)
	v_pk_fma_f32 v[60:61], v[56:57], v[54:55], v[58:59] op_sel_hi:[1,0,1]
	v_pk_fma_f32 v[54:55], v[56:57], v[54:55], v[58:59] neg_lo:[0,0,1] neg_hi:[0,0,1]
	v_mov_b32_e32 v55, v61
	s_delay_alu instid0(VALU_DEP_1)
	v_pk_add_f32 v[50:51], v[50:51], v[54:55]
	s_and_not1_b32 exec_lo, exec_lo, s1
	s_cbranch_execnz .LBB86_112
; %bb.113:
	s_or_b32 exec_lo, exec_lo, s1
.LBB86_114:
	s_delay_alu instid0(SALU_CYCLE_1) | instskip(SKIP_4) | instid1(VALU_DEP_1)
	s_or_b32 exec_lo, exec_lo, s18
	v_mov_b32_e32 v52, 0
	ds_load_b64 v[52:53], v52 offset:88
	s_wait_dscnt 0x0
	v_pk_mul_f32 v[54:55], v[50:51], v[52:53] op_sel:[1,1] op_sel_hi:[0,1]
	v_pk_fma_f32 v[56:57], v[50:51], v[52:53], v[54:55] op_sel_hi:[1,0,1]
	v_pk_fma_f32 v[50:51], v[50:51], v[52:53], v[54:55] neg_lo:[0,0,1] neg_hi:[0,0,1]
	s_delay_alu instid0(VALU_DEP_2)
	v_mov_b32_e32 v51, v57
	scratch_store_b64 off, v[50:51], off offset:88
.LBB86_115:
	s_wait_xcnt 0x0
	s_or_b32 exec_lo, exec_lo, s17
	scratch_load_b64 v[50:51], off, off offset:80
	v_cmp_lt_u32_e64 s1, 10, v0
	s_wait_loadcnt 0x0
	ds_store_b64 v1, v[50:51]
	s_wait_storecnt_dscnt 0x0
	s_barrier_signal -1
	s_barrier_wait -1
	s_wait_xcnt 0x0
	s_and_saveexec_b32 s16, s1
	s_cbranch_execz .LBB86_125
; %bb.116:
	s_and_not1_b32 vcc_lo, exec_lo, s5
	s_cbranch_vccnz .LBB86_118
; %bb.117:
	scratch_load_b64 v[50:51], v49, off
	ds_load_b64 v[52:53], v1
	s_wait_loadcnt_dscnt 0x0
	v_pk_mul_f32 v[54:55], v[52:53], v[50:51] op_sel:[1,1] op_sel_hi:[0,1]
	s_delay_alu instid0(VALU_DEP_1) | instskip(SKIP_1) | instid1(VALU_DEP_2)
	v_pk_fma_f32 v[56:57], v[52:53], v[50:51], v[54:55] op_sel_hi:[1,0,1]
	v_pk_fma_f32 v[50:51], v[52:53], v[50:51], v[54:55] neg_lo:[0,0,1] neg_hi:[0,0,1]
	v_mov_b32_e32 v51, v57
	s_cbranch_execz .LBB86_119
	s_branch .LBB86_120
.LBB86_118:
                                        ; implicit-def: $vgpr50_vgpr51
.LBB86_119:
	ds_load_b64 v[50:51], v1
.LBB86_120:
	s_and_saveexec_b32 s17, s0
	s_cbranch_execz .LBB86_124
; %bb.121:
	v_add_nc_u32_e32 v52, -11, v0
	s_movk_i32 s18, 0x118
	s_mov_b32 s0, 0
.LBB86_122:                             ; =>This Inner Loop Header: Depth=1
	scratch_load_b64 v[54:55], off, s15
	v_dual_mov_b32 v53, s18 :: v_dual_add_nc_u32 v52, -1, v52
	s_add_co_i32 s18, s18, 8
	s_wait_xcnt 0x0
	s_add_co_i32 s15, s15, 8
	ds_load_b64 v[56:57], v53
	v_cmp_eq_u32_e32 vcc_lo, 0, v52
	s_or_b32 s0, vcc_lo, s0
	s_wait_loadcnt_dscnt 0x0
	v_pk_mul_f32 v[58:59], v[56:57], v[54:55] op_sel:[1,1] op_sel_hi:[0,1]
	s_delay_alu instid0(VALU_DEP_1) | instskip(SKIP_1) | instid1(VALU_DEP_2)
	v_pk_fma_f32 v[60:61], v[56:57], v[54:55], v[58:59] op_sel_hi:[1,0,1]
	v_pk_fma_f32 v[54:55], v[56:57], v[54:55], v[58:59] neg_lo:[0,0,1] neg_hi:[0,0,1]
	v_mov_b32_e32 v55, v61
	s_delay_alu instid0(VALU_DEP_1)
	v_pk_add_f32 v[50:51], v[50:51], v[54:55]
	s_and_not1_b32 exec_lo, exec_lo, s0
	s_cbranch_execnz .LBB86_122
; %bb.123:
	s_or_b32 exec_lo, exec_lo, s0
.LBB86_124:
	s_delay_alu instid0(SALU_CYCLE_1) | instskip(SKIP_4) | instid1(VALU_DEP_1)
	s_or_b32 exec_lo, exec_lo, s17
	v_mov_b32_e32 v52, 0
	ds_load_b64 v[52:53], v52 offset:80
	s_wait_dscnt 0x0
	v_pk_mul_f32 v[54:55], v[50:51], v[52:53] op_sel:[1,1] op_sel_hi:[0,1]
	v_pk_fma_f32 v[56:57], v[50:51], v[52:53], v[54:55] op_sel_hi:[1,0,1]
	v_pk_fma_f32 v[50:51], v[50:51], v[52:53], v[54:55] neg_lo:[0,0,1] neg_hi:[0,0,1]
	s_delay_alu instid0(VALU_DEP_2)
	v_mov_b32_e32 v51, v57
	scratch_store_b64 off, v[50:51], off offset:80
.LBB86_125:
	s_wait_xcnt 0x0
	s_or_b32 exec_lo, exec_lo, s16
	scratch_load_b64 v[50:51], off, off offset:72
	v_cmp_lt_u32_e64 s0, 9, v0
	s_wait_loadcnt 0x0
	ds_store_b64 v1, v[50:51]
	s_wait_storecnt_dscnt 0x0
	s_barrier_signal -1
	s_barrier_wait -1
	s_wait_xcnt 0x0
	s_and_saveexec_b32 s15, s0
	s_cbranch_execz .LBB86_135
; %bb.126:
	s_and_not1_b32 vcc_lo, exec_lo, s5
	s_cbranch_vccnz .LBB86_128
; %bb.127:
	scratch_load_b64 v[50:51], v49, off
	ds_load_b64 v[52:53], v1
	s_wait_loadcnt_dscnt 0x0
	v_pk_mul_f32 v[54:55], v[52:53], v[50:51] op_sel:[1,1] op_sel_hi:[0,1]
	s_delay_alu instid0(VALU_DEP_1) | instskip(SKIP_1) | instid1(VALU_DEP_2)
	v_pk_fma_f32 v[56:57], v[52:53], v[50:51], v[54:55] op_sel_hi:[1,0,1]
	v_pk_fma_f32 v[50:51], v[52:53], v[50:51], v[54:55] neg_lo:[0,0,1] neg_hi:[0,0,1]
	v_mov_b32_e32 v51, v57
	s_cbranch_execz .LBB86_129
	s_branch .LBB86_130
.LBB86_128:
                                        ; implicit-def: $vgpr50_vgpr51
.LBB86_129:
	ds_load_b64 v[50:51], v1
.LBB86_130:
	s_and_saveexec_b32 s16, s1
	s_cbranch_execz .LBB86_134
; %bb.131:
	v_add_nc_u32_e32 v52, -10, v0
	s_movk_i32 s17, 0x110
	s_mov_b32 s1, 0
.LBB86_132:                             ; =>This Inner Loop Header: Depth=1
	scratch_load_b64 v[54:55], off, s14
	v_dual_mov_b32 v53, s17 :: v_dual_add_nc_u32 v52, -1, v52
	s_add_co_i32 s17, s17, 8
	s_wait_xcnt 0x0
	s_add_co_i32 s14, s14, 8
	ds_load_b64 v[56:57], v53
	v_cmp_eq_u32_e32 vcc_lo, 0, v52
	s_or_b32 s1, vcc_lo, s1
	s_wait_loadcnt_dscnt 0x0
	v_pk_mul_f32 v[58:59], v[56:57], v[54:55] op_sel:[1,1] op_sel_hi:[0,1]
	s_delay_alu instid0(VALU_DEP_1) | instskip(SKIP_1) | instid1(VALU_DEP_2)
	v_pk_fma_f32 v[60:61], v[56:57], v[54:55], v[58:59] op_sel_hi:[1,0,1]
	v_pk_fma_f32 v[54:55], v[56:57], v[54:55], v[58:59] neg_lo:[0,0,1] neg_hi:[0,0,1]
	v_mov_b32_e32 v55, v61
	s_delay_alu instid0(VALU_DEP_1)
	v_pk_add_f32 v[50:51], v[50:51], v[54:55]
	s_and_not1_b32 exec_lo, exec_lo, s1
	s_cbranch_execnz .LBB86_132
; %bb.133:
	s_or_b32 exec_lo, exec_lo, s1
.LBB86_134:
	s_delay_alu instid0(SALU_CYCLE_1) | instskip(SKIP_4) | instid1(VALU_DEP_1)
	s_or_b32 exec_lo, exec_lo, s16
	v_mov_b32_e32 v52, 0
	ds_load_b64 v[52:53], v52 offset:72
	s_wait_dscnt 0x0
	v_pk_mul_f32 v[54:55], v[50:51], v[52:53] op_sel:[1,1] op_sel_hi:[0,1]
	v_pk_fma_f32 v[56:57], v[50:51], v[52:53], v[54:55] op_sel_hi:[1,0,1]
	v_pk_fma_f32 v[50:51], v[50:51], v[52:53], v[54:55] neg_lo:[0,0,1] neg_hi:[0,0,1]
	s_delay_alu instid0(VALU_DEP_2)
	v_mov_b32_e32 v51, v57
	scratch_store_b64 off, v[50:51], off offset:72
.LBB86_135:
	s_wait_xcnt 0x0
	s_or_b32 exec_lo, exec_lo, s15
	scratch_load_b64 v[50:51], off, off offset:64
	v_cmp_lt_u32_e64 s1, 8, v0
	s_wait_loadcnt 0x0
	ds_store_b64 v1, v[50:51]
	s_wait_storecnt_dscnt 0x0
	s_barrier_signal -1
	s_barrier_wait -1
	s_wait_xcnt 0x0
	s_and_saveexec_b32 s14, s1
	s_cbranch_execz .LBB86_145
; %bb.136:
	s_and_not1_b32 vcc_lo, exec_lo, s5
	s_cbranch_vccnz .LBB86_138
; %bb.137:
	scratch_load_b64 v[50:51], v49, off
	ds_load_b64 v[52:53], v1
	s_wait_loadcnt_dscnt 0x0
	v_pk_mul_f32 v[54:55], v[52:53], v[50:51] op_sel:[1,1] op_sel_hi:[0,1]
	s_delay_alu instid0(VALU_DEP_1) | instskip(SKIP_1) | instid1(VALU_DEP_2)
	v_pk_fma_f32 v[56:57], v[52:53], v[50:51], v[54:55] op_sel_hi:[1,0,1]
	v_pk_fma_f32 v[50:51], v[52:53], v[50:51], v[54:55] neg_lo:[0,0,1] neg_hi:[0,0,1]
	v_mov_b32_e32 v51, v57
	s_cbranch_execz .LBB86_139
	s_branch .LBB86_140
.LBB86_138:
                                        ; implicit-def: $vgpr50_vgpr51
.LBB86_139:
	ds_load_b64 v[50:51], v1
.LBB86_140:
	s_and_saveexec_b32 s15, s0
	s_cbranch_execz .LBB86_144
; %bb.141:
	v_add_nc_u32_e32 v52, -9, v0
	s_movk_i32 s16, 0x108
	s_mov_b32 s0, 0
.LBB86_142:                             ; =>This Inner Loop Header: Depth=1
	scratch_load_b64 v[54:55], off, s13
	v_dual_mov_b32 v53, s16 :: v_dual_add_nc_u32 v52, -1, v52
	s_add_co_i32 s16, s16, 8
	s_wait_xcnt 0x0
	s_add_co_i32 s13, s13, 8
	ds_load_b64 v[56:57], v53
	v_cmp_eq_u32_e32 vcc_lo, 0, v52
	s_or_b32 s0, vcc_lo, s0
	s_wait_loadcnt_dscnt 0x0
	v_pk_mul_f32 v[58:59], v[56:57], v[54:55] op_sel:[1,1] op_sel_hi:[0,1]
	s_delay_alu instid0(VALU_DEP_1) | instskip(SKIP_1) | instid1(VALU_DEP_2)
	v_pk_fma_f32 v[60:61], v[56:57], v[54:55], v[58:59] op_sel_hi:[1,0,1]
	v_pk_fma_f32 v[54:55], v[56:57], v[54:55], v[58:59] neg_lo:[0,0,1] neg_hi:[0,0,1]
	v_mov_b32_e32 v55, v61
	s_delay_alu instid0(VALU_DEP_1)
	v_pk_add_f32 v[50:51], v[50:51], v[54:55]
	s_and_not1_b32 exec_lo, exec_lo, s0
	s_cbranch_execnz .LBB86_142
; %bb.143:
	s_or_b32 exec_lo, exec_lo, s0
.LBB86_144:
	s_delay_alu instid0(SALU_CYCLE_1) | instskip(SKIP_4) | instid1(VALU_DEP_1)
	s_or_b32 exec_lo, exec_lo, s15
	v_mov_b32_e32 v52, 0
	ds_load_b64 v[52:53], v52 offset:64
	s_wait_dscnt 0x0
	v_pk_mul_f32 v[54:55], v[50:51], v[52:53] op_sel:[1,1] op_sel_hi:[0,1]
	v_pk_fma_f32 v[56:57], v[50:51], v[52:53], v[54:55] op_sel_hi:[1,0,1]
	v_pk_fma_f32 v[50:51], v[50:51], v[52:53], v[54:55] neg_lo:[0,0,1] neg_hi:[0,0,1]
	s_delay_alu instid0(VALU_DEP_2)
	v_mov_b32_e32 v51, v57
	scratch_store_b64 off, v[50:51], off offset:64
.LBB86_145:
	s_wait_xcnt 0x0
	s_or_b32 exec_lo, exec_lo, s14
	scratch_load_b64 v[50:51], off, off offset:56
	v_cmp_lt_u32_e64 s0, 7, v0
	s_wait_loadcnt 0x0
	ds_store_b64 v1, v[50:51]
	s_wait_storecnt_dscnt 0x0
	s_barrier_signal -1
	s_barrier_wait -1
	s_wait_xcnt 0x0
	s_and_saveexec_b32 s13, s0
	s_cbranch_execz .LBB86_155
; %bb.146:
	s_and_not1_b32 vcc_lo, exec_lo, s5
	s_cbranch_vccnz .LBB86_148
; %bb.147:
	scratch_load_b64 v[50:51], v49, off
	ds_load_b64 v[52:53], v1
	s_wait_loadcnt_dscnt 0x0
	v_pk_mul_f32 v[54:55], v[52:53], v[50:51] op_sel:[1,1] op_sel_hi:[0,1]
	s_delay_alu instid0(VALU_DEP_1) | instskip(SKIP_1) | instid1(VALU_DEP_2)
	v_pk_fma_f32 v[56:57], v[52:53], v[50:51], v[54:55] op_sel_hi:[1,0,1]
	v_pk_fma_f32 v[50:51], v[52:53], v[50:51], v[54:55] neg_lo:[0,0,1] neg_hi:[0,0,1]
	v_mov_b32_e32 v51, v57
	s_cbranch_execz .LBB86_149
	s_branch .LBB86_150
.LBB86_148:
                                        ; implicit-def: $vgpr50_vgpr51
.LBB86_149:
	ds_load_b64 v[50:51], v1
.LBB86_150:
	s_and_saveexec_b32 s14, s1
	s_cbranch_execz .LBB86_154
; %bb.151:
	v_add_nc_u32_e32 v52, -8, v0
	s_movk_i32 s15, 0x100
	s_mov_b32 s1, 0
.LBB86_152:                             ; =>This Inner Loop Header: Depth=1
	scratch_load_b64 v[54:55], off, s12
	v_dual_mov_b32 v53, s15 :: v_dual_add_nc_u32 v52, -1, v52
	s_add_co_i32 s15, s15, 8
	s_wait_xcnt 0x0
	s_add_co_i32 s12, s12, 8
	ds_load_b64 v[56:57], v53
	v_cmp_eq_u32_e32 vcc_lo, 0, v52
	s_or_b32 s1, vcc_lo, s1
	s_wait_loadcnt_dscnt 0x0
	v_pk_mul_f32 v[58:59], v[56:57], v[54:55] op_sel:[1,1] op_sel_hi:[0,1]
	s_delay_alu instid0(VALU_DEP_1) | instskip(SKIP_1) | instid1(VALU_DEP_2)
	v_pk_fma_f32 v[60:61], v[56:57], v[54:55], v[58:59] op_sel_hi:[1,0,1]
	v_pk_fma_f32 v[54:55], v[56:57], v[54:55], v[58:59] neg_lo:[0,0,1] neg_hi:[0,0,1]
	v_mov_b32_e32 v55, v61
	s_delay_alu instid0(VALU_DEP_1)
	v_pk_add_f32 v[50:51], v[50:51], v[54:55]
	s_and_not1_b32 exec_lo, exec_lo, s1
	s_cbranch_execnz .LBB86_152
; %bb.153:
	s_or_b32 exec_lo, exec_lo, s1
.LBB86_154:
	s_delay_alu instid0(SALU_CYCLE_1) | instskip(SKIP_4) | instid1(VALU_DEP_1)
	s_or_b32 exec_lo, exec_lo, s14
	v_mov_b32_e32 v52, 0
	ds_load_b64 v[52:53], v52 offset:56
	s_wait_dscnt 0x0
	v_pk_mul_f32 v[54:55], v[50:51], v[52:53] op_sel:[1,1] op_sel_hi:[0,1]
	v_pk_fma_f32 v[56:57], v[50:51], v[52:53], v[54:55] op_sel_hi:[1,0,1]
	v_pk_fma_f32 v[50:51], v[50:51], v[52:53], v[54:55] neg_lo:[0,0,1] neg_hi:[0,0,1]
	s_delay_alu instid0(VALU_DEP_2)
	v_mov_b32_e32 v51, v57
	scratch_store_b64 off, v[50:51], off offset:56
.LBB86_155:
	s_wait_xcnt 0x0
	s_or_b32 exec_lo, exec_lo, s13
	scratch_load_b64 v[50:51], off, off offset:48
	v_cmp_lt_u32_e64 s1, 6, v0
	s_wait_loadcnt 0x0
	ds_store_b64 v1, v[50:51]
	s_wait_storecnt_dscnt 0x0
	s_barrier_signal -1
	s_barrier_wait -1
	s_wait_xcnt 0x0
	s_and_saveexec_b32 s12, s1
	s_cbranch_execz .LBB86_165
; %bb.156:
	s_and_not1_b32 vcc_lo, exec_lo, s5
	s_cbranch_vccnz .LBB86_158
; %bb.157:
	scratch_load_b64 v[50:51], v49, off
	ds_load_b64 v[52:53], v1
	s_wait_loadcnt_dscnt 0x0
	v_pk_mul_f32 v[54:55], v[52:53], v[50:51] op_sel:[1,1] op_sel_hi:[0,1]
	s_delay_alu instid0(VALU_DEP_1) | instskip(SKIP_1) | instid1(VALU_DEP_2)
	v_pk_fma_f32 v[56:57], v[52:53], v[50:51], v[54:55] op_sel_hi:[1,0,1]
	v_pk_fma_f32 v[50:51], v[52:53], v[50:51], v[54:55] neg_lo:[0,0,1] neg_hi:[0,0,1]
	v_mov_b32_e32 v51, v57
	s_cbranch_execz .LBB86_159
	s_branch .LBB86_160
.LBB86_158:
                                        ; implicit-def: $vgpr50_vgpr51
.LBB86_159:
	ds_load_b64 v[50:51], v1
.LBB86_160:
	s_and_saveexec_b32 s13, s0
	s_cbranch_execz .LBB86_164
; %bb.161:
	v_add_nc_u32_e32 v52, -7, v0
	s_movk_i32 s14, 0xf8
	s_mov_b32 s0, 0
.LBB86_162:                             ; =>This Inner Loop Header: Depth=1
	scratch_load_b64 v[54:55], off, s11
	v_dual_mov_b32 v53, s14 :: v_dual_add_nc_u32 v52, -1, v52
	s_add_co_i32 s14, s14, 8
	s_wait_xcnt 0x0
	s_add_co_i32 s11, s11, 8
	ds_load_b64 v[56:57], v53
	v_cmp_eq_u32_e32 vcc_lo, 0, v52
	s_or_b32 s0, vcc_lo, s0
	s_wait_loadcnt_dscnt 0x0
	v_pk_mul_f32 v[58:59], v[56:57], v[54:55] op_sel:[1,1] op_sel_hi:[0,1]
	s_delay_alu instid0(VALU_DEP_1) | instskip(SKIP_1) | instid1(VALU_DEP_2)
	v_pk_fma_f32 v[60:61], v[56:57], v[54:55], v[58:59] op_sel_hi:[1,0,1]
	v_pk_fma_f32 v[54:55], v[56:57], v[54:55], v[58:59] neg_lo:[0,0,1] neg_hi:[0,0,1]
	v_mov_b32_e32 v55, v61
	s_delay_alu instid0(VALU_DEP_1)
	v_pk_add_f32 v[50:51], v[50:51], v[54:55]
	s_and_not1_b32 exec_lo, exec_lo, s0
	s_cbranch_execnz .LBB86_162
; %bb.163:
	s_or_b32 exec_lo, exec_lo, s0
.LBB86_164:
	s_delay_alu instid0(SALU_CYCLE_1) | instskip(SKIP_4) | instid1(VALU_DEP_1)
	s_or_b32 exec_lo, exec_lo, s13
	v_mov_b32_e32 v52, 0
	ds_load_b64 v[52:53], v52 offset:48
	s_wait_dscnt 0x0
	v_pk_mul_f32 v[54:55], v[50:51], v[52:53] op_sel:[1,1] op_sel_hi:[0,1]
	v_pk_fma_f32 v[56:57], v[50:51], v[52:53], v[54:55] op_sel_hi:[1,0,1]
	v_pk_fma_f32 v[50:51], v[50:51], v[52:53], v[54:55] neg_lo:[0,0,1] neg_hi:[0,0,1]
	s_delay_alu instid0(VALU_DEP_2)
	v_mov_b32_e32 v51, v57
	scratch_store_b64 off, v[50:51], off offset:48
.LBB86_165:
	s_wait_xcnt 0x0
	s_or_b32 exec_lo, exec_lo, s12
	scratch_load_b64 v[50:51], off, off offset:40
	v_cmp_lt_u32_e64 s0, 5, v0
	s_wait_loadcnt 0x0
	ds_store_b64 v1, v[50:51]
	s_wait_storecnt_dscnt 0x0
	s_barrier_signal -1
	s_barrier_wait -1
	s_wait_xcnt 0x0
	s_and_saveexec_b32 s11, s0
	s_cbranch_execz .LBB86_175
; %bb.166:
	s_and_not1_b32 vcc_lo, exec_lo, s5
	s_cbranch_vccnz .LBB86_168
; %bb.167:
	scratch_load_b64 v[50:51], v49, off
	ds_load_b64 v[52:53], v1
	s_wait_loadcnt_dscnt 0x0
	v_pk_mul_f32 v[54:55], v[52:53], v[50:51] op_sel:[1,1] op_sel_hi:[0,1]
	s_delay_alu instid0(VALU_DEP_1) | instskip(SKIP_1) | instid1(VALU_DEP_2)
	v_pk_fma_f32 v[56:57], v[52:53], v[50:51], v[54:55] op_sel_hi:[1,0,1]
	v_pk_fma_f32 v[50:51], v[52:53], v[50:51], v[54:55] neg_lo:[0,0,1] neg_hi:[0,0,1]
	v_mov_b32_e32 v51, v57
	s_cbranch_execz .LBB86_169
	s_branch .LBB86_170
.LBB86_168:
                                        ; implicit-def: $vgpr50_vgpr51
.LBB86_169:
	ds_load_b64 v[50:51], v1
.LBB86_170:
	s_and_saveexec_b32 s12, s1
	s_cbranch_execz .LBB86_174
; %bb.171:
	v_add_nc_u32_e32 v52, -6, v0
	s_movk_i32 s13, 0xf0
	s_mov_b32 s1, 0
.LBB86_172:                             ; =>This Inner Loop Header: Depth=1
	scratch_load_b64 v[54:55], off, s10
	v_dual_mov_b32 v53, s13 :: v_dual_add_nc_u32 v52, -1, v52
	s_add_co_i32 s13, s13, 8
	s_wait_xcnt 0x0
	s_add_co_i32 s10, s10, 8
	ds_load_b64 v[56:57], v53
	v_cmp_eq_u32_e32 vcc_lo, 0, v52
	s_or_b32 s1, vcc_lo, s1
	s_wait_loadcnt_dscnt 0x0
	v_pk_mul_f32 v[58:59], v[56:57], v[54:55] op_sel:[1,1] op_sel_hi:[0,1]
	s_delay_alu instid0(VALU_DEP_1) | instskip(SKIP_1) | instid1(VALU_DEP_2)
	v_pk_fma_f32 v[60:61], v[56:57], v[54:55], v[58:59] op_sel_hi:[1,0,1]
	v_pk_fma_f32 v[54:55], v[56:57], v[54:55], v[58:59] neg_lo:[0,0,1] neg_hi:[0,0,1]
	v_mov_b32_e32 v55, v61
	s_delay_alu instid0(VALU_DEP_1)
	v_pk_add_f32 v[50:51], v[50:51], v[54:55]
	s_and_not1_b32 exec_lo, exec_lo, s1
	s_cbranch_execnz .LBB86_172
; %bb.173:
	s_or_b32 exec_lo, exec_lo, s1
.LBB86_174:
	s_delay_alu instid0(SALU_CYCLE_1) | instskip(SKIP_4) | instid1(VALU_DEP_1)
	s_or_b32 exec_lo, exec_lo, s12
	v_mov_b32_e32 v52, 0
	ds_load_b64 v[52:53], v52 offset:40
	s_wait_dscnt 0x0
	v_pk_mul_f32 v[54:55], v[50:51], v[52:53] op_sel:[1,1] op_sel_hi:[0,1]
	v_pk_fma_f32 v[56:57], v[50:51], v[52:53], v[54:55] op_sel_hi:[1,0,1]
	v_pk_fma_f32 v[50:51], v[50:51], v[52:53], v[54:55] neg_lo:[0,0,1] neg_hi:[0,0,1]
	s_delay_alu instid0(VALU_DEP_2)
	v_mov_b32_e32 v51, v57
	scratch_store_b64 off, v[50:51], off offset:40
.LBB86_175:
	s_wait_xcnt 0x0
	s_or_b32 exec_lo, exec_lo, s11
	scratch_load_b64 v[50:51], off, off offset:32
	v_cmp_lt_u32_e64 s1, 4, v0
	s_wait_loadcnt 0x0
	ds_store_b64 v1, v[50:51]
	s_wait_storecnt_dscnt 0x0
	s_barrier_signal -1
	s_barrier_wait -1
	s_wait_xcnt 0x0
	s_and_saveexec_b32 s10, s1
	s_cbranch_execz .LBB86_185
; %bb.176:
	s_and_not1_b32 vcc_lo, exec_lo, s5
	s_cbranch_vccnz .LBB86_178
; %bb.177:
	scratch_load_b64 v[50:51], v49, off
	ds_load_b64 v[52:53], v1
	s_wait_loadcnt_dscnt 0x0
	v_pk_mul_f32 v[54:55], v[52:53], v[50:51] op_sel:[1,1] op_sel_hi:[0,1]
	s_delay_alu instid0(VALU_DEP_1) | instskip(SKIP_1) | instid1(VALU_DEP_2)
	v_pk_fma_f32 v[56:57], v[52:53], v[50:51], v[54:55] op_sel_hi:[1,0,1]
	v_pk_fma_f32 v[50:51], v[52:53], v[50:51], v[54:55] neg_lo:[0,0,1] neg_hi:[0,0,1]
	v_mov_b32_e32 v51, v57
	s_cbranch_execz .LBB86_179
	s_branch .LBB86_180
.LBB86_178:
                                        ; implicit-def: $vgpr50_vgpr51
.LBB86_179:
	ds_load_b64 v[50:51], v1
.LBB86_180:
	s_and_saveexec_b32 s11, s0
	s_cbranch_execz .LBB86_184
; %bb.181:
	v_add_nc_u32_e32 v52, -5, v0
	s_movk_i32 s12, 0xe8
	s_mov_b32 s0, 0
.LBB86_182:                             ; =>This Inner Loop Header: Depth=1
	scratch_load_b64 v[54:55], off, s9
	v_dual_mov_b32 v53, s12 :: v_dual_add_nc_u32 v52, -1, v52
	s_add_co_i32 s12, s12, 8
	s_wait_xcnt 0x0
	s_add_co_i32 s9, s9, 8
	ds_load_b64 v[56:57], v53
	v_cmp_eq_u32_e32 vcc_lo, 0, v52
	s_or_b32 s0, vcc_lo, s0
	s_wait_loadcnt_dscnt 0x0
	v_pk_mul_f32 v[58:59], v[56:57], v[54:55] op_sel:[1,1] op_sel_hi:[0,1]
	s_delay_alu instid0(VALU_DEP_1) | instskip(SKIP_1) | instid1(VALU_DEP_2)
	v_pk_fma_f32 v[60:61], v[56:57], v[54:55], v[58:59] op_sel_hi:[1,0,1]
	v_pk_fma_f32 v[54:55], v[56:57], v[54:55], v[58:59] neg_lo:[0,0,1] neg_hi:[0,0,1]
	v_mov_b32_e32 v55, v61
	s_delay_alu instid0(VALU_DEP_1)
	v_pk_add_f32 v[50:51], v[50:51], v[54:55]
	s_and_not1_b32 exec_lo, exec_lo, s0
	s_cbranch_execnz .LBB86_182
; %bb.183:
	s_or_b32 exec_lo, exec_lo, s0
.LBB86_184:
	s_delay_alu instid0(SALU_CYCLE_1) | instskip(SKIP_4) | instid1(VALU_DEP_1)
	s_or_b32 exec_lo, exec_lo, s11
	v_mov_b32_e32 v52, 0
	ds_load_b64 v[52:53], v52 offset:32
	s_wait_dscnt 0x0
	v_pk_mul_f32 v[54:55], v[50:51], v[52:53] op_sel:[1,1] op_sel_hi:[0,1]
	v_pk_fma_f32 v[56:57], v[50:51], v[52:53], v[54:55] op_sel_hi:[1,0,1]
	v_pk_fma_f32 v[50:51], v[50:51], v[52:53], v[54:55] neg_lo:[0,0,1] neg_hi:[0,0,1]
	s_delay_alu instid0(VALU_DEP_2)
	v_mov_b32_e32 v51, v57
	scratch_store_b64 off, v[50:51], off offset:32
.LBB86_185:
	s_wait_xcnt 0x0
	s_or_b32 exec_lo, exec_lo, s10
	scratch_load_b64 v[50:51], off, off offset:24
	v_cmp_lt_u32_e64 s0, 3, v0
	s_wait_loadcnt 0x0
	ds_store_b64 v1, v[50:51]
	s_wait_storecnt_dscnt 0x0
	s_barrier_signal -1
	s_barrier_wait -1
	s_wait_xcnt 0x0
	s_and_saveexec_b32 s9, s0
	s_cbranch_execz .LBB86_195
; %bb.186:
	s_and_not1_b32 vcc_lo, exec_lo, s5
	s_cbranch_vccnz .LBB86_188
; %bb.187:
	scratch_load_b64 v[50:51], v49, off
	ds_load_b64 v[52:53], v1
	s_wait_loadcnt_dscnt 0x0
	v_pk_mul_f32 v[54:55], v[52:53], v[50:51] op_sel:[1,1] op_sel_hi:[0,1]
	s_delay_alu instid0(VALU_DEP_1) | instskip(SKIP_1) | instid1(VALU_DEP_2)
	v_pk_fma_f32 v[56:57], v[52:53], v[50:51], v[54:55] op_sel_hi:[1,0,1]
	v_pk_fma_f32 v[50:51], v[52:53], v[50:51], v[54:55] neg_lo:[0,0,1] neg_hi:[0,0,1]
	v_mov_b32_e32 v51, v57
	s_cbranch_execz .LBB86_189
	s_branch .LBB86_190
.LBB86_188:
                                        ; implicit-def: $vgpr50_vgpr51
.LBB86_189:
	ds_load_b64 v[50:51], v1
.LBB86_190:
	s_and_saveexec_b32 s10, s1
	s_cbranch_execz .LBB86_194
; %bb.191:
	v_add_nc_u32_e32 v52, -4, v0
	s_movk_i32 s11, 0xe0
	s_mov_b32 s1, 0
.LBB86_192:                             ; =>This Inner Loop Header: Depth=1
	scratch_load_b64 v[54:55], off, s8
	v_dual_mov_b32 v53, s11 :: v_dual_add_nc_u32 v52, -1, v52
	s_add_co_i32 s11, s11, 8
	s_wait_xcnt 0x0
	s_add_co_i32 s8, s8, 8
	ds_load_b64 v[56:57], v53
	v_cmp_eq_u32_e32 vcc_lo, 0, v52
	s_or_b32 s1, vcc_lo, s1
	s_wait_loadcnt_dscnt 0x0
	v_pk_mul_f32 v[58:59], v[56:57], v[54:55] op_sel:[1,1] op_sel_hi:[0,1]
	s_delay_alu instid0(VALU_DEP_1) | instskip(SKIP_1) | instid1(VALU_DEP_2)
	v_pk_fma_f32 v[60:61], v[56:57], v[54:55], v[58:59] op_sel_hi:[1,0,1]
	v_pk_fma_f32 v[54:55], v[56:57], v[54:55], v[58:59] neg_lo:[0,0,1] neg_hi:[0,0,1]
	v_mov_b32_e32 v55, v61
	s_delay_alu instid0(VALU_DEP_1)
	v_pk_add_f32 v[50:51], v[50:51], v[54:55]
	s_and_not1_b32 exec_lo, exec_lo, s1
	s_cbranch_execnz .LBB86_192
; %bb.193:
	s_or_b32 exec_lo, exec_lo, s1
.LBB86_194:
	s_delay_alu instid0(SALU_CYCLE_1) | instskip(SKIP_4) | instid1(VALU_DEP_1)
	s_or_b32 exec_lo, exec_lo, s10
	v_mov_b32_e32 v52, 0
	ds_load_b64 v[52:53], v52 offset:24
	s_wait_dscnt 0x0
	v_pk_mul_f32 v[54:55], v[50:51], v[52:53] op_sel:[1,1] op_sel_hi:[0,1]
	v_pk_fma_f32 v[56:57], v[50:51], v[52:53], v[54:55] op_sel_hi:[1,0,1]
	v_pk_fma_f32 v[50:51], v[50:51], v[52:53], v[54:55] neg_lo:[0,0,1] neg_hi:[0,0,1]
	s_delay_alu instid0(VALU_DEP_2)
	v_mov_b32_e32 v51, v57
	scratch_store_b64 off, v[50:51], off offset:24
.LBB86_195:
	s_wait_xcnt 0x0
	s_or_b32 exec_lo, exec_lo, s9
	scratch_load_b64 v[50:51], off, off offset:16
	v_cmp_lt_u32_e64 s1, 2, v0
	s_wait_loadcnt 0x0
	ds_store_b64 v1, v[50:51]
	s_wait_storecnt_dscnt 0x0
	s_barrier_signal -1
	s_barrier_wait -1
	s_wait_xcnt 0x0
	s_and_saveexec_b32 s8, s1
	s_cbranch_execz .LBB86_205
; %bb.196:
	s_and_not1_b32 vcc_lo, exec_lo, s5
	s_cbranch_vccnz .LBB86_198
; %bb.197:
	scratch_load_b64 v[50:51], v49, off
	ds_load_b64 v[52:53], v1
	s_wait_loadcnt_dscnt 0x0
	v_pk_mul_f32 v[54:55], v[52:53], v[50:51] op_sel:[1,1] op_sel_hi:[0,1]
	s_delay_alu instid0(VALU_DEP_1) | instskip(SKIP_1) | instid1(VALU_DEP_2)
	v_pk_fma_f32 v[56:57], v[52:53], v[50:51], v[54:55] op_sel_hi:[1,0,1]
	v_pk_fma_f32 v[50:51], v[52:53], v[50:51], v[54:55] neg_lo:[0,0,1] neg_hi:[0,0,1]
	v_mov_b32_e32 v51, v57
	s_cbranch_execz .LBB86_199
	s_branch .LBB86_200
.LBB86_198:
                                        ; implicit-def: $vgpr50_vgpr51
.LBB86_199:
	ds_load_b64 v[50:51], v1
.LBB86_200:
	s_and_saveexec_b32 s9, s0
	s_cbranch_execz .LBB86_204
; %bb.201:
	v_add_nc_u32_e32 v52, -3, v0
	s_movk_i32 s10, 0xd8
	s_mov_b32 s0, 0
.LBB86_202:                             ; =>This Inner Loop Header: Depth=1
	scratch_load_b64 v[54:55], off, s7
	v_dual_mov_b32 v53, s10 :: v_dual_add_nc_u32 v52, -1, v52
	s_add_co_i32 s10, s10, 8
	s_wait_xcnt 0x0
	s_add_co_i32 s7, s7, 8
	ds_load_b64 v[56:57], v53
	v_cmp_eq_u32_e32 vcc_lo, 0, v52
	s_or_b32 s0, vcc_lo, s0
	s_wait_loadcnt_dscnt 0x0
	v_pk_mul_f32 v[58:59], v[56:57], v[54:55] op_sel:[1,1] op_sel_hi:[0,1]
	s_delay_alu instid0(VALU_DEP_1) | instskip(SKIP_1) | instid1(VALU_DEP_2)
	v_pk_fma_f32 v[60:61], v[56:57], v[54:55], v[58:59] op_sel_hi:[1,0,1]
	v_pk_fma_f32 v[54:55], v[56:57], v[54:55], v[58:59] neg_lo:[0,0,1] neg_hi:[0,0,1]
	v_mov_b32_e32 v55, v61
	s_delay_alu instid0(VALU_DEP_1)
	v_pk_add_f32 v[50:51], v[50:51], v[54:55]
	s_and_not1_b32 exec_lo, exec_lo, s0
	s_cbranch_execnz .LBB86_202
; %bb.203:
	s_or_b32 exec_lo, exec_lo, s0
.LBB86_204:
	s_delay_alu instid0(SALU_CYCLE_1) | instskip(SKIP_4) | instid1(VALU_DEP_1)
	s_or_b32 exec_lo, exec_lo, s9
	v_mov_b32_e32 v52, 0
	ds_load_b64 v[52:53], v52 offset:16
	s_wait_dscnt 0x0
	v_pk_mul_f32 v[54:55], v[50:51], v[52:53] op_sel:[1,1] op_sel_hi:[0,1]
	v_pk_fma_f32 v[56:57], v[50:51], v[52:53], v[54:55] op_sel_hi:[1,0,1]
	v_pk_fma_f32 v[50:51], v[50:51], v[52:53], v[54:55] neg_lo:[0,0,1] neg_hi:[0,0,1]
	s_delay_alu instid0(VALU_DEP_2)
	v_mov_b32_e32 v51, v57
	scratch_store_b64 off, v[50:51], off offset:16
.LBB86_205:
	s_wait_xcnt 0x0
	s_or_b32 exec_lo, exec_lo, s8
	scratch_load_b64 v[50:51], off, off offset:8
	v_cmp_lt_u32_e64 s0, 1, v0
	s_wait_loadcnt 0x0
	ds_store_b64 v1, v[50:51]
	s_wait_storecnt_dscnt 0x0
	s_barrier_signal -1
	s_barrier_wait -1
	s_wait_xcnt 0x0
	s_and_saveexec_b32 s7, s0
	s_cbranch_execz .LBB86_215
; %bb.206:
	s_and_not1_b32 vcc_lo, exec_lo, s5
	s_cbranch_vccnz .LBB86_208
; %bb.207:
	scratch_load_b64 v[50:51], v49, off
	ds_load_b64 v[52:53], v1
	s_wait_loadcnt_dscnt 0x0
	v_pk_mul_f32 v[54:55], v[52:53], v[50:51] op_sel:[1,1] op_sel_hi:[0,1]
	s_delay_alu instid0(VALU_DEP_1) | instskip(SKIP_1) | instid1(VALU_DEP_2)
	v_pk_fma_f32 v[56:57], v[52:53], v[50:51], v[54:55] op_sel_hi:[1,0,1]
	v_pk_fma_f32 v[50:51], v[52:53], v[50:51], v[54:55] neg_lo:[0,0,1] neg_hi:[0,0,1]
	v_mov_b32_e32 v51, v57
	s_cbranch_execz .LBB86_209
	s_branch .LBB86_210
.LBB86_208:
                                        ; implicit-def: $vgpr50_vgpr51
.LBB86_209:
	ds_load_b64 v[50:51], v1
.LBB86_210:
	s_and_saveexec_b32 s8, s1
	s_cbranch_execz .LBB86_214
; %bb.211:
	v_add_nc_u32_e32 v52, -2, v0
	s_movk_i32 s9, 0xd0
	s_mov_b32 s1, 0
.LBB86_212:                             ; =>This Inner Loop Header: Depth=1
	scratch_load_b64 v[54:55], off, s6
	v_dual_mov_b32 v53, s9 :: v_dual_add_nc_u32 v52, -1, v52
	s_add_co_i32 s9, s9, 8
	s_wait_xcnt 0x0
	s_add_co_i32 s6, s6, 8
	ds_load_b64 v[56:57], v53
	v_cmp_eq_u32_e32 vcc_lo, 0, v52
	s_or_b32 s1, vcc_lo, s1
	s_wait_loadcnt_dscnt 0x0
	v_pk_mul_f32 v[58:59], v[56:57], v[54:55] op_sel:[1,1] op_sel_hi:[0,1]
	s_delay_alu instid0(VALU_DEP_1) | instskip(SKIP_1) | instid1(VALU_DEP_2)
	v_pk_fma_f32 v[60:61], v[56:57], v[54:55], v[58:59] op_sel_hi:[1,0,1]
	v_pk_fma_f32 v[54:55], v[56:57], v[54:55], v[58:59] neg_lo:[0,0,1] neg_hi:[0,0,1]
	v_mov_b32_e32 v55, v61
	s_delay_alu instid0(VALU_DEP_1)
	v_pk_add_f32 v[50:51], v[50:51], v[54:55]
	s_and_not1_b32 exec_lo, exec_lo, s1
	s_cbranch_execnz .LBB86_212
; %bb.213:
	s_or_b32 exec_lo, exec_lo, s1
.LBB86_214:
	s_delay_alu instid0(SALU_CYCLE_1) | instskip(SKIP_4) | instid1(VALU_DEP_1)
	s_or_b32 exec_lo, exec_lo, s8
	v_mov_b32_e32 v52, 0
	ds_load_b64 v[52:53], v52 offset:8
	s_wait_dscnt 0x0
	v_pk_mul_f32 v[54:55], v[50:51], v[52:53] op_sel:[1,1] op_sel_hi:[0,1]
	v_pk_fma_f32 v[56:57], v[50:51], v[52:53], v[54:55] op_sel_hi:[1,0,1]
	v_pk_fma_f32 v[50:51], v[50:51], v[52:53], v[54:55] neg_lo:[0,0,1] neg_hi:[0,0,1]
	s_delay_alu instid0(VALU_DEP_2)
	v_mov_b32_e32 v51, v57
	scratch_store_b64 off, v[50:51], off offset:8
.LBB86_215:
	s_wait_xcnt 0x0
	s_or_b32 exec_lo, exec_lo, s7
	scratch_load_b64 v[50:51], off, off
	s_mov_b32 s6, 0
	s_mov_b32 s1, 0
	s_mov_b32 s8, exec_lo
                                        ; implicit-def: $vgpr68
                                        ; implicit-def: $sgpr7
	s_wait_loadcnt 0x0
	ds_store_b64 v1, v[50:51]
	s_wait_storecnt_dscnt 0x0
	s_barrier_signal -1
	s_barrier_wait -1
	s_wait_xcnt 0x0
	v_cmpx_ne_u32_e32 0, v0
	s_cbranch_execz .LBB86_225
; %bb.216:
	s_and_not1_b32 vcc_lo, exec_lo, s5
	s_cbranch_vccnz .LBB86_218
; %bb.217:
	scratch_load_b64 v[52:53], v49, off
	ds_load_b64 v[54:55], v1
	s_wait_loadcnt_dscnt 0x0
	v_dual_mul_f32 v50, v55, v53 :: v_dual_mul_f32 v51, v54, v53
	s_delay_alu instid0(VALU_DEP_1)
	v_dual_fma_f32 v50, v54, v52, -v50 :: v_dual_fmac_f32 v51, v55, v52
	s_and_not1_b32 vcc_lo, exec_lo, s1
	s_cbranch_vccz .LBB86_219
	s_branch .LBB86_220
.LBB86_218:
                                        ; implicit-def: $vgpr50
.LBB86_219:
	ds_load_b64 v[50:51], v1
.LBB86_220:
	s_and_saveexec_b32 s1, s0
	s_cbranch_execz .LBB86_224
; %bb.221:
	v_add_nc_u32_e32 v52, -1, v0
	s_movk_i32 s7, 0xc8
	s_mov_b32 s0, 0
.LBB86_222:                             ; =>This Inner Loop Header: Depth=1
	scratch_load_b64 v[54:55], off, s4
	v_mov_b32_e32 v53, s7
	s_add_co_i32 s7, s7, 8
	s_wait_xcnt 0x0
	s_add_co_i32 s4, s4, 8
	v_add_nc_u32_e32 v52, -1, v52
	ds_load_b64 v[56:57], v53
	v_cmp_eq_u32_e32 vcc_lo, 0, v52
	s_or_b32 s0, vcc_lo, s0
	s_wait_loadcnt_dscnt 0x0
	v_dual_mul_f32 v53, v57, v55 :: v_dual_mul_f32 v55, v56, v55
	s_delay_alu instid0(VALU_DEP_1) | instskip(NEXT) | instid1(VALU_DEP_1)
	v_dual_fma_f32 v53, v56, v54, -v53 :: v_dual_fmac_f32 v55, v57, v54
	v_dual_add_f32 v50, v50, v53 :: v_dual_add_f32 v51, v51, v55
	s_and_not1_b32 exec_lo, exec_lo, s0
	s_cbranch_execnz .LBB86_222
; %bb.223:
	s_or_b32 exec_lo, exec_lo, s0
.LBB86_224:
	s_delay_alu instid0(SALU_CYCLE_1)
	s_or_b32 exec_lo, exec_lo, s1
	v_mov_b32_e32 v52, 0
	s_mov_b32 s1, exec_lo
	s_or_b32 s7, 0, 4
	ds_load_b64 v[52:53], v52
	s_wait_dscnt 0x0
	v_dual_mul_f32 v54, v51, v53 :: v_dual_mul_f32 v68, v50, v53
	s_delay_alu instid0(VALU_DEP_1)
	v_dual_fma_f32 v50, v50, v52, -v54 :: v_dual_fmac_f32 v68, v51, v52
	scratch_store_b32 off, v50, off
.LBB86_225:
	s_wait_xcnt 0x0
	s_or_b32 exec_lo, exec_lo, s8
	s_delay_alu instid0(SALU_CYCLE_1)
	s_and_b32 vcc_lo, exec_lo, s6
	s_cbranch_vccz .LBB86_441
.LBB86_226:
	scratch_load_b64 v[50:51], off, off offset:8
	v_cmp_eq_u32_e64 s0, 0, v0
	s_wait_loadcnt 0x0
	ds_store_b64 v1, v[50:51]
	s_wait_storecnt_dscnt 0x0
	s_barrier_signal -1
	s_barrier_wait -1
	s_wait_xcnt 0x0
	s_and_saveexec_b32 s4, s0
	s_cbranch_execz .LBB86_232
; %bb.227:
	s_and_b32 vcc_lo, exec_lo, s5
	s_cbranch_vccz .LBB86_229
; %bb.228:
	scratch_load_b64 v[50:51], v49, off
	ds_load_b64 v[52:53], v1
	s_wait_loadcnt_dscnt 0x0
	v_pk_mul_f32 v[54:55], v[52:53], v[50:51] op_sel:[1,1] op_sel_hi:[0,1]
	v_pk_mul_f32 v[56:57], v[52:53], v[50:51] op_sel_hi:[1,0]
	s_delay_alu instid0(VALU_DEP_2) | instskip(NEXT) | instid1(VALU_DEP_2)
	v_pk_fma_f32 v[50:51], v[52:53], v[50:51], v[54:55] op_sel_hi:[1,0,1]
	v_sub_f32_e32 v50, v56, v54
	s_cbranch_execz .LBB86_230
	s_branch .LBB86_231
.LBB86_229:
                                        ; implicit-def: $vgpr51
.LBB86_230:
	ds_load_b64 v[50:51], v1
.LBB86_231:
	s_wait_dscnt 0x0
	v_dual_mov_b32 v52, 0 :: v_dual_mov_b32 v54, v51
	v_mov_b32_e32 v55, v50
	ds_load_b64 v[52:53], v52 offset:8
	s_wait_dscnt 0x0
	v_pk_mul_f32 v[54:55], v[54:55], v[52:53] op_sel:[0,1]
	s_delay_alu instid0(VALU_DEP_1) | instskip(SKIP_1) | instid1(VALU_DEP_2)
	v_pk_fma_f32 v[56:57], v[50:51], v[52:53], v[54:55] op_sel_hi:[1,0,1]
	v_pk_fma_f32 v[50:51], v[50:51], v[52:53], v[54:55] neg_lo:[0,0,1] neg_hi:[0,0,1]
	v_mov_b32_e32 v51, v57
	scratch_store_b64 off, v[50:51], off offset:8
.LBB86_232:
	s_wait_xcnt 0x0
	s_or_b32 exec_lo, exec_lo, s4
	scratch_load_b64 v[50:51], off, off offset:16
	v_cndmask_b32_e64 v52, 0, 1, s5
	s_mov_b32 s4, exec_lo
	s_wait_loadcnt 0x0
	ds_store_b64 v1, v[50:51]
	s_wait_storecnt_dscnt 0x0
	s_barrier_signal -1
	s_barrier_wait -1
	s_wait_xcnt 0x0
	v_cmpx_gt_u32_e32 2, v0
	s_cbranch_execz .LBB86_240
; %bb.233:
	s_and_not1_b32 vcc_lo, exec_lo, s5
	s_cbranch_vccnz .LBB86_235
; %bb.234:
	scratch_load_b64 v[50:51], v49, off
	ds_load_b64 v[54:55], v1
	s_wait_loadcnt_dscnt 0x0
	v_pk_mul_f32 v[56:57], v[54:55], v[50:51] op_sel:[1,1] op_sel_hi:[0,1]
	s_delay_alu instid0(VALU_DEP_1) | instskip(SKIP_1) | instid1(VALU_DEP_2)
	v_pk_fma_f32 v[58:59], v[54:55], v[50:51], v[56:57] op_sel_hi:[1,0,1]
	v_pk_fma_f32 v[50:51], v[54:55], v[50:51], v[56:57] neg_lo:[0,0,1] neg_hi:[0,0,1]
	v_mov_b32_e32 v51, v59
	s_cbranch_execz .LBB86_236
	s_branch .LBB86_237
.LBB86_235:
                                        ; implicit-def: $vgpr50_vgpr51
.LBB86_236:
	ds_load_b64 v[50:51], v1
.LBB86_237:
	s_and_saveexec_b32 s5, s0
	s_cbranch_execz .LBB86_239
; %bb.238:
	scratch_load_b64 v[54:55], off, off offset:8
	v_mov_b32_e32 v53, 0
	ds_load_b64 v[56:57], v53 offset:200
	s_wait_loadcnt_dscnt 0x0
	v_pk_mul_f32 v[58:59], v[56:57], v[54:55] op_sel:[1,1] op_sel_hi:[0,1]
	s_delay_alu instid0(VALU_DEP_1) | instskip(SKIP_1) | instid1(VALU_DEP_2)
	v_pk_fma_f32 v[60:61], v[56:57], v[54:55], v[58:59] op_sel_hi:[1,0,1]
	v_pk_fma_f32 v[54:55], v[56:57], v[54:55], v[58:59] neg_lo:[0,0,1] neg_hi:[0,0,1]
	v_mov_b32_e32 v55, v61
	s_delay_alu instid0(VALU_DEP_1)
	v_pk_add_f32 v[50:51], v[50:51], v[54:55]
.LBB86_239:
	s_or_b32 exec_lo, exec_lo, s5
	v_mov_b32_e32 v53, 0
	ds_load_b64 v[54:55], v53 offset:16
	s_wait_dscnt 0x0
	v_pk_mul_f32 v[56:57], v[50:51], v[54:55] op_sel:[1,1] op_sel_hi:[0,1]
	s_delay_alu instid0(VALU_DEP_1) | instskip(SKIP_1) | instid1(VALU_DEP_2)
	v_pk_fma_f32 v[58:59], v[50:51], v[54:55], v[56:57] op_sel_hi:[1,0,1]
	v_pk_fma_f32 v[50:51], v[50:51], v[54:55], v[56:57] neg_lo:[0,0,1] neg_hi:[0,0,1]
	v_mov_b32_e32 v51, v59
	scratch_store_b64 off, v[50:51], off offset:16
.LBB86_240:
	s_wait_xcnt 0x0
	s_or_b32 exec_lo, exec_lo, s4
	scratch_load_b64 v[50:51], off, off offset:24
	s_mov_b32 s4, exec_lo
	s_wait_loadcnt 0x0
	ds_store_b64 v1, v[50:51]
	s_wait_storecnt_dscnt 0x0
	s_barrier_signal -1
	s_barrier_wait -1
	s_wait_xcnt 0x0
	v_cmpx_gt_u32_e32 3, v0
	s_cbranch_execz .LBB86_250
; %bb.241:
	v_cmp_ne_u32_e32 vcc_lo, 1, v52
	s_cbranch_vccnz .LBB86_243
; %bb.242:
	scratch_load_b64 v[50:51], v49, off
	ds_load_b64 v[54:55], v1
	s_wait_loadcnt_dscnt 0x0
	v_pk_mul_f32 v[56:57], v[54:55], v[50:51] op_sel:[1,1] op_sel_hi:[0,1]
	s_delay_alu instid0(VALU_DEP_1) | instskip(SKIP_1) | instid1(VALU_DEP_2)
	v_pk_fma_f32 v[58:59], v[54:55], v[50:51], v[56:57] op_sel_hi:[1,0,1]
	v_pk_fma_f32 v[50:51], v[54:55], v[50:51], v[56:57] neg_lo:[0,0,1] neg_hi:[0,0,1]
	v_mov_b32_e32 v51, v59
	s_cbranch_execz .LBB86_244
	s_branch .LBB86_245
.LBB86_243:
                                        ; implicit-def: $vgpr50_vgpr51
.LBB86_244:
	ds_load_b64 v[50:51], v1
.LBB86_245:
	s_mov_b32 s5, exec_lo
	v_cmpx_ne_u32_e32 2, v0
	s_cbranch_execz .LBB86_249
; %bb.246:
	scratch_load_b64 v[54:55], v49, off offset:8
	ds_load_b64 v[56:57], v1 offset:8
	s_wait_loadcnt_dscnt 0x0
	v_pk_mul_f32 v[58:59], v[56:57], v[54:55] op_sel:[1,1] op_sel_hi:[0,1]
	s_delay_alu instid0(VALU_DEP_1) | instskip(SKIP_1) | instid1(VALU_DEP_2)
	v_pk_fma_f32 v[60:61], v[56:57], v[54:55], v[58:59] op_sel_hi:[1,0,1]
	v_pk_fma_f32 v[54:55], v[56:57], v[54:55], v[58:59] neg_lo:[0,0,1] neg_hi:[0,0,1]
	v_mov_b32_e32 v55, v61
	s_delay_alu instid0(VALU_DEP_1)
	v_pk_add_f32 v[50:51], v[50:51], v[54:55]
	s_and_saveexec_b32 s6, s0
	s_cbranch_execz .LBB86_248
; %bb.247:
	scratch_load_b64 v[54:55], off, off offset:16
	v_mov_b32_e32 v53, 0
	ds_load_b64 v[56:57], v53 offset:208
	s_wait_loadcnt_dscnt 0x0
	v_pk_mul_f32 v[58:59], v[56:57], v[54:55] op_sel:[1,1] op_sel_hi:[0,1]
	s_delay_alu instid0(VALU_DEP_1) | instskip(SKIP_1) | instid1(VALU_DEP_2)
	v_pk_fma_f32 v[60:61], v[56:57], v[54:55], v[58:59] op_sel_hi:[1,0,1]
	v_pk_fma_f32 v[54:55], v[56:57], v[54:55], v[58:59] neg_lo:[0,0,1] neg_hi:[0,0,1]
	v_mov_b32_e32 v55, v61
	s_delay_alu instid0(VALU_DEP_1)
	v_pk_add_f32 v[50:51], v[50:51], v[54:55]
.LBB86_248:
	s_or_b32 exec_lo, exec_lo, s6
.LBB86_249:
	s_delay_alu instid0(SALU_CYCLE_1) | instskip(SKIP_4) | instid1(VALU_DEP_1)
	s_or_b32 exec_lo, exec_lo, s5
	v_mov_b32_e32 v53, 0
	ds_load_b64 v[54:55], v53 offset:24
	s_wait_dscnt 0x0
	v_pk_mul_f32 v[56:57], v[50:51], v[54:55] op_sel:[1,1] op_sel_hi:[0,1]
	v_pk_fma_f32 v[58:59], v[50:51], v[54:55], v[56:57] op_sel_hi:[1,0,1]
	v_pk_fma_f32 v[50:51], v[50:51], v[54:55], v[56:57] neg_lo:[0,0,1] neg_hi:[0,0,1]
	s_delay_alu instid0(VALU_DEP_2)
	v_mov_b32_e32 v51, v59
	scratch_store_b64 off, v[50:51], off offset:24
.LBB86_250:
	s_wait_xcnt 0x0
	s_or_b32 exec_lo, exec_lo, s4
	scratch_load_b64 v[50:51], off, off offset:32
	s_mov_b32 s0, exec_lo
	s_wait_loadcnt 0x0
	ds_store_b64 v1, v[50:51]
	s_wait_storecnt_dscnt 0x0
	s_barrier_signal -1
	s_barrier_wait -1
	s_wait_xcnt 0x0
	v_cmpx_gt_u32_e32 4, v0
	s_cbranch_execz .LBB86_260
; %bb.251:
	v_cmp_ne_u32_e32 vcc_lo, 1, v52
	s_cbranch_vccnz .LBB86_253
; %bb.252:
	scratch_load_b64 v[50:51], v49, off
	ds_load_b64 v[54:55], v1
	s_wait_loadcnt_dscnt 0x0
	v_pk_mul_f32 v[56:57], v[54:55], v[50:51] op_sel:[1,1] op_sel_hi:[0,1]
	s_delay_alu instid0(VALU_DEP_1) | instskip(SKIP_1) | instid1(VALU_DEP_2)
	v_pk_fma_f32 v[58:59], v[54:55], v[50:51], v[56:57] op_sel_hi:[1,0,1]
	v_pk_fma_f32 v[50:51], v[54:55], v[50:51], v[56:57] neg_lo:[0,0,1] neg_hi:[0,0,1]
	v_mov_b32_e32 v51, v59
	s_cbranch_execz .LBB86_254
	s_branch .LBB86_255
.LBB86_253:
                                        ; implicit-def: $vgpr50_vgpr51
.LBB86_254:
	ds_load_b64 v[50:51], v1
.LBB86_255:
	s_mov_b32 s4, exec_lo
	v_cmpx_ne_u32_e32 3, v0
	s_cbranch_execz .LBB86_259
; %bb.256:
	v_add_nc_u32_e32 v53, 0xc8, v48
	v_add3_u32 v54, 0, v48, 8
	v_mov_b32_e32 v55, v0
	s_mov_b32 s5, 0
.LBB86_257:                             ; =>This Inner Loop Header: Depth=1
	scratch_load_b64 v[56:57], v54, off
	ds_load_b64 v[58:59], v53
	s_wait_xcnt 0x0
	v_dual_add_nc_u32 v53, 8, v53 :: v_dual_add_nc_u32 v54, 8, v54
	s_wait_loadcnt_dscnt 0x0
	v_pk_mul_f32 v[60:61], v[58:59], v[56:57] op_sel:[1,1] op_sel_hi:[0,1]
	s_delay_alu instid0(VALU_DEP_1) | instskip(SKIP_2) | instid1(VALU_DEP_3)
	v_pk_fma_f32 v[62:63], v[58:59], v[56:57], v[60:61] op_sel_hi:[1,0,1]
	v_add_nc_u32_e32 v55, 1, v55
	v_pk_fma_f32 v[56:57], v[58:59], v[56:57], v[60:61] neg_lo:[0,0,1] neg_hi:[0,0,1]
	v_mov_b32_e32 v57, v63
	s_delay_alu instid0(VALU_DEP_3) | instskip(NEXT) | instid1(VALU_DEP_2)
	v_cmp_lt_u32_e32 vcc_lo, 2, v55
	v_pk_add_f32 v[50:51], v[50:51], v[56:57]
	s_or_b32 s5, vcc_lo, s5
	s_delay_alu instid0(SALU_CYCLE_1)
	s_and_not1_b32 exec_lo, exec_lo, s5
	s_cbranch_execnz .LBB86_257
; %bb.258:
	s_or_b32 exec_lo, exec_lo, s5
.LBB86_259:
	s_delay_alu instid0(SALU_CYCLE_1) | instskip(SKIP_4) | instid1(VALU_DEP_1)
	s_or_b32 exec_lo, exec_lo, s4
	v_mov_b32_e32 v53, 0
	ds_load_b64 v[54:55], v53 offset:32
	s_wait_dscnt 0x0
	v_pk_mul_f32 v[56:57], v[50:51], v[54:55] op_sel:[1,1] op_sel_hi:[0,1]
	v_pk_fma_f32 v[58:59], v[50:51], v[54:55], v[56:57] op_sel_hi:[1,0,1]
	v_pk_fma_f32 v[50:51], v[50:51], v[54:55], v[56:57] neg_lo:[0,0,1] neg_hi:[0,0,1]
	s_delay_alu instid0(VALU_DEP_2)
	v_mov_b32_e32 v51, v59
	scratch_store_b64 off, v[50:51], off offset:32
.LBB86_260:
	s_wait_xcnt 0x0
	s_or_b32 exec_lo, exec_lo, s0
	scratch_load_b64 v[50:51], off, off offset:40
	s_mov_b32 s0, exec_lo
	s_wait_loadcnt 0x0
	ds_store_b64 v1, v[50:51]
	s_wait_storecnt_dscnt 0x0
	s_barrier_signal -1
	s_barrier_wait -1
	s_wait_xcnt 0x0
	v_cmpx_gt_u32_e32 5, v0
	s_cbranch_execz .LBB86_270
; %bb.261:
	v_cmp_ne_u32_e32 vcc_lo, 1, v52
	s_cbranch_vccnz .LBB86_263
; %bb.262:
	scratch_load_b64 v[50:51], v49, off
	ds_load_b64 v[54:55], v1
	s_wait_loadcnt_dscnt 0x0
	v_pk_mul_f32 v[56:57], v[54:55], v[50:51] op_sel:[1,1] op_sel_hi:[0,1]
	s_delay_alu instid0(VALU_DEP_1) | instskip(SKIP_1) | instid1(VALU_DEP_2)
	v_pk_fma_f32 v[58:59], v[54:55], v[50:51], v[56:57] op_sel_hi:[1,0,1]
	v_pk_fma_f32 v[50:51], v[54:55], v[50:51], v[56:57] neg_lo:[0,0,1] neg_hi:[0,0,1]
	v_mov_b32_e32 v51, v59
	s_cbranch_execz .LBB86_264
	s_branch .LBB86_265
.LBB86_263:
                                        ; implicit-def: $vgpr50_vgpr51
.LBB86_264:
	ds_load_b64 v[50:51], v1
.LBB86_265:
	s_mov_b32 s4, exec_lo
	v_cmpx_ne_u32_e32 4, v0
	s_cbranch_execz .LBB86_269
; %bb.266:
	v_add_nc_u32_e32 v53, 0xc8, v48
	v_add3_u32 v54, 0, v48, 8
	v_mov_b32_e32 v55, v0
	s_mov_b32 s5, 0
.LBB86_267:                             ; =>This Inner Loop Header: Depth=1
	scratch_load_b64 v[56:57], v54, off
	ds_load_b64 v[58:59], v53
	s_wait_xcnt 0x0
	v_dual_add_nc_u32 v53, 8, v53 :: v_dual_add_nc_u32 v54, 8, v54
	s_wait_loadcnt_dscnt 0x0
	v_pk_mul_f32 v[60:61], v[58:59], v[56:57] op_sel:[1,1] op_sel_hi:[0,1]
	s_delay_alu instid0(VALU_DEP_1) | instskip(SKIP_2) | instid1(VALU_DEP_3)
	v_pk_fma_f32 v[62:63], v[58:59], v[56:57], v[60:61] op_sel_hi:[1,0,1]
	v_add_nc_u32_e32 v55, 1, v55
	v_pk_fma_f32 v[56:57], v[58:59], v[56:57], v[60:61] neg_lo:[0,0,1] neg_hi:[0,0,1]
	v_mov_b32_e32 v57, v63
	s_delay_alu instid0(VALU_DEP_3) | instskip(NEXT) | instid1(VALU_DEP_2)
	v_cmp_lt_u32_e32 vcc_lo, 3, v55
	v_pk_add_f32 v[50:51], v[50:51], v[56:57]
	s_or_b32 s5, vcc_lo, s5
	s_delay_alu instid0(SALU_CYCLE_1)
	s_and_not1_b32 exec_lo, exec_lo, s5
	s_cbranch_execnz .LBB86_267
; %bb.268:
	s_or_b32 exec_lo, exec_lo, s5
.LBB86_269:
	s_delay_alu instid0(SALU_CYCLE_1) | instskip(SKIP_4) | instid1(VALU_DEP_1)
	s_or_b32 exec_lo, exec_lo, s4
	v_mov_b32_e32 v53, 0
	ds_load_b64 v[54:55], v53 offset:40
	s_wait_dscnt 0x0
	v_pk_mul_f32 v[56:57], v[50:51], v[54:55] op_sel:[1,1] op_sel_hi:[0,1]
	v_pk_fma_f32 v[58:59], v[50:51], v[54:55], v[56:57] op_sel_hi:[1,0,1]
	v_pk_fma_f32 v[50:51], v[50:51], v[54:55], v[56:57] neg_lo:[0,0,1] neg_hi:[0,0,1]
	s_delay_alu instid0(VALU_DEP_2)
	v_mov_b32_e32 v51, v59
	scratch_store_b64 off, v[50:51], off offset:40
.LBB86_270:
	s_wait_xcnt 0x0
	s_or_b32 exec_lo, exec_lo, s0
	scratch_load_b64 v[50:51], off, off offset:48
	s_mov_b32 s0, exec_lo
	s_wait_loadcnt 0x0
	ds_store_b64 v1, v[50:51]
	s_wait_storecnt_dscnt 0x0
	s_barrier_signal -1
	s_barrier_wait -1
	s_wait_xcnt 0x0
	v_cmpx_gt_u32_e32 6, v0
	s_cbranch_execz .LBB86_280
; %bb.271:
	v_cmp_ne_u32_e32 vcc_lo, 1, v52
	s_cbranch_vccnz .LBB86_273
; %bb.272:
	scratch_load_b64 v[50:51], v49, off
	ds_load_b64 v[54:55], v1
	s_wait_loadcnt_dscnt 0x0
	v_pk_mul_f32 v[56:57], v[54:55], v[50:51] op_sel:[1,1] op_sel_hi:[0,1]
	s_delay_alu instid0(VALU_DEP_1) | instskip(SKIP_1) | instid1(VALU_DEP_2)
	v_pk_fma_f32 v[58:59], v[54:55], v[50:51], v[56:57] op_sel_hi:[1,0,1]
	v_pk_fma_f32 v[50:51], v[54:55], v[50:51], v[56:57] neg_lo:[0,0,1] neg_hi:[0,0,1]
	v_mov_b32_e32 v51, v59
	s_cbranch_execz .LBB86_274
	s_branch .LBB86_275
.LBB86_273:
                                        ; implicit-def: $vgpr50_vgpr51
.LBB86_274:
	ds_load_b64 v[50:51], v1
.LBB86_275:
	s_mov_b32 s4, exec_lo
	v_cmpx_ne_u32_e32 5, v0
	s_cbranch_execz .LBB86_279
; %bb.276:
	v_add_nc_u32_e32 v53, 0xc8, v48
	v_add3_u32 v54, 0, v48, 8
	v_mov_b32_e32 v55, v0
	s_mov_b32 s5, 0
.LBB86_277:                             ; =>This Inner Loop Header: Depth=1
	scratch_load_b64 v[56:57], v54, off
	ds_load_b64 v[58:59], v53
	s_wait_xcnt 0x0
	v_dual_add_nc_u32 v53, 8, v53 :: v_dual_add_nc_u32 v54, 8, v54
	s_wait_loadcnt_dscnt 0x0
	v_pk_mul_f32 v[60:61], v[58:59], v[56:57] op_sel:[1,1] op_sel_hi:[0,1]
	s_delay_alu instid0(VALU_DEP_1) | instskip(SKIP_2) | instid1(VALU_DEP_3)
	v_pk_fma_f32 v[62:63], v[58:59], v[56:57], v[60:61] op_sel_hi:[1,0,1]
	v_add_nc_u32_e32 v55, 1, v55
	v_pk_fma_f32 v[56:57], v[58:59], v[56:57], v[60:61] neg_lo:[0,0,1] neg_hi:[0,0,1]
	v_mov_b32_e32 v57, v63
	s_delay_alu instid0(VALU_DEP_3) | instskip(NEXT) | instid1(VALU_DEP_2)
	v_cmp_lt_u32_e32 vcc_lo, 4, v55
	v_pk_add_f32 v[50:51], v[50:51], v[56:57]
	s_or_b32 s5, vcc_lo, s5
	s_delay_alu instid0(SALU_CYCLE_1)
	s_and_not1_b32 exec_lo, exec_lo, s5
	s_cbranch_execnz .LBB86_277
; %bb.278:
	s_or_b32 exec_lo, exec_lo, s5
.LBB86_279:
	s_delay_alu instid0(SALU_CYCLE_1) | instskip(SKIP_4) | instid1(VALU_DEP_1)
	s_or_b32 exec_lo, exec_lo, s4
	v_mov_b32_e32 v53, 0
	ds_load_b64 v[54:55], v53 offset:48
	s_wait_dscnt 0x0
	v_pk_mul_f32 v[56:57], v[50:51], v[54:55] op_sel:[1,1] op_sel_hi:[0,1]
	v_pk_fma_f32 v[58:59], v[50:51], v[54:55], v[56:57] op_sel_hi:[1,0,1]
	v_pk_fma_f32 v[50:51], v[50:51], v[54:55], v[56:57] neg_lo:[0,0,1] neg_hi:[0,0,1]
	s_delay_alu instid0(VALU_DEP_2)
	v_mov_b32_e32 v51, v59
	scratch_store_b64 off, v[50:51], off offset:48
.LBB86_280:
	s_wait_xcnt 0x0
	s_or_b32 exec_lo, exec_lo, s0
	scratch_load_b64 v[50:51], off, off offset:56
	s_mov_b32 s0, exec_lo
	s_wait_loadcnt 0x0
	ds_store_b64 v1, v[50:51]
	s_wait_storecnt_dscnt 0x0
	s_barrier_signal -1
	s_barrier_wait -1
	s_wait_xcnt 0x0
	v_cmpx_gt_u32_e32 7, v0
	s_cbranch_execz .LBB86_290
; %bb.281:
	v_cmp_ne_u32_e32 vcc_lo, 1, v52
	s_cbranch_vccnz .LBB86_283
; %bb.282:
	scratch_load_b64 v[50:51], v49, off
	ds_load_b64 v[54:55], v1
	s_wait_loadcnt_dscnt 0x0
	v_pk_mul_f32 v[56:57], v[54:55], v[50:51] op_sel:[1,1] op_sel_hi:[0,1]
	s_delay_alu instid0(VALU_DEP_1) | instskip(SKIP_1) | instid1(VALU_DEP_2)
	v_pk_fma_f32 v[58:59], v[54:55], v[50:51], v[56:57] op_sel_hi:[1,0,1]
	v_pk_fma_f32 v[50:51], v[54:55], v[50:51], v[56:57] neg_lo:[0,0,1] neg_hi:[0,0,1]
	v_mov_b32_e32 v51, v59
	s_cbranch_execz .LBB86_284
	s_branch .LBB86_285
.LBB86_283:
                                        ; implicit-def: $vgpr50_vgpr51
.LBB86_284:
	ds_load_b64 v[50:51], v1
.LBB86_285:
	s_mov_b32 s4, exec_lo
	v_cmpx_ne_u32_e32 6, v0
	s_cbranch_execz .LBB86_289
; %bb.286:
	v_add_nc_u32_e32 v53, 0xc8, v48
	v_add3_u32 v54, 0, v48, 8
	v_mov_b32_e32 v55, v0
	s_mov_b32 s5, 0
.LBB86_287:                             ; =>This Inner Loop Header: Depth=1
	scratch_load_b64 v[56:57], v54, off
	ds_load_b64 v[58:59], v53
	s_wait_xcnt 0x0
	v_dual_add_nc_u32 v53, 8, v53 :: v_dual_add_nc_u32 v54, 8, v54
	s_wait_loadcnt_dscnt 0x0
	v_pk_mul_f32 v[60:61], v[58:59], v[56:57] op_sel:[1,1] op_sel_hi:[0,1]
	s_delay_alu instid0(VALU_DEP_1) | instskip(SKIP_2) | instid1(VALU_DEP_3)
	v_pk_fma_f32 v[62:63], v[58:59], v[56:57], v[60:61] op_sel_hi:[1,0,1]
	v_add_nc_u32_e32 v55, 1, v55
	v_pk_fma_f32 v[56:57], v[58:59], v[56:57], v[60:61] neg_lo:[0,0,1] neg_hi:[0,0,1]
	v_mov_b32_e32 v57, v63
	s_delay_alu instid0(VALU_DEP_3) | instskip(NEXT) | instid1(VALU_DEP_2)
	v_cmp_lt_u32_e32 vcc_lo, 5, v55
	v_pk_add_f32 v[50:51], v[50:51], v[56:57]
	s_or_b32 s5, vcc_lo, s5
	s_delay_alu instid0(SALU_CYCLE_1)
	s_and_not1_b32 exec_lo, exec_lo, s5
	s_cbranch_execnz .LBB86_287
; %bb.288:
	s_or_b32 exec_lo, exec_lo, s5
.LBB86_289:
	s_delay_alu instid0(SALU_CYCLE_1) | instskip(SKIP_4) | instid1(VALU_DEP_1)
	s_or_b32 exec_lo, exec_lo, s4
	v_mov_b32_e32 v53, 0
	ds_load_b64 v[54:55], v53 offset:56
	s_wait_dscnt 0x0
	v_pk_mul_f32 v[56:57], v[50:51], v[54:55] op_sel:[1,1] op_sel_hi:[0,1]
	v_pk_fma_f32 v[58:59], v[50:51], v[54:55], v[56:57] op_sel_hi:[1,0,1]
	v_pk_fma_f32 v[50:51], v[50:51], v[54:55], v[56:57] neg_lo:[0,0,1] neg_hi:[0,0,1]
	s_delay_alu instid0(VALU_DEP_2)
	v_mov_b32_e32 v51, v59
	scratch_store_b64 off, v[50:51], off offset:56
.LBB86_290:
	s_wait_xcnt 0x0
	s_or_b32 exec_lo, exec_lo, s0
	scratch_load_b64 v[50:51], off, off offset:64
	s_mov_b32 s0, exec_lo
	s_wait_loadcnt 0x0
	ds_store_b64 v1, v[50:51]
	s_wait_storecnt_dscnt 0x0
	s_barrier_signal -1
	s_barrier_wait -1
	s_wait_xcnt 0x0
	v_cmpx_gt_u32_e32 8, v0
	s_cbranch_execz .LBB86_300
; %bb.291:
	v_cmp_ne_u32_e32 vcc_lo, 1, v52
	s_cbranch_vccnz .LBB86_293
; %bb.292:
	scratch_load_b64 v[50:51], v49, off
	ds_load_b64 v[54:55], v1
	s_wait_loadcnt_dscnt 0x0
	v_pk_mul_f32 v[56:57], v[54:55], v[50:51] op_sel:[1,1] op_sel_hi:[0,1]
	s_delay_alu instid0(VALU_DEP_1) | instskip(SKIP_1) | instid1(VALU_DEP_2)
	v_pk_fma_f32 v[58:59], v[54:55], v[50:51], v[56:57] op_sel_hi:[1,0,1]
	v_pk_fma_f32 v[50:51], v[54:55], v[50:51], v[56:57] neg_lo:[0,0,1] neg_hi:[0,0,1]
	v_mov_b32_e32 v51, v59
	s_cbranch_execz .LBB86_294
	s_branch .LBB86_295
.LBB86_293:
                                        ; implicit-def: $vgpr50_vgpr51
.LBB86_294:
	ds_load_b64 v[50:51], v1
.LBB86_295:
	s_mov_b32 s4, exec_lo
	v_cmpx_ne_u32_e32 7, v0
	s_cbranch_execz .LBB86_299
; %bb.296:
	v_add_nc_u32_e32 v53, 0xc8, v48
	v_add3_u32 v54, 0, v48, 8
	v_mov_b32_e32 v55, v0
	s_mov_b32 s5, 0
.LBB86_297:                             ; =>This Inner Loop Header: Depth=1
	scratch_load_b64 v[56:57], v54, off
	ds_load_b64 v[58:59], v53
	s_wait_xcnt 0x0
	v_dual_add_nc_u32 v53, 8, v53 :: v_dual_add_nc_u32 v54, 8, v54
	s_wait_loadcnt_dscnt 0x0
	v_pk_mul_f32 v[60:61], v[58:59], v[56:57] op_sel:[1,1] op_sel_hi:[0,1]
	s_delay_alu instid0(VALU_DEP_1) | instskip(SKIP_2) | instid1(VALU_DEP_3)
	v_pk_fma_f32 v[62:63], v[58:59], v[56:57], v[60:61] op_sel_hi:[1,0,1]
	v_add_nc_u32_e32 v55, 1, v55
	v_pk_fma_f32 v[56:57], v[58:59], v[56:57], v[60:61] neg_lo:[0,0,1] neg_hi:[0,0,1]
	v_mov_b32_e32 v57, v63
	s_delay_alu instid0(VALU_DEP_3) | instskip(NEXT) | instid1(VALU_DEP_2)
	v_cmp_lt_u32_e32 vcc_lo, 6, v55
	v_pk_add_f32 v[50:51], v[50:51], v[56:57]
	s_or_b32 s5, vcc_lo, s5
	s_delay_alu instid0(SALU_CYCLE_1)
	s_and_not1_b32 exec_lo, exec_lo, s5
	s_cbranch_execnz .LBB86_297
; %bb.298:
	s_or_b32 exec_lo, exec_lo, s5
.LBB86_299:
	s_delay_alu instid0(SALU_CYCLE_1) | instskip(SKIP_4) | instid1(VALU_DEP_1)
	s_or_b32 exec_lo, exec_lo, s4
	v_mov_b32_e32 v53, 0
	ds_load_b64 v[54:55], v53 offset:64
	s_wait_dscnt 0x0
	v_pk_mul_f32 v[56:57], v[50:51], v[54:55] op_sel:[1,1] op_sel_hi:[0,1]
	v_pk_fma_f32 v[58:59], v[50:51], v[54:55], v[56:57] op_sel_hi:[1,0,1]
	v_pk_fma_f32 v[50:51], v[50:51], v[54:55], v[56:57] neg_lo:[0,0,1] neg_hi:[0,0,1]
	s_delay_alu instid0(VALU_DEP_2)
	v_mov_b32_e32 v51, v59
	scratch_store_b64 off, v[50:51], off offset:64
.LBB86_300:
	s_wait_xcnt 0x0
	s_or_b32 exec_lo, exec_lo, s0
	scratch_load_b64 v[50:51], off, off offset:72
	s_mov_b32 s0, exec_lo
	s_wait_loadcnt 0x0
	ds_store_b64 v1, v[50:51]
	s_wait_storecnt_dscnt 0x0
	s_barrier_signal -1
	s_barrier_wait -1
	s_wait_xcnt 0x0
	v_cmpx_gt_u32_e32 9, v0
	s_cbranch_execz .LBB86_310
; %bb.301:
	v_cmp_ne_u32_e32 vcc_lo, 1, v52
	s_cbranch_vccnz .LBB86_303
; %bb.302:
	scratch_load_b64 v[50:51], v49, off
	ds_load_b64 v[54:55], v1
	s_wait_loadcnt_dscnt 0x0
	v_pk_mul_f32 v[56:57], v[54:55], v[50:51] op_sel:[1,1] op_sel_hi:[0,1]
	s_delay_alu instid0(VALU_DEP_1) | instskip(SKIP_1) | instid1(VALU_DEP_2)
	v_pk_fma_f32 v[58:59], v[54:55], v[50:51], v[56:57] op_sel_hi:[1,0,1]
	v_pk_fma_f32 v[50:51], v[54:55], v[50:51], v[56:57] neg_lo:[0,0,1] neg_hi:[0,0,1]
	v_mov_b32_e32 v51, v59
	s_cbranch_execz .LBB86_304
	s_branch .LBB86_305
.LBB86_303:
                                        ; implicit-def: $vgpr50_vgpr51
.LBB86_304:
	ds_load_b64 v[50:51], v1
.LBB86_305:
	s_mov_b32 s4, exec_lo
	v_cmpx_ne_u32_e32 8, v0
	s_cbranch_execz .LBB86_309
; %bb.306:
	v_add_nc_u32_e32 v53, 0xc8, v48
	v_add3_u32 v54, 0, v48, 8
	v_mov_b32_e32 v55, v0
	s_mov_b32 s5, 0
.LBB86_307:                             ; =>This Inner Loop Header: Depth=1
	scratch_load_b64 v[56:57], v54, off
	ds_load_b64 v[58:59], v53
	s_wait_xcnt 0x0
	v_dual_add_nc_u32 v53, 8, v53 :: v_dual_add_nc_u32 v54, 8, v54
	s_wait_loadcnt_dscnt 0x0
	v_pk_mul_f32 v[60:61], v[58:59], v[56:57] op_sel:[1,1] op_sel_hi:[0,1]
	s_delay_alu instid0(VALU_DEP_1) | instskip(SKIP_2) | instid1(VALU_DEP_3)
	v_pk_fma_f32 v[62:63], v[58:59], v[56:57], v[60:61] op_sel_hi:[1,0,1]
	v_add_nc_u32_e32 v55, 1, v55
	v_pk_fma_f32 v[56:57], v[58:59], v[56:57], v[60:61] neg_lo:[0,0,1] neg_hi:[0,0,1]
	v_mov_b32_e32 v57, v63
	s_delay_alu instid0(VALU_DEP_3) | instskip(NEXT) | instid1(VALU_DEP_2)
	v_cmp_lt_u32_e32 vcc_lo, 7, v55
	v_pk_add_f32 v[50:51], v[50:51], v[56:57]
	s_or_b32 s5, vcc_lo, s5
	s_delay_alu instid0(SALU_CYCLE_1)
	s_and_not1_b32 exec_lo, exec_lo, s5
	s_cbranch_execnz .LBB86_307
; %bb.308:
	s_or_b32 exec_lo, exec_lo, s5
.LBB86_309:
	s_delay_alu instid0(SALU_CYCLE_1) | instskip(SKIP_4) | instid1(VALU_DEP_1)
	s_or_b32 exec_lo, exec_lo, s4
	v_mov_b32_e32 v53, 0
	ds_load_b64 v[54:55], v53 offset:72
	s_wait_dscnt 0x0
	v_pk_mul_f32 v[56:57], v[50:51], v[54:55] op_sel:[1,1] op_sel_hi:[0,1]
	v_pk_fma_f32 v[58:59], v[50:51], v[54:55], v[56:57] op_sel_hi:[1,0,1]
	v_pk_fma_f32 v[50:51], v[50:51], v[54:55], v[56:57] neg_lo:[0,0,1] neg_hi:[0,0,1]
	s_delay_alu instid0(VALU_DEP_2)
	v_mov_b32_e32 v51, v59
	scratch_store_b64 off, v[50:51], off offset:72
.LBB86_310:
	s_wait_xcnt 0x0
	s_or_b32 exec_lo, exec_lo, s0
	scratch_load_b64 v[50:51], off, off offset:80
	s_mov_b32 s0, exec_lo
	s_wait_loadcnt 0x0
	ds_store_b64 v1, v[50:51]
	s_wait_storecnt_dscnt 0x0
	s_barrier_signal -1
	s_barrier_wait -1
	s_wait_xcnt 0x0
	v_cmpx_gt_u32_e32 10, v0
	s_cbranch_execz .LBB86_320
; %bb.311:
	v_cmp_ne_u32_e32 vcc_lo, 1, v52
	s_cbranch_vccnz .LBB86_313
; %bb.312:
	scratch_load_b64 v[50:51], v49, off
	ds_load_b64 v[54:55], v1
	s_wait_loadcnt_dscnt 0x0
	v_pk_mul_f32 v[56:57], v[54:55], v[50:51] op_sel:[1,1] op_sel_hi:[0,1]
	s_delay_alu instid0(VALU_DEP_1) | instskip(SKIP_1) | instid1(VALU_DEP_2)
	v_pk_fma_f32 v[58:59], v[54:55], v[50:51], v[56:57] op_sel_hi:[1,0,1]
	v_pk_fma_f32 v[50:51], v[54:55], v[50:51], v[56:57] neg_lo:[0,0,1] neg_hi:[0,0,1]
	v_mov_b32_e32 v51, v59
	s_cbranch_execz .LBB86_314
	s_branch .LBB86_315
.LBB86_313:
                                        ; implicit-def: $vgpr50_vgpr51
.LBB86_314:
	ds_load_b64 v[50:51], v1
.LBB86_315:
	s_mov_b32 s4, exec_lo
	v_cmpx_ne_u32_e32 9, v0
	s_cbranch_execz .LBB86_319
; %bb.316:
	v_add_nc_u32_e32 v53, 0xc8, v48
	v_add3_u32 v54, 0, v48, 8
	v_mov_b32_e32 v55, v0
	s_mov_b32 s5, 0
.LBB86_317:                             ; =>This Inner Loop Header: Depth=1
	scratch_load_b64 v[56:57], v54, off
	ds_load_b64 v[58:59], v53
	s_wait_xcnt 0x0
	v_dual_add_nc_u32 v53, 8, v53 :: v_dual_add_nc_u32 v54, 8, v54
	s_wait_loadcnt_dscnt 0x0
	v_pk_mul_f32 v[60:61], v[58:59], v[56:57] op_sel:[1,1] op_sel_hi:[0,1]
	s_delay_alu instid0(VALU_DEP_1) | instskip(SKIP_2) | instid1(VALU_DEP_3)
	v_pk_fma_f32 v[62:63], v[58:59], v[56:57], v[60:61] op_sel_hi:[1,0,1]
	v_add_nc_u32_e32 v55, 1, v55
	v_pk_fma_f32 v[56:57], v[58:59], v[56:57], v[60:61] neg_lo:[0,0,1] neg_hi:[0,0,1]
	v_mov_b32_e32 v57, v63
	s_delay_alu instid0(VALU_DEP_3) | instskip(NEXT) | instid1(VALU_DEP_2)
	v_cmp_lt_u32_e32 vcc_lo, 8, v55
	v_pk_add_f32 v[50:51], v[50:51], v[56:57]
	s_or_b32 s5, vcc_lo, s5
	s_delay_alu instid0(SALU_CYCLE_1)
	s_and_not1_b32 exec_lo, exec_lo, s5
	s_cbranch_execnz .LBB86_317
; %bb.318:
	s_or_b32 exec_lo, exec_lo, s5
.LBB86_319:
	s_delay_alu instid0(SALU_CYCLE_1) | instskip(SKIP_4) | instid1(VALU_DEP_1)
	s_or_b32 exec_lo, exec_lo, s4
	v_mov_b32_e32 v53, 0
	ds_load_b64 v[54:55], v53 offset:80
	s_wait_dscnt 0x0
	v_pk_mul_f32 v[56:57], v[50:51], v[54:55] op_sel:[1,1] op_sel_hi:[0,1]
	v_pk_fma_f32 v[58:59], v[50:51], v[54:55], v[56:57] op_sel_hi:[1,0,1]
	v_pk_fma_f32 v[50:51], v[50:51], v[54:55], v[56:57] neg_lo:[0,0,1] neg_hi:[0,0,1]
	s_delay_alu instid0(VALU_DEP_2)
	v_mov_b32_e32 v51, v59
	scratch_store_b64 off, v[50:51], off offset:80
.LBB86_320:
	s_wait_xcnt 0x0
	s_or_b32 exec_lo, exec_lo, s0
	scratch_load_b64 v[50:51], off, off offset:88
	s_mov_b32 s0, exec_lo
	s_wait_loadcnt 0x0
	ds_store_b64 v1, v[50:51]
	s_wait_storecnt_dscnt 0x0
	s_barrier_signal -1
	s_barrier_wait -1
	s_wait_xcnt 0x0
	v_cmpx_gt_u32_e32 11, v0
	s_cbranch_execz .LBB86_330
; %bb.321:
	v_cmp_ne_u32_e32 vcc_lo, 1, v52
	s_cbranch_vccnz .LBB86_323
; %bb.322:
	scratch_load_b64 v[50:51], v49, off
	ds_load_b64 v[54:55], v1
	s_wait_loadcnt_dscnt 0x0
	v_pk_mul_f32 v[56:57], v[54:55], v[50:51] op_sel:[1,1] op_sel_hi:[0,1]
	s_delay_alu instid0(VALU_DEP_1) | instskip(SKIP_1) | instid1(VALU_DEP_2)
	v_pk_fma_f32 v[58:59], v[54:55], v[50:51], v[56:57] op_sel_hi:[1,0,1]
	v_pk_fma_f32 v[50:51], v[54:55], v[50:51], v[56:57] neg_lo:[0,0,1] neg_hi:[0,0,1]
	v_mov_b32_e32 v51, v59
	s_cbranch_execz .LBB86_324
	s_branch .LBB86_325
.LBB86_323:
                                        ; implicit-def: $vgpr50_vgpr51
.LBB86_324:
	ds_load_b64 v[50:51], v1
.LBB86_325:
	s_mov_b32 s4, exec_lo
	v_cmpx_ne_u32_e32 10, v0
	s_cbranch_execz .LBB86_329
; %bb.326:
	v_add_nc_u32_e32 v53, 0xc8, v48
	v_add3_u32 v54, 0, v48, 8
	v_mov_b32_e32 v55, v0
	s_mov_b32 s5, 0
.LBB86_327:                             ; =>This Inner Loop Header: Depth=1
	scratch_load_b64 v[56:57], v54, off
	ds_load_b64 v[58:59], v53
	s_wait_xcnt 0x0
	v_dual_add_nc_u32 v53, 8, v53 :: v_dual_add_nc_u32 v54, 8, v54
	s_wait_loadcnt_dscnt 0x0
	v_pk_mul_f32 v[60:61], v[58:59], v[56:57] op_sel:[1,1] op_sel_hi:[0,1]
	s_delay_alu instid0(VALU_DEP_1) | instskip(SKIP_2) | instid1(VALU_DEP_3)
	v_pk_fma_f32 v[62:63], v[58:59], v[56:57], v[60:61] op_sel_hi:[1,0,1]
	v_add_nc_u32_e32 v55, 1, v55
	v_pk_fma_f32 v[56:57], v[58:59], v[56:57], v[60:61] neg_lo:[0,0,1] neg_hi:[0,0,1]
	v_mov_b32_e32 v57, v63
	s_delay_alu instid0(VALU_DEP_3) | instskip(NEXT) | instid1(VALU_DEP_2)
	v_cmp_lt_u32_e32 vcc_lo, 9, v55
	v_pk_add_f32 v[50:51], v[50:51], v[56:57]
	s_or_b32 s5, vcc_lo, s5
	s_delay_alu instid0(SALU_CYCLE_1)
	s_and_not1_b32 exec_lo, exec_lo, s5
	s_cbranch_execnz .LBB86_327
; %bb.328:
	s_or_b32 exec_lo, exec_lo, s5
.LBB86_329:
	s_delay_alu instid0(SALU_CYCLE_1) | instskip(SKIP_4) | instid1(VALU_DEP_1)
	s_or_b32 exec_lo, exec_lo, s4
	v_mov_b32_e32 v53, 0
	ds_load_b64 v[54:55], v53 offset:88
	s_wait_dscnt 0x0
	v_pk_mul_f32 v[56:57], v[50:51], v[54:55] op_sel:[1,1] op_sel_hi:[0,1]
	v_pk_fma_f32 v[58:59], v[50:51], v[54:55], v[56:57] op_sel_hi:[1,0,1]
	v_pk_fma_f32 v[50:51], v[50:51], v[54:55], v[56:57] neg_lo:[0,0,1] neg_hi:[0,0,1]
	s_delay_alu instid0(VALU_DEP_2)
	v_mov_b32_e32 v51, v59
	scratch_store_b64 off, v[50:51], off offset:88
.LBB86_330:
	s_wait_xcnt 0x0
	s_or_b32 exec_lo, exec_lo, s0
	scratch_load_b64 v[50:51], off, off offset:96
	s_mov_b32 s0, exec_lo
	s_wait_loadcnt 0x0
	ds_store_b64 v1, v[50:51]
	s_wait_storecnt_dscnt 0x0
	s_barrier_signal -1
	s_barrier_wait -1
	s_wait_xcnt 0x0
	v_cmpx_gt_u32_e32 12, v0
	s_cbranch_execz .LBB86_340
; %bb.331:
	v_cmp_ne_u32_e32 vcc_lo, 1, v52
	s_cbranch_vccnz .LBB86_333
; %bb.332:
	scratch_load_b64 v[50:51], v49, off
	ds_load_b64 v[54:55], v1
	s_wait_loadcnt_dscnt 0x0
	v_pk_mul_f32 v[56:57], v[54:55], v[50:51] op_sel:[1,1] op_sel_hi:[0,1]
	s_delay_alu instid0(VALU_DEP_1) | instskip(SKIP_1) | instid1(VALU_DEP_2)
	v_pk_fma_f32 v[58:59], v[54:55], v[50:51], v[56:57] op_sel_hi:[1,0,1]
	v_pk_fma_f32 v[50:51], v[54:55], v[50:51], v[56:57] neg_lo:[0,0,1] neg_hi:[0,0,1]
	v_mov_b32_e32 v51, v59
	s_cbranch_execz .LBB86_334
	s_branch .LBB86_335
.LBB86_333:
                                        ; implicit-def: $vgpr50_vgpr51
.LBB86_334:
	ds_load_b64 v[50:51], v1
.LBB86_335:
	s_mov_b32 s4, exec_lo
	v_cmpx_ne_u32_e32 11, v0
	s_cbranch_execz .LBB86_339
; %bb.336:
	v_add_nc_u32_e32 v53, 0xc8, v48
	v_add3_u32 v54, 0, v48, 8
	v_mov_b32_e32 v55, v0
	s_mov_b32 s5, 0
.LBB86_337:                             ; =>This Inner Loop Header: Depth=1
	scratch_load_b64 v[56:57], v54, off
	ds_load_b64 v[58:59], v53
	s_wait_xcnt 0x0
	v_dual_add_nc_u32 v53, 8, v53 :: v_dual_add_nc_u32 v54, 8, v54
	s_wait_loadcnt_dscnt 0x0
	v_pk_mul_f32 v[60:61], v[58:59], v[56:57] op_sel:[1,1] op_sel_hi:[0,1]
	s_delay_alu instid0(VALU_DEP_1) | instskip(SKIP_2) | instid1(VALU_DEP_3)
	v_pk_fma_f32 v[62:63], v[58:59], v[56:57], v[60:61] op_sel_hi:[1,0,1]
	v_add_nc_u32_e32 v55, 1, v55
	v_pk_fma_f32 v[56:57], v[58:59], v[56:57], v[60:61] neg_lo:[0,0,1] neg_hi:[0,0,1]
	v_mov_b32_e32 v57, v63
	s_delay_alu instid0(VALU_DEP_3) | instskip(NEXT) | instid1(VALU_DEP_2)
	v_cmp_lt_u32_e32 vcc_lo, 10, v55
	v_pk_add_f32 v[50:51], v[50:51], v[56:57]
	s_or_b32 s5, vcc_lo, s5
	s_delay_alu instid0(SALU_CYCLE_1)
	s_and_not1_b32 exec_lo, exec_lo, s5
	s_cbranch_execnz .LBB86_337
; %bb.338:
	s_or_b32 exec_lo, exec_lo, s5
.LBB86_339:
	s_delay_alu instid0(SALU_CYCLE_1) | instskip(SKIP_4) | instid1(VALU_DEP_1)
	s_or_b32 exec_lo, exec_lo, s4
	v_mov_b32_e32 v53, 0
	ds_load_b64 v[54:55], v53 offset:96
	s_wait_dscnt 0x0
	v_pk_mul_f32 v[56:57], v[50:51], v[54:55] op_sel:[1,1] op_sel_hi:[0,1]
	v_pk_fma_f32 v[58:59], v[50:51], v[54:55], v[56:57] op_sel_hi:[1,0,1]
	v_pk_fma_f32 v[50:51], v[50:51], v[54:55], v[56:57] neg_lo:[0,0,1] neg_hi:[0,0,1]
	s_delay_alu instid0(VALU_DEP_2)
	v_mov_b32_e32 v51, v59
	scratch_store_b64 off, v[50:51], off offset:96
.LBB86_340:
	s_wait_xcnt 0x0
	s_or_b32 exec_lo, exec_lo, s0
	scratch_load_b64 v[50:51], off, off offset:104
	s_mov_b32 s0, exec_lo
	s_wait_loadcnt 0x0
	ds_store_b64 v1, v[50:51]
	s_wait_storecnt_dscnt 0x0
	s_barrier_signal -1
	s_barrier_wait -1
	s_wait_xcnt 0x0
	v_cmpx_gt_u32_e32 13, v0
	s_cbranch_execz .LBB86_350
; %bb.341:
	v_cmp_ne_u32_e32 vcc_lo, 1, v52
	s_cbranch_vccnz .LBB86_343
; %bb.342:
	scratch_load_b64 v[50:51], v49, off
	ds_load_b64 v[54:55], v1
	s_wait_loadcnt_dscnt 0x0
	v_pk_mul_f32 v[56:57], v[54:55], v[50:51] op_sel:[1,1] op_sel_hi:[0,1]
	s_delay_alu instid0(VALU_DEP_1) | instskip(SKIP_1) | instid1(VALU_DEP_2)
	v_pk_fma_f32 v[58:59], v[54:55], v[50:51], v[56:57] op_sel_hi:[1,0,1]
	v_pk_fma_f32 v[50:51], v[54:55], v[50:51], v[56:57] neg_lo:[0,0,1] neg_hi:[0,0,1]
	v_mov_b32_e32 v51, v59
	s_cbranch_execz .LBB86_344
	s_branch .LBB86_345
.LBB86_343:
                                        ; implicit-def: $vgpr50_vgpr51
.LBB86_344:
	ds_load_b64 v[50:51], v1
.LBB86_345:
	s_mov_b32 s4, exec_lo
	v_cmpx_ne_u32_e32 12, v0
	s_cbranch_execz .LBB86_349
; %bb.346:
	v_add_nc_u32_e32 v53, 0xc8, v48
	v_add3_u32 v54, 0, v48, 8
	v_mov_b32_e32 v55, v0
	s_mov_b32 s5, 0
.LBB86_347:                             ; =>This Inner Loop Header: Depth=1
	scratch_load_b64 v[56:57], v54, off
	ds_load_b64 v[58:59], v53
	s_wait_xcnt 0x0
	v_dual_add_nc_u32 v53, 8, v53 :: v_dual_add_nc_u32 v54, 8, v54
	s_wait_loadcnt_dscnt 0x0
	v_pk_mul_f32 v[60:61], v[58:59], v[56:57] op_sel:[1,1] op_sel_hi:[0,1]
	s_delay_alu instid0(VALU_DEP_1) | instskip(SKIP_2) | instid1(VALU_DEP_3)
	v_pk_fma_f32 v[62:63], v[58:59], v[56:57], v[60:61] op_sel_hi:[1,0,1]
	v_add_nc_u32_e32 v55, 1, v55
	v_pk_fma_f32 v[56:57], v[58:59], v[56:57], v[60:61] neg_lo:[0,0,1] neg_hi:[0,0,1]
	v_mov_b32_e32 v57, v63
	s_delay_alu instid0(VALU_DEP_3) | instskip(NEXT) | instid1(VALU_DEP_2)
	v_cmp_lt_u32_e32 vcc_lo, 11, v55
	v_pk_add_f32 v[50:51], v[50:51], v[56:57]
	s_or_b32 s5, vcc_lo, s5
	s_delay_alu instid0(SALU_CYCLE_1)
	s_and_not1_b32 exec_lo, exec_lo, s5
	s_cbranch_execnz .LBB86_347
; %bb.348:
	s_or_b32 exec_lo, exec_lo, s5
.LBB86_349:
	s_delay_alu instid0(SALU_CYCLE_1) | instskip(SKIP_4) | instid1(VALU_DEP_1)
	s_or_b32 exec_lo, exec_lo, s4
	v_mov_b32_e32 v53, 0
	ds_load_b64 v[54:55], v53 offset:104
	s_wait_dscnt 0x0
	v_pk_mul_f32 v[56:57], v[50:51], v[54:55] op_sel:[1,1] op_sel_hi:[0,1]
	v_pk_fma_f32 v[58:59], v[50:51], v[54:55], v[56:57] op_sel_hi:[1,0,1]
	v_pk_fma_f32 v[50:51], v[50:51], v[54:55], v[56:57] neg_lo:[0,0,1] neg_hi:[0,0,1]
	s_delay_alu instid0(VALU_DEP_2)
	v_mov_b32_e32 v51, v59
	scratch_store_b64 off, v[50:51], off offset:104
.LBB86_350:
	s_wait_xcnt 0x0
	s_or_b32 exec_lo, exec_lo, s0
	scratch_load_b64 v[50:51], off, off offset:112
	s_mov_b32 s0, exec_lo
	s_wait_loadcnt 0x0
	ds_store_b64 v1, v[50:51]
	s_wait_storecnt_dscnt 0x0
	s_barrier_signal -1
	s_barrier_wait -1
	s_wait_xcnt 0x0
	v_cmpx_gt_u32_e32 14, v0
	s_cbranch_execz .LBB86_360
; %bb.351:
	v_cmp_ne_u32_e32 vcc_lo, 1, v52
	s_cbranch_vccnz .LBB86_353
; %bb.352:
	scratch_load_b64 v[50:51], v49, off
	ds_load_b64 v[54:55], v1
	s_wait_loadcnt_dscnt 0x0
	v_pk_mul_f32 v[56:57], v[54:55], v[50:51] op_sel:[1,1] op_sel_hi:[0,1]
	s_delay_alu instid0(VALU_DEP_1) | instskip(SKIP_1) | instid1(VALU_DEP_2)
	v_pk_fma_f32 v[58:59], v[54:55], v[50:51], v[56:57] op_sel_hi:[1,0,1]
	v_pk_fma_f32 v[50:51], v[54:55], v[50:51], v[56:57] neg_lo:[0,0,1] neg_hi:[0,0,1]
	v_mov_b32_e32 v51, v59
	s_cbranch_execz .LBB86_354
	s_branch .LBB86_355
.LBB86_353:
                                        ; implicit-def: $vgpr50_vgpr51
.LBB86_354:
	ds_load_b64 v[50:51], v1
.LBB86_355:
	s_mov_b32 s4, exec_lo
	v_cmpx_ne_u32_e32 13, v0
	s_cbranch_execz .LBB86_359
; %bb.356:
	v_add_nc_u32_e32 v53, 0xc8, v48
	v_add3_u32 v54, 0, v48, 8
	v_mov_b32_e32 v55, v0
	s_mov_b32 s5, 0
.LBB86_357:                             ; =>This Inner Loop Header: Depth=1
	scratch_load_b64 v[56:57], v54, off
	ds_load_b64 v[58:59], v53
	s_wait_xcnt 0x0
	v_dual_add_nc_u32 v53, 8, v53 :: v_dual_add_nc_u32 v54, 8, v54
	s_wait_loadcnt_dscnt 0x0
	v_pk_mul_f32 v[60:61], v[58:59], v[56:57] op_sel:[1,1] op_sel_hi:[0,1]
	s_delay_alu instid0(VALU_DEP_1) | instskip(SKIP_2) | instid1(VALU_DEP_3)
	v_pk_fma_f32 v[62:63], v[58:59], v[56:57], v[60:61] op_sel_hi:[1,0,1]
	v_add_nc_u32_e32 v55, 1, v55
	v_pk_fma_f32 v[56:57], v[58:59], v[56:57], v[60:61] neg_lo:[0,0,1] neg_hi:[0,0,1]
	v_mov_b32_e32 v57, v63
	s_delay_alu instid0(VALU_DEP_3) | instskip(NEXT) | instid1(VALU_DEP_2)
	v_cmp_lt_u32_e32 vcc_lo, 12, v55
	v_pk_add_f32 v[50:51], v[50:51], v[56:57]
	s_or_b32 s5, vcc_lo, s5
	s_delay_alu instid0(SALU_CYCLE_1)
	s_and_not1_b32 exec_lo, exec_lo, s5
	s_cbranch_execnz .LBB86_357
; %bb.358:
	s_or_b32 exec_lo, exec_lo, s5
.LBB86_359:
	s_delay_alu instid0(SALU_CYCLE_1) | instskip(SKIP_4) | instid1(VALU_DEP_1)
	s_or_b32 exec_lo, exec_lo, s4
	v_mov_b32_e32 v53, 0
	ds_load_b64 v[54:55], v53 offset:112
	s_wait_dscnt 0x0
	v_pk_mul_f32 v[56:57], v[50:51], v[54:55] op_sel:[1,1] op_sel_hi:[0,1]
	v_pk_fma_f32 v[58:59], v[50:51], v[54:55], v[56:57] op_sel_hi:[1,0,1]
	v_pk_fma_f32 v[50:51], v[50:51], v[54:55], v[56:57] neg_lo:[0,0,1] neg_hi:[0,0,1]
	s_delay_alu instid0(VALU_DEP_2)
	v_mov_b32_e32 v51, v59
	scratch_store_b64 off, v[50:51], off offset:112
.LBB86_360:
	s_wait_xcnt 0x0
	s_or_b32 exec_lo, exec_lo, s0
	scratch_load_b64 v[50:51], off, off offset:120
	s_mov_b32 s0, exec_lo
	s_wait_loadcnt 0x0
	ds_store_b64 v1, v[50:51]
	s_wait_storecnt_dscnt 0x0
	s_barrier_signal -1
	s_barrier_wait -1
	s_wait_xcnt 0x0
	v_cmpx_gt_u32_e32 15, v0
	s_cbranch_execz .LBB86_370
; %bb.361:
	v_cmp_ne_u32_e32 vcc_lo, 1, v52
	s_cbranch_vccnz .LBB86_363
; %bb.362:
	scratch_load_b64 v[50:51], v49, off
	ds_load_b64 v[54:55], v1
	s_wait_loadcnt_dscnt 0x0
	v_pk_mul_f32 v[56:57], v[54:55], v[50:51] op_sel:[1,1] op_sel_hi:[0,1]
	s_delay_alu instid0(VALU_DEP_1) | instskip(SKIP_1) | instid1(VALU_DEP_2)
	v_pk_fma_f32 v[58:59], v[54:55], v[50:51], v[56:57] op_sel_hi:[1,0,1]
	v_pk_fma_f32 v[50:51], v[54:55], v[50:51], v[56:57] neg_lo:[0,0,1] neg_hi:[0,0,1]
	v_mov_b32_e32 v51, v59
	s_cbranch_execz .LBB86_364
	s_branch .LBB86_365
.LBB86_363:
                                        ; implicit-def: $vgpr50_vgpr51
.LBB86_364:
	ds_load_b64 v[50:51], v1
.LBB86_365:
	s_mov_b32 s4, exec_lo
	v_cmpx_ne_u32_e32 14, v0
	s_cbranch_execz .LBB86_369
; %bb.366:
	v_add_nc_u32_e32 v53, 0xc8, v48
	v_add3_u32 v54, 0, v48, 8
	v_mov_b32_e32 v55, v0
	s_mov_b32 s5, 0
.LBB86_367:                             ; =>This Inner Loop Header: Depth=1
	scratch_load_b64 v[56:57], v54, off
	ds_load_b64 v[58:59], v53
	s_wait_xcnt 0x0
	v_dual_add_nc_u32 v53, 8, v53 :: v_dual_add_nc_u32 v54, 8, v54
	s_wait_loadcnt_dscnt 0x0
	v_pk_mul_f32 v[60:61], v[58:59], v[56:57] op_sel:[1,1] op_sel_hi:[0,1]
	s_delay_alu instid0(VALU_DEP_1) | instskip(SKIP_2) | instid1(VALU_DEP_3)
	v_pk_fma_f32 v[62:63], v[58:59], v[56:57], v[60:61] op_sel_hi:[1,0,1]
	v_add_nc_u32_e32 v55, 1, v55
	v_pk_fma_f32 v[56:57], v[58:59], v[56:57], v[60:61] neg_lo:[0,0,1] neg_hi:[0,0,1]
	v_mov_b32_e32 v57, v63
	s_delay_alu instid0(VALU_DEP_3) | instskip(NEXT) | instid1(VALU_DEP_2)
	v_cmp_lt_u32_e32 vcc_lo, 13, v55
	v_pk_add_f32 v[50:51], v[50:51], v[56:57]
	s_or_b32 s5, vcc_lo, s5
	s_delay_alu instid0(SALU_CYCLE_1)
	s_and_not1_b32 exec_lo, exec_lo, s5
	s_cbranch_execnz .LBB86_367
; %bb.368:
	s_or_b32 exec_lo, exec_lo, s5
.LBB86_369:
	s_delay_alu instid0(SALU_CYCLE_1) | instskip(SKIP_4) | instid1(VALU_DEP_1)
	s_or_b32 exec_lo, exec_lo, s4
	v_mov_b32_e32 v53, 0
	ds_load_b64 v[54:55], v53 offset:120
	s_wait_dscnt 0x0
	v_pk_mul_f32 v[56:57], v[50:51], v[54:55] op_sel:[1,1] op_sel_hi:[0,1]
	v_pk_fma_f32 v[58:59], v[50:51], v[54:55], v[56:57] op_sel_hi:[1,0,1]
	v_pk_fma_f32 v[50:51], v[50:51], v[54:55], v[56:57] neg_lo:[0,0,1] neg_hi:[0,0,1]
	s_delay_alu instid0(VALU_DEP_2)
	v_mov_b32_e32 v51, v59
	scratch_store_b64 off, v[50:51], off offset:120
.LBB86_370:
	s_wait_xcnt 0x0
	s_or_b32 exec_lo, exec_lo, s0
	scratch_load_b64 v[50:51], off, off offset:128
	s_mov_b32 s0, exec_lo
	s_wait_loadcnt 0x0
	ds_store_b64 v1, v[50:51]
	s_wait_storecnt_dscnt 0x0
	s_barrier_signal -1
	s_barrier_wait -1
	s_wait_xcnt 0x0
	v_cmpx_gt_u32_e32 16, v0
	s_cbranch_execz .LBB86_380
; %bb.371:
	v_cmp_ne_u32_e32 vcc_lo, 1, v52
	s_cbranch_vccnz .LBB86_373
; %bb.372:
	scratch_load_b64 v[50:51], v49, off
	ds_load_b64 v[54:55], v1
	s_wait_loadcnt_dscnt 0x0
	v_pk_mul_f32 v[56:57], v[54:55], v[50:51] op_sel:[1,1] op_sel_hi:[0,1]
	s_delay_alu instid0(VALU_DEP_1) | instskip(SKIP_1) | instid1(VALU_DEP_2)
	v_pk_fma_f32 v[58:59], v[54:55], v[50:51], v[56:57] op_sel_hi:[1,0,1]
	v_pk_fma_f32 v[50:51], v[54:55], v[50:51], v[56:57] neg_lo:[0,0,1] neg_hi:[0,0,1]
	v_mov_b32_e32 v51, v59
	s_cbranch_execz .LBB86_374
	s_branch .LBB86_375
.LBB86_373:
                                        ; implicit-def: $vgpr50_vgpr51
.LBB86_374:
	ds_load_b64 v[50:51], v1
.LBB86_375:
	s_mov_b32 s4, exec_lo
	v_cmpx_ne_u32_e32 15, v0
	s_cbranch_execz .LBB86_379
; %bb.376:
	v_add_nc_u32_e32 v53, 0xc8, v48
	v_add3_u32 v54, 0, v48, 8
	v_mov_b32_e32 v55, v0
	s_mov_b32 s5, 0
.LBB86_377:                             ; =>This Inner Loop Header: Depth=1
	scratch_load_b64 v[56:57], v54, off
	ds_load_b64 v[58:59], v53
	s_wait_xcnt 0x0
	v_dual_add_nc_u32 v53, 8, v53 :: v_dual_add_nc_u32 v54, 8, v54
	s_wait_loadcnt_dscnt 0x0
	v_pk_mul_f32 v[60:61], v[58:59], v[56:57] op_sel:[1,1] op_sel_hi:[0,1]
	s_delay_alu instid0(VALU_DEP_1) | instskip(SKIP_2) | instid1(VALU_DEP_3)
	v_pk_fma_f32 v[62:63], v[58:59], v[56:57], v[60:61] op_sel_hi:[1,0,1]
	v_add_nc_u32_e32 v55, 1, v55
	v_pk_fma_f32 v[56:57], v[58:59], v[56:57], v[60:61] neg_lo:[0,0,1] neg_hi:[0,0,1]
	v_mov_b32_e32 v57, v63
	s_delay_alu instid0(VALU_DEP_3) | instskip(NEXT) | instid1(VALU_DEP_2)
	v_cmp_lt_u32_e32 vcc_lo, 14, v55
	v_pk_add_f32 v[50:51], v[50:51], v[56:57]
	s_or_b32 s5, vcc_lo, s5
	s_delay_alu instid0(SALU_CYCLE_1)
	s_and_not1_b32 exec_lo, exec_lo, s5
	s_cbranch_execnz .LBB86_377
; %bb.378:
	s_or_b32 exec_lo, exec_lo, s5
.LBB86_379:
	s_delay_alu instid0(SALU_CYCLE_1) | instskip(SKIP_4) | instid1(VALU_DEP_1)
	s_or_b32 exec_lo, exec_lo, s4
	v_mov_b32_e32 v53, 0
	ds_load_b64 v[54:55], v53 offset:128
	s_wait_dscnt 0x0
	v_pk_mul_f32 v[56:57], v[50:51], v[54:55] op_sel:[1,1] op_sel_hi:[0,1]
	v_pk_fma_f32 v[58:59], v[50:51], v[54:55], v[56:57] op_sel_hi:[1,0,1]
	v_pk_fma_f32 v[50:51], v[50:51], v[54:55], v[56:57] neg_lo:[0,0,1] neg_hi:[0,0,1]
	s_delay_alu instid0(VALU_DEP_2)
	v_mov_b32_e32 v51, v59
	scratch_store_b64 off, v[50:51], off offset:128
.LBB86_380:
	s_wait_xcnt 0x0
	s_or_b32 exec_lo, exec_lo, s0
	scratch_load_b64 v[50:51], off, off offset:136
	s_mov_b32 s0, exec_lo
	s_wait_loadcnt 0x0
	ds_store_b64 v1, v[50:51]
	s_wait_storecnt_dscnt 0x0
	s_barrier_signal -1
	s_barrier_wait -1
	s_wait_xcnt 0x0
	v_cmpx_gt_u32_e32 17, v0
	s_cbranch_execz .LBB86_390
; %bb.381:
	v_cmp_ne_u32_e32 vcc_lo, 1, v52
	s_cbranch_vccnz .LBB86_383
; %bb.382:
	scratch_load_b64 v[50:51], v49, off
	ds_load_b64 v[54:55], v1
	s_wait_loadcnt_dscnt 0x0
	v_pk_mul_f32 v[56:57], v[54:55], v[50:51] op_sel:[1,1] op_sel_hi:[0,1]
	s_delay_alu instid0(VALU_DEP_1) | instskip(SKIP_1) | instid1(VALU_DEP_2)
	v_pk_fma_f32 v[58:59], v[54:55], v[50:51], v[56:57] op_sel_hi:[1,0,1]
	v_pk_fma_f32 v[50:51], v[54:55], v[50:51], v[56:57] neg_lo:[0,0,1] neg_hi:[0,0,1]
	v_mov_b32_e32 v51, v59
	s_cbranch_execz .LBB86_384
	s_branch .LBB86_385
.LBB86_383:
                                        ; implicit-def: $vgpr50_vgpr51
.LBB86_384:
	ds_load_b64 v[50:51], v1
.LBB86_385:
	s_mov_b32 s4, exec_lo
	v_cmpx_ne_u32_e32 16, v0
	s_cbranch_execz .LBB86_389
; %bb.386:
	v_add_nc_u32_e32 v53, 0xc8, v48
	v_add3_u32 v54, 0, v48, 8
	v_mov_b32_e32 v55, v0
	s_mov_b32 s5, 0
.LBB86_387:                             ; =>This Inner Loop Header: Depth=1
	scratch_load_b64 v[56:57], v54, off
	ds_load_b64 v[58:59], v53
	s_wait_xcnt 0x0
	v_dual_add_nc_u32 v53, 8, v53 :: v_dual_add_nc_u32 v54, 8, v54
	s_wait_loadcnt_dscnt 0x0
	v_pk_mul_f32 v[60:61], v[58:59], v[56:57] op_sel:[1,1] op_sel_hi:[0,1]
	s_delay_alu instid0(VALU_DEP_1) | instskip(SKIP_2) | instid1(VALU_DEP_3)
	v_pk_fma_f32 v[62:63], v[58:59], v[56:57], v[60:61] op_sel_hi:[1,0,1]
	v_add_nc_u32_e32 v55, 1, v55
	v_pk_fma_f32 v[56:57], v[58:59], v[56:57], v[60:61] neg_lo:[0,0,1] neg_hi:[0,0,1]
	v_mov_b32_e32 v57, v63
	s_delay_alu instid0(VALU_DEP_3) | instskip(NEXT) | instid1(VALU_DEP_2)
	v_cmp_lt_u32_e32 vcc_lo, 15, v55
	v_pk_add_f32 v[50:51], v[50:51], v[56:57]
	s_or_b32 s5, vcc_lo, s5
	s_delay_alu instid0(SALU_CYCLE_1)
	s_and_not1_b32 exec_lo, exec_lo, s5
	s_cbranch_execnz .LBB86_387
; %bb.388:
	s_or_b32 exec_lo, exec_lo, s5
.LBB86_389:
	s_delay_alu instid0(SALU_CYCLE_1) | instskip(SKIP_4) | instid1(VALU_DEP_1)
	s_or_b32 exec_lo, exec_lo, s4
	v_mov_b32_e32 v53, 0
	ds_load_b64 v[54:55], v53 offset:136
	s_wait_dscnt 0x0
	v_pk_mul_f32 v[56:57], v[50:51], v[54:55] op_sel:[1,1] op_sel_hi:[0,1]
	v_pk_fma_f32 v[58:59], v[50:51], v[54:55], v[56:57] op_sel_hi:[1,0,1]
	v_pk_fma_f32 v[50:51], v[50:51], v[54:55], v[56:57] neg_lo:[0,0,1] neg_hi:[0,0,1]
	s_delay_alu instid0(VALU_DEP_2)
	v_mov_b32_e32 v51, v59
	scratch_store_b64 off, v[50:51], off offset:136
.LBB86_390:
	s_wait_xcnt 0x0
	s_or_b32 exec_lo, exec_lo, s0
	scratch_load_b64 v[50:51], off, off offset:144
	s_mov_b32 s0, exec_lo
	s_wait_loadcnt 0x0
	ds_store_b64 v1, v[50:51]
	s_wait_storecnt_dscnt 0x0
	s_barrier_signal -1
	s_barrier_wait -1
	s_wait_xcnt 0x0
	v_cmpx_gt_u32_e32 18, v0
	s_cbranch_execz .LBB86_400
; %bb.391:
	v_cmp_ne_u32_e32 vcc_lo, 1, v52
	s_cbranch_vccnz .LBB86_393
; %bb.392:
	scratch_load_b64 v[50:51], v49, off
	ds_load_b64 v[54:55], v1
	s_wait_loadcnt_dscnt 0x0
	v_pk_mul_f32 v[56:57], v[54:55], v[50:51] op_sel:[1,1] op_sel_hi:[0,1]
	s_delay_alu instid0(VALU_DEP_1) | instskip(SKIP_1) | instid1(VALU_DEP_2)
	v_pk_fma_f32 v[58:59], v[54:55], v[50:51], v[56:57] op_sel_hi:[1,0,1]
	v_pk_fma_f32 v[50:51], v[54:55], v[50:51], v[56:57] neg_lo:[0,0,1] neg_hi:[0,0,1]
	v_mov_b32_e32 v51, v59
	s_cbranch_execz .LBB86_394
	s_branch .LBB86_395
.LBB86_393:
                                        ; implicit-def: $vgpr50_vgpr51
.LBB86_394:
	ds_load_b64 v[50:51], v1
.LBB86_395:
	s_mov_b32 s4, exec_lo
	v_cmpx_ne_u32_e32 17, v0
	s_cbranch_execz .LBB86_399
; %bb.396:
	v_add_nc_u32_e32 v53, 0xc8, v48
	v_add3_u32 v54, 0, v48, 8
	v_mov_b32_e32 v55, v0
	s_mov_b32 s5, 0
.LBB86_397:                             ; =>This Inner Loop Header: Depth=1
	scratch_load_b64 v[56:57], v54, off
	ds_load_b64 v[58:59], v53
	s_wait_xcnt 0x0
	v_dual_add_nc_u32 v53, 8, v53 :: v_dual_add_nc_u32 v54, 8, v54
	s_wait_loadcnt_dscnt 0x0
	v_pk_mul_f32 v[60:61], v[58:59], v[56:57] op_sel:[1,1] op_sel_hi:[0,1]
	s_delay_alu instid0(VALU_DEP_1) | instskip(SKIP_2) | instid1(VALU_DEP_3)
	v_pk_fma_f32 v[62:63], v[58:59], v[56:57], v[60:61] op_sel_hi:[1,0,1]
	v_add_nc_u32_e32 v55, 1, v55
	v_pk_fma_f32 v[56:57], v[58:59], v[56:57], v[60:61] neg_lo:[0,0,1] neg_hi:[0,0,1]
	v_mov_b32_e32 v57, v63
	s_delay_alu instid0(VALU_DEP_3) | instskip(NEXT) | instid1(VALU_DEP_2)
	v_cmp_lt_u32_e32 vcc_lo, 16, v55
	v_pk_add_f32 v[50:51], v[50:51], v[56:57]
	s_or_b32 s5, vcc_lo, s5
	s_delay_alu instid0(SALU_CYCLE_1)
	s_and_not1_b32 exec_lo, exec_lo, s5
	s_cbranch_execnz .LBB86_397
; %bb.398:
	s_or_b32 exec_lo, exec_lo, s5
.LBB86_399:
	s_delay_alu instid0(SALU_CYCLE_1) | instskip(SKIP_4) | instid1(VALU_DEP_1)
	s_or_b32 exec_lo, exec_lo, s4
	v_mov_b32_e32 v53, 0
	ds_load_b64 v[54:55], v53 offset:144
	s_wait_dscnt 0x0
	v_pk_mul_f32 v[56:57], v[50:51], v[54:55] op_sel:[1,1] op_sel_hi:[0,1]
	v_pk_fma_f32 v[58:59], v[50:51], v[54:55], v[56:57] op_sel_hi:[1,0,1]
	v_pk_fma_f32 v[50:51], v[50:51], v[54:55], v[56:57] neg_lo:[0,0,1] neg_hi:[0,0,1]
	s_delay_alu instid0(VALU_DEP_2)
	v_mov_b32_e32 v51, v59
	scratch_store_b64 off, v[50:51], off offset:144
.LBB86_400:
	s_wait_xcnt 0x0
	s_or_b32 exec_lo, exec_lo, s0
	scratch_load_b64 v[50:51], off, off offset:152
	s_mov_b32 s0, exec_lo
	s_wait_loadcnt 0x0
	ds_store_b64 v1, v[50:51]
	s_wait_storecnt_dscnt 0x0
	s_barrier_signal -1
	s_barrier_wait -1
	s_wait_xcnt 0x0
	v_cmpx_gt_u32_e32 19, v0
	s_cbranch_execz .LBB86_410
; %bb.401:
	v_cmp_ne_u32_e32 vcc_lo, 1, v52
	s_cbranch_vccnz .LBB86_403
; %bb.402:
	scratch_load_b64 v[50:51], v49, off
	ds_load_b64 v[54:55], v1
	s_wait_loadcnt_dscnt 0x0
	v_pk_mul_f32 v[56:57], v[54:55], v[50:51] op_sel:[1,1] op_sel_hi:[0,1]
	s_delay_alu instid0(VALU_DEP_1) | instskip(SKIP_1) | instid1(VALU_DEP_2)
	v_pk_fma_f32 v[58:59], v[54:55], v[50:51], v[56:57] op_sel_hi:[1,0,1]
	v_pk_fma_f32 v[50:51], v[54:55], v[50:51], v[56:57] neg_lo:[0,0,1] neg_hi:[0,0,1]
	v_mov_b32_e32 v51, v59
	s_cbranch_execz .LBB86_404
	s_branch .LBB86_405
.LBB86_403:
                                        ; implicit-def: $vgpr50_vgpr51
.LBB86_404:
	ds_load_b64 v[50:51], v1
.LBB86_405:
	s_mov_b32 s4, exec_lo
	v_cmpx_ne_u32_e32 18, v0
	s_cbranch_execz .LBB86_409
; %bb.406:
	v_add_nc_u32_e32 v53, 0xc8, v48
	v_add3_u32 v54, 0, v48, 8
	v_mov_b32_e32 v55, v0
	s_mov_b32 s5, 0
.LBB86_407:                             ; =>This Inner Loop Header: Depth=1
	scratch_load_b64 v[56:57], v54, off
	ds_load_b64 v[58:59], v53
	s_wait_xcnt 0x0
	v_dual_add_nc_u32 v53, 8, v53 :: v_dual_add_nc_u32 v54, 8, v54
	s_wait_loadcnt_dscnt 0x0
	v_pk_mul_f32 v[60:61], v[58:59], v[56:57] op_sel:[1,1] op_sel_hi:[0,1]
	s_delay_alu instid0(VALU_DEP_1) | instskip(SKIP_2) | instid1(VALU_DEP_3)
	v_pk_fma_f32 v[62:63], v[58:59], v[56:57], v[60:61] op_sel_hi:[1,0,1]
	v_add_nc_u32_e32 v55, 1, v55
	v_pk_fma_f32 v[56:57], v[58:59], v[56:57], v[60:61] neg_lo:[0,0,1] neg_hi:[0,0,1]
	v_mov_b32_e32 v57, v63
	s_delay_alu instid0(VALU_DEP_3) | instskip(NEXT) | instid1(VALU_DEP_2)
	v_cmp_lt_u32_e32 vcc_lo, 17, v55
	v_pk_add_f32 v[50:51], v[50:51], v[56:57]
	s_or_b32 s5, vcc_lo, s5
	s_delay_alu instid0(SALU_CYCLE_1)
	s_and_not1_b32 exec_lo, exec_lo, s5
	s_cbranch_execnz .LBB86_407
; %bb.408:
	s_or_b32 exec_lo, exec_lo, s5
.LBB86_409:
	s_delay_alu instid0(SALU_CYCLE_1) | instskip(SKIP_4) | instid1(VALU_DEP_1)
	s_or_b32 exec_lo, exec_lo, s4
	v_mov_b32_e32 v53, 0
	ds_load_b64 v[54:55], v53 offset:152
	s_wait_dscnt 0x0
	v_pk_mul_f32 v[56:57], v[50:51], v[54:55] op_sel:[1,1] op_sel_hi:[0,1]
	v_pk_fma_f32 v[58:59], v[50:51], v[54:55], v[56:57] op_sel_hi:[1,0,1]
	v_pk_fma_f32 v[50:51], v[50:51], v[54:55], v[56:57] neg_lo:[0,0,1] neg_hi:[0,0,1]
	s_delay_alu instid0(VALU_DEP_2)
	v_mov_b32_e32 v51, v59
	scratch_store_b64 off, v[50:51], off offset:152
.LBB86_410:
	s_wait_xcnt 0x0
	s_or_b32 exec_lo, exec_lo, s0
	scratch_load_b64 v[50:51], off, off offset:160
	s_mov_b32 s0, exec_lo
	s_wait_loadcnt 0x0
	ds_store_b64 v1, v[50:51]
	s_wait_storecnt_dscnt 0x0
	s_barrier_signal -1
	s_barrier_wait -1
	s_wait_xcnt 0x0
	v_cmpx_gt_u32_e32 20, v0
	s_cbranch_execz .LBB86_420
; %bb.411:
	v_cmp_ne_u32_e32 vcc_lo, 1, v52
	s_cbranch_vccnz .LBB86_413
; %bb.412:
	scratch_load_b64 v[50:51], v49, off
	ds_load_b64 v[54:55], v1
	s_wait_loadcnt_dscnt 0x0
	v_pk_mul_f32 v[56:57], v[54:55], v[50:51] op_sel:[1,1] op_sel_hi:[0,1]
	s_delay_alu instid0(VALU_DEP_1) | instskip(SKIP_1) | instid1(VALU_DEP_2)
	v_pk_fma_f32 v[58:59], v[54:55], v[50:51], v[56:57] op_sel_hi:[1,0,1]
	v_pk_fma_f32 v[50:51], v[54:55], v[50:51], v[56:57] neg_lo:[0,0,1] neg_hi:[0,0,1]
	v_mov_b32_e32 v51, v59
	s_cbranch_execz .LBB86_414
	s_branch .LBB86_415
.LBB86_413:
                                        ; implicit-def: $vgpr50_vgpr51
.LBB86_414:
	ds_load_b64 v[50:51], v1
.LBB86_415:
	s_mov_b32 s4, exec_lo
	v_cmpx_ne_u32_e32 19, v0
	s_cbranch_execz .LBB86_419
; %bb.416:
	v_add_nc_u32_e32 v53, 0xc8, v48
	v_add3_u32 v54, 0, v48, 8
	v_mov_b32_e32 v55, v0
	s_mov_b32 s5, 0
.LBB86_417:                             ; =>This Inner Loop Header: Depth=1
	scratch_load_b64 v[56:57], v54, off
	ds_load_b64 v[58:59], v53
	s_wait_xcnt 0x0
	v_dual_add_nc_u32 v53, 8, v53 :: v_dual_add_nc_u32 v54, 8, v54
	s_wait_loadcnt_dscnt 0x0
	v_pk_mul_f32 v[60:61], v[58:59], v[56:57] op_sel:[1,1] op_sel_hi:[0,1]
	s_delay_alu instid0(VALU_DEP_1) | instskip(SKIP_2) | instid1(VALU_DEP_3)
	v_pk_fma_f32 v[62:63], v[58:59], v[56:57], v[60:61] op_sel_hi:[1,0,1]
	v_add_nc_u32_e32 v55, 1, v55
	v_pk_fma_f32 v[56:57], v[58:59], v[56:57], v[60:61] neg_lo:[0,0,1] neg_hi:[0,0,1]
	v_mov_b32_e32 v57, v63
	s_delay_alu instid0(VALU_DEP_3) | instskip(NEXT) | instid1(VALU_DEP_2)
	v_cmp_lt_u32_e32 vcc_lo, 18, v55
	v_pk_add_f32 v[50:51], v[50:51], v[56:57]
	s_or_b32 s5, vcc_lo, s5
	s_delay_alu instid0(SALU_CYCLE_1)
	s_and_not1_b32 exec_lo, exec_lo, s5
	s_cbranch_execnz .LBB86_417
; %bb.418:
	s_or_b32 exec_lo, exec_lo, s5
.LBB86_419:
	s_delay_alu instid0(SALU_CYCLE_1) | instskip(SKIP_4) | instid1(VALU_DEP_1)
	s_or_b32 exec_lo, exec_lo, s4
	v_mov_b32_e32 v53, 0
	ds_load_b64 v[54:55], v53 offset:160
	s_wait_dscnt 0x0
	v_pk_mul_f32 v[56:57], v[50:51], v[54:55] op_sel:[1,1] op_sel_hi:[0,1]
	v_pk_fma_f32 v[58:59], v[50:51], v[54:55], v[56:57] op_sel_hi:[1,0,1]
	v_pk_fma_f32 v[50:51], v[50:51], v[54:55], v[56:57] neg_lo:[0,0,1] neg_hi:[0,0,1]
	s_delay_alu instid0(VALU_DEP_2)
	v_mov_b32_e32 v51, v59
	scratch_store_b64 off, v[50:51], off offset:160
.LBB86_420:
	s_wait_xcnt 0x0
	s_or_b32 exec_lo, exec_lo, s0
	scratch_load_b64 v[50:51], off, off offset:168
	v_cmp_gt_u32_e64 s0, 21, v0
	s_wait_loadcnt 0x0
	ds_store_b64 v1, v[50:51]
	s_wait_storecnt_dscnt 0x0
	s_barrier_signal -1
	s_barrier_wait -1
	s_wait_xcnt 0x0
	s_and_saveexec_b32 s4, s0
	s_cbranch_execz .LBB86_430
; %bb.421:
	v_cmp_ne_u32_e32 vcc_lo, 1, v52
	s_cbranch_vccnz .LBB86_423
; %bb.422:
	scratch_load_b64 v[50:51], v49, off
	ds_load_b64 v[54:55], v1
	s_wait_loadcnt_dscnt 0x0
	v_pk_mul_f32 v[56:57], v[54:55], v[50:51] op_sel:[1,1] op_sel_hi:[0,1]
	s_delay_alu instid0(VALU_DEP_1) | instskip(SKIP_1) | instid1(VALU_DEP_2)
	v_pk_fma_f32 v[58:59], v[54:55], v[50:51], v[56:57] op_sel_hi:[1,0,1]
	v_pk_fma_f32 v[50:51], v[54:55], v[50:51], v[56:57] neg_lo:[0,0,1] neg_hi:[0,0,1]
	v_mov_b32_e32 v51, v59
	s_cbranch_execz .LBB86_424
	s_branch .LBB86_425
.LBB86_423:
                                        ; implicit-def: $vgpr50_vgpr51
.LBB86_424:
	ds_load_b64 v[50:51], v1
.LBB86_425:
	s_mov_b32 s5, exec_lo
	v_cmpx_ne_u32_e32 20, v0
	s_cbranch_execz .LBB86_429
; %bb.426:
	v_add_nc_u32_e32 v53, 0xc8, v48
	v_add3_u32 v54, 0, v48, 8
	v_mov_b32_e32 v55, v0
	s_mov_b32 s6, 0
.LBB86_427:                             ; =>This Inner Loop Header: Depth=1
	scratch_load_b64 v[56:57], v54, off
	ds_load_b64 v[58:59], v53
	s_wait_xcnt 0x0
	v_dual_add_nc_u32 v53, 8, v53 :: v_dual_add_nc_u32 v54, 8, v54
	s_wait_loadcnt_dscnt 0x0
	v_pk_mul_f32 v[60:61], v[58:59], v[56:57] op_sel:[1,1] op_sel_hi:[0,1]
	s_delay_alu instid0(VALU_DEP_1) | instskip(SKIP_2) | instid1(VALU_DEP_3)
	v_pk_fma_f32 v[62:63], v[58:59], v[56:57], v[60:61] op_sel_hi:[1,0,1]
	v_add_nc_u32_e32 v55, 1, v55
	v_pk_fma_f32 v[56:57], v[58:59], v[56:57], v[60:61] neg_lo:[0,0,1] neg_hi:[0,0,1]
	v_mov_b32_e32 v57, v63
	s_delay_alu instid0(VALU_DEP_3) | instskip(NEXT) | instid1(VALU_DEP_2)
	v_cmp_lt_u32_e32 vcc_lo, 19, v55
	v_pk_add_f32 v[50:51], v[50:51], v[56:57]
	s_or_b32 s6, vcc_lo, s6
	s_delay_alu instid0(SALU_CYCLE_1)
	s_and_not1_b32 exec_lo, exec_lo, s6
	s_cbranch_execnz .LBB86_427
; %bb.428:
	s_or_b32 exec_lo, exec_lo, s6
.LBB86_429:
	s_delay_alu instid0(SALU_CYCLE_1) | instskip(SKIP_4) | instid1(VALU_DEP_1)
	s_or_b32 exec_lo, exec_lo, s5
	v_mov_b32_e32 v53, 0
	ds_load_b64 v[54:55], v53 offset:168
	s_wait_dscnt 0x0
	v_pk_mul_f32 v[56:57], v[50:51], v[54:55] op_sel:[1,1] op_sel_hi:[0,1]
	v_pk_fma_f32 v[58:59], v[50:51], v[54:55], v[56:57] op_sel_hi:[1,0,1]
	v_pk_fma_f32 v[50:51], v[50:51], v[54:55], v[56:57] neg_lo:[0,0,1] neg_hi:[0,0,1]
	s_delay_alu instid0(VALU_DEP_2)
	v_mov_b32_e32 v51, v59
	scratch_store_b64 off, v[50:51], off offset:168
.LBB86_430:
	s_wait_xcnt 0x0
	s_or_b32 exec_lo, exec_lo, s4
	scratch_load_b64 v[50:51], off, off offset:176
	s_mov_b32 s4, exec_lo
                                        ; implicit-def: $vgpr68
                                        ; implicit-def: $sgpr7
	s_wait_loadcnt 0x0
	ds_store_b64 v1, v[50:51]
	s_wait_storecnt_dscnt 0x0
	s_barrier_signal -1
	s_barrier_wait -1
	s_wait_xcnt 0x0
	v_cmpx_ne_u32_e32 22, v0
	s_cbranch_execz .LBB86_440
; %bb.431:
	v_cmp_ne_u32_e32 vcc_lo, 1, v52
	s_cbranch_vccnz .LBB86_433
; %bb.432:
	scratch_load_b64 v[52:53], v49, off
	ds_load_b64 v[54:55], v1
	s_wait_loadcnt_dscnt 0x0
	v_dual_mul_f32 v49, v55, v53 :: v_dual_mul_f32 v51, v54, v53
	s_delay_alu instid0(VALU_DEP_1)
	v_dual_fma_f32 v50, v54, v52, -v49 :: v_dual_fmac_f32 v51, v55, v52
	s_cbranch_execz .LBB86_434
	s_branch .LBB86_435
.LBB86_433:
                                        ; implicit-def: $vgpr51
.LBB86_434:
	ds_load_b64 v[50:51], v1
.LBB86_435:
	s_and_saveexec_b32 s5, s0
	s_cbranch_execz .LBB86_439
; %bb.436:
	v_add_nc_u32_e32 v1, 0xc8, v48
	v_add3_u32 v48, 0, v48, 8
	s_mov_b32 s0, 0
.LBB86_437:                             ; =>This Inner Loop Header: Depth=1
	scratch_load_b64 v[52:53], v48, off
	ds_load_b64 v[54:55], v1
	v_dual_add_nc_u32 v0, 1, v0 :: v_dual_add_nc_u32 v1, 8, v1
	s_wait_xcnt 0x0
	v_add_nc_u32_e32 v48, 8, v48
	s_delay_alu instid0(VALU_DEP_2) | instskip(SKIP_3) | instid1(VALU_DEP_1)
	v_cmp_lt_u32_e32 vcc_lo, 20, v0
	s_or_b32 s0, vcc_lo, s0
	s_wait_loadcnt_dscnt 0x0
	v_dual_mul_f32 v49, v55, v53 :: v_dual_mul_f32 v53, v54, v53
	v_fmac_f32_e32 v53, v55, v52
	s_delay_alu instid0(VALU_DEP_1) | instskip(NEXT) | instid1(VALU_DEP_1)
	v_dual_fma_f32 v49, v54, v52, -v49 :: v_dual_add_f32 v51, v51, v53
	v_add_f32_e32 v50, v50, v49
	s_and_not1_b32 exec_lo, exec_lo, s0
	s_cbranch_execnz .LBB86_437
; %bb.438:
	s_or_b32 exec_lo, exec_lo, s0
.LBB86_439:
	s_delay_alu instid0(SALU_CYCLE_1)
	s_or_b32 exec_lo, exec_lo, s5
	v_mov_b32_e32 v0, 0
	s_movk_i32 s7, 0xb4
	s_or_b32 s1, s1, exec_lo
	ds_load_b64 v[0:1], v0 offset:176
	s_wait_dscnt 0x0
	v_dual_mul_f32 v48, v51, v1 :: v_dual_mul_f32 v68, v50, v1
	s_delay_alu instid0(VALU_DEP_1) | instskip(NEXT) | instid1(VALU_DEP_2)
	v_fma_f32 v1, v50, v0, -v48
	v_fmac_f32_e32 v68, v51, v0
	scratch_store_b32 off, v1, off offset:176
.LBB86_440:
	s_wait_xcnt 0x0
	s_or_b32 exec_lo, exec_lo, s4
.LBB86_441:
	v_lshl_add_u64 v[66:67], v[6:7], 3, s[2:3]
	v_lshl_add_u64 v[64:65], v[8:9], 3, s[2:3]
	;; [unrolled: 1-line block ×21, first 2 shown]
	s_and_saveexec_b32 s0, s1
	s_cbranch_execz .LBB86_443
; %bb.442:
	scratch_store_b32 off, v68, s7
.LBB86_443:
	s_wait_xcnt 0x0
	s_or_b32 exec_lo, exec_lo, s0
	scratch_load_b64 v[26:27], off, off
	s_wait_loadcnt 0x0
	flat_store_b64 v[2:3], v[26:27]
	scratch_load_b64 v[2:3], off, off offset:8
	s_wait_loadcnt 0x0
	flat_store_b64 v[4:5], v[2:3]
	scratch_load_b64 v[2:3], off, off offset:16
	;; [unrolled: 3-line block ×22, first 2 shown]
	s_wait_loadcnt 0x0
	flat_store_b64 v[0:1], v[2:3]
.LBB86_444:
	s_sendmsg sendmsg(MSG_DEALLOC_VGPRS)
	s_endpgm
	.section	.rodata,"a",@progbits
	.p2align	6, 0x0
	.amdhsa_kernel _ZN9rocsolver6v33100L18trti2_kernel_smallILi23E19rocblas_complex_numIfEPKPS3_EEv13rocblas_fill_17rocblas_diagonal_T1_iil
		.amdhsa_group_segment_fixed_size 376
		.amdhsa_private_segment_fixed_size 192
		.amdhsa_kernarg_size 32
		.amdhsa_user_sgpr_count 2
		.amdhsa_user_sgpr_dispatch_ptr 0
		.amdhsa_user_sgpr_queue_ptr 0
		.amdhsa_user_sgpr_kernarg_segment_ptr 1
		.amdhsa_user_sgpr_dispatch_id 0
		.amdhsa_user_sgpr_kernarg_preload_length 0
		.amdhsa_user_sgpr_kernarg_preload_offset 0
		.amdhsa_user_sgpr_private_segment_size 0
		.amdhsa_wavefront_size32 1
		.amdhsa_uses_dynamic_stack 0
		.amdhsa_enable_private_segment 1
		.amdhsa_system_sgpr_workgroup_id_x 1
		.amdhsa_system_sgpr_workgroup_id_y 0
		.amdhsa_system_sgpr_workgroup_id_z 0
		.amdhsa_system_sgpr_workgroup_info 0
		.amdhsa_system_vgpr_workitem_id 0
		.amdhsa_next_free_vgpr 69
		.amdhsa_next_free_sgpr 28
		.amdhsa_named_barrier_count 0
		.amdhsa_reserve_vcc 1
		.amdhsa_float_round_mode_32 0
		.amdhsa_float_round_mode_16_64 0
		.amdhsa_float_denorm_mode_32 3
		.amdhsa_float_denorm_mode_16_64 3
		.amdhsa_fp16_overflow 0
		.amdhsa_memory_ordered 1
		.amdhsa_forward_progress 1
		.amdhsa_inst_pref_size 138
		.amdhsa_round_robin_scheduling 0
		.amdhsa_exception_fp_ieee_invalid_op 0
		.amdhsa_exception_fp_denorm_src 0
		.amdhsa_exception_fp_ieee_div_zero 0
		.amdhsa_exception_fp_ieee_overflow 0
		.amdhsa_exception_fp_ieee_underflow 0
		.amdhsa_exception_fp_ieee_inexact 0
		.amdhsa_exception_int_div_zero 0
	.end_amdhsa_kernel
	.section	.text._ZN9rocsolver6v33100L18trti2_kernel_smallILi23E19rocblas_complex_numIfEPKPS3_EEv13rocblas_fill_17rocblas_diagonal_T1_iil,"axG",@progbits,_ZN9rocsolver6v33100L18trti2_kernel_smallILi23E19rocblas_complex_numIfEPKPS3_EEv13rocblas_fill_17rocblas_diagonal_T1_iil,comdat
.Lfunc_end86:
	.size	_ZN9rocsolver6v33100L18trti2_kernel_smallILi23E19rocblas_complex_numIfEPKPS3_EEv13rocblas_fill_17rocblas_diagonal_T1_iil, .Lfunc_end86-_ZN9rocsolver6v33100L18trti2_kernel_smallILi23E19rocblas_complex_numIfEPKPS3_EEv13rocblas_fill_17rocblas_diagonal_T1_iil
                                        ; -- End function
	.set _ZN9rocsolver6v33100L18trti2_kernel_smallILi23E19rocblas_complex_numIfEPKPS3_EEv13rocblas_fill_17rocblas_diagonal_T1_iil.num_vgpr, 69
	.set _ZN9rocsolver6v33100L18trti2_kernel_smallILi23E19rocblas_complex_numIfEPKPS3_EEv13rocblas_fill_17rocblas_diagonal_T1_iil.num_agpr, 0
	.set _ZN9rocsolver6v33100L18trti2_kernel_smallILi23E19rocblas_complex_numIfEPKPS3_EEv13rocblas_fill_17rocblas_diagonal_T1_iil.numbered_sgpr, 28
	.set _ZN9rocsolver6v33100L18trti2_kernel_smallILi23E19rocblas_complex_numIfEPKPS3_EEv13rocblas_fill_17rocblas_diagonal_T1_iil.num_named_barrier, 0
	.set _ZN9rocsolver6v33100L18trti2_kernel_smallILi23E19rocblas_complex_numIfEPKPS3_EEv13rocblas_fill_17rocblas_diagonal_T1_iil.private_seg_size, 192
	.set _ZN9rocsolver6v33100L18trti2_kernel_smallILi23E19rocblas_complex_numIfEPKPS3_EEv13rocblas_fill_17rocblas_diagonal_T1_iil.uses_vcc, 1
	.set _ZN9rocsolver6v33100L18trti2_kernel_smallILi23E19rocblas_complex_numIfEPKPS3_EEv13rocblas_fill_17rocblas_diagonal_T1_iil.uses_flat_scratch, 0
	.set _ZN9rocsolver6v33100L18trti2_kernel_smallILi23E19rocblas_complex_numIfEPKPS3_EEv13rocblas_fill_17rocblas_diagonal_T1_iil.has_dyn_sized_stack, 0
	.set _ZN9rocsolver6v33100L18trti2_kernel_smallILi23E19rocblas_complex_numIfEPKPS3_EEv13rocblas_fill_17rocblas_diagonal_T1_iil.has_recursion, 0
	.set _ZN9rocsolver6v33100L18trti2_kernel_smallILi23E19rocblas_complex_numIfEPKPS3_EEv13rocblas_fill_17rocblas_diagonal_T1_iil.has_indirect_call, 0
	.section	.AMDGPU.csdata,"",@progbits
; Kernel info:
; codeLenInByte = 17608
; TotalNumSgprs: 30
; NumVgprs: 69
; ScratchSize: 192
; MemoryBound: 0
; FloatMode: 240
; IeeeMode: 1
; LDSByteSize: 376 bytes/workgroup (compile time only)
; SGPRBlocks: 0
; VGPRBlocks: 4
; NumSGPRsForWavesPerEU: 30
; NumVGPRsForWavesPerEU: 69
; NamedBarCnt: 0
; Occupancy: 12
; WaveLimiterHint : 1
; COMPUTE_PGM_RSRC2:SCRATCH_EN: 1
; COMPUTE_PGM_RSRC2:USER_SGPR: 2
; COMPUTE_PGM_RSRC2:TRAP_HANDLER: 0
; COMPUTE_PGM_RSRC2:TGID_X_EN: 1
; COMPUTE_PGM_RSRC2:TGID_Y_EN: 0
; COMPUTE_PGM_RSRC2:TGID_Z_EN: 0
; COMPUTE_PGM_RSRC2:TIDIG_COMP_CNT: 0
	.section	.text._ZN9rocsolver6v33100L18trti2_kernel_smallILi24E19rocblas_complex_numIfEPKPS3_EEv13rocblas_fill_17rocblas_diagonal_T1_iil,"axG",@progbits,_ZN9rocsolver6v33100L18trti2_kernel_smallILi24E19rocblas_complex_numIfEPKPS3_EEv13rocblas_fill_17rocblas_diagonal_T1_iil,comdat
	.globl	_ZN9rocsolver6v33100L18trti2_kernel_smallILi24E19rocblas_complex_numIfEPKPS3_EEv13rocblas_fill_17rocblas_diagonal_T1_iil ; -- Begin function _ZN9rocsolver6v33100L18trti2_kernel_smallILi24E19rocblas_complex_numIfEPKPS3_EEv13rocblas_fill_17rocblas_diagonal_T1_iil
	.p2align	8
	.type	_ZN9rocsolver6v33100L18trti2_kernel_smallILi24E19rocblas_complex_numIfEPKPS3_EEv13rocblas_fill_17rocblas_diagonal_T1_iil,@function
_ZN9rocsolver6v33100L18trti2_kernel_smallILi24E19rocblas_complex_numIfEPKPS3_EEv13rocblas_fill_17rocblas_diagonal_T1_iil: ; @_ZN9rocsolver6v33100L18trti2_kernel_smallILi24E19rocblas_complex_numIfEPKPS3_EEv13rocblas_fill_17rocblas_diagonal_T1_iil
; %bb.0:
	s_mov_b32 s2, exec_lo
	v_cmpx_gt_u32_e32 24, v0
	s_cbranch_execz .LBB87_464
; %bb.1:
	s_clause 0x1
	s_load_b64 s[2:3], s[0:1], 0x10
	s_load_b128 s[4:7], s[0:1], 0x0
	s_wait_xcnt 0x0
	s_bfe_u32 s0, ttmp6, 0x4000c
	s_and_b32 s1, ttmp6, 15
	s_add_co_i32 s0, s0, 1
	s_getreg_b32 s8, hwreg(HW_REG_IB_STS2, 6, 4)
	s_mul_i32 s0, ttmp9, s0
	v_dual_mov_b32 v51, 0 :: v_dual_lshlrev_b32 v50, 3, v0
	s_add_co_i32 s0, s1, s0
	s_wait_kmcnt 0x0
	s_ashr_i32 s1, s2, 31
	s_cmp_eq_u32 s8, 0
	s_cselect_b32 s8, ttmp9, s0
	s_mov_b32 s0, s2
	s_ashr_i32 s9, s8, 31
	s_lshl_b64 s[0:1], s[0:1], 3
	s_lshl_b64 s[8:9], s[8:9], 3
	s_delay_alu instid0(SALU_CYCLE_1)
	s_add_nc_u64 s[6:7], s[6:7], s[8:9]
	s_load_b64 s[6:7], s[6:7], 0x0
	s_wait_kmcnt 0x0
	s_add_nc_u64 s[6:7], s[6:7], s[0:1]
	s_mov_b32 s0, s3
	flat_load_b64 v[6:7], v0, s[6:7] scale_offset
	v_add_nc_u64_e32 v[2:3], s[6:7], v[50:51]
	s_ashr_i32 s1, s3, 31
	s_cmp_lg_u32 s5, 0x84
	s_delay_alu instid0(VALU_DEP_1)
	v_lshl_add_u64 v[4:5], s[0:1], 3, v[2:3]
	s_mov_b32 s0, -1
	s_wait_loadcnt_dscnt 0x0
	scratch_store_b64 off, v[6:7], off
	flat_load_b64 v[8:9], v[4:5]
	s_wait_xcnt 0x1
	v_add3_u32 v6, s3, s3, v0
	s_wait_loadcnt_dscnt 0x0
	scratch_store_b64 off, v[8:9], off offset:8
	flat_load_b64 v[10:11], v6, s[6:7] scale_offset
	s_wait_xcnt 0x1
	v_add_nc_u32_e32 v8, s3, v6
	s_wait_loadcnt_dscnt 0x0
	scratch_store_b64 off, v[10:11], off offset:16
	flat_load_b64 v[12:13], v8, s[6:7] scale_offset
	s_wait_xcnt 0x1
	v_add_nc_u32_e32 v10, s3, v8
	;; [unrolled: 5-line block ×21, first 2 shown]
	s_cselect_b32 s3, -1, 0
	s_delay_alu instid0(SALU_CYCLE_1)
	s_and_b32 vcc_lo, exec_lo, s3
	s_wait_loadcnt_dscnt 0x0
	scratch_store_b64 off, v[52:53], off offset:176
	flat_load_b64 v[52:53], v48, s[6:7] scale_offset
	s_wait_loadcnt_dscnt 0x0
	scratch_store_b64 off, v[52:53], off offset:184
	s_cbranch_vccz .LBB87_7
; %bb.2:
	scratch_load_b64 v[52:53], v0, off scale_offset
                                        ; implicit-def: $vgpr57
                                        ; implicit-def: $vgpr54
	s_wait_loadcnt 0x0
	v_cmp_ngt_f32_e64 s0, |v52|, |v53|
	s_wait_xcnt 0x0
	s_and_saveexec_b32 s1, s0
	s_delay_alu instid0(SALU_CYCLE_1)
	s_xor_b32 s0, exec_lo, s1
	s_cbranch_execz .LBB87_4
; %bb.3:
	v_div_scale_f32 v1, null, v53, v53, v52
	v_div_scale_f32 v11, vcc_lo, v52, v53, v52
	s_delay_alu instid0(VALU_DEP_2) | instskip(SKIP_1) | instid1(TRANS32_DEP_1)
	v_rcp_f32_e32 v7, v1
	v_nop
	v_fma_f32 v9, -v1, v7, 1.0
	s_delay_alu instid0(VALU_DEP_1) | instskip(NEXT) | instid1(VALU_DEP_1)
	v_fmac_f32_e32 v7, v9, v7
	v_mul_f32_e32 v9, v11, v7
	s_delay_alu instid0(VALU_DEP_1) | instskip(NEXT) | instid1(VALU_DEP_1)
	v_fma_f32 v13, -v1, v9, v11
	v_fmac_f32_e32 v9, v13, v7
	s_delay_alu instid0(VALU_DEP_1) | instskip(NEXT) | instid1(VALU_DEP_1)
	v_fma_f32 v1, -v1, v9, v11
	v_div_fmas_f32 v1, v1, v7, v9
	s_delay_alu instid0(VALU_DEP_1) | instskip(NEXT) | instid1(VALU_DEP_1)
	v_div_fixup_f32 v1, v1, v53, v52
	v_fmac_f32_e32 v53, v52, v1
	s_delay_alu instid0(VALU_DEP_1) | instskip(NEXT) | instid1(VALU_DEP_1)
	v_div_scale_f32 v7, null, v53, v53, -1.0
	v_rcp_f32_e32 v9, v7
	v_nop
	s_delay_alu instid0(TRANS32_DEP_1) | instskip(NEXT) | instid1(VALU_DEP_1)
	v_fma_f32 v11, -v7, v9, 1.0
	v_fmac_f32_e32 v9, v11, v9
	v_div_scale_f32 v11, vcc_lo, -1.0, v53, -1.0
	s_delay_alu instid0(VALU_DEP_1) | instskip(NEXT) | instid1(VALU_DEP_1)
	v_mul_f32_e32 v13, v11, v9
	v_fma_f32 v15, -v7, v13, v11
	s_delay_alu instid0(VALU_DEP_1) | instskip(NEXT) | instid1(VALU_DEP_1)
	v_fmac_f32_e32 v13, v15, v9
	v_fma_f32 v7, -v7, v13, v11
	s_delay_alu instid0(VALU_DEP_1) | instskip(NEXT) | instid1(VALU_DEP_1)
	v_div_fmas_f32 v7, v7, v9, v13
	v_div_fixup_f32 v57, v7, v53, -1.0
                                        ; implicit-def: $vgpr52_vgpr53
	s_delay_alu instid0(VALU_DEP_1) | instskip(NEXT) | instid1(VALU_DEP_1)
	v_mul_f32_e32 v54, v1, v57
	v_xor_b32_e32 v56, 0x80000000, v54
.LBB87_4:
	s_or_saveexec_b32 s0, s0
	v_lshl_add_u32 v1, v0, 3, 0
	s_xor_b32 exec_lo, exec_lo, s0
	s_cbranch_execz .LBB87_6
; %bb.5:
	v_div_scale_f32 v7, null, v52, v52, v53
	v_div_scale_f32 v13, vcc_lo, v53, v52, v53
	s_delay_alu instid0(VALU_DEP_2) | instskip(SKIP_1) | instid1(TRANS32_DEP_1)
	v_rcp_f32_e32 v9, v7
	v_nop
	v_fma_f32 v11, -v7, v9, 1.0
	s_delay_alu instid0(VALU_DEP_1) | instskip(NEXT) | instid1(VALU_DEP_1)
	v_fmac_f32_e32 v9, v11, v9
	v_mul_f32_e32 v11, v13, v9
	s_delay_alu instid0(VALU_DEP_1) | instskip(NEXT) | instid1(VALU_DEP_1)
	v_fma_f32 v15, -v7, v11, v13
	v_fmac_f32_e32 v11, v15, v9
	s_delay_alu instid0(VALU_DEP_1) | instskip(NEXT) | instid1(VALU_DEP_1)
	v_fma_f32 v7, -v7, v11, v13
	v_div_fmas_f32 v7, v7, v9, v11
	s_delay_alu instid0(VALU_DEP_1) | instskip(NEXT) | instid1(VALU_DEP_1)
	v_div_fixup_f32 v7, v7, v52, v53
	v_fmac_f32_e32 v52, v53, v7
	s_delay_alu instid0(VALU_DEP_1) | instskip(SKIP_1) | instid1(VALU_DEP_2)
	v_div_scale_f32 v9, null, v52, v52, 1.0
	v_div_scale_f32 v15, vcc_lo, 1.0, v52, 1.0
	v_rcp_f32_e32 v11, v9
	v_nop
	s_delay_alu instid0(TRANS32_DEP_1) | instskip(NEXT) | instid1(VALU_DEP_1)
	v_fma_f32 v13, -v9, v11, 1.0
	v_fmac_f32_e32 v11, v13, v11
	s_delay_alu instid0(VALU_DEP_1) | instskip(NEXT) | instid1(VALU_DEP_1)
	v_mul_f32_e32 v13, v15, v11
	v_fma_f32 v17, -v9, v13, v15
	s_delay_alu instid0(VALU_DEP_1) | instskip(NEXT) | instid1(VALU_DEP_1)
	v_fmac_f32_e32 v13, v17, v11
	v_fma_f32 v9, -v9, v13, v15
	s_delay_alu instid0(VALU_DEP_1) | instskip(NEXT) | instid1(VALU_DEP_1)
	v_div_fmas_f32 v9, v9, v11, v13
	v_div_fixup_f32 v56, v9, v52, 1.0
	s_delay_alu instid0(VALU_DEP_1)
	v_xor_b32_e32 v54, 0x80000000, v56
	v_mul_f32_e64 v57, v7, -v56
.LBB87_6:
	s_or_b32 exec_lo, exec_lo, s0
	s_delay_alu instid0(VALU_DEP_1)
	v_xor_b32_e32 v55, 0x80000000, v57
	s_mov_b32 s0, 0
	scratch_store_b64 v1, v[56:57], off
	ds_store_b64 v50, v[54:55]
.LBB87_7:
	s_and_b32 vcc_lo, exec_lo, s0
	s_cbranch_vccz .LBB87_9
; %bb.8:
	s_mov_b64 s[0:1], 0xbf800000
	s_wait_xcnt 0x0
	v_mov_b64_e32 v[52:53], s[0:1]
	ds_store_b64 v50, v[52:53]
.LBB87_9:
	v_dual_ashrrev_i32 v7, 31, v6 :: v_dual_ashrrev_i32 v9, 31, v8
	v_dual_ashrrev_i32 v11, 31, v10 :: v_dual_ashrrev_i32 v13, 31, v12
	;; [unrolled: 1-line block ×11, first 2 shown]
	s_wait_xcnt 0x0
	v_add_nc_u32_e32 v1, 0xc0, v50
	v_mov_b32_e32 v51, v50
	s_cmp_eq_u32 s4, 0x79
	s_cbranch_scc1 .LBB87_13
; %bb.10:
	scratch_load_b64 v[52:53], off, off offset:176
	v_cmp_eq_u32_e64 s0, 23, v0
	s_movk_i32 s1, 0x48
	s_movk_i32 s14, 0x50
	;; [unrolled: 1-line block ×13, first 2 shown]
	s_wait_loadcnt 0x0
	ds_store_b64 v1, v[52:53]
	s_wait_storecnt_dscnt 0x0
	s_barrier_signal -1
	s_barrier_wait -1
	s_wait_xcnt 0x0
	s_and_saveexec_b32 s2, s0
	s_cbranch_execz .LBB87_17
; %bb.11:
	s_and_b32 vcc_lo, exec_lo, s3
	s_cbranch_vccz .LBB87_14
; %bb.12:
	scratch_load_b64 v[52:53], v51, off
	ds_load_b64 v[54:55], v1
	s_wait_loadcnt_dscnt 0x0
	v_pk_mul_f32 v[56:57], v[54:55], v[52:53] op_sel:[1,1] op_sel_hi:[0,1]
	v_pk_mul_f32 v[58:59], v[54:55], v[52:53] op_sel_hi:[1,0]
	s_delay_alu instid0(VALU_DEP_2) | instskip(NEXT) | instid1(VALU_DEP_2)
	v_pk_fma_f32 v[52:53], v[54:55], v[52:53], v[56:57] op_sel_hi:[1,0,1]
	v_sub_f32_e32 v52, v58, v56
	s_cbranch_execz .LBB87_15
	s_branch .LBB87_16
.LBB87_13:
	s_mov_b32 s1, 0
                                        ; implicit-def: $vgpr70
                                        ; implicit-def: $sgpr5
	s_cbranch_execnz .LBB87_236
	s_branch .LBB87_461
.LBB87_14:
                                        ; implicit-def: $vgpr53
.LBB87_15:
	ds_load_b64 v[52:53], v1
.LBB87_16:
	s_wait_dscnt 0x0
	v_dual_mov_b32 v54, 0 :: v_dual_mov_b32 v56, v53
	v_mov_b32_e32 v57, v52
	ds_load_b64 v[54:55], v54 offset:176
	s_wait_dscnt 0x0
	v_pk_mul_f32 v[56:57], v[56:57], v[54:55] op_sel:[0,1]
	s_delay_alu instid0(VALU_DEP_1) | instskip(SKIP_1) | instid1(VALU_DEP_2)
	v_pk_fma_f32 v[58:59], v[52:53], v[54:55], v[56:57] op_sel_hi:[1,0,1]
	v_pk_fma_f32 v[52:53], v[52:53], v[54:55], v[56:57] neg_lo:[0,0,1] neg_hi:[0,0,1]
	v_mov_b32_e32 v53, v59
	scratch_store_b64 off, v[52:53], off offset:176
.LBB87_17:
	s_wait_xcnt 0x0
	s_or_b32 exec_lo, exec_lo, s2
	scratch_load_b64 v[52:53], off, off offset:168
	s_mov_b32 s13, s1
	v_cmp_lt_u32_e64 s1, 21, v0
	s_or_b32 s4, 0, 8
	s_mov_b32 s5, 16
	s_mov_b32 s8, 24
	;; [unrolled: 1-line block ×7, first 2 shown]
	s_wait_loadcnt 0x0
	ds_store_b64 v1, v[52:53]
	s_wait_storecnt_dscnt 0x0
	s_barrier_signal -1
	s_barrier_wait -1
	s_wait_xcnt 0x0
	s_and_saveexec_b32 s26, s1
	s_cbranch_execz .LBB87_25
; %bb.18:
	s_and_not1_b32 vcc_lo, exec_lo, s3
	s_cbranch_vccnz .LBB87_20
; %bb.19:
	scratch_load_b64 v[52:53], v51, off
	ds_load_b64 v[54:55], v1
	s_wait_loadcnt_dscnt 0x0
	v_pk_mul_f32 v[56:57], v[54:55], v[52:53] op_sel:[1,1] op_sel_hi:[0,1]
	s_delay_alu instid0(VALU_DEP_1) | instskip(SKIP_1) | instid1(VALU_DEP_2)
	v_pk_fma_f32 v[58:59], v[54:55], v[52:53], v[56:57] op_sel_hi:[1,0,1]
	v_pk_fma_f32 v[52:53], v[54:55], v[52:53], v[56:57] neg_lo:[0,0,1] neg_hi:[0,0,1]
	v_mov_b32_e32 v53, v59
	s_cbranch_execz .LBB87_21
	s_branch .LBB87_22
.LBB87_20:
                                        ; implicit-def: $vgpr52_vgpr53
.LBB87_21:
	ds_load_b64 v[52:53], v1
.LBB87_22:
	s_and_saveexec_b32 s27, s0
	s_cbranch_execz .LBB87_24
; %bb.23:
	scratch_load_b64 v[54:55], off, off offset:176
	v_mov_b32_e32 v56, 0
	ds_load_b64 v[56:57], v56 offset:368
	s_wait_loadcnt_dscnt 0x0
	v_pk_mul_f32 v[58:59], v[56:57], v[54:55] op_sel:[1,1] op_sel_hi:[0,1]
	s_delay_alu instid0(VALU_DEP_1) | instskip(SKIP_1) | instid1(VALU_DEP_2)
	v_pk_fma_f32 v[60:61], v[56:57], v[54:55], v[58:59] op_sel_hi:[1,0,1]
	v_pk_fma_f32 v[54:55], v[56:57], v[54:55], v[58:59] neg_lo:[0,0,1] neg_hi:[0,0,1]
	v_mov_b32_e32 v55, v61
	s_delay_alu instid0(VALU_DEP_1)
	v_pk_add_f32 v[52:53], v[52:53], v[54:55]
.LBB87_24:
	s_or_b32 exec_lo, exec_lo, s27
	v_mov_b32_e32 v54, 0
	ds_load_b64 v[54:55], v54 offset:168
	s_wait_dscnt 0x0
	v_pk_mul_f32 v[56:57], v[52:53], v[54:55] op_sel:[1,1] op_sel_hi:[0,1]
	s_delay_alu instid0(VALU_DEP_1) | instskip(SKIP_1) | instid1(VALU_DEP_2)
	v_pk_fma_f32 v[58:59], v[52:53], v[54:55], v[56:57] op_sel_hi:[1,0,1]
	v_pk_fma_f32 v[52:53], v[52:53], v[54:55], v[56:57] neg_lo:[0,0,1] neg_hi:[0,0,1]
	v_mov_b32_e32 v53, v59
	scratch_store_b64 off, v[52:53], off offset:168
.LBB87_25:
	s_wait_xcnt 0x0
	s_or_b32 exec_lo, exec_lo, s26
	scratch_load_b64 v[52:53], off, off offset:160
	v_cmp_lt_u32_e64 s0, 20, v0
	s_wait_loadcnt 0x0
	ds_store_b64 v1, v[52:53]
	s_wait_storecnt_dscnt 0x0
	s_barrier_signal -1
	s_barrier_wait -1
	s_wait_xcnt 0x0
	s_and_saveexec_b32 s26, s0
	s_cbranch_execz .LBB87_35
; %bb.26:
	s_and_not1_b32 vcc_lo, exec_lo, s3
	s_cbranch_vccnz .LBB87_28
; %bb.27:
	scratch_load_b64 v[52:53], v51, off
	ds_load_b64 v[54:55], v1
	s_wait_loadcnt_dscnt 0x0
	v_pk_mul_f32 v[56:57], v[54:55], v[52:53] op_sel:[1,1] op_sel_hi:[0,1]
	s_delay_alu instid0(VALU_DEP_1) | instskip(SKIP_1) | instid1(VALU_DEP_2)
	v_pk_fma_f32 v[58:59], v[54:55], v[52:53], v[56:57] op_sel_hi:[1,0,1]
	v_pk_fma_f32 v[52:53], v[54:55], v[52:53], v[56:57] neg_lo:[0,0,1] neg_hi:[0,0,1]
	v_mov_b32_e32 v53, v59
	s_cbranch_execz .LBB87_29
	s_branch .LBB87_30
.LBB87_28:
                                        ; implicit-def: $vgpr52_vgpr53
.LBB87_29:
	ds_load_b64 v[52:53], v1
.LBB87_30:
	s_and_saveexec_b32 s27, s1
	s_cbranch_execz .LBB87_34
; %bb.31:
	v_subrev_nc_u32_e32 v54, 21, v0
	s_movk_i32 s28, 0x168
	s_mov_b32 s1, 0
.LBB87_32:                              ; =>This Inner Loop Header: Depth=1
	scratch_load_b64 v[56:57], off, s25
	v_dual_mov_b32 v55, s28 :: v_dual_add_nc_u32 v54, -1, v54
	s_add_co_i32 s28, s28, 8
	s_wait_xcnt 0x0
	s_add_co_i32 s25, s25, 8
	ds_load_b64 v[58:59], v55
	v_cmp_eq_u32_e32 vcc_lo, 0, v54
	s_or_b32 s1, vcc_lo, s1
	s_wait_loadcnt_dscnt 0x0
	v_pk_mul_f32 v[60:61], v[58:59], v[56:57] op_sel:[1,1] op_sel_hi:[0,1]
	s_delay_alu instid0(VALU_DEP_1) | instskip(SKIP_1) | instid1(VALU_DEP_2)
	v_pk_fma_f32 v[62:63], v[58:59], v[56:57], v[60:61] op_sel_hi:[1,0,1]
	v_pk_fma_f32 v[56:57], v[58:59], v[56:57], v[60:61] neg_lo:[0,0,1] neg_hi:[0,0,1]
	v_mov_b32_e32 v57, v63
	s_delay_alu instid0(VALU_DEP_1)
	v_pk_add_f32 v[52:53], v[52:53], v[56:57]
	s_and_not1_b32 exec_lo, exec_lo, s1
	s_cbranch_execnz .LBB87_32
; %bb.33:
	s_or_b32 exec_lo, exec_lo, s1
.LBB87_34:
	s_delay_alu instid0(SALU_CYCLE_1) | instskip(SKIP_4) | instid1(VALU_DEP_1)
	s_or_b32 exec_lo, exec_lo, s27
	v_mov_b32_e32 v54, 0
	ds_load_b64 v[54:55], v54 offset:160
	s_wait_dscnt 0x0
	v_pk_mul_f32 v[56:57], v[52:53], v[54:55] op_sel:[1,1] op_sel_hi:[0,1]
	v_pk_fma_f32 v[58:59], v[52:53], v[54:55], v[56:57] op_sel_hi:[1,0,1]
	v_pk_fma_f32 v[52:53], v[52:53], v[54:55], v[56:57] neg_lo:[0,0,1] neg_hi:[0,0,1]
	s_delay_alu instid0(VALU_DEP_2)
	v_mov_b32_e32 v53, v59
	scratch_store_b64 off, v[52:53], off offset:160
.LBB87_35:
	s_wait_xcnt 0x0
	s_or_b32 exec_lo, exec_lo, s26
	scratch_load_b64 v[52:53], off, off offset:152
	v_cmp_lt_u32_e64 s1, 19, v0
	s_wait_loadcnt 0x0
	ds_store_b64 v1, v[52:53]
	s_wait_storecnt_dscnt 0x0
	s_barrier_signal -1
	s_barrier_wait -1
	s_wait_xcnt 0x0
	s_and_saveexec_b32 s25, s1
	s_cbranch_execz .LBB87_45
; %bb.36:
	s_and_not1_b32 vcc_lo, exec_lo, s3
	s_cbranch_vccnz .LBB87_38
; %bb.37:
	scratch_load_b64 v[52:53], v51, off
	ds_load_b64 v[54:55], v1
	s_wait_loadcnt_dscnt 0x0
	v_pk_mul_f32 v[56:57], v[54:55], v[52:53] op_sel:[1,1] op_sel_hi:[0,1]
	s_delay_alu instid0(VALU_DEP_1) | instskip(SKIP_1) | instid1(VALU_DEP_2)
	v_pk_fma_f32 v[58:59], v[54:55], v[52:53], v[56:57] op_sel_hi:[1,0,1]
	v_pk_fma_f32 v[52:53], v[54:55], v[52:53], v[56:57] neg_lo:[0,0,1] neg_hi:[0,0,1]
	v_mov_b32_e32 v53, v59
	s_cbranch_execz .LBB87_39
	s_branch .LBB87_40
.LBB87_38:
                                        ; implicit-def: $vgpr52_vgpr53
.LBB87_39:
	ds_load_b64 v[52:53], v1
.LBB87_40:
	s_and_saveexec_b32 s26, s0
	s_cbranch_execz .LBB87_44
; %bb.41:
	v_subrev_nc_u32_e32 v54, 20, v0
	s_movk_i32 s27, 0x160
	s_mov_b32 s0, 0
.LBB87_42:                              ; =>This Inner Loop Header: Depth=1
	scratch_load_b64 v[56:57], off, s24
	v_dual_mov_b32 v55, s27 :: v_dual_add_nc_u32 v54, -1, v54
	s_add_co_i32 s27, s27, 8
	s_wait_xcnt 0x0
	s_add_co_i32 s24, s24, 8
	ds_load_b64 v[58:59], v55
	v_cmp_eq_u32_e32 vcc_lo, 0, v54
	s_or_b32 s0, vcc_lo, s0
	s_wait_loadcnt_dscnt 0x0
	v_pk_mul_f32 v[60:61], v[58:59], v[56:57] op_sel:[1,1] op_sel_hi:[0,1]
	s_delay_alu instid0(VALU_DEP_1) | instskip(SKIP_1) | instid1(VALU_DEP_2)
	v_pk_fma_f32 v[62:63], v[58:59], v[56:57], v[60:61] op_sel_hi:[1,0,1]
	v_pk_fma_f32 v[56:57], v[58:59], v[56:57], v[60:61] neg_lo:[0,0,1] neg_hi:[0,0,1]
	v_mov_b32_e32 v57, v63
	s_delay_alu instid0(VALU_DEP_1)
	v_pk_add_f32 v[52:53], v[52:53], v[56:57]
	s_and_not1_b32 exec_lo, exec_lo, s0
	s_cbranch_execnz .LBB87_42
; %bb.43:
	s_or_b32 exec_lo, exec_lo, s0
.LBB87_44:
	s_delay_alu instid0(SALU_CYCLE_1) | instskip(SKIP_4) | instid1(VALU_DEP_1)
	s_or_b32 exec_lo, exec_lo, s26
	v_mov_b32_e32 v54, 0
	ds_load_b64 v[54:55], v54 offset:152
	s_wait_dscnt 0x0
	v_pk_mul_f32 v[56:57], v[52:53], v[54:55] op_sel:[1,1] op_sel_hi:[0,1]
	v_pk_fma_f32 v[58:59], v[52:53], v[54:55], v[56:57] op_sel_hi:[1,0,1]
	v_pk_fma_f32 v[52:53], v[52:53], v[54:55], v[56:57] neg_lo:[0,0,1] neg_hi:[0,0,1]
	s_delay_alu instid0(VALU_DEP_2)
	v_mov_b32_e32 v53, v59
	scratch_store_b64 off, v[52:53], off offset:152
.LBB87_45:
	s_wait_xcnt 0x0
	s_or_b32 exec_lo, exec_lo, s25
	scratch_load_b64 v[52:53], off, off offset:144
	v_cmp_lt_u32_e64 s0, 18, v0
	s_wait_loadcnt 0x0
	ds_store_b64 v1, v[52:53]
	s_wait_storecnt_dscnt 0x0
	s_barrier_signal -1
	s_barrier_wait -1
	s_wait_xcnt 0x0
	s_and_saveexec_b32 s24, s0
	s_cbranch_execz .LBB87_55
; %bb.46:
	s_and_not1_b32 vcc_lo, exec_lo, s3
	s_cbranch_vccnz .LBB87_48
; %bb.47:
	scratch_load_b64 v[52:53], v51, off
	ds_load_b64 v[54:55], v1
	s_wait_loadcnt_dscnt 0x0
	v_pk_mul_f32 v[56:57], v[54:55], v[52:53] op_sel:[1,1] op_sel_hi:[0,1]
	s_delay_alu instid0(VALU_DEP_1) | instskip(SKIP_1) | instid1(VALU_DEP_2)
	v_pk_fma_f32 v[58:59], v[54:55], v[52:53], v[56:57] op_sel_hi:[1,0,1]
	v_pk_fma_f32 v[52:53], v[54:55], v[52:53], v[56:57] neg_lo:[0,0,1] neg_hi:[0,0,1]
	v_mov_b32_e32 v53, v59
	s_cbranch_execz .LBB87_49
	s_branch .LBB87_50
.LBB87_48:
                                        ; implicit-def: $vgpr52_vgpr53
.LBB87_49:
	ds_load_b64 v[52:53], v1
.LBB87_50:
	s_and_saveexec_b32 s25, s1
	s_cbranch_execz .LBB87_54
; %bb.51:
	v_subrev_nc_u32_e32 v54, 19, v0
	s_movk_i32 s26, 0x158
	s_mov_b32 s1, 0
.LBB87_52:                              ; =>This Inner Loop Header: Depth=1
	scratch_load_b64 v[56:57], off, s23
	v_dual_mov_b32 v55, s26 :: v_dual_add_nc_u32 v54, -1, v54
	s_add_co_i32 s26, s26, 8
	s_wait_xcnt 0x0
	s_add_co_i32 s23, s23, 8
	ds_load_b64 v[58:59], v55
	v_cmp_eq_u32_e32 vcc_lo, 0, v54
	s_or_b32 s1, vcc_lo, s1
	s_wait_loadcnt_dscnt 0x0
	v_pk_mul_f32 v[60:61], v[58:59], v[56:57] op_sel:[1,1] op_sel_hi:[0,1]
	s_delay_alu instid0(VALU_DEP_1) | instskip(SKIP_1) | instid1(VALU_DEP_2)
	v_pk_fma_f32 v[62:63], v[58:59], v[56:57], v[60:61] op_sel_hi:[1,0,1]
	v_pk_fma_f32 v[56:57], v[58:59], v[56:57], v[60:61] neg_lo:[0,0,1] neg_hi:[0,0,1]
	v_mov_b32_e32 v57, v63
	s_delay_alu instid0(VALU_DEP_1)
	v_pk_add_f32 v[52:53], v[52:53], v[56:57]
	s_and_not1_b32 exec_lo, exec_lo, s1
	s_cbranch_execnz .LBB87_52
; %bb.53:
	s_or_b32 exec_lo, exec_lo, s1
.LBB87_54:
	s_delay_alu instid0(SALU_CYCLE_1) | instskip(SKIP_4) | instid1(VALU_DEP_1)
	s_or_b32 exec_lo, exec_lo, s25
	v_mov_b32_e32 v54, 0
	ds_load_b64 v[54:55], v54 offset:144
	s_wait_dscnt 0x0
	v_pk_mul_f32 v[56:57], v[52:53], v[54:55] op_sel:[1,1] op_sel_hi:[0,1]
	v_pk_fma_f32 v[58:59], v[52:53], v[54:55], v[56:57] op_sel_hi:[1,0,1]
	v_pk_fma_f32 v[52:53], v[52:53], v[54:55], v[56:57] neg_lo:[0,0,1] neg_hi:[0,0,1]
	s_delay_alu instid0(VALU_DEP_2)
	v_mov_b32_e32 v53, v59
	scratch_store_b64 off, v[52:53], off offset:144
.LBB87_55:
	s_wait_xcnt 0x0
	s_or_b32 exec_lo, exec_lo, s24
	scratch_load_b64 v[52:53], off, off offset:136
	v_cmp_lt_u32_e64 s1, 17, v0
	s_wait_loadcnt 0x0
	ds_store_b64 v1, v[52:53]
	s_wait_storecnt_dscnt 0x0
	s_barrier_signal -1
	s_barrier_wait -1
	s_wait_xcnt 0x0
	s_and_saveexec_b32 s23, s1
	s_cbranch_execz .LBB87_65
; %bb.56:
	s_and_not1_b32 vcc_lo, exec_lo, s3
	s_cbranch_vccnz .LBB87_58
; %bb.57:
	scratch_load_b64 v[52:53], v51, off
	ds_load_b64 v[54:55], v1
	s_wait_loadcnt_dscnt 0x0
	v_pk_mul_f32 v[56:57], v[54:55], v[52:53] op_sel:[1,1] op_sel_hi:[0,1]
	s_delay_alu instid0(VALU_DEP_1) | instskip(SKIP_1) | instid1(VALU_DEP_2)
	v_pk_fma_f32 v[58:59], v[54:55], v[52:53], v[56:57] op_sel_hi:[1,0,1]
	v_pk_fma_f32 v[52:53], v[54:55], v[52:53], v[56:57] neg_lo:[0,0,1] neg_hi:[0,0,1]
	v_mov_b32_e32 v53, v59
	s_cbranch_execz .LBB87_59
	s_branch .LBB87_60
.LBB87_58:
                                        ; implicit-def: $vgpr52_vgpr53
.LBB87_59:
	ds_load_b64 v[52:53], v1
.LBB87_60:
	s_and_saveexec_b32 s24, s0
	s_cbranch_execz .LBB87_64
; %bb.61:
	v_subrev_nc_u32_e32 v54, 18, v0
	s_movk_i32 s25, 0x150
	s_mov_b32 s0, 0
.LBB87_62:                              ; =>This Inner Loop Header: Depth=1
	scratch_load_b64 v[56:57], off, s22
	v_dual_mov_b32 v55, s25 :: v_dual_add_nc_u32 v54, -1, v54
	s_add_co_i32 s25, s25, 8
	s_wait_xcnt 0x0
	s_add_co_i32 s22, s22, 8
	ds_load_b64 v[58:59], v55
	v_cmp_eq_u32_e32 vcc_lo, 0, v54
	s_or_b32 s0, vcc_lo, s0
	s_wait_loadcnt_dscnt 0x0
	v_pk_mul_f32 v[60:61], v[58:59], v[56:57] op_sel:[1,1] op_sel_hi:[0,1]
	s_delay_alu instid0(VALU_DEP_1) | instskip(SKIP_1) | instid1(VALU_DEP_2)
	v_pk_fma_f32 v[62:63], v[58:59], v[56:57], v[60:61] op_sel_hi:[1,0,1]
	v_pk_fma_f32 v[56:57], v[58:59], v[56:57], v[60:61] neg_lo:[0,0,1] neg_hi:[0,0,1]
	v_mov_b32_e32 v57, v63
	s_delay_alu instid0(VALU_DEP_1)
	v_pk_add_f32 v[52:53], v[52:53], v[56:57]
	s_and_not1_b32 exec_lo, exec_lo, s0
	s_cbranch_execnz .LBB87_62
; %bb.63:
	s_or_b32 exec_lo, exec_lo, s0
.LBB87_64:
	s_delay_alu instid0(SALU_CYCLE_1) | instskip(SKIP_4) | instid1(VALU_DEP_1)
	s_or_b32 exec_lo, exec_lo, s24
	v_mov_b32_e32 v54, 0
	ds_load_b64 v[54:55], v54 offset:136
	s_wait_dscnt 0x0
	v_pk_mul_f32 v[56:57], v[52:53], v[54:55] op_sel:[1,1] op_sel_hi:[0,1]
	v_pk_fma_f32 v[58:59], v[52:53], v[54:55], v[56:57] op_sel_hi:[1,0,1]
	v_pk_fma_f32 v[52:53], v[52:53], v[54:55], v[56:57] neg_lo:[0,0,1] neg_hi:[0,0,1]
	s_delay_alu instid0(VALU_DEP_2)
	v_mov_b32_e32 v53, v59
	scratch_store_b64 off, v[52:53], off offset:136
.LBB87_65:
	s_wait_xcnt 0x0
	s_or_b32 exec_lo, exec_lo, s23
	scratch_load_b64 v[52:53], off, off offset:128
	v_cmp_lt_u32_e64 s0, 16, v0
	s_wait_loadcnt 0x0
	ds_store_b64 v1, v[52:53]
	s_wait_storecnt_dscnt 0x0
	s_barrier_signal -1
	s_barrier_wait -1
	s_wait_xcnt 0x0
	s_and_saveexec_b32 s22, s0
	s_cbranch_execz .LBB87_75
; %bb.66:
	s_and_not1_b32 vcc_lo, exec_lo, s3
	s_cbranch_vccnz .LBB87_68
; %bb.67:
	scratch_load_b64 v[52:53], v51, off
	ds_load_b64 v[54:55], v1
	s_wait_loadcnt_dscnt 0x0
	v_pk_mul_f32 v[56:57], v[54:55], v[52:53] op_sel:[1,1] op_sel_hi:[0,1]
	s_delay_alu instid0(VALU_DEP_1) | instskip(SKIP_1) | instid1(VALU_DEP_2)
	v_pk_fma_f32 v[58:59], v[54:55], v[52:53], v[56:57] op_sel_hi:[1,0,1]
	v_pk_fma_f32 v[52:53], v[54:55], v[52:53], v[56:57] neg_lo:[0,0,1] neg_hi:[0,0,1]
	v_mov_b32_e32 v53, v59
	s_cbranch_execz .LBB87_69
	s_branch .LBB87_70
.LBB87_68:
                                        ; implicit-def: $vgpr52_vgpr53
.LBB87_69:
	ds_load_b64 v[52:53], v1
.LBB87_70:
	s_and_saveexec_b32 s23, s1
	s_cbranch_execz .LBB87_74
; %bb.71:
	v_subrev_nc_u32_e32 v54, 17, v0
	s_movk_i32 s24, 0x148
	s_mov_b32 s1, 0
.LBB87_72:                              ; =>This Inner Loop Header: Depth=1
	scratch_load_b64 v[56:57], off, s21
	v_dual_mov_b32 v55, s24 :: v_dual_add_nc_u32 v54, -1, v54
	s_add_co_i32 s24, s24, 8
	s_wait_xcnt 0x0
	s_add_co_i32 s21, s21, 8
	ds_load_b64 v[58:59], v55
	v_cmp_eq_u32_e32 vcc_lo, 0, v54
	s_or_b32 s1, vcc_lo, s1
	s_wait_loadcnt_dscnt 0x0
	v_pk_mul_f32 v[60:61], v[58:59], v[56:57] op_sel:[1,1] op_sel_hi:[0,1]
	s_delay_alu instid0(VALU_DEP_1) | instskip(SKIP_1) | instid1(VALU_DEP_2)
	v_pk_fma_f32 v[62:63], v[58:59], v[56:57], v[60:61] op_sel_hi:[1,0,1]
	v_pk_fma_f32 v[56:57], v[58:59], v[56:57], v[60:61] neg_lo:[0,0,1] neg_hi:[0,0,1]
	v_mov_b32_e32 v57, v63
	s_delay_alu instid0(VALU_DEP_1)
	v_pk_add_f32 v[52:53], v[52:53], v[56:57]
	s_and_not1_b32 exec_lo, exec_lo, s1
	s_cbranch_execnz .LBB87_72
; %bb.73:
	s_or_b32 exec_lo, exec_lo, s1
.LBB87_74:
	s_delay_alu instid0(SALU_CYCLE_1) | instskip(SKIP_4) | instid1(VALU_DEP_1)
	s_or_b32 exec_lo, exec_lo, s23
	v_mov_b32_e32 v54, 0
	ds_load_b64 v[54:55], v54 offset:128
	s_wait_dscnt 0x0
	v_pk_mul_f32 v[56:57], v[52:53], v[54:55] op_sel:[1,1] op_sel_hi:[0,1]
	v_pk_fma_f32 v[58:59], v[52:53], v[54:55], v[56:57] op_sel_hi:[1,0,1]
	v_pk_fma_f32 v[52:53], v[52:53], v[54:55], v[56:57] neg_lo:[0,0,1] neg_hi:[0,0,1]
	s_delay_alu instid0(VALU_DEP_2)
	v_mov_b32_e32 v53, v59
	scratch_store_b64 off, v[52:53], off offset:128
.LBB87_75:
	s_wait_xcnt 0x0
	s_or_b32 exec_lo, exec_lo, s22
	scratch_load_b64 v[52:53], off, off offset:120
	v_cmp_lt_u32_e64 s1, 15, v0
	s_wait_loadcnt 0x0
	ds_store_b64 v1, v[52:53]
	s_wait_storecnt_dscnt 0x0
	s_barrier_signal -1
	s_barrier_wait -1
	s_wait_xcnt 0x0
	s_and_saveexec_b32 s21, s1
	s_cbranch_execz .LBB87_85
; %bb.76:
	s_and_not1_b32 vcc_lo, exec_lo, s3
	s_cbranch_vccnz .LBB87_78
; %bb.77:
	scratch_load_b64 v[52:53], v51, off
	ds_load_b64 v[54:55], v1
	s_wait_loadcnt_dscnt 0x0
	v_pk_mul_f32 v[56:57], v[54:55], v[52:53] op_sel:[1,1] op_sel_hi:[0,1]
	s_delay_alu instid0(VALU_DEP_1) | instskip(SKIP_1) | instid1(VALU_DEP_2)
	v_pk_fma_f32 v[58:59], v[54:55], v[52:53], v[56:57] op_sel_hi:[1,0,1]
	v_pk_fma_f32 v[52:53], v[54:55], v[52:53], v[56:57] neg_lo:[0,0,1] neg_hi:[0,0,1]
	v_mov_b32_e32 v53, v59
	s_cbranch_execz .LBB87_79
	s_branch .LBB87_80
.LBB87_78:
                                        ; implicit-def: $vgpr52_vgpr53
.LBB87_79:
	ds_load_b64 v[52:53], v1
.LBB87_80:
	s_and_saveexec_b32 s22, s0
	s_cbranch_execz .LBB87_84
; %bb.81:
	v_add_nc_u32_e32 v54, -16, v0
	s_movk_i32 s23, 0x140
	s_mov_b32 s0, 0
.LBB87_82:                              ; =>This Inner Loop Header: Depth=1
	scratch_load_b64 v[56:57], off, s20
	v_dual_mov_b32 v55, s23 :: v_dual_add_nc_u32 v54, -1, v54
	s_add_co_i32 s23, s23, 8
	s_wait_xcnt 0x0
	s_add_co_i32 s20, s20, 8
	ds_load_b64 v[58:59], v55
	v_cmp_eq_u32_e32 vcc_lo, 0, v54
	s_or_b32 s0, vcc_lo, s0
	s_wait_loadcnt_dscnt 0x0
	v_pk_mul_f32 v[60:61], v[58:59], v[56:57] op_sel:[1,1] op_sel_hi:[0,1]
	s_delay_alu instid0(VALU_DEP_1) | instskip(SKIP_1) | instid1(VALU_DEP_2)
	v_pk_fma_f32 v[62:63], v[58:59], v[56:57], v[60:61] op_sel_hi:[1,0,1]
	v_pk_fma_f32 v[56:57], v[58:59], v[56:57], v[60:61] neg_lo:[0,0,1] neg_hi:[0,0,1]
	v_mov_b32_e32 v57, v63
	s_delay_alu instid0(VALU_DEP_1)
	v_pk_add_f32 v[52:53], v[52:53], v[56:57]
	s_and_not1_b32 exec_lo, exec_lo, s0
	s_cbranch_execnz .LBB87_82
; %bb.83:
	s_or_b32 exec_lo, exec_lo, s0
.LBB87_84:
	s_delay_alu instid0(SALU_CYCLE_1) | instskip(SKIP_4) | instid1(VALU_DEP_1)
	s_or_b32 exec_lo, exec_lo, s22
	v_mov_b32_e32 v54, 0
	ds_load_b64 v[54:55], v54 offset:120
	s_wait_dscnt 0x0
	v_pk_mul_f32 v[56:57], v[52:53], v[54:55] op_sel:[1,1] op_sel_hi:[0,1]
	v_pk_fma_f32 v[58:59], v[52:53], v[54:55], v[56:57] op_sel_hi:[1,0,1]
	v_pk_fma_f32 v[52:53], v[52:53], v[54:55], v[56:57] neg_lo:[0,0,1] neg_hi:[0,0,1]
	s_delay_alu instid0(VALU_DEP_2)
	v_mov_b32_e32 v53, v59
	scratch_store_b64 off, v[52:53], off offset:120
.LBB87_85:
	s_wait_xcnt 0x0
	s_or_b32 exec_lo, exec_lo, s21
	scratch_load_b64 v[52:53], off, off offset:112
	v_cmp_lt_u32_e64 s0, 14, v0
	s_wait_loadcnt 0x0
	ds_store_b64 v1, v[52:53]
	s_wait_storecnt_dscnt 0x0
	s_barrier_signal -1
	s_barrier_wait -1
	s_wait_xcnt 0x0
	s_and_saveexec_b32 s20, s0
	s_cbranch_execz .LBB87_95
; %bb.86:
	s_and_not1_b32 vcc_lo, exec_lo, s3
	s_cbranch_vccnz .LBB87_88
; %bb.87:
	scratch_load_b64 v[52:53], v51, off
	ds_load_b64 v[54:55], v1
	s_wait_loadcnt_dscnt 0x0
	v_pk_mul_f32 v[56:57], v[54:55], v[52:53] op_sel:[1,1] op_sel_hi:[0,1]
	s_delay_alu instid0(VALU_DEP_1) | instskip(SKIP_1) | instid1(VALU_DEP_2)
	v_pk_fma_f32 v[58:59], v[54:55], v[52:53], v[56:57] op_sel_hi:[1,0,1]
	v_pk_fma_f32 v[52:53], v[54:55], v[52:53], v[56:57] neg_lo:[0,0,1] neg_hi:[0,0,1]
	v_mov_b32_e32 v53, v59
	s_cbranch_execz .LBB87_89
	s_branch .LBB87_90
.LBB87_88:
                                        ; implicit-def: $vgpr52_vgpr53
.LBB87_89:
	ds_load_b64 v[52:53], v1
.LBB87_90:
	s_and_saveexec_b32 s21, s1
	s_cbranch_execz .LBB87_94
; %bb.91:
	v_add_nc_u32_e32 v54, -15, v0
	s_movk_i32 s22, 0x138
	s_mov_b32 s1, 0
.LBB87_92:                              ; =>This Inner Loop Header: Depth=1
	scratch_load_b64 v[56:57], off, s19
	v_dual_mov_b32 v55, s22 :: v_dual_add_nc_u32 v54, -1, v54
	s_add_co_i32 s22, s22, 8
	s_wait_xcnt 0x0
	s_add_co_i32 s19, s19, 8
	ds_load_b64 v[58:59], v55
	v_cmp_eq_u32_e32 vcc_lo, 0, v54
	s_or_b32 s1, vcc_lo, s1
	s_wait_loadcnt_dscnt 0x0
	v_pk_mul_f32 v[60:61], v[58:59], v[56:57] op_sel:[1,1] op_sel_hi:[0,1]
	s_delay_alu instid0(VALU_DEP_1) | instskip(SKIP_1) | instid1(VALU_DEP_2)
	v_pk_fma_f32 v[62:63], v[58:59], v[56:57], v[60:61] op_sel_hi:[1,0,1]
	v_pk_fma_f32 v[56:57], v[58:59], v[56:57], v[60:61] neg_lo:[0,0,1] neg_hi:[0,0,1]
	v_mov_b32_e32 v57, v63
	s_delay_alu instid0(VALU_DEP_1)
	v_pk_add_f32 v[52:53], v[52:53], v[56:57]
	s_and_not1_b32 exec_lo, exec_lo, s1
	s_cbranch_execnz .LBB87_92
; %bb.93:
	s_or_b32 exec_lo, exec_lo, s1
.LBB87_94:
	s_delay_alu instid0(SALU_CYCLE_1) | instskip(SKIP_4) | instid1(VALU_DEP_1)
	s_or_b32 exec_lo, exec_lo, s21
	v_mov_b32_e32 v54, 0
	ds_load_b64 v[54:55], v54 offset:112
	s_wait_dscnt 0x0
	v_pk_mul_f32 v[56:57], v[52:53], v[54:55] op_sel:[1,1] op_sel_hi:[0,1]
	v_pk_fma_f32 v[58:59], v[52:53], v[54:55], v[56:57] op_sel_hi:[1,0,1]
	v_pk_fma_f32 v[52:53], v[52:53], v[54:55], v[56:57] neg_lo:[0,0,1] neg_hi:[0,0,1]
	s_delay_alu instid0(VALU_DEP_2)
	v_mov_b32_e32 v53, v59
	scratch_store_b64 off, v[52:53], off offset:112
.LBB87_95:
	s_wait_xcnt 0x0
	s_or_b32 exec_lo, exec_lo, s20
	scratch_load_b64 v[52:53], off, off offset:104
	v_cmp_lt_u32_e64 s1, 13, v0
	s_wait_loadcnt 0x0
	ds_store_b64 v1, v[52:53]
	s_wait_storecnt_dscnt 0x0
	s_barrier_signal -1
	s_barrier_wait -1
	s_wait_xcnt 0x0
	s_and_saveexec_b32 s19, s1
	s_cbranch_execz .LBB87_105
; %bb.96:
	s_and_not1_b32 vcc_lo, exec_lo, s3
	s_cbranch_vccnz .LBB87_98
; %bb.97:
	scratch_load_b64 v[52:53], v51, off
	ds_load_b64 v[54:55], v1
	s_wait_loadcnt_dscnt 0x0
	v_pk_mul_f32 v[56:57], v[54:55], v[52:53] op_sel:[1,1] op_sel_hi:[0,1]
	s_delay_alu instid0(VALU_DEP_1) | instskip(SKIP_1) | instid1(VALU_DEP_2)
	v_pk_fma_f32 v[58:59], v[54:55], v[52:53], v[56:57] op_sel_hi:[1,0,1]
	v_pk_fma_f32 v[52:53], v[54:55], v[52:53], v[56:57] neg_lo:[0,0,1] neg_hi:[0,0,1]
	v_mov_b32_e32 v53, v59
	s_cbranch_execz .LBB87_99
	s_branch .LBB87_100
.LBB87_98:
                                        ; implicit-def: $vgpr52_vgpr53
.LBB87_99:
	ds_load_b64 v[52:53], v1
.LBB87_100:
	s_and_saveexec_b32 s20, s0
	s_cbranch_execz .LBB87_104
; %bb.101:
	v_add_nc_u32_e32 v54, -14, v0
	s_movk_i32 s21, 0x130
	s_mov_b32 s0, 0
.LBB87_102:                             ; =>This Inner Loop Header: Depth=1
	scratch_load_b64 v[56:57], off, s18
	v_dual_mov_b32 v55, s21 :: v_dual_add_nc_u32 v54, -1, v54
	s_add_co_i32 s21, s21, 8
	s_wait_xcnt 0x0
	s_add_co_i32 s18, s18, 8
	ds_load_b64 v[58:59], v55
	v_cmp_eq_u32_e32 vcc_lo, 0, v54
	s_or_b32 s0, vcc_lo, s0
	s_wait_loadcnt_dscnt 0x0
	v_pk_mul_f32 v[60:61], v[58:59], v[56:57] op_sel:[1,1] op_sel_hi:[0,1]
	s_delay_alu instid0(VALU_DEP_1) | instskip(SKIP_1) | instid1(VALU_DEP_2)
	v_pk_fma_f32 v[62:63], v[58:59], v[56:57], v[60:61] op_sel_hi:[1,0,1]
	v_pk_fma_f32 v[56:57], v[58:59], v[56:57], v[60:61] neg_lo:[0,0,1] neg_hi:[0,0,1]
	v_mov_b32_e32 v57, v63
	s_delay_alu instid0(VALU_DEP_1)
	v_pk_add_f32 v[52:53], v[52:53], v[56:57]
	s_and_not1_b32 exec_lo, exec_lo, s0
	s_cbranch_execnz .LBB87_102
; %bb.103:
	s_or_b32 exec_lo, exec_lo, s0
.LBB87_104:
	s_delay_alu instid0(SALU_CYCLE_1) | instskip(SKIP_4) | instid1(VALU_DEP_1)
	s_or_b32 exec_lo, exec_lo, s20
	v_mov_b32_e32 v54, 0
	ds_load_b64 v[54:55], v54 offset:104
	s_wait_dscnt 0x0
	v_pk_mul_f32 v[56:57], v[52:53], v[54:55] op_sel:[1,1] op_sel_hi:[0,1]
	v_pk_fma_f32 v[58:59], v[52:53], v[54:55], v[56:57] op_sel_hi:[1,0,1]
	v_pk_fma_f32 v[52:53], v[52:53], v[54:55], v[56:57] neg_lo:[0,0,1] neg_hi:[0,0,1]
	s_delay_alu instid0(VALU_DEP_2)
	v_mov_b32_e32 v53, v59
	scratch_store_b64 off, v[52:53], off offset:104
.LBB87_105:
	s_wait_xcnt 0x0
	s_or_b32 exec_lo, exec_lo, s19
	scratch_load_b64 v[52:53], off, off offset:96
	v_cmp_lt_u32_e64 s0, 12, v0
	s_wait_loadcnt 0x0
	ds_store_b64 v1, v[52:53]
	s_wait_storecnt_dscnt 0x0
	s_barrier_signal -1
	s_barrier_wait -1
	s_wait_xcnt 0x0
	s_and_saveexec_b32 s18, s0
	s_cbranch_execz .LBB87_115
; %bb.106:
	s_and_not1_b32 vcc_lo, exec_lo, s3
	s_cbranch_vccnz .LBB87_108
; %bb.107:
	scratch_load_b64 v[52:53], v51, off
	ds_load_b64 v[54:55], v1
	s_wait_loadcnt_dscnt 0x0
	v_pk_mul_f32 v[56:57], v[54:55], v[52:53] op_sel:[1,1] op_sel_hi:[0,1]
	s_delay_alu instid0(VALU_DEP_1) | instskip(SKIP_1) | instid1(VALU_DEP_2)
	v_pk_fma_f32 v[58:59], v[54:55], v[52:53], v[56:57] op_sel_hi:[1,0,1]
	v_pk_fma_f32 v[52:53], v[54:55], v[52:53], v[56:57] neg_lo:[0,0,1] neg_hi:[0,0,1]
	v_mov_b32_e32 v53, v59
	s_cbranch_execz .LBB87_109
	s_branch .LBB87_110
.LBB87_108:
                                        ; implicit-def: $vgpr52_vgpr53
.LBB87_109:
	ds_load_b64 v[52:53], v1
.LBB87_110:
	s_and_saveexec_b32 s19, s1
	s_cbranch_execz .LBB87_114
; %bb.111:
	v_add_nc_u32_e32 v54, -13, v0
	s_movk_i32 s20, 0x128
	s_mov_b32 s1, 0
.LBB87_112:                             ; =>This Inner Loop Header: Depth=1
	scratch_load_b64 v[56:57], off, s17
	v_dual_mov_b32 v55, s20 :: v_dual_add_nc_u32 v54, -1, v54
	s_add_co_i32 s20, s20, 8
	s_wait_xcnt 0x0
	s_add_co_i32 s17, s17, 8
	ds_load_b64 v[58:59], v55
	v_cmp_eq_u32_e32 vcc_lo, 0, v54
	s_or_b32 s1, vcc_lo, s1
	s_wait_loadcnt_dscnt 0x0
	v_pk_mul_f32 v[60:61], v[58:59], v[56:57] op_sel:[1,1] op_sel_hi:[0,1]
	s_delay_alu instid0(VALU_DEP_1) | instskip(SKIP_1) | instid1(VALU_DEP_2)
	v_pk_fma_f32 v[62:63], v[58:59], v[56:57], v[60:61] op_sel_hi:[1,0,1]
	v_pk_fma_f32 v[56:57], v[58:59], v[56:57], v[60:61] neg_lo:[0,0,1] neg_hi:[0,0,1]
	v_mov_b32_e32 v57, v63
	s_delay_alu instid0(VALU_DEP_1)
	v_pk_add_f32 v[52:53], v[52:53], v[56:57]
	s_and_not1_b32 exec_lo, exec_lo, s1
	s_cbranch_execnz .LBB87_112
; %bb.113:
	s_or_b32 exec_lo, exec_lo, s1
.LBB87_114:
	s_delay_alu instid0(SALU_CYCLE_1) | instskip(SKIP_4) | instid1(VALU_DEP_1)
	s_or_b32 exec_lo, exec_lo, s19
	v_mov_b32_e32 v54, 0
	ds_load_b64 v[54:55], v54 offset:96
	s_wait_dscnt 0x0
	v_pk_mul_f32 v[56:57], v[52:53], v[54:55] op_sel:[1,1] op_sel_hi:[0,1]
	v_pk_fma_f32 v[58:59], v[52:53], v[54:55], v[56:57] op_sel_hi:[1,0,1]
	v_pk_fma_f32 v[52:53], v[52:53], v[54:55], v[56:57] neg_lo:[0,0,1] neg_hi:[0,0,1]
	s_delay_alu instid0(VALU_DEP_2)
	v_mov_b32_e32 v53, v59
	scratch_store_b64 off, v[52:53], off offset:96
.LBB87_115:
	s_wait_xcnt 0x0
	s_or_b32 exec_lo, exec_lo, s18
	scratch_load_b64 v[52:53], off, off offset:88
	v_cmp_lt_u32_e64 s1, 11, v0
	s_wait_loadcnt 0x0
	ds_store_b64 v1, v[52:53]
	s_wait_storecnt_dscnt 0x0
	s_barrier_signal -1
	s_barrier_wait -1
	s_wait_xcnt 0x0
	s_and_saveexec_b32 s17, s1
	s_cbranch_execz .LBB87_125
; %bb.116:
	s_and_not1_b32 vcc_lo, exec_lo, s3
	s_cbranch_vccnz .LBB87_118
; %bb.117:
	scratch_load_b64 v[52:53], v51, off
	ds_load_b64 v[54:55], v1
	s_wait_loadcnt_dscnt 0x0
	v_pk_mul_f32 v[56:57], v[54:55], v[52:53] op_sel:[1,1] op_sel_hi:[0,1]
	s_delay_alu instid0(VALU_DEP_1) | instskip(SKIP_1) | instid1(VALU_DEP_2)
	v_pk_fma_f32 v[58:59], v[54:55], v[52:53], v[56:57] op_sel_hi:[1,0,1]
	v_pk_fma_f32 v[52:53], v[54:55], v[52:53], v[56:57] neg_lo:[0,0,1] neg_hi:[0,0,1]
	v_mov_b32_e32 v53, v59
	s_cbranch_execz .LBB87_119
	s_branch .LBB87_120
.LBB87_118:
                                        ; implicit-def: $vgpr52_vgpr53
.LBB87_119:
	ds_load_b64 v[52:53], v1
.LBB87_120:
	s_and_saveexec_b32 s18, s0
	s_cbranch_execz .LBB87_124
; %bb.121:
	v_add_nc_u32_e32 v54, -12, v0
	s_movk_i32 s19, 0x120
	s_mov_b32 s0, 0
.LBB87_122:                             ; =>This Inner Loop Header: Depth=1
	scratch_load_b64 v[56:57], off, s16
	v_dual_mov_b32 v55, s19 :: v_dual_add_nc_u32 v54, -1, v54
	s_add_co_i32 s19, s19, 8
	s_wait_xcnt 0x0
	s_add_co_i32 s16, s16, 8
	ds_load_b64 v[58:59], v55
	v_cmp_eq_u32_e32 vcc_lo, 0, v54
	s_or_b32 s0, vcc_lo, s0
	s_wait_loadcnt_dscnt 0x0
	v_pk_mul_f32 v[60:61], v[58:59], v[56:57] op_sel:[1,1] op_sel_hi:[0,1]
	s_delay_alu instid0(VALU_DEP_1) | instskip(SKIP_1) | instid1(VALU_DEP_2)
	v_pk_fma_f32 v[62:63], v[58:59], v[56:57], v[60:61] op_sel_hi:[1,0,1]
	v_pk_fma_f32 v[56:57], v[58:59], v[56:57], v[60:61] neg_lo:[0,0,1] neg_hi:[0,0,1]
	v_mov_b32_e32 v57, v63
	s_delay_alu instid0(VALU_DEP_1)
	v_pk_add_f32 v[52:53], v[52:53], v[56:57]
	s_and_not1_b32 exec_lo, exec_lo, s0
	s_cbranch_execnz .LBB87_122
; %bb.123:
	s_or_b32 exec_lo, exec_lo, s0
.LBB87_124:
	s_delay_alu instid0(SALU_CYCLE_1) | instskip(SKIP_4) | instid1(VALU_DEP_1)
	s_or_b32 exec_lo, exec_lo, s18
	v_mov_b32_e32 v54, 0
	ds_load_b64 v[54:55], v54 offset:88
	s_wait_dscnt 0x0
	v_pk_mul_f32 v[56:57], v[52:53], v[54:55] op_sel:[1,1] op_sel_hi:[0,1]
	v_pk_fma_f32 v[58:59], v[52:53], v[54:55], v[56:57] op_sel_hi:[1,0,1]
	v_pk_fma_f32 v[52:53], v[52:53], v[54:55], v[56:57] neg_lo:[0,0,1] neg_hi:[0,0,1]
	s_delay_alu instid0(VALU_DEP_2)
	v_mov_b32_e32 v53, v59
	scratch_store_b64 off, v[52:53], off offset:88
.LBB87_125:
	s_wait_xcnt 0x0
	s_or_b32 exec_lo, exec_lo, s17
	scratch_load_b64 v[52:53], off, off offset:80
	v_cmp_lt_u32_e64 s0, 10, v0
	s_wait_loadcnt 0x0
	ds_store_b64 v1, v[52:53]
	s_wait_storecnt_dscnt 0x0
	s_barrier_signal -1
	s_barrier_wait -1
	s_wait_xcnt 0x0
	s_and_saveexec_b32 s16, s0
	s_cbranch_execz .LBB87_135
; %bb.126:
	s_and_not1_b32 vcc_lo, exec_lo, s3
	s_cbranch_vccnz .LBB87_128
; %bb.127:
	scratch_load_b64 v[52:53], v51, off
	ds_load_b64 v[54:55], v1
	s_wait_loadcnt_dscnt 0x0
	v_pk_mul_f32 v[56:57], v[54:55], v[52:53] op_sel:[1,1] op_sel_hi:[0,1]
	s_delay_alu instid0(VALU_DEP_1) | instskip(SKIP_1) | instid1(VALU_DEP_2)
	v_pk_fma_f32 v[58:59], v[54:55], v[52:53], v[56:57] op_sel_hi:[1,0,1]
	v_pk_fma_f32 v[52:53], v[54:55], v[52:53], v[56:57] neg_lo:[0,0,1] neg_hi:[0,0,1]
	v_mov_b32_e32 v53, v59
	s_cbranch_execz .LBB87_129
	s_branch .LBB87_130
.LBB87_128:
                                        ; implicit-def: $vgpr52_vgpr53
.LBB87_129:
	ds_load_b64 v[52:53], v1
.LBB87_130:
	s_and_saveexec_b32 s17, s1
	s_cbranch_execz .LBB87_134
; %bb.131:
	v_add_nc_u32_e32 v54, -11, v0
	s_movk_i32 s18, 0x118
	s_mov_b32 s1, 0
.LBB87_132:                             ; =>This Inner Loop Header: Depth=1
	scratch_load_b64 v[56:57], off, s15
	v_dual_mov_b32 v55, s18 :: v_dual_add_nc_u32 v54, -1, v54
	s_add_co_i32 s18, s18, 8
	s_wait_xcnt 0x0
	s_add_co_i32 s15, s15, 8
	ds_load_b64 v[58:59], v55
	v_cmp_eq_u32_e32 vcc_lo, 0, v54
	s_or_b32 s1, vcc_lo, s1
	s_wait_loadcnt_dscnt 0x0
	v_pk_mul_f32 v[60:61], v[58:59], v[56:57] op_sel:[1,1] op_sel_hi:[0,1]
	s_delay_alu instid0(VALU_DEP_1) | instskip(SKIP_1) | instid1(VALU_DEP_2)
	v_pk_fma_f32 v[62:63], v[58:59], v[56:57], v[60:61] op_sel_hi:[1,0,1]
	v_pk_fma_f32 v[56:57], v[58:59], v[56:57], v[60:61] neg_lo:[0,0,1] neg_hi:[0,0,1]
	v_mov_b32_e32 v57, v63
	s_delay_alu instid0(VALU_DEP_1)
	v_pk_add_f32 v[52:53], v[52:53], v[56:57]
	s_and_not1_b32 exec_lo, exec_lo, s1
	s_cbranch_execnz .LBB87_132
; %bb.133:
	s_or_b32 exec_lo, exec_lo, s1
.LBB87_134:
	s_delay_alu instid0(SALU_CYCLE_1) | instskip(SKIP_4) | instid1(VALU_DEP_1)
	s_or_b32 exec_lo, exec_lo, s17
	v_mov_b32_e32 v54, 0
	ds_load_b64 v[54:55], v54 offset:80
	s_wait_dscnt 0x0
	v_pk_mul_f32 v[56:57], v[52:53], v[54:55] op_sel:[1,1] op_sel_hi:[0,1]
	v_pk_fma_f32 v[58:59], v[52:53], v[54:55], v[56:57] op_sel_hi:[1,0,1]
	v_pk_fma_f32 v[52:53], v[52:53], v[54:55], v[56:57] neg_lo:[0,0,1] neg_hi:[0,0,1]
	s_delay_alu instid0(VALU_DEP_2)
	v_mov_b32_e32 v53, v59
	scratch_store_b64 off, v[52:53], off offset:80
.LBB87_135:
	s_wait_xcnt 0x0
	s_or_b32 exec_lo, exec_lo, s16
	scratch_load_b64 v[52:53], off, off offset:72
	v_cmp_lt_u32_e64 s1, 9, v0
	s_wait_loadcnt 0x0
	ds_store_b64 v1, v[52:53]
	s_wait_storecnt_dscnt 0x0
	s_barrier_signal -1
	s_barrier_wait -1
	s_wait_xcnt 0x0
	s_and_saveexec_b32 s15, s1
	s_cbranch_execz .LBB87_145
; %bb.136:
	s_and_not1_b32 vcc_lo, exec_lo, s3
	s_cbranch_vccnz .LBB87_138
; %bb.137:
	scratch_load_b64 v[52:53], v51, off
	ds_load_b64 v[54:55], v1
	s_wait_loadcnt_dscnt 0x0
	v_pk_mul_f32 v[56:57], v[54:55], v[52:53] op_sel:[1,1] op_sel_hi:[0,1]
	s_delay_alu instid0(VALU_DEP_1) | instskip(SKIP_1) | instid1(VALU_DEP_2)
	v_pk_fma_f32 v[58:59], v[54:55], v[52:53], v[56:57] op_sel_hi:[1,0,1]
	v_pk_fma_f32 v[52:53], v[54:55], v[52:53], v[56:57] neg_lo:[0,0,1] neg_hi:[0,0,1]
	v_mov_b32_e32 v53, v59
	s_cbranch_execz .LBB87_139
	s_branch .LBB87_140
.LBB87_138:
                                        ; implicit-def: $vgpr52_vgpr53
.LBB87_139:
	ds_load_b64 v[52:53], v1
.LBB87_140:
	s_and_saveexec_b32 s16, s0
	s_cbranch_execz .LBB87_144
; %bb.141:
	v_add_nc_u32_e32 v54, -10, v0
	s_movk_i32 s17, 0x110
	s_mov_b32 s0, 0
.LBB87_142:                             ; =>This Inner Loop Header: Depth=1
	scratch_load_b64 v[56:57], off, s14
	v_dual_mov_b32 v55, s17 :: v_dual_add_nc_u32 v54, -1, v54
	s_add_co_i32 s17, s17, 8
	s_wait_xcnt 0x0
	s_add_co_i32 s14, s14, 8
	ds_load_b64 v[58:59], v55
	v_cmp_eq_u32_e32 vcc_lo, 0, v54
	s_or_b32 s0, vcc_lo, s0
	s_wait_loadcnt_dscnt 0x0
	v_pk_mul_f32 v[60:61], v[58:59], v[56:57] op_sel:[1,1] op_sel_hi:[0,1]
	s_delay_alu instid0(VALU_DEP_1) | instskip(SKIP_1) | instid1(VALU_DEP_2)
	v_pk_fma_f32 v[62:63], v[58:59], v[56:57], v[60:61] op_sel_hi:[1,0,1]
	v_pk_fma_f32 v[56:57], v[58:59], v[56:57], v[60:61] neg_lo:[0,0,1] neg_hi:[0,0,1]
	v_mov_b32_e32 v57, v63
	s_delay_alu instid0(VALU_DEP_1)
	v_pk_add_f32 v[52:53], v[52:53], v[56:57]
	s_and_not1_b32 exec_lo, exec_lo, s0
	s_cbranch_execnz .LBB87_142
; %bb.143:
	s_or_b32 exec_lo, exec_lo, s0
.LBB87_144:
	s_delay_alu instid0(SALU_CYCLE_1) | instskip(SKIP_4) | instid1(VALU_DEP_1)
	s_or_b32 exec_lo, exec_lo, s16
	v_mov_b32_e32 v54, 0
	ds_load_b64 v[54:55], v54 offset:72
	s_wait_dscnt 0x0
	v_pk_mul_f32 v[56:57], v[52:53], v[54:55] op_sel:[1,1] op_sel_hi:[0,1]
	v_pk_fma_f32 v[58:59], v[52:53], v[54:55], v[56:57] op_sel_hi:[1,0,1]
	v_pk_fma_f32 v[52:53], v[52:53], v[54:55], v[56:57] neg_lo:[0,0,1] neg_hi:[0,0,1]
	s_delay_alu instid0(VALU_DEP_2)
	v_mov_b32_e32 v53, v59
	scratch_store_b64 off, v[52:53], off offset:72
.LBB87_145:
	s_wait_xcnt 0x0
	s_or_b32 exec_lo, exec_lo, s15
	scratch_load_b64 v[52:53], off, off offset:64
	v_cmp_lt_u32_e64 s0, 8, v0
	s_wait_loadcnt 0x0
	ds_store_b64 v1, v[52:53]
	s_wait_storecnt_dscnt 0x0
	s_barrier_signal -1
	s_barrier_wait -1
	s_wait_xcnt 0x0
	s_and_saveexec_b32 s14, s0
	s_cbranch_execz .LBB87_155
; %bb.146:
	s_and_not1_b32 vcc_lo, exec_lo, s3
	s_cbranch_vccnz .LBB87_148
; %bb.147:
	scratch_load_b64 v[52:53], v51, off
	ds_load_b64 v[54:55], v1
	s_wait_loadcnt_dscnt 0x0
	v_pk_mul_f32 v[56:57], v[54:55], v[52:53] op_sel:[1,1] op_sel_hi:[0,1]
	s_delay_alu instid0(VALU_DEP_1) | instskip(SKIP_1) | instid1(VALU_DEP_2)
	v_pk_fma_f32 v[58:59], v[54:55], v[52:53], v[56:57] op_sel_hi:[1,0,1]
	v_pk_fma_f32 v[52:53], v[54:55], v[52:53], v[56:57] neg_lo:[0,0,1] neg_hi:[0,0,1]
	v_mov_b32_e32 v53, v59
	s_cbranch_execz .LBB87_149
	s_branch .LBB87_150
.LBB87_148:
                                        ; implicit-def: $vgpr52_vgpr53
.LBB87_149:
	ds_load_b64 v[52:53], v1
.LBB87_150:
	s_and_saveexec_b32 s15, s1
	s_cbranch_execz .LBB87_154
; %bb.151:
	v_add_nc_u32_e32 v54, -9, v0
	s_movk_i32 s16, 0x108
	s_mov_b32 s1, 0
.LBB87_152:                             ; =>This Inner Loop Header: Depth=1
	scratch_load_b64 v[56:57], off, s13
	v_dual_mov_b32 v55, s16 :: v_dual_add_nc_u32 v54, -1, v54
	s_add_co_i32 s16, s16, 8
	s_wait_xcnt 0x0
	s_add_co_i32 s13, s13, 8
	ds_load_b64 v[58:59], v55
	v_cmp_eq_u32_e32 vcc_lo, 0, v54
	s_or_b32 s1, vcc_lo, s1
	s_wait_loadcnt_dscnt 0x0
	v_pk_mul_f32 v[60:61], v[58:59], v[56:57] op_sel:[1,1] op_sel_hi:[0,1]
	s_delay_alu instid0(VALU_DEP_1) | instskip(SKIP_1) | instid1(VALU_DEP_2)
	v_pk_fma_f32 v[62:63], v[58:59], v[56:57], v[60:61] op_sel_hi:[1,0,1]
	v_pk_fma_f32 v[56:57], v[58:59], v[56:57], v[60:61] neg_lo:[0,0,1] neg_hi:[0,0,1]
	v_mov_b32_e32 v57, v63
	s_delay_alu instid0(VALU_DEP_1)
	v_pk_add_f32 v[52:53], v[52:53], v[56:57]
	s_and_not1_b32 exec_lo, exec_lo, s1
	s_cbranch_execnz .LBB87_152
; %bb.153:
	s_or_b32 exec_lo, exec_lo, s1
.LBB87_154:
	s_delay_alu instid0(SALU_CYCLE_1) | instskip(SKIP_4) | instid1(VALU_DEP_1)
	s_or_b32 exec_lo, exec_lo, s15
	v_mov_b32_e32 v54, 0
	ds_load_b64 v[54:55], v54 offset:64
	s_wait_dscnt 0x0
	v_pk_mul_f32 v[56:57], v[52:53], v[54:55] op_sel:[1,1] op_sel_hi:[0,1]
	v_pk_fma_f32 v[58:59], v[52:53], v[54:55], v[56:57] op_sel_hi:[1,0,1]
	v_pk_fma_f32 v[52:53], v[52:53], v[54:55], v[56:57] neg_lo:[0,0,1] neg_hi:[0,0,1]
	s_delay_alu instid0(VALU_DEP_2)
	v_mov_b32_e32 v53, v59
	scratch_store_b64 off, v[52:53], off offset:64
.LBB87_155:
	s_wait_xcnt 0x0
	s_or_b32 exec_lo, exec_lo, s14
	scratch_load_b64 v[52:53], off, off offset:56
	v_cmp_lt_u32_e64 s1, 7, v0
	s_wait_loadcnt 0x0
	ds_store_b64 v1, v[52:53]
	s_wait_storecnt_dscnt 0x0
	s_barrier_signal -1
	s_barrier_wait -1
	s_wait_xcnt 0x0
	s_and_saveexec_b32 s13, s1
	s_cbranch_execz .LBB87_165
; %bb.156:
	s_and_not1_b32 vcc_lo, exec_lo, s3
	s_cbranch_vccnz .LBB87_158
; %bb.157:
	scratch_load_b64 v[52:53], v51, off
	ds_load_b64 v[54:55], v1
	s_wait_loadcnt_dscnt 0x0
	v_pk_mul_f32 v[56:57], v[54:55], v[52:53] op_sel:[1,1] op_sel_hi:[0,1]
	s_delay_alu instid0(VALU_DEP_1) | instskip(SKIP_1) | instid1(VALU_DEP_2)
	v_pk_fma_f32 v[58:59], v[54:55], v[52:53], v[56:57] op_sel_hi:[1,0,1]
	v_pk_fma_f32 v[52:53], v[54:55], v[52:53], v[56:57] neg_lo:[0,0,1] neg_hi:[0,0,1]
	v_mov_b32_e32 v53, v59
	s_cbranch_execz .LBB87_159
	s_branch .LBB87_160
.LBB87_158:
                                        ; implicit-def: $vgpr52_vgpr53
.LBB87_159:
	ds_load_b64 v[52:53], v1
.LBB87_160:
	s_and_saveexec_b32 s14, s0
	s_cbranch_execz .LBB87_164
; %bb.161:
	v_add_nc_u32_e32 v54, -8, v0
	s_movk_i32 s15, 0x100
	s_mov_b32 s0, 0
.LBB87_162:                             ; =>This Inner Loop Header: Depth=1
	scratch_load_b64 v[56:57], off, s12
	v_dual_mov_b32 v55, s15 :: v_dual_add_nc_u32 v54, -1, v54
	s_add_co_i32 s15, s15, 8
	s_wait_xcnt 0x0
	s_add_co_i32 s12, s12, 8
	ds_load_b64 v[58:59], v55
	v_cmp_eq_u32_e32 vcc_lo, 0, v54
	s_or_b32 s0, vcc_lo, s0
	s_wait_loadcnt_dscnt 0x0
	v_pk_mul_f32 v[60:61], v[58:59], v[56:57] op_sel:[1,1] op_sel_hi:[0,1]
	s_delay_alu instid0(VALU_DEP_1) | instskip(SKIP_1) | instid1(VALU_DEP_2)
	v_pk_fma_f32 v[62:63], v[58:59], v[56:57], v[60:61] op_sel_hi:[1,0,1]
	v_pk_fma_f32 v[56:57], v[58:59], v[56:57], v[60:61] neg_lo:[0,0,1] neg_hi:[0,0,1]
	v_mov_b32_e32 v57, v63
	s_delay_alu instid0(VALU_DEP_1)
	v_pk_add_f32 v[52:53], v[52:53], v[56:57]
	s_and_not1_b32 exec_lo, exec_lo, s0
	s_cbranch_execnz .LBB87_162
; %bb.163:
	s_or_b32 exec_lo, exec_lo, s0
.LBB87_164:
	s_delay_alu instid0(SALU_CYCLE_1) | instskip(SKIP_4) | instid1(VALU_DEP_1)
	s_or_b32 exec_lo, exec_lo, s14
	v_mov_b32_e32 v54, 0
	ds_load_b64 v[54:55], v54 offset:56
	s_wait_dscnt 0x0
	v_pk_mul_f32 v[56:57], v[52:53], v[54:55] op_sel:[1,1] op_sel_hi:[0,1]
	v_pk_fma_f32 v[58:59], v[52:53], v[54:55], v[56:57] op_sel_hi:[1,0,1]
	v_pk_fma_f32 v[52:53], v[52:53], v[54:55], v[56:57] neg_lo:[0,0,1] neg_hi:[0,0,1]
	s_delay_alu instid0(VALU_DEP_2)
	v_mov_b32_e32 v53, v59
	scratch_store_b64 off, v[52:53], off offset:56
.LBB87_165:
	s_wait_xcnt 0x0
	s_or_b32 exec_lo, exec_lo, s13
	scratch_load_b64 v[52:53], off, off offset:48
	v_cmp_lt_u32_e64 s0, 6, v0
	s_wait_loadcnt 0x0
	ds_store_b64 v1, v[52:53]
	s_wait_storecnt_dscnt 0x0
	s_barrier_signal -1
	s_barrier_wait -1
	s_wait_xcnt 0x0
	s_and_saveexec_b32 s12, s0
	s_cbranch_execz .LBB87_175
; %bb.166:
	s_and_not1_b32 vcc_lo, exec_lo, s3
	s_cbranch_vccnz .LBB87_168
; %bb.167:
	scratch_load_b64 v[52:53], v51, off
	ds_load_b64 v[54:55], v1
	s_wait_loadcnt_dscnt 0x0
	v_pk_mul_f32 v[56:57], v[54:55], v[52:53] op_sel:[1,1] op_sel_hi:[0,1]
	s_delay_alu instid0(VALU_DEP_1) | instskip(SKIP_1) | instid1(VALU_DEP_2)
	v_pk_fma_f32 v[58:59], v[54:55], v[52:53], v[56:57] op_sel_hi:[1,0,1]
	v_pk_fma_f32 v[52:53], v[54:55], v[52:53], v[56:57] neg_lo:[0,0,1] neg_hi:[0,0,1]
	v_mov_b32_e32 v53, v59
	s_cbranch_execz .LBB87_169
	s_branch .LBB87_170
.LBB87_168:
                                        ; implicit-def: $vgpr52_vgpr53
.LBB87_169:
	ds_load_b64 v[52:53], v1
.LBB87_170:
	s_and_saveexec_b32 s13, s1
	s_cbranch_execz .LBB87_174
; %bb.171:
	v_add_nc_u32_e32 v54, -7, v0
	s_movk_i32 s14, 0xf8
	s_mov_b32 s1, 0
.LBB87_172:                             ; =>This Inner Loop Header: Depth=1
	scratch_load_b64 v[56:57], off, s11
	v_dual_mov_b32 v55, s14 :: v_dual_add_nc_u32 v54, -1, v54
	s_add_co_i32 s14, s14, 8
	s_wait_xcnt 0x0
	s_add_co_i32 s11, s11, 8
	ds_load_b64 v[58:59], v55
	v_cmp_eq_u32_e32 vcc_lo, 0, v54
	s_or_b32 s1, vcc_lo, s1
	s_wait_loadcnt_dscnt 0x0
	v_pk_mul_f32 v[60:61], v[58:59], v[56:57] op_sel:[1,1] op_sel_hi:[0,1]
	s_delay_alu instid0(VALU_DEP_1) | instskip(SKIP_1) | instid1(VALU_DEP_2)
	v_pk_fma_f32 v[62:63], v[58:59], v[56:57], v[60:61] op_sel_hi:[1,0,1]
	v_pk_fma_f32 v[56:57], v[58:59], v[56:57], v[60:61] neg_lo:[0,0,1] neg_hi:[0,0,1]
	v_mov_b32_e32 v57, v63
	s_delay_alu instid0(VALU_DEP_1)
	v_pk_add_f32 v[52:53], v[52:53], v[56:57]
	s_and_not1_b32 exec_lo, exec_lo, s1
	s_cbranch_execnz .LBB87_172
; %bb.173:
	s_or_b32 exec_lo, exec_lo, s1
.LBB87_174:
	s_delay_alu instid0(SALU_CYCLE_1) | instskip(SKIP_4) | instid1(VALU_DEP_1)
	s_or_b32 exec_lo, exec_lo, s13
	v_mov_b32_e32 v54, 0
	ds_load_b64 v[54:55], v54 offset:48
	s_wait_dscnt 0x0
	v_pk_mul_f32 v[56:57], v[52:53], v[54:55] op_sel:[1,1] op_sel_hi:[0,1]
	v_pk_fma_f32 v[58:59], v[52:53], v[54:55], v[56:57] op_sel_hi:[1,0,1]
	v_pk_fma_f32 v[52:53], v[52:53], v[54:55], v[56:57] neg_lo:[0,0,1] neg_hi:[0,0,1]
	s_delay_alu instid0(VALU_DEP_2)
	v_mov_b32_e32 v53, v59
	scratch_store_b64 off, v[52:53], off offset:48
.LBB87_175:
	s_wait_xcnt 0x0
	s_or_b32 exec_lo, exec_lo, s12
	scratch_load_b64 v[52:53], off, off offset:40
	v_cmp_lt_u32_e64 s1, 5, v0
	s_wait_loadcnt 0x0
	ds_store_b64 v1, v[52:53]
	s_wait_storecnt_dscnt 0x0
	s_barrier_signal -1
	s_barrier_wait -1
	s_wait_xcnt 0x0
	s_and_saveexec_b32 s11, s1
	s_cbranch_execz .LBB87_185
; %bb.176:
	s_and_not1_b32 vcc_lo, exec_lo, s3
	s_cbranch_vccnz .LBB87_178
; %bb.177:
	scratch_load_b64 v[52:53], v51, off
	ds_load_b64 v[54:55], v1
	s_wait_loadcnt_dscnt 0x0
	v_pk_mul_f32 v[56:57], v[54:55], v[52:53] op_sel:[1,1] op_sel_hi:[0,1]
	s_delay_alu instid0(VALU_DEP_1) | instskip(SKIP_1) | instid1(VALU_DEP_2)
	v_pk_fma_f32 v[58:59], v[54:55], v[52:53], v[56:57] op_sel_hi:[1,0,1]
	v_pk_fma_f32 v[52:53], v[54:55], v[52:53], v[56:57] neg_lo:[0,0,1] neg_hi:[0,0,1]
	v_mov_b32_e32 v53, v59
	s_cbranch_execz .LBB87_179
	s_branch .LBB87_180
.LBB87_178:
                                        ; implicit-def: $vgpr52_vgpr53
.LBB87_179:
	ds_load_b64 v[52:53], v1
.LBB87_180:
	s_and_saveexec_b32 s12, s0
	s_cbranch_execz .LBB87_184
; %bb.181:
	v_add_nc_u32_e32 v54, -6, v0
	s_movk_i32 s13, 0xf0
	s_mov_b32 s0, 0
.LBB87_182:                             ; =>This Inner Loop Header: Depth=1
	scratch_load_b64 v[56:57], off, s10
	v_dual_mov_b32 v55, s13 :: v_dual_add_nc_u32 v54, -1, v54
	s_add_co_i32 s13, s13, 8
	s_wait_xcnt 0x0
	s_add_co_i32 s10, s10, 8
	ds_load_b64 v[58:59], v55
	v_cmp_eq_u32_e32 vcc_lo, 0, v54
	s_or_b32 s0, vcc_lo, s0
	s_wait_loadcnt_dscnt 0x0
	v_pk_mul_f32 v[60:61], v[58:59], v[56:57] op_sel:[1,1] op_sel_hi:[0,1]
	s_delay_alu instid0(VALU_DEP_1) | instskip(SKIP_1) | instid1(VALU_DEP_2)
	v_pk_fma_f32 v[62:63], v[58:59], v[56:57], v[60:61] op_sel_hi:[1,0,1]
	v_pk_fma_f32 v[56:57], v[58:59], v[56:57], v[60:61] neg_lo:[0,0,1] neg_hi:[0,0,1]
	v_mov_b32_e32 v57, v63
	s_delay_alu instid0(VALU_DEP_1)
	v_pk_add_f32 v[52:53], v[52:53], v[56:57]
	s_and_not1_b32 exec_lo, exec_lo, s0
	s_cbranch_execnz .LBB87_182
; %bb.183:
	s_or_b32 exec_lo, exec_lo, s0
.LBB87_184:
	s_delay_alu instid0(SALU_CYCLE_1) | instskip(SKIP_4) | instid1(VALU_DEP_1)
	s_or_b32 exec_lo, exec_lo, s12
	v_mov_b32_e32 v54, 0
	ds_load_b64 v[54:55], v54 offset:40
	s_wait_dscnt 0x0
	v_pk_mul_f32 v[56:57], v[52:53], v[54:55] op_sel:[1,1] op_sel_hi:[0,1]
	v_pk_fma_f32 v[58:59], v[52:53], v[54:55], v[56:57] op_sel_hi:[1,0,1]
	v_pk_fma_f32 v[52:53], v[52:53], v[54:55], v[56:57] neg_lo:[0,0,1] neg_hi:[0,0,1]
	s_delay_alu instid0(VALU_DEP_2)
	v_mov_b32_e32 v53, v59
	scratch_store_b64 off, v[52:53], off offset:40
.LBB87_185:
	s_wait_xcnt 0x0
	s_or_b32 exec_lo, exec_lo, s11
	scratch_load_b64 v[52:53], off, off offset:32
	v_cmp_lt_u32_e64 s0, 4, v0
	s_wait_loadcnt 0x0
	ds_store_b64 v1, v[52:53]
	s_wait_storecnt_dscnt 0x0
	s_barrier_signal -1
	s_barrier_wait -1
	s_wait_xcnt 0x0
	s_and_saveexec_b32 s10, s0
	s_cbranch_execz .LBB87_195
; %bb.186:
	s_and_not1_b32 vcc_lo, exec_lo, s3
	s_cbranch_vccnz .LBB87_188
; %bb.187:
	scratch_load_b64 v[52:53], v51, off
	ds_load_b64 v[54:55], v1
	s_wait_loadcnt_dscnt 0x0
	v_pk_mul_f32 v[56:57], v[54:55], v[52:53] op_sel:[1,1] op_sel_hi:[0,1]
	s_delay_alu instid0(VALU_DEP_1) | instskip(SKIP_1) | instid1(VALU_DEP_2)
	v_pk_fma_f32 v[58:59], v[54:55], v[52:53], v[56:57] op_sel_hi:[1,0,1]
	v_pk_fma_f32 v[52:53], v[54:55], v[52:53], v[56:57] neg_lo:[0,0,1] neg_hi:[0,0,1]
	v_mov_b32_e32 v53, v59
	s_cbranch_execz .LBB87_189
	s_branch .LBB87_190
.LBB87_188:
                                        ; implicit-def: $vgpr52_vgpr53
.LBB87_189:
	ds_load_b64 v[52:53], v1
.LBB87_190:
	s_and_saveexec_b32 s11, s1
	s_cbranch_execz .LBB87_194
; %bb.191:
	v_add_nc_u32_e32 v54, -5, v0
	s_movk_i32 s12, 0xe8
	s_mov_b32 s1, 0
.LBB87_192:                             ; =>This Inner Loop Header: Depth=1
	scratch_load_b64 v[56:57], off, s9
	v_dual_mov_b32 v55, s12 :: v_dual_add_nc_u32 v54, -1, v54
	s_add_co_i32 s12, s12, 8
	s_wait_xcnt 0x0
	s_add_co_i32 s9, s9, 8
	ds_load_b64 v[58:59], v55
	v_cmp_eq_u32_e32 vcc_lo, 0, v54
	s_or_b32 s1, vcc_lo, s1
	s_wait_loadcnt_dscnt 0x0
	v_pk_mul_f32 v[60:61], v[58:59], v[56:57] op_sel:[1,1] op_sel_hi:[0,1]
	s_delay_alu instid0(VALU_DEP_1) | instskip(SKIP_1) | instid1(VALU_DEP_2)
	v_pk_fma_f32 v[62:63], v[58:59], v[56:57], v[60:61] op_sel_hi:[1,0,1]
	v_pk_fma_f32 v[56:57], v[58:59], v[56:57], v[60:61] neg_lo:[0,0,1] neg_hi:[0,0,1]
	v_mov_b32_e32 v57, v63
	s_delay_alu instid0(VALU_DEP_1)
	v_pk_add_f32 v[52:53], v[52:53], v[56:57]
	s_and_not1_b32 exec_lo, exec_lo, s1
	s_cbranch_execnz .LBB87_192
; %bb.193:
	s_or_b32 exec_lo, exec_lo, s1
.LBB87_194:
	s_delay_alu instid0(SALU_CYCLE_1) | instskip(SKIP_4) | instid1(VALU_DEP_1)
	s_or_b32 exec_lo, exec_lo, s11
	v_mov_b32_e32 v54, 0
	ds_load_b64 v[54:55], v54 offset:32
	s_wait_dscnt 0x0
	v_pk_mul_f32 v[56:57], v[52:53], v[54:55] op_sel:[1,1] op_sel_hi:[0,1]
	v_pk_fma_f32 v[58:59], v[52:53], v[54:55], v[56:57] op_sel_hi:[1,0,1]
	v_pk_fma_f32 v[52:53], v[52:53], v[54:55], v[56:57] neg_lo:[0,0,1] neg_hi:[0,0,1]
	s_delay_alu instid0(VALU_DEP_2)
	v_mov_b32_e32 v53, v59
	scratch_store_b64 off, v[52:53], off offset:32
.LBB87_195:
	s_wait_xcnt 0x0
	s_or_b32 exec_lo, exec_lo, s10
	scratch_load_b64 v[52:53], off, off offset:24
	v_cmp_lt_u32_e64 s1, 3, v0
	s_wait_loadcnt 0x0
	ds_store_b64 v1, v[52:53]
	s_wait_storecnt_dscnt 0x0
	s_barrier_signal -1
	s_barrier_wait -1
	s_wait_xcnt 0x0
	s_and_saveexec_b32 s9, s1
	s_cbranch_execz .LBB87_205
; %bb.196:
	s_and_not1_b32 vcc_lo, exec_lo, s3
	s_cbranch_vccnz .LBB87_198
; %bb.197:
	scratch_load_b64 v[52:53], v51, off
	ds_load_b64 v[54:55], v1
	s_wait_loadcnt_dscnt 0x0
	v_pk_mul_f32 v[56:57], v[54:55], v[52:53] op_sel:[1,1] op_sel_hi:[0,1]
	s_delay_alu instid0(VALU_DEP_1) | instskip(SKIP_1) | instid1(VALU_DEP_2)
	v_pk_fma_f32 v[58:59], v[54:55], v[52:53], v[56:57] op_sel_hi:[1,0,1]
	v_pk_fma_f32 v[52:53], v[54:55], v[52:53], v[56:57] neg_lo:[0,0,1] neg_hi:[0,0,1]
	v_mov_b32_e32 v53, v59
	s_cbranch_execz .LBB87_199
	s_branch .LBB87_200
.LBB87_198:
                                        ; implicit-def: $vgpr52_vgpr53
.LBB87_199:
	ds_load_b64 v[52:53], v1
.LBB87_200:
	s_and_saveexec_b32 s10, s0
	s_cbranch_execz .LBB87_204
; %bb.201:
	v_add_nc_u32_e32 v54, -4, v0
	s_movk_i32 s11, 0xe0
	s_mov_b32 s0, 0
.LBB87_202:                             ; =>This Inner Loop Header: Depth=1
	scratch_load_b64 v[56:57], off, s2
	v_dual_mov_b32 v55, s11 :: v_dual_add_nc_u32 v54, -1, v54
	s_add_co_i32 s11, s11, 8
	s_wait_xcnt 0x0
	s_add_co_i32 s2, s2, 8
	ds_load_b64 v[58:59], v55
	v_cmp_eq_u32_e32 vcc_lo, 0, v54
	s_or_b32 s0, vcc_lo, s0
	s_wait_loadcnt_dscnt 0x0
	v_pk_mul_f32 v[60:61], v[58:59], v[56:57] op_sel:[1,1] op_sel_hi:[0,1]
	s_delay_alu instid0(VALU_DEP_1) | instskip(SKIP_1) | instid1(VALU_DEP_2)
	v_pk_fma_f32 v[62:63], v[58:59], v[56:57], v[60:61] op_sel_hi:[1,0,1]
	v_pk_fma_f32 v[56:57], v[58:59], v[56:57], v[60:61] neg_lo:[0,0,1] neg_hi:[0,0,1]
	v_mov_b32_e32 v57, v63
	s_delay_alu instid0(VALU_DEP_1)
	v_pk_add_f32 v[52:53], v[52:53], v[56:57]
	s_and_not1_b32 exec_lo, exec_lo, s0
	s_cbranch_execnz .LBB87_202
; %bb.203:
	s_or_b32 exec_lo, exec_lo, s0
.LBB87_204:
	s_delay_alu instid0(SALU_CYCLE_1) | instskip(SKIP_4) | instid1(VALU_DEP_1)
	s_or_b32 exec_lo, exec_lo, s10
	v_mov_b32_e32 v54, 0
	ds_load_b64 v[54:55], v54 offset:24
	s_wait_dscnt 0x0
	v_pk_mul_f32 v[56:57], v[52:53], v[54:55] op_sel:[1,1] op_sel_hi:[0,1]
	v_pk_fma_f32 v[58:59], v[52:53], v[54:55], v[56:57] op_sel_hi:[1,0,1]
	v_pk_fma_f32 v[52:53], v[52:53], v[54:55], v[56:57] neg_lo:[0,0,1] neg_hi:[0,0,1]
	s_delay_alu instid0(VALU_DEP_2)
	v_mov_b32_e32 v53, v59
	scratch_store_b64 off, v[52:53], off offset:24
.LBB87_205:
	s_wait_xcnt 0x0
	s_or_b32 exec_lo, exec_lo, s9
	scratch_load_b64 v[52:53], off, off offset:16
	v_cmp_lt_u32_e64 s2, 2, v0
	s_wait_loadcnt 0x0
	ds_store_b64 v1, v[52:53]
	s_wait_storecnt_dscnt 0x0
	s_barrier_signal -1
	s_barrier_wait -1
	s_wait_xcnt 0x0
	s_and_saveexec_b32 s0, s2
	s_cbranch_execz .LBB87_215
; %bb.206:
	s_and_not1_b32 vcc_lo, exec_lo, s3
	s_cbranch_vccnz .LBB87_208
; %bb.207:
	scratch_load_b64 v[52:53], v51, off
	ds_load_b64 v[54:55], v1
	s_wait_loadcnt_dscnt 0x0
	v_pk_mul_f32 v[56:57], v[54:55], v[52:53] op_sel:[1,1] op_sel_hi:[0,1]
	s_delay_alu instid0(VALU_DEP_1) | instskip(SKIP_1) | instid1(VALU_DEP_2)
	v_pk_fma_f32 v[58:59], v[54:55], v[52:53], v[56:57] op_sel_hi:[1,0,1]
	v_pk_fma_f32 v[52:53], v[54:55], v[52:53], v[56:57] neg_lo:[0,0,1] neg_hi:[0,0,1]
	v_mov_b32_e32 v53, v59
	s_cbranch_execz .LBB87_209
	s_branch .LBB87_210
.LBB87_208:
                                        ; implicit-def: $vgpr52_vgpr53
.LBB87_209:
	ds_load_b64 v[52:53], v1
.LBB87_210:
	s_and_saveexec_b32 s9, s1
	s_cbranch_execz .LBB87_214
; %bb.211:
	v_add_nc_u32_e32 v54, -3, v0
	s_movk_i32 s10, 0xd8
	s_mov_b32 s1, 0
.LBB87_212:                             ; =>This Inner Loop Header: Depth=1
	scratch_load_b64 v[56:57], off, s8
	v_dual_mov_b32 v55, s10 :: v_dual_add_nc_u32 v54, -1, v54
	s_add_co_i32 s10, s10, 8
	s_wait_xcnt 0x0
	s_add_co_i32 s8, s8, 8
	ds_load_b64 v[58:59], v55
	v_cmp_eq_u32_e32 vcc_lo, 0, v54
	s_or_b32 s1, vcc_lo, s1
	s_wait_loadcnt_dscnt 0x0
	v_pk_mul_f32 v[60:61], v[58:59], v[56:57] op_sel:[1,1] op_sel_hi:[0,1]
	s_delay_alu instid0(VALU_DEP_1) | instskip(SKIP_1) | instid1(VALU_DEP_2)
	v_pk_fma_f32 v[62:63], v[58:59], v[56:57], v[60:61] op_sel_hi:[1,0,1]
	v_pk_fma_f32 v[56:57], v[58:59], v[56:57], v[60:61] neg_lo:[0,0,1] neg_hi:[0,0,1]
	v_mov_b32_e32 v57, v63
	s_delay_alu instid0(VALU_DEP_1)
	v_pk_add_f32 v[52:53], v[52:53], v[56:57]
	s_and_not1_b32 exec_lo, exec_lo, s1
	s_cbranch_execnz .LBB87_212
; %bb.213:
	s_or_b32 exec_lo, exec_lo, s1
.LBB87_214:
	s_delay_alu instid0(SALU_CYCLE_1) | instskip(SKIP_4) | instid1(VALU_DEP_1)
	s_or_b32 exec_lo, exec_lo, s9
	v_mov_b32_e32 v54, 0
	ds_load_b64 v[54:55], v54 offset:16
	s_wait_dscnt 0x0
	v_pk_mul_f32 v[56:57], v[52:53], v[54:55] op_sel:[1,1] op_sel_hi:[0,1]
	v_pk_fma_f32 v[58:59], v[52:53], v[54:55], v[56:57] op_sel_hi:[1,0,1]
	v_pk_fma_f32 v[52:53], v[52:53], v[54:55], v[56:57] neg_lo:[0,0,1] neg_hi:[0,0,1]
	s_delay_alu instid0(VALU_DEP_2)
	v_mov_b32_e32 v53, v59
	scratch_store_b64 off, v[52:53], off offset:16
.LBB87_215:
	s_wait_xcnt 0x0
	s_or_b32 exec_lo, exec_lo, s0
	scratch_load_b64 v[52:53], off, off offset:8
	v_cmp_lt_u32_e64 s0, 1, v0
	s_wait_loadcnt 0x0
	ds_store_b64 v1, v[52:53]
	s_wait_storecnt_dscnt 0x0
	s_barrier_signal -1
	s_barrier_wait -1
	s_wait_xcnt 0x0
	s_and_saveexec_b32 s1, s0
	s_cbranch_execz .LBB87_225
; %bb.216:
	s_and_not1_b32 vcc_lo, exec_lo, s3
	s_cbranch_vccnz .LBB87_218
; %bb.217:
	scratch_load_b64 v[52:53], v51, off
	ds_load_b64 v[54:55], v1
	s_wait_loadcnt_dscnt 0x0
	v_pk_mul_f32 v[56:57], v[54:55], v[52:53] op_sel:[1,1] op_sel_hi:[0,1]
	s_delay_alu instid0(VALU_DEP_1) | instskip(SKIP_1) | instid1(VALU_DEP_2)
	v_pk_fma_f32 v[58:59], v[54:55], v[52:53], v[56:57] op_sel_hi:[1,0,1]
	v_pk_fma_f32 v[52:53], v[54:55], v[52:53], v[56:57] neg_lo:[0,0,1] neg_hi:[0,0,1]
	v_mov_b32_e32 v53, v59
	s_cbranch_execz .LBB87_219
	s_branch .LBB87_220
.LBB87_218:
                                        ; implicit-def: $vgpr52_vgpr53
.LBB87_219:
	ds_load_b64 v[52:53], v1
.LBB87_220:
	s_and_saveexec_b32 s8, s2
	s_cbranch_execz .LBB87_224
; %bb.221:
	v_add_nc_u32_e32 v54, -2, v0
	s_movk_i32 s9, 0xd0
	s_mov_b32 s2, 0
.LBB87_222:                             ; =>This Inner Loop Header: Depth=1
	scratch_load_b64 v[56:57], off, s5
	v_dual_mov_b32 v55, s9 :: v_dual_add_nc_u32 v54, -1, v54
	s_add_co_i32 s9, s9, 8
	s_wait_xcnt 0x0
	s_add_co_i32 s5, s5, 8
	ds_load_b64 v[58:59], v55
	v_cmp_eq_u32_e32 vcc_lo, 0, v54
	s_or_b32 s2, vcc_lo, s2
	s_wait_loadcnt_dscnt 0x0
	v_pk_mul_f32 v[60:61], v[58:59], v[56:57] op_sel:[1,1] op_sel_hi:[0,1]
	s_delay_alu instid0(VALU_DEP_1) | instskip(SKIP_1) | instid1(VALU_DEP_2)
	v_pk_fma_f32 v[62:63], v[58:59], v[56:57], v[60:61] op_sel_hi:[1,0,1]
	v_pk_fma_f32 v[56:57], v[58:59], v[56:57], v[60:61] neg_lo:[0,0,1] neg_hi:[0,0,1]
	v_mov_b32_e32 v57, v63
	s_delay_alu instid0(VALU_DEP_1)
	v_pk_add_f32 v[52:53], v[52:53], v[56:57]
	s_and_not1_b32 exec_lo, exec_lo, s2
	s_cbranch_execnz .LBB87_222
; %bb.223:
	s_or_b32 exec_lo, exec_lo, s2
.LBB87_224:
	s_delay_alu instid0(SALU_CYCLE_1) | instskip(SKIP_4) | instid1(VALU_DEP_1)
	s_or_b32 exec_lo, exec_lo, s8
	v_mov_b32_e32 v54, 0
	ds_load_b64 v[54:55], v54 offset:8
	s_wait_dscnt 0x0
	v_pk_mul_f32 v[56:57], v[52:53], v[54:55] op_sel:[1,1] op_sel_hi:[0,1]
	v_pk_fma_f32 v[58:59], v[52:53], v[54:55], v[56:57] op_sel_hi:[1,0,1]
	v_pk_fma_f32 v[52:53], v[52:53], v[54:55], v[56:57] neg_lo:[0,0,1] neg_hi:[0,0,1]
	s_delay_alu instid0(VALU_DEP_2)
	v_mov_b32_e32 v53, v59
	scratch_store_b64 off, v[52:53], off offset:8
.LBB87_225:
	s_wait_xcnt 0x0
	s_or_b32 exec_lo, exec_lo, s1
	scratch_load_b64 v[52:53], off, off
	s_mov_b32 s2, 0
	s_mov_b32 s1, 0
	s_mov_b32 s8, exec_lo
                                        ; implicit-def: $vgpr70
                                        ; implicit-def: $sgpr5
	s_wait_loadcnt 0x0
	ds_store_b64 v1, v[52:53]
	s_wait_storecnt_dscnt 0x0
	s_barrier_signal -1
	s_barrier_wait -1
	s_wait_xcnt 0x0
	v_cmpx_ne_u32_e32 0, v0
	s_cbranch_execz .LBB87_235
; %bb.226:
	s_and_not1_b32 vcc_lo, exec_lo, s3
	s_cbranch_vccnz .LBB87_228
; %bb.227:
	scratch_load_b64 v[54:55], v51, off
	ds_load_b64 v[56:57], v1
	s_wait_loadcnt_dscnt 0x0
	v_dual_mul_f32 v52, v57, v55 :: v_dual_mul_f32 v53, v56, v55
	s_delay_alu instid0(VALU_DEP_1)
	v_dual_fma_f32 v52, v56, v54, -v52 :: v_dual_fmac_f32 v53, v57, v54
	s_and_not1_b32 vcc_lo, exec_lo, s1
	s_cbranch_vccz .LBB87_229
	s_branch .LBB87_230
.LBB87_228:
                                        ; implicit-def: $vgpr52
.LBB87_229:
	ds_load_b64 v[52:53], v1
.LBB87_230:
	s_and_saveexec_b32 s1, s0
	s_cbranch_execz .LBB87_234
; %bb.231:
	v_add_nc_u32_e32 v54, -1, v0
	s_movk_i32 s5, 0xc8
	s_mov_b32 s0, 0
.LBB87_232:                             ; =>This Inner Loop Header: Depth=1
	scratch_load_b64 v[56:57], off, s4
	v_mov_b32_e32 v55, s5
	s_add_co_i32 s5, s5, 8
	s_wait_xcnt 0x0
	s_add_co_i32 s4, s4, 8
	v_add_nc_u32_e32 v54, -1, v54
	ds_load_b64 v[58:59], v55
	v_cmp_eq_u32_e32 vcc_lo, 0, v54
	s_or_b32 s0, vcc_lo, s0
	s_wait_loadcnt_dscnt 0x0
	v_dual_mul_f32 v55, v59, v57 :: v_dual_mul_f32 v57, v58, v57
	s_delay_alu instid0(VALU_DEP_1) | instskip(NEXT) | instid1(VALU_DEP_1)
	v_dual_fma_f32 v55, v58, v56, -v55 :: v_dual_fmac_f32 v57, v59, v56
	v_dual_add_f32 v52, v52, v55 :: v_dual_add_f32 v53, v53, v57
	s_and_not1_b32 exec_lo, exec_lo, s0
	s_cbranch_execnz .LBB87_232
; %bb.233:
	s_or_b32 exec_lo, exec_lo, s0
.LBB87_234:
	s_delay_alu instid0(SALU_CYCLE_1)
	s_or_b32 exec_lo, exec_lo, s1
	v_mov_b32_e32 v54, 0
	s_mov_b32 s1, exec_lo
	s_or_b32 s5, 0, 4
	ds_load_b64 v[54:55], v54
	s_wait_dscnt 0x0
	v_dual_mul_f32 v56, v53, v55 :: v_dual_mul_f32 v70, v52, v55
	s_delay_alu instid0(VALU_DEP_1)
	v_dual_fma_f32 v52, v52, v54, -v56 :: v_dual_fmac_f32 v70, v53, v54
	scratch_store_b32 off, v52, off
.LBB87_235:
	s_wait_xcnt 0x0
	s_or_b32 exec_lo, exec_lo, s8
	s_delay_alu instid0(SALU_CYCLE_1)
	s_and_b32 vcc_lo, exec_lo, s2
	s_cbranch_vccz .LBB87_461
.LBB87_236:
	scratch_load_b64 v[52:53], off, off offset:8
	v_cmp_eq_u32_e64 s0, 0, v0
	s_wait_loadcnt 0x0
	ds_store_b64 v1, v[52:53]
	s_wait_storecnt_dscnt 0x0
	s_barrier_signal -1
	s_barrier_wait -1
	s_wait_xcnt 0x0
	s_and_saveexec_b32 s2, s0
	s_cbranch_execz .LBB87_242
; %bb.237:
	s_and_b32 vcc_lo, exec_lo, s3
	s_cbranch_vccz .LBB87_239
; %bb.238:
	scratch_load_b64 v[52:53], v51, off
	ds_load_b64 v[54:55], v1
	s_wait_loadcnt_dscnt 0x0
	v_pk_mul_f32 v[56:57], v[54:55], v[52:53] op_sel:[1,1] op_sel_hi:[0,1]
	v_pk_mul_f32 v[58:59], v[54:55], v[52:53] op_sel_hi:[1,0]
	s_delay_alu instid0(VALU_DEP_2) | instskip(NEXT) | instid1(VALU_DEP_2)
	v_pk_fma_f32 v[52:53], v[54:55], v[52:53], v[56:57] op_sel_hi:[1,0,1]
	v_sub_f32_e32 v52, v58, v56
	s_cbranch_execz .LBB87_240
	s_branch .LBB87_241
.LBB87_239:
                                        ; implicit-def: $vgpr53
.LBB87_240:
	ds_load_b64 v[52:53], v1
.LBB87_241:
	s_wait_dscnt 0x0
	v_dual_mov_b32 v54, 0 :: v_dual_mov_b32 v56, v53
	v_mov_b32_e32 v57, v52
	ds_load_b64 v[54:55], v54 offset:8
	s_wait_dscnt 0x0
	v_pk_mul_f32 v[56:57], v[56:57], v[54:55] op_sel:[0,1]
	s_delay_alu instid0(VALU_DEP_1) | instskip(SKIP_1) | instid1(VALU_DEP_2)
	v_pk_fma_f32 v[58:59], v[52:53], v[54:55], v[56:57] op_sel_hi:[1,0,1]
	v_pk_fma_f32 v[52:53], v[52:53], v[54:55], v[56:57] neg_lo:[0,0,1] neg_hi:[0,0,1]
	v_mov_b32_e32 v53, v59
	scratch_store_b64 off, v[52:53], off offset:8
.LBB87_242:
	s_wait_xcnt 0x0
	s_or_b32 exec_lo, exec_lo, s2
	scratch_load_b64 v[52:53], off, off offset:16
	v_cndmask_b32_e64 v54, 0, 1, s3
	s_mov_b32 s2, exec_lo
	s_wait_loadcnt 0x0
	ds_store_b64 v1, v[52:53]
	s_wait_storecnt_dscnt 0x0
	s_barrier_signal -1
	s_barrier_wait -1
	s_wait_xcnt 0x0
	v_cmpx_gt_u32_e32 2, v0
	s_cbranch_execz .LBB87_250
; %bb.243:
	s_and_not1_b32 vcc_lo, exec_lo, s3
	s_cbranch_vccnz .LBB87_245
; %bb.244:
	scratch_load_b64 v[52:53], v51, off
	ds_load_b64 v[56:57], v1
	s_wait_loadcnt_dscnt 0x0
	v_pk_mul_f32 v[58:59], v[56:57], v[52:53] op_sel:[1,1] op_sel_hi:[0,1]
	s_delay_alu instid0(VALU_DEP_1) | instskip(SKIP_1) | instid1(VALU_DEP_2)
	v_pk_fma_f32 v[60:61], v[56:57], v[52:53], v[58:59] op_sel_hi:[1,0,1]
	v_pk_fma_f32 v[52:53], v[56:57], v[52:53], v[58:59] neg_lo:[0,0,1] neg_hi:[0,0,1]
	v_mov_b32_e32 v53, v61
	s_cbranch_execz .LBB87_246
	s_branch .LBB87_247
.LBB87_245:
                                        ; implicit-def: $vgpr52_vgpr53
.LBB87_246:
	ds_load_b64 v[52:53], v1
.LBB87_247:
	s_and_saveexec_b32 s3, s0
	s_cbranch_execz .LBB87_249
; %bb.248:
	scratch_load_b64 v[56:57], off, off offset:8
	v_mov_b32_e32 v55, 0
	ds_load_b64 v[58:59], v55 offset:200
	s_wait_loadcnt_dscnt 0x0
	v_pk_mul_f32 v[60:61], v[58:59], v[56:57] op_sel:[1,1] op_sel_hi:[0,1]
	s_delay_alu instid0(VALU_DEP_1) | instskip(SKIP_1) | instid1(VALU_DEP_2)
	v_pk_fma_f32 v[62:63], v[58:59], v[56:57], v[60:61] op_sel_hi:[1,0,1]
	v_pk_fma_f32 v[56:57], v[58:59], v[56:57], v[60:61] neg_lo:[0,0,1] neg_hi:[0,0,1]
	v_mov_b32_e32 v57, v63
	s_delay_alu instid0(VALU_DEP_1)
	v_pk_add_f32 v[52:53], v[52:53], v[56:57]
.LBB87_249:
	s_or_b32 exec_lo, exec_lo, s3
	v_mov_b32_e32 v55, 0
	ds_load_b64 v[56:57], v55 offset:16
	s_wait_dscnt 0x0
	v_pk_mul_f32 v[58:59], v[52:53], v[56:57] op_sel:[1,1] op_sel_hi:[0,1]
	s_delay_alu instid0(VALU_DEP_1) | instskip(SKIP_1) | instid1(VALU_DEP_2)
	v_pk_fma_f32 v[60:61], v[52:53], v[56:57], v[58:59] op_sel_hi:[1,0,1]
	v_pk_fma_f32 v[52:53], v[52:53], v[56:57], v[58:59] neg_lo:[0,0,1] neg_hi:[0,0,1]
	v_mov_b32_e32 v53, v61
	scratch_store_b64 off, v[52:53], off offset:16
.LBB87_250:
	s_wait_xcnt 0x0
	s_or_b32 exec_lo, exec_lo, s2
	scratch_load_b64 v[52:53], off, off offset:24
	s_mov_b32 s2, exec_lo
	s_wait_loadcnt 0x0
	ds_store_b64 v1, v[52:53]
	s_wait_storecnt_dscnt 0x0
	s_barrier_signal -1
	s_barrier_wait -1
	s_wait_xcnt 0x0
	v_cmpx_gt_u32_e32 3, v0
	s_cbranch_execz .LBB87_260
; %bb.251:
	v_cmp_ne_u32_e32 vcc_lo, 1, v54
	s_cbranch_vccnz .LBB87_253
; %bb.252:
	scratch_load_b64 v[52:53], v51, off
	ds_load_b64 v[56:57], v1
	s_wait_loadcnt_dscnt 0x0
	v_pk_mul_f32 v[58:59], v[56:57], v[52:53] op_sel:[1,1] op_sel_hi:[0,1]
	s_delay_alu instid0(VALU_DEP_1) | instskip(SKIP_1) | instid1(VALU_DEP_2)
	v_pk_fma_f32 v[60:61], v[56:57], v[52:53], v[58:59] op_sel_hi:[1,0,1]
	v_pk_fma_f32 v[52:53], v[56:57], v[52:53], v[58:59] neg_lo:[0,0,1] neg_hi:[0,0,1]
	v_mov_b32_e32 v53, v61
	s_cbranch_execz .LBB87_254
	s_branch .LBB87_255
.LBB87_253:
                                        ; implicit-def: $vgpr52_vgpr53
.LBB87_254:
	ds_load_b64 v[52:53], v1
.LBB87_255:
	s_mov_b32 s3, exec_lo
	v_cmpx_ne_u32_e32 2, v0
	s_cbranch_execz .LBB87_259
; %bb.256:
	scratch_load_b64 v[56:57], v51, off offset:8
	ds_load_b64 v[58:59], v1 offset:8
	s_wait_loadcnt_dscnt 0x0
	v_pk_mul_f32 v[60:61], v[58:59], v[56:57] op_sel:[1,1] op_sel_hi:[0,1]
	s_delay_alu instid0(VALU_DEP_1) | instskip(SKIP_1) | instid1(VALU_DEP_2)
	v_pk_fma_f32 v[62:63], v[58:59], v[56:57], v[60:61] op_sel_hi:[1,0,1]
	v_pk_fma_f32 v[56:57], v[58:59], v[56:57], v[60:61] neg_lo:[0,0,1] neg_hi:[0,0,1]
	v_mov_b32_e32 v57, v63
	s_delay_alu instid0(VALU_DEP_1)
	v_pk_add_f32 v[52:53], v[52:53], v[56:57]
	s_and_saveexec_b32 s4, s0
	s_cbranch_execz .LBB87_258
; %bb.257:
	scratch_load_b64 v[56:57], off, off offset:16
	v_mov_b32_e32 v55, 0
	ds_load_b64 v[58:59], v55 offset:208
	s_wait_loadcnt_dscnt 0x0
	v_pk_mul_f32 v[60:61], v[58:59], v[56:57] op_sel:[1,1] op_sel_hi:[0,1]
	s_delay_alu instid0(VALU_DEP_1) | instskip(SKIP_1) | instid1(VALU_DEP_2)
	v_pk_fma_f32 v[62:63], v[58:59], v[56:57], v[60:61] op_sel_hi:[1,0,1]
	v_pk_fma_f32 v[56:57], v[58:59], v[56:57], v[60:61] neg_lo:[0,0,1] neg_hi:[0,0,1]
	v_mov_b32_e32 v57, v63
	s_delay_alu instid0(VALU_DEP_1)
	v_pk_add_f32 v[52:53], v[52:53], v[56:57]
.LBB87_258:
	s_or_b32 exec_lo, exec_lo, s4
.LBB87_259:
	s_delay_alu instid0(SALU_CYCLE_1) | instskip(SKIP_4) | instid1(VALU_DEP_1)
	s_or_b32 exec_lo, exec_lo, s3
	v_mov_b32_e32 v55, 0
	ds_load_b64 v[56:57], v55 offset:24
	s_wait_dscnt 0x0
	v_pk_mul_f32 v[58:59], v[52:53], v[56:57] op_sel:[1,1] op_sel_hi:[0,1]
	v_pk_fma_f32 v[60:61], v[52:53], v[56:57], v[58:59] op_sel_hi:[1,0,1]
	v_pk_fma_f32 v[52:53], v[52:53], v[56:57], v[58:59] neg_lo:[0,0,1] neg_hi:[0,0,1]
	s_delay_alu instid0(VALU_DEP_2)
	v_mov_b32_e32 v53, v61
	scratch_store_b64 off, v[52:53], off offset:24
.LBB87_260:
	s_wait_xcnt 0x0
	s_or_b32 exec_lo, exec_lo, s2
	scratch_load_b64 v[52:53], off, off offset:32
	s_mov_b32 s0, exec_lo
	s_wait_loadcnt 0x0
	ds_store_b64 v1, v[52:53]
	s_wait_storecnt_dscnt 0x0
	s_barrier_signal -1
	s_barrier_wait -1
	s_wait_xcnt 0x0
	v_cmpx_gt_u32_e32 4, v0
	s_cbranch_execz .LBB87_270
; %bb.261:
	v_cmp_ne_u32_e32 vcc_lo, 1, v54
	s_cbranch_vccnz .LBB87_263
; %bb.262:
	scratch_load_b64 v[52:53], v51, off
	ds_load_b64 v[56:57], v1
	s_wait_loadcnt_dscnt 0x0
	v_pk_mul_f32 v[58:59], v[56:57], v[52:53] op_sel:[1,1] op_sel_hi:[0,1]
	s_delay_alu instid0(VALU_DEP_1) | instskip(SKIP_1) | instid1(VALU_DEP_2)
	v_pk_fma_f32 v[60:61], v[56:57], v[52:53], v[58:59] op_sel_hi:[1,0,1]
	v_pk_fma_f32 v[52:53], v[56:57], v[52:53], v[58:59] neg_lo:[0,0,1] neg_hi:[0,0,1]
	v_mov_b32_e32 v53, v61
	s_cbranch_execz .LBB87_264
	s_branch .LBB87_265
.LBB87_263:
                                        ; implicit-def: $vgpr52_vgpr53
.LBB87_264:
	ds_load_b64 v[52:53], v1
.LBB87_265:
	s_mov_b32 s2, exec_lo
	v_cmpx_ne_u32_e32 3, v0
	s_cbranch_execz .LBB87_269
; %bb.266:
	v_add_nc_u32_e32 v55, 0xc8, v50
	v_add3_u32 v56, 0, v50, 8
	v_mov_b32_e32 v57, v0
	s_mov_b32 s3, 0
.LBB87_267:                             ; =>This Inner Loop Header: Depth=1
	scratch_load_b64 v[58:59], v56, off
	ds_load_b64 v[60:61], v55
	s_wait_xcnt 0x0
	v_dual_add_nc_u32 v55, 8, v55 :: v_dual_add_nc_u32 v56, 8, v56
	s_wait_loadcnt_dscnt 0x0
	v_pk_mul_f32 v[62:63], v[60:61], v[58:59] op_sel:[1,1] op_sel_hi:[0,1]
	s_delay_alu instid0(VALU_DEP_1) | instskip(SKIP_2) | instid1(VALU_DEP_3)
	v_pk_fma_f32 v[64:65], v[60:61], v[58:59], v[62:63] op_sel_hi:[1,0,1]
	v_add_nc_u32_e32 v57, 1, v57
	v_pk_fma_f32 v[58:59], v[60:61], v[58:59], v[62:63] neg_lo:[0,0,1] neg_hi:[0,0,1]
	v_mov_b32_e32 v59, v65
	s_delay_alu instid0(VALU_DEP_3) | instskip(NEXT) | instid1(VALU_DEP_2)
	v_cmp_lt_u32_e32 vcc_lo, 2, v57
	v_pk_add_f32 v[52:53], v[52:53], v[58:59]
	s_or_b32 s3, vcc_lo, s3
	s_delay_alu instid0(SALU_CYCLE_1)
	s_and_not1_b32 exec_lo, exec_lo, s3
	s_cbranch_execnz .LBB87_267
; %bb.268:
	s_or_b32 exec_lo, exec_lo, s3
.LBB87_269:
	s_delay_alu instid0(SALU_CYCLE_1) | instskip(SKIP_4) | instid1(VALU_DEP_1)
	s_or_b32 exec_lo, exec_lo, s2
	v_mov_b32_e32 v55, 0
	ds_load_b64 v[56:57], v55 offset:32
	s_wait_dscnt 0x0
	v_pk_mul_f32 v[58:59], v[52:53], v[56:57] op_sel:[1,1] op_sel_hi:[0,1]
	v_pk_fma_f32 v[60:61], v[52:53], v[56:57], v[58:59] op_sel_hi:[1,0,1]
	v_pk_fma_f32 v[52:53], v[52:53], v[56:57], v[58:59] neg_lo:[0,0,1] neg_hi:[0,0,1]
	s_delay_alu instid0(VALU_DEP_2)
	v_mov_b32_e32 v53, v61
	scratch_store_b64 off, v[52:53], off offset:32
.LBB87_270:
	s_wait_xcnt 0x0
	s_or_b32 exec_lo, exec_lo, s0
	scratch_load_b64 v[52:53], off, off offset:40
	s_mov_b32 s0, exec_lo
	s_wait_loadcnt 0x0
	ds_store_b64 v1, v[52:53]
	s_wait_storecnt_dscnt 0x0
	s_barrier_signal -1
	s_barrier_wait -1
	s_wait_xcnt 0x0
	v_cmpx_gt_u32_e32 5, v0
	s_cbranch_execz .LBB87_280
; %bb.271:
	v_cmp_ne_u32_e32 vcc_lo, 1, v54
	s_cbranch_vccnz .LBB87_273
; %bb.272:
	scratch_load_b64 v[52:53], v51, off
	ds_load_b64 v[56:57], v1
	s_wait_loadcnt_dscnt 0x0
	v_pk_mul_f32 v[58:59], v[56:57], v[52:53] op_sel:[1,1] op_sel_hi:[0,1]
	s_delay_alu instid0(VALU_DEP_1) | instskip(SKIP_1) | instid1(VALU_DEP_2)
	v_pk_fma_f32 v[60:61], v[56:57], v[52:53], v[58:59] op_sel_hi:[1,0,1]
	v_pk_fma_f32 v[52:53], v[56:57], v[52:53], v[58:59] neg_lo:[0,0,1] neg_hi:[0,0,1]
	v_mov_b32_e32 v53, v61
	s_cbranch_execz .LBB87_274
	s_branch .LBB87_275
.LBB87_273:
                                        ; implicit-def: $vgpr52_vgpr53
.LBB87_274:
	ds_load_b64 v[52:53], v1
.LBB87_275:
	s_mov_b32 s2, exec_lo
	v_cmpx_ne_u32_e32 4, v0
	s_cbranch_execz .LBB87_279
; %bb.276:
	v_add_nc_u32_e32 v55, 0xc8, v50
	v_add3_u32 v56, 0, v50, 8
	v_mov_b32_e32 v57, v0
	s_mov_b32 s3, 0
.LBB87_277:                             ; =>This Inner Loop Header: Depth=1
	scratch_load_b64 v[58:59], v56, off
	ds_load_b64 v[60:61], v55
	s_wait_xcnt 0x0
	v_dual_add_nc_u32 v55, 8, v55 :: v_dual_add_nc_u32 v56, 8, v56
	s_wait_loadcnt_dscnt 0x0
	v_pk_mul_f32 v[62:63], v[60:61], v[58:59] op_sel:[1,1] op_sel_hi:[0,1]
	s_delay_alu instid0(VALU_DEP_1) | instskip(SKIP_2) | instid1(VALU_DEP_3)
	v_pk_fma_f32 v[64:65], v[60:61], v[58:59], v[62:63] op_sel_hi:[1,0,1]
	v_add_nc_u32_e32 v57, 1, v57
	v_pk_fma_f32 v[58:59], v[60:61], v[58:59], v[62:63] neg_lo:[0,0,1] neg_hi:[0,0,1]
	v_mov_b32_e32 v59, v65
	s_delay_alu instid0(VALU_DEP_3) | instskip(NEXT) | instid1(VALU_DEP_2)
	v_cmp_lt_u32_e32 vcc_lo, 3, v57
	v_pk_add_f32 v[52:53], v[52:53], v[58:59]
	s_or_b32 s3, vcc_lo, s3
	s_delay_alu instid0(SALU_CYCLE_1)
	s_and_not1_b32 exec_lo, exec_lo, s3
	s_cbranch_execnz .LBB87_277
; %bb.278:
	s_or_b32 exec_lo, exec_lo, s3
.LBB87_279:
	s_delay_alu instid0(SALU_CYCLE_1) | instskip(SKIP_4) | instid1(VALU_DEP_1)
	s_or_b32 exec_lo, exec_lo, s2
	v_mov_b32_e32 v55, 0
	ds_load_b64 v[56:57], v55 offset:40
	s_wait_dscnt 0x0
	v_pk_mul_f32 v[58:59], v[52:53], v[56:57] op_sel:[1,1] op_sel_hi:[0,1]
	v_pk_fma_f32 v[60:61], v[52:53], v[56:57], v[58:59] op_sel_hi:[1,0,1]
	v_pk_fma_f32 v[52:53], v[52:53], v[56:57], v[58:59] neg_lo:[0,0,1] neg_hi:[0,0,1]
	s_delay_alu instid0(VALU_DEP_2)
	v_mov_b32_e32 v53, v61
	scratch_store_b64 off, v[52:53], off offset:40
.LBB87_280:
	s_wait_xcnt 0x0
	s_or_b32 exec_lo, exec_lo, s0
	scratch_load_b64 v[52:53], off, off offset:48
	s_mov_b32 s0, exec_lo
	s_wait_loadcnt 0x0
	ds_store_b64 v1, v[52:53]
	s_wait_storecnt_dscnt 0x0
	s_barrier_signal -1
	s_barrier_wait -1
	s_wait_xcnt 0x0
	v_cmpx_gt_u32_e32 6, v0
	s_cbranch_execz .LBB87_290
; %bb.281:
	v_cmp_ne_u32_e32 vcc_lo, 1, v54
	s_cbranch_vccnz .LBB87_283
; %bb.282:
	scratch_load_b64 v[52:53], v51, off
	ds_load_b64 v[56:57], v1
	s_wait_loadcnt_dscnt 0x0
	v_pk_mul_f32 v[58:59], v[56:57], v[52:53] op_sel:[1,1] op_sel_hi:[0,1]
	s_delay_alu instid0(VALU_DEP_1) | instskip(SKIP_1) | instid1(VALU_DEP_2)
	v_pk_fma_f32 v[60:61], v[56:57], v[52:53], v[58:59] op_sel_hi:[1,0,1]
	v_pk_fma_f32 v[52:53], v[56:57], v[52:53], v[58:59] neg_lo:[0,0,1] neg_hi:[0,0,1]
	v_mov_b32_e32 v53, v61
	s_cbranch_execz .LBB87_284
	s_branch .LBB87_285
.LBB87_283:
                                        ; implicit-def: $vgpr52_vgpr53
.LBB87_284:
	ds_load_b64 v[52:53], v1
.LBB87_285:
	s_mov_b32 s2, exec_lo
	v_cmpx_ne_u32_e32 5, v0
	s_cbranch_execz .LBB87_289
; %bb.286:
	v_add_nc_u32_e32 v55, 0xc8, v50
	v_add3_u32 v56, 0, v50, 8
	v_mov_b32_e32 v57, v0
	s_mov_b32 s3, 0
.LBB87_287:                             ; =>This Inner Loop Header: Depth=1
	scratch_load_b64 v[58:59], v56, off
	ds_load_b64 v[60:61], v55
	s_wait_xcnt 0x0
	v_dual_add_nc_u32 v55, 8, v55 :: v_dual_add_nc_u32 v56, 8, v56
	s_wait_loadcnt_dscnt 0x0
	v_pk_mul_f32 v[62:63], v[60:61], v[58:59] op_sel:[1,1] op_sel_hi:[0,1]
	s_delay_alu instid0(VALU_DEP_1) | instskip(SKIP_2) | instid1(VALU_DEP_3)
	v_pk_fma_f32 v[64:65], v[60:61], v[58:59], v[62:63] op_sel_hi:[1,0,1]
	v_add_nc_u32_e32 v57, 1, v57
	v_pk_fma_f32 v[58:59], v[60:61], v[58:59], v[62:63] neg_lo:[0,0,1] neg_hi:[0,0,1]
	v_mov_b32_e32 v59, v65
	s_delay_alu instid0(VALU_DEP_3) | instskip(NEXT) | instid1(VALU_DEP_2)
	v_cmp_lt_u32_e32 vcc_lo, 4, v57
	v_pk_add_f32 v[52:53], v[52:53], v[58:59]
	s_or_b32 s3, vcc_lo, s3
	s_delay_alu instid0(SALU_CYCLE_1)
	s_and_not1_b32 exec_lo, exec_lo, s3
	s_cbranch_execnz .LBB87_287
; %bb.288:
	s_or_b32 exec_lo, exec_lo, s3
.LBB87_289:
	s_delay_alu instid0(SALU_CYCLE_1) | instskip(SKIP_4) | instid1(VALU_DEP_1)
	s_or_b32 exec_lo, exec_lo, s2
	v_mov_b32_e32 v55, 0
	ds_load_b64 v[56:57], v55 offset:48
	s_wait_dscnt 0x0
	v_pk_mul_f32 v[58:59], v[52:53], v[56:57] op_sel:[1,1] op_sel_hi:[0,1]
	v_pk_fma_f32 v[60:61], v[52:53], v[56:57], v[58:59] op_sel_hi:[1,0,1]
	v_pk_fma_f32 v[52:53], v[52:53], v[56:57], v[58:59] neg_lo:[0,0,1] neg_hi:[0,0,1]
	s_delay_alu instid0(VALU_DEP_2)
	v_mov_b32_e32 v53, v61
	scratch_store_b64 off, v[52:53], off offset:48
.LBB87_290:
	s_wait_xcnt 0x0
	s_or_b32 exec_lo, exec_lo, s0
	scratch_load_b64 v[52:53], off, off offset:56
	s_mov_b32 s0, exec_lo
	s_wait_loadcnt 0x0
	ds_store_b64 v1, v[52:53]
	s_wait_storecnt_dscnt 0x0
	s_barrier_signal -1
	s_barrier_wait -1
	s_wait_xcnt 0x0
	v_cmpx_gt_u32_e32 7, v0
	s_cbranch_execz .LBB87_300
; %bb.291:
	v_cmp_ne_u32_e32 vcc_lo, 1, v54
	s_cbranch_vccnz .LBB87_293
; %bb.292:
	scratch_load_b64 v[52:53], v51, off
	ds_load_b64 v[56:57], v1
	s_wait_loadcnt_dscnt 0x0
	v_pk_mul_f32 v[58:59], v[56:57], v[52:53] op_sel:[1,1] op_sel_hi:[0,1]
	s_delay_alu instid0(VALU_DEP_1) | instskip(SKIP_1) | instid1(VALU_DEP_2)
	v_pk_fma_f32 v[60:61], v[56:57], v[52:53], v[58:59] op_sel_hi:[1,0,1]
	v_pk_fma_f32 v[52:53], v[56:57], v[52:53], v[58:59] neg_lo:[0,0,1] neg_hi:[0,0,1]
	v_mov_b32_e32 v53, v61
	s_cbranch_execz .LBB87_294
	s_branch .LBB87_295
.LBB87_293:
                                        ; implicit-def: $vgpr52_vgpr53
.LBB87_294:
	ds_load_b64 v[52:53], v1
.LBB87_295:
	s_mov_b32 s2, exec_lo
	v_cmpx_ne_u32_e32 6, v0
	s_cbranch_execz .LBB87_299
; %bb.296:
	v_add_nc_u32_e32 v55, 0xc8, v50
	v_add3_u32 v56, 0, v50, 8
	v_mov_b32_e32 v57, v0
	s_mov_b32 s3, 0
.LBB87_297:                             ; =>This Inner Loop Header: Depth=1
	scratch_load_b64 v[58:59], v56, off
	ds_load_b64 v[60:61], v55
	s_wait_xcnt 0x0
	v_dual_add_nc_u32 v55, 8, v55 :: v_dual_add_nc_u32 v56, 8, v56
	s_wait_loadcnt_dscnt 0x0
	v_pk_mul_f32 v[62:63], v[60:61], v[58:59] op_sel:[1,1] op_sel_hi:[0,1]
	s_delay_alu instid0(VALU_DEP_1) | instskip(SKIP_2) | instid1(VALU_DEP_3)
	v_pk_fma_f32 v[64:65], v[60:61], v[58:59], v[62:63] op_sel_hi:[1,0,1]
	v_add_nc_u32_e32 v57, 1, v57
	v_pk_fma_f32 v[58:59], v[60:61], v[58:59], v[62:63] neg_lo:[0,0,1] neg_hi:[0,0,1]
	v_mov_b32_e32 v59, v65
	s_delay_alu instid0(VALU_DEP_3) | instskip(NEXT) | instid1(VALU_DEP_2)
	v_cmp_lt_u32_e32 vcc_lo, 5, v57
	v_pk_add_f32 v[52:53], v[52:53], v[58:59]
	s_or_b32 s3, vcc_lo, s3
	s_delay_alu instid0(SALU_CYCLE_1)
	s_and_not1_b32 exec_lo, exec_lo, s3
	s_cbranch_execnz .LBB87_297
; %bb.298:
	s_or_b32 exec_lo, exec_lo, s3
.LBB87_299:
	s_delay_alu instid0(SALU_CYCLE_1) | instskip(SKIP_4) | instid1(VALU_DEP_1)
	s_or_b32 exec_lo, exec_lo, s2
	v_mov_b32_e32 v55, 0
	ds_load_b64 v[56:57], v55 offset:56
	s_wait_dscnt 0x0
	v_pk_mul_f32 v[58:59], v[52:53], v[56:57] op_sel:[1,1] op_sel_hi:[0,1]
	v_pk_fma_f32 v[60:61], v[52:53], v[56:57], v[58:59] op_sel_hi:[1,0,1]
	v_pk_fma_f32 v[52:53], v[52:53], v[56:57], v[58:59] neg_lo:[0,0,1] neg_hi:[0,0,1]
	s_delay_alu instid0(VALU_DEP_2)
	v_mov_b32_e32 v53, v61
	scratch_store_b64 off, v[52:53], off offset:56
.LBB87_300:
	s_wait_xcnt 0x0
	s_or_b32 exec_lo, exec_lo, s0
	scratch_load_b64 v[52:53], off, off offset:64
	s_mov_b32 s0, exec_lo
	s_wait_loadcnt 0x0
	ds_store_b64 v1, v[52:53]
	s_wait_storecnt_dscnt 0x0
	s_barrier_signal -1
	s_barrier_wait -1
	s_wait_xcnt 0x0
	v_cmpx_gt_u32_e32 8, v0
	s_cbranch_execz .LBB87_310
; %bb.301:
	v_cmp_ne_u32_e32 vcc_lo, 1, v54
	s_cbranch_vccnz .LBB87_303
; %bb.302:
	scratch_load_b64 v[52:53], v51, off
	ds_load_b64 v[56:57], v1
	s_wait_loadcnt_dscnt 0x0
	v_pk_mul_f32 v[58:59], v[56:57], v[52:53] op_sel:[1,1] op_sel_hi:[0,1]
	s_delay_alu instid0(VALU_DEP_1) | instskip(SKIP_1) | instid1(VALU_DEP_2)
	v_pk_fma_f32 v[60:61], v[56:57], v[52:53], v[58:59] op_sel_hi:[1,0,1]
	v_pk_fma_f32 v[52:53], v[56:57], v[52:53], v[58:59] neg_lo:[0,0,1] neg_hi:[0,0,1]
	v_mov_b32_e32 v53, v61
	s_cbranch_execz .LBB87_304
	s_branch .LBB87_305
.LBB87_303:
                                        ; implicit-def: $vgpr52_vgpr53
.LBB87_304:
	ds_load_b64 v[52:53], v1
.LBB87_305:
	s_mov_b32 s2, exec_lo
	v_cmpx_ne_u32_e32 7, v0
	s_cbranch_execz .LBB87_309
; %bb.306:
	v_add_nc_u32_e32 v55, 0xc8, v50
	v_add3_u32 v56, 0, v50, 8
	v_mov_b32_e32 v57, v0
	s_mov_b32 s3, 0
.LBB87_307:                             ; =>This Inner Loop Header: Depth=1
	scratch_load_b64 v[58:59], v56, off
	ds_load_b64 v[60:61], v55
	s_wait_xcnt 0x0
	v_dual_add_nc_u32 v55, 8, v55 :: v_dual_add_nc_u32 v56, 8, v56
	s_wait_loadcnt_dscnt 0x0
	v_pk_mul_f32 v[62:63], v[60:61], v[58:59] op_sel:[1,1] op_sel_hi:[0,1]
	s_delay_alu instid0(VALU_DEP_1) | instskip(SKIP_2) | instid1(VALU_DEP_3)
	v_pk_fma_f32 v[64:65], v[60:61], v[58:59], v[62:63] op_sel_hi:[1,0,1]
	v_add_nc_u32_e32 v57, 1, v57
	v_pk_fma_f32 v[58:59], v[60:61], v[58:59], v[62:63] neg_lo:[0,0,1] neg_hi:[0,0,1]
	v_mov_b32_e32 v59, v65
	s_delay_alu instid0(VALU_DEP_3) | instskip(NEXT) | instid1(VALU_DEP_2)
	v_cmp_lt_u32_e32 vcc_lo, 6, v57
	v_pk_add_f32 v[52:53], v[52:53], v[58:59]
	s_or_b32 s3, vcc_lo, s3
	s_delay_alu instid0(SALU_CYCLE_1)
	s_and_not1_b32 exec_lo, exec_lo, s3
	s_cbranch_execnz .LBB87_307
; %bb.308:
	s_or_b32 exec_lo, exec_lo, s3
.LBB87_309:
	s_delay_alu instid0(SALU_CYCLE_1) | instskip(SKIP_4) | instid1(VALU_DEP_1)
	s_or_b32 exec_lo, exec_lo, s2
	v_mov_b32_e32 v55, 0
	ds_load_b64 v[56:57], v55 offset:64
	s_wait_dscnt 0x0
	v_pk_mul_f32 v[58:59], v[52:53], v[56:57] op_sel:[1,1] op_sel_hi:[0,1]
	v_pk_fma_f32 v[60:61], v[52:53], v[56:57], v[58:59] op_sel_hi:[1,0,1]
	v_pk_fma_f32 v[52:53], v[52:53], v[56:57], v[58:59] neg_lo:[0,0,1] neg_hi:[0,0,1]
	s_delay_alu instid0(VALU_DEP_2)
	v_mov_b32_e32 v53, v61
	scratch_store_b64 off, v[52:53], off offset:64
.LBB87_310:
	s_wait_xcnt 0x0
	s_or_b32 exec_lo, exec_lo, s0
	scratch_load_b64 v[52:53], off, off offset:72
	s_mov_b32 s0, exec_lo
	s_wait_loadcnt 0x0
	ds_store_b64 v1, v[52:53]
	s_wait_storecnt_dscnt 0x0
	s_barrier_signal -1
	s_barrier_wait -1
	s_wait_xcnt 0x0
	v_cmpx_gt_u32_e32 9, v0
	s_cbranch_execz .LBB87_320
; %bb.311:
	v_cmp_ne_u32_e32 vcc_lo, 1, v54
	s_cbranch_vccnz .LBB87_313
; %bb.312:
	scratch_load_b64 v[52:53], v51, off
	ds_load_b64 v[56:57], v1
	s_wait_loadcnt_dscnt 0x0
	v_pk_mul_f32 v[58:59], v[56:57], v[52:53] op_sel:[1,1] op_sel_hi:[0,1]
	s_delay_alu instid0(VALU_DEP_1) | instskip(SKIP_1) | instid1(VALU_DEP_2)
	v_pk_fma_f32 v[60:61], v[56:57], v[52:53], v[58:59] op_sel_hi:[1,0,1]
	v_pk_fma_f32 v[52:53], v[56:57], v[52:53], v[58:59] neg_lo:[0,0,1] neg_hi:[0,0,1]
	v_mov_b32_e32 v53, v61
	s_cbranch_execz .LBB87_314
	s_branch .LBB87_315
.LBB87_313:
                                        ; implicit-def: $vgpr52_vgpr53
.LBB87_314:
	ds_load_b64 v[52:53], v1
.LBB87_315:
	s_mov_b32 s2, exec_lo
	v_cmpx_ne_u32_e32 8, v0
	s_cbranch_execz .LBB87_319
; %bb.316:
	v_add_nc_u32_e32 v55, 0xc8, v50
	v_add3_u32 v56, 0, v50, 8
	v_mov_b32_e32 v57, v0
	s_mov_b32 s3, 0
.LBB87_317:                             ; =>This Inner Loop Header: Depth=1
	scratch_load_b64 v[58:59], v56, off
	ds_load_b64 v[60:61], v55
	s_wait_xcnt 0x0
	v_dual_add_nc_u32 v55, 8, v55 :: v_dual_add_nc_u32 v56, 8, v56
	s_wait_loadcnt_dscnt 0x0
	v_pk_mul_f32 v[62:63], v[60:61], v[58:59] op_sel:[1,1] op_sel_hi:[0,1]
	s_delay_alu instid0(VALU_DEP_1) | instskip(SKIP_2) | instid1(VALU_DEP_3)
	v_pk_fma_f32 v[64:65], v[60:61], v[58:59], v[62:63] op_sel_hi:[1,0,1]
	v_add_nc_u32_e32 v57, 1, v57
	v_pk_fma_f32 v[58:59], v[60:61], v[58:59], v[62:63] neg_lo:[0,0,1] neg_hi:[0,0,1]
	v_mov_b32_e32 v59, v65
	s_delay_alu instid0(VALU_DEP_3) | instskip(NEXT) | instid1(VALU_DEP_2)
	v_cmp_lt_u32_e32 vcc_lo, 7, v57
	v_pk_add_f32 v[52:53], v[52:53], v[58:59]
	s_or_b32 s3, vcc_lo, s3
	s_delay_alu instid0(SALU_CYCLE_1)
	s_and_not1_b32 exec_lo, exec_lo, s3
	s_cbranch_execnz .LBB87_317
; %bb.318:
	s_or_b32 exec_lo, exec_lo, s3
.LBB87_319:
	s_delay_alu instid0(SALU_CYCLE_1) | instskip(SKIP_4) | instid1(VALU_DEP_1)
	s_or_b32 exec_lo, exec_lo, s2
	v_mov_b32_e32 v55, 0
	ds_load_b64 v[56:57], v55 offset:72
	s_wait_dscnt 0x0
	v_pk_mul_f32 v[58:59], v[52:53], v[56:57] op_sel:[1,1] op_sel_hi:[0,1]
	v_pk_fma_f32 v[60:61], v[52:53], v[56:57], v[58:59] op_sel_hi:[1,0,1]
	v_pk_fma_f32 v[52:53], v[52:53], v[56:57], v[58:59] neg_lo:[0,0,1] neg_hi:[0,0,1]
	s_delay_alu instid0(VALU_DEP_2)
	v_mov_b32_e32 v53, v61
	scratch_store_b64 off, v[52:53], off offset:72
.LBB87_320:
	s_wait_xcnt 0x0
	s_or_b32 exec_lo, exec_lo, s0
	scratch_load_b64 v[52:53], off, off offset:80
	s_mov_b32 s0, exec_lo
	s_wait_loadcnt 0x0
	ds_store_b64 v1, v[52:53]
	s_wait_storecnt_dscnt 0x0
	s_barrier_signal -1
	s_barrier_wait -1
	s_wait_xcnt 0x0
	v_cmpx_gt_u32_e32 10, v0
	s_cbranch_execz .LBB87_330
; %bb.321:
	v_cmp_ne_u32_e32 vcc_lo, 1, v54
	s_cbranch_vccnz .LBB87_323
; %bb.322:
	scratch_load_b64 v[52:53], v51, off
	ds_load_b64 v[56:57], v1
	s_wait_loadcnt_dscnt 0x0
	v_pk_mul_f32 v[58:59], v[56:57], v[52:53] op_sel:[1,1] op_sel_hi:[0,1]
	s_delay_alu instid0(VALU_DEP_1) | instskip(SKIP_1) | instid1(VALU_DEP_2)
	v_pk_fma_f32 v[60:61], v[56:57], v[52:53], v[58:59] op_sel_hi:[1,0,1]
	v_pk_fma_f32 v[52:53], v[56:57], v[52:53], v[58:59] neg_lo:[0,0,1] neg_hi:[0,0,1]
	v_mov_b32_e32 v53, v61
	s_cbranch_execz .LBB87_324
	s_branch .LBB87_325
.LBB87_323:
                                        ; implicit-def: $vgpr52_vgpr53
.LBB87_324:
	ds_load_b64 v[52:53], v1
.LBB87_325:
	s_mov_b32 s2, exec_lo
	v_cmpx_ne_u32_e32 9, v0
	s_cbranch_execz .LBB87_329
; %bb.326:
	v_add_nc_u32_e32 v55, 0xc8, v50
	v_add3_u32 v56, 0, v50, 8
	v_mov_b32_e32 v57, v0
	s_mov_b32 s3, 0
.LBB87_327:                             ; =>This Inner Loop Header: Depth=1
	scratch_load_b64 v[58:59], v56, off
	ds_load_b64 v[60:61], v55
	s_wait_xcnt 0x0
	v_dual_add_nc_u32 v55, 8, v55 :: v_dual_add_nc_u32 v56, 8, v56
	s_wait_loadcnt_dscnt 0x0
	v_pk_mul_f32 v[62:63], v[60:61], v[58:59] op_sel:[1,1] op_sel_hi:[0,1]
	s_delay_alu instid0(VALU_DEP_1) | instskip(SKIP_2) | instid1(VALU_DEP_3)
	v_pk_fma_f32 v[64:65], v[60:61], v[58:59], v[62:63] op_sel_hi:[1,0,1]
	v_add_nc_u32_e32 v57, 1, v57
	v_pk_fma_f32 v[58:59], v[60:61], v[58:59], v[62:63] neg_lo:[0,0,1] neg_hi:[0,0,1]
	v_mov_b32_e32 v59, v65
	s_delay_alu instid0(VALU_DEP_3) | instskip(NEXT) | instid1(VALU_DEP_2)
	v_cmp_lt_u32_e32 vcc_lo, 8, v57
	v_pk_add_f32 v[52:53], v[52:53], v[58:59]
	s_or_b32 s3, vcc_lo, s3
	s_delay_alu instid0(SALU_CYCLE_1)
	s_and_not1_b32 exec_lo, exec_lo, s3
	s_cbranch_execnz .LBB87_327
; %bb.328:
	s_or_b32 exec_lo, exec_lo, s3
.LBB87_329:
	s_delay_alu instid0(SALU_CYCLE_1) | instskip(SKIP_4) | instid1(VALU_DEP_1)
	s_or_b32 exec_lo, exec_lo, s2
	v_mov_b32_e32 v55, 0
	ds_load_b64 v[56:57], v55 offset:80
	s_wait_dscnt 0x0
	v_pk_mul_f32 v[58:59], v[52:53], v[56:57] op_sel:[1,1] op_sel_hi:[0,1]
	v_pk_fma_f32 v[60:61], v[52:53], v[56:57], v[58:59] op_sel_hi:[1,0,1]
	v_pk_fma_f32 v[52:53], v[52:53], v[56:57], v[58:59] neg_lo:[0,0,1] neg_hi:[0,0,1]
	s_delay_alu instid0(VALU_DEP_2)
	v_mov_b32_e32 v53, v61
	scratch_store_b64 off, v[52:53], off offset:80
.LBB87_330:
	s_wait_xcnt 0x0
	s_or_b32 exec_lo, exec_lo, s0
	scratch_load_b64 v[52:53], off, off offset:88
	s_mov_b32 s0, exec_lo
	s_wait_loadcnt 0x0
	ds_store_b64 v1, v[52:53]
	s_wait_storecnt_dscnt 0x0
	s_barrier_signal -1
	s_barrier_wait -1
	s_wait_xcnt 0x0
	v_cmpx_gt_u32_e32 11, v0
	s_cbranch_execz .LBB87_340
; %bb.331:
	v_cmp_ne_u32_e32 vcc_lo, 1, v54
	s_cbranch_vccnz .LBB87_333
; %bb.332:
	scratch_load_b64 v[52:53], v51, off
	ds_load_b64 v[56:57], v1
	s_wait_loadcnt_dscnt 0x0
	v_pk_mul_f32 v[58:59], v[56:57], v[52:53] op_sel:[1,1] op_sel_hi:[0,1]
	s_delay_alu instid0(VALU_DEP_1) | instskip(SKIP_1) | instid1(VALU_DEP_2)
	v_pk_fma_f32 v[60:61], v[56:57], v[52:53], v[58:59] op_sel_hi:[1,0,1]
	v_pk_fma_f32 v[52:53], v[56:57], v[52:53], v[58:59] neg_lo:[0,0,1] neg_hi:[0,0,1]
	v_mov_b32_e32 v53, v61
	s_cbranch_execz .LBB87_334
	s_branch .LBB87_335
.LBB87_333:
                                        ; implicit-def: $vgpr52_vgpr53
.LBB87_334:
	ds_load_b64 v[52:53], v1
.LBB87_335:
	s_mov_b32 s2, exec_lo
	v_cmpx_ne_u32_e32 10, v0
	s_cbranch_execz .LBB87_339
; %bb.336:
	v_add_nc_u32_e32 v55, 0xc8, v50
	v_add3_u32 v56, 0, v50, 8
	v_mov_b32_e32 v57, v0
	s_mov_b32 s3, 0
.LBB87_337:                             ; =>This Inner Loop Header: Depth=1
	scratch_load_b64 v[58:59], v56, off
	ds_load_b64 v[60:61], v55
	s_wait_xcnt 0x0
	v_dual_add_nc_u32 v55, 8, v55 :: v_dual_add_nc_u32 v56, 8, v56
	s_wait_loadcnt_dscnt 0x0
	v_pk_mul_f32 v[62:63], v[60:61], v[58:59] op_sel:[1,1] op_sel_hi:[0,1]
	s_delay_alu instid0(VALU_DEP_1) | instskip(SKIP_2) | instid1(VALU_DEP_3)
	v_pk_fma_f32 v[64:65], v[60:61], v[58:59], v[62:63] op_sel_hi:[1,0,1]
	v_add_nc_u32_e32 v57, 1, v57
	v_pk_fma_f32 v[58:59], v[60:61], v[58:59], v[62:63] neg_lo:[0,0,1] neg_hi:[0,0,1]
	v_mov_b32_e32 v59, v65
	s_delay_alu instid0(VALU_DEP_3) | instskip(NEXT) | instid1(VALU_DEP_2)
	v_cmp_lt_u32_e32 vcc_lo, 9, v57
	v_pk_add_f32 v[52:53], v[52:53], v[58:59]
	s_or_b32 s3, vcc_lo, s3
	s_delay_alu instid0(SALU_CYCLE_1)
	s_and_not1_b32 exec_lo, exec_lo, s3
	s_cbranch_execnz .LBB87_337
; %bb.338:
	s_or_b32 exec_lo, exec_lo, s3
.LBB87_339:
	s_delay_alu instid0(SALU_CYCLE_1) | instskip(SKIP_4) | instid1(VALU_DEP_1)
	s_or_b32 exec_lo, exec_lo, s2
	v_mov_b32_e32 v55, 0
	ds_load_b64 v[56:57], v55 offset:88
	s_wait_dscnt 0x0
	v_pk_mul_f32 v[58:59], v[52:53], v[56:57] op_sel:[1,1] op_sel_hi:[0,1]
	v_pk_fma_f32 v[60:61], v[52:53], v[56:57], v[58:59] op_sel_hi:[1,0,1]
	v_pk_fma_f32 v[52:53], v[52:53], v[56:57], v[58:59] neg_lo:[0,0,1] neg_hi:[0,0,1]
	s_delay_alu instid0(VALU_DEP_2)
	v_mov_b32_e32 v53, v61
	scratch_store_b64 off, v[52:53], off offset:88
.LBB87_340:
	s_wait_xcnt 0x0
	s_or_b32 exec_lo, exec_lo, s0
	scratch_load_b64 v[52:53], off, off offset:96
	s_mov_b32 s0, exec_lo
	s_wait_loadcnt 0x0
	ds_store_b64 v1, v[52:53]
	s_wait_storecnt_dscnt 0x0
	s_barrier_signal -1
	s_barrier_wait -1
	s_wait_xcnt 0x0
	v_cmpx_gt_u32_e32 12, v0
	s_cbranch_execz .LBB87_350
; %bb.341:
	v_cmp_ne_u32_e32 vcc_lo, 1, v54
	s_cbranch_vccnz .LBB87_343
; %bb.342:
	scratch_load_b64 v[52:53], v51, off
	ds_load_b64 v[56:57], v1
	s_wait_loadcnt_dscnt 0x0
	v_pk_mul_f32 v[58:59], v[56:57], v[52:53] op_sel:[1,1] op_sel_hi:[0,1]
	s_delay_alu instid0(VALU_DEP_1) | instskip(SKIP_1) | instid1(VALU_DEP_2)
	v_pk_fma_f32 v[60:61], v[56:57], v[52:53], v[58:59] op_sel_hi:[1,0,1]
	v_pk_fma_f32 v[52:53], v[56:57], v[52:53], v[58:59] neg_lo:[0,0,1] neg_hi:[0,0,1]
	v_mov_b32_e32 v53, v61
	s_cbranch_execz .LBB87_344
	s_branch .LBB87_345
.LBB87_343:
                                        ; implicit-def: $vgpr52_vgpr53
.LBB87_344:
	ds_load_b64 v[52:53], v1
.LBB87_345:
	s_mov_b32 s2, exec_lo
	v_cmpx_ne_u32_e32 11, v0
	s_cbranch_execz .LBB87_349
; %bb.346:
	v_add_nc_u32_e32 v55, 0xc8, v50
	v_add3_u32 v56, 0, v50, 8
	v_mov_b32_e32 v57, v0
	s_mov_b32 s3, 0
.LBB87_347:                             ; =>This Inner Loop Header: Depth=1
	scratch_load_b64 v[58:59], v56, off
	ds_load_b64 v[60:61], v55
	s_wait_xcnt 0x0
	v_dual_add_nc_u32 v55, 8, v55 :: v_dual_add_nc_u32 v56, 8, v56
	s_wait_loadcnt_dscnt 0x0
	v_pk_mul_f32 v[62:63], v[60:61], v[58:59] op_sel:[1,1] op_sel_hi:[0,1]
	s_delay_alu instid0(VALU_DEP_1) | instskip(SKIP_2) | instid1(VALU_DEP_3)
	v_pk_fma_f32 v[64:65], v[60:61], v[58:59], v[62:63] op_sel_hi:[1,0,1]
	v_add_nc_u32_e32 v57, 1, v57
	v_pk_fma_f32 v[58:59], v[60:61], v[58:59], v[62:63] neg_lo:[0,0,1] neg_hi:[0,0,1]
	v_mov_b32_e32 v59, v65
	s_delay_alu instid0(VALU_DEP_3) | instskip(NEXT) | instid1(VALU_DEP_2)
	v_cmp_lt_u32_e32 vcc_lo, 10, v57
	v_pk_add_f32 v[52:53], v[52:53], v[58:59]
	s_or_b32 s3, vcc_lo, s3
	s_delay_alu instid0(SALU_CYCLE_1)
	s_and_not1_b32 exec_lo, exec_lo, s3
	s_cbranch_execnz .LBB87_347
; %bb.348:
	s_or_b32 exec_lo, exec_lo, s3
.LBB87_349:
	s_delay_alu instid0(SALU_CYCLE_1) | instskip(SKIP_4) | instid1(VALU_DEP_1)
	s_or_b32 exec_lo, exec_lo, s2
	v_mov_b32_e32 v55, 0
	ds_load_b64 v[56:57], v55 offset:96
	s_wait_dscnt 0x0
	v_pk_mul_f32 v[58:59], v[52:53], v[56:57] op_sel:[1,1] op_sel_hi:[0,1]
	v_pk_fma_f32 v[60:61], v[52:53], v[56:57], v[58:59] op_sel_hi:[1,0,1]
	v_pk_fma_f32 v[52:53], v[52:53], v[56:57], v[58:59] neg_lo:[0,0,1] neg_hi:[0,0,1]
	s_delay_alu instid0(VALU_DEP_2)
	v_mov_b32_e32 v53, v61
	scratch_store_b64 off, v[52:53], off offset:96
.LBB87_350:
	s_wait_xcnt 0x0
	s_or_b32 exec_lo, exec_lo, s0
	scratch_load_b64 v[52:53], off, off offset:104
	s_mov_b32 s0, exec_lo
	s_wait_loadcnt 0x0
	ds_store_b64 v1, v[52:53]
	s_wait_storecnt_dscnt 0x0
	s_barrier_signal -1
	s_barrier_wait -1
	s_wait_xcnt 0x0
	v_cmpx_gt_u32_e32 13, v0
	s_cbranch_execz .LBB87_360
; %bb.351:
	v_cmp_ne_u32_e32 vcc_lo, 1, v54
	s_cbranch_vccnz .LBB87_353
; %bb.352:
	scratch_load_b64 v[52:53], v51, off
	ds_load_b64 v[56:57], v1
	s_wait_loadcnt_dscnt 0x0
	v_pk_mul_f32 v[58:59], v[56:57], v[52:53] op_sel:[1,1] op_sel_hi:[0,1]
	s_delay_alu instid0(VALU_DEP_1) | instskip(SKIP_1) | instid1(VALU_DEP_2)
	v_pk_fma_f32 v[60:61], v[56:57], v[52:53], v[58:59] op_sel_hi:[1,0,1]
	v_pk_fma_f32 v[52:53], v[56:57], v[52:53], v[58:59] neg_lo:[0,0,1] neg_hi:[0,0,1]
	v_mov_b32_e32 v53, v61
	s_cbranch_execz .LBB87_354
	s_branch .LBB87_355
.LBB87_353:
                                        ; implicit-def: $vgpr52_vgpr53
.LBB87_354:
	ds_load_b64 v[52:53], v1
.LBB87_355:
	s_mov_b32 s2, exec_lo
	v_cmpx_ne_u32_e32 12, v0
	s_cbranch_execz .LBB87_359
; %bb.356:
	v_add_nc_u32_e32 v55, 0xc8, v50
	v_add3_u32 v56, 0, v50, 8
	v_mov_b32_e32 v57, v0
	s_mov_b32 s3, 0
.LBB87_357:                             ; =>This Inner Loop Header: Depth=1
	scratch_load_b64 v[58:59], v56, off
	ds_load_b64 v[60:61], v55
	s_wait_xcnt 0x0
	v_dual_add_nc_u32 v55, 8, v55 :: v_dual_add_nc_u32 v56, 8, v56
	s_wait_loadcnt_dscnt 0x0
	v_pk_mul_f32 v[62:63], v[60:61], v[58:59] op_sel:[1,1] op_sel_hi:[0,1]
	s_delay_alu instid0(VALU_DEP_1) | instskip(SKIP_2) | instid1(VALU_DEP_3)
	v_pk_fma_f32 v[64:65], v[60:61], v[58:59], v[62:63] op_sel_hi:[1,0,1]
	v_add_nc_u32_e32 v57, 1, v57
	v_pk_fma_f32 v[58:59], v[60:61], v[58:59], v[62:63] neg_lo:[0,0,1] neg_hi:[0,0,1]
	v_mov_b32_e32 v59, v65
	s_delay_alu instid0(VALU_DEP_3) | instskip(NEXT) | instid1(VALU_DEP_2)
	v_cmp_lt_u32_e32 vcc_lo, 11, v57
	v_pk_add_f32 v[52:53], v[52:53], v[58:59]
	s_or_b32 s3, vcc_lo, s3
	s_delay_alu instid0(SALU_CYCLE_1)
	s_and_not1_b32 exec_lo, exec_lo, s3
	s_cbranch_execnz .LBB87_357
; %bb.358:
	s_or_b32 exec_lo, exec_lo, s3
.LBB87_359:
	s_delay_alu instid0(SALU_CYCLE_1) | instskip(SKIP_4) | instid1(VALU_DEP_1)
	s_or_b32 exec_lo, exec_lo, s2
	v_mov_b32_e32 v55, 0
	ds_load_b64 v[56:57], v55 offset:104
	s_wait_dscnt 0x0
	v_pk_mul_f32 v[58:59], v[52:53], v[56:57] op_sel:[1,1] op_sel_hi:[0,1]
	v_pk_fma_f32 v[60:61], v[52:53], v[56:57], v[58:59] op_sel_hi:[1,0,1]
	v_pk_fma_f32 v[52:53], v[52:53], v[56:57], v[58:59] neg_lo:[0,0,1] neg_hi:[0,0,1]
	s_delay_alu instid0(VALU_DEP_2)
	v_mov_b32_e32 v53, v61
	scratch_store_b64 off, v[52:53], off offset:104
.LBB87_360:
	s_wait_xcnt 0x0
	s_or_b32 exec_lo, exec_lo, s0
	scratch_load_b64 v[52:53], off, off offset:112
	s_mov_b32 s0, exec_lo
	s_wait_loadcnt 0x0
	ds_store_b64 v1, v[52:53]
	s_wait_storecnt_dscnt 0x0
	s_barrier_signal -1
	s_barrier_wait -1
	s_wait_xcnt 0x0
	v_cmpx_gt_u32_e32 14, v0
	s_cbranch_execz .LBB87_370
; %bb.361:
	v_cmp_ne_u32_e32 vcc_lo, 1, v54
	s_cbranch_vccnz .LBB87_363
; %bb.362:
	scratch_load_b64 v[52:53], v51, off
	ds_load_b64 v[56:57], v1
	s_wait_loadcnt_dscnt 0x0
	v_pk_mul_f32 v[58:59], v[56:57], v[52:53] op_sel:[1,1] op_sel_hi:[0,1]
	s_delay_alu instid0(VALU_DEP_1) | instskip(SKIP_1) | instid1(VALU_DEP_2)
	v_pk_fma_f32 v[60:61], v[56:57], v[52:53], v[58:59] op_sel_hi:[1,0,1]
	v_pk_fma_f32 v[52:53], v[56:57], v[52:53], v[58:59] neg_lo:[0,0,1] neg_hi:[0,0,1]
	v_mov_b32_e32 v53, v61
	s_cbranch_execz .LBB87_364
	s_branch .LBB87_365
.LBB87_363:
                                        ; implicit-def: $vgpr52_vgpr53
.LBB87_364:
	ds_load_b64 v[52:53], v1
.LBB87_365:
	s_mov_b32 s2, exec_lo
	v_cmpx_ne_u32_e32 13, v0
	s_cbranch_execz .LBB87_369
; %bb.366:
	v_add_nc_u32_e32 v55, 0xc8, v50
	v_add3_u32 v56, 0, v50, 8
	v_mov_b32_e32 v57, v0
	s_mov_b32 s3, 0
.LBB87_367:                             ; =>This Inner Loop Header: Depth=1
	scratch_load_b64 v[58:59], v56, off
	ds_load_b64 v[60:61], v55
	s_wait_xcnt 0x0
	v_dual_add_nc_u32 v55, 8, v55 :: v_dual_add_nc_u32 v56, 8, v56
	s_wait_loadcnt_dscnt 0x0
	v_pk_mul_f32 v[62:63], v[60:61], v[58:59] op_sel:[1,1] op_sel_hi:[0,1]
	s_delay_alu instid0(VALU_DEP_1) | instskip(SKIP_2) | instid1(VALU_DEP_3)
	v_pk_fma_f32 v[64:65], v[60:61], v[58:59], v[62:63] op_sel_hi:[1,0,1]
	v_add_nc_u32_e32 v57, 1, v57
	v_pk_fma_f32 v[58:59], v[60:61], v[58:59], v[62:63] neg_lo:[0,0,1] neg_hi:[0,0,1]
	v_mov_b32_e32 v59, v65
	s_delay_alu instid0(VALU_DEP_3) | instskip(NEXT) | instid1(VALU_DEP_2)
	v_cmp_lt_u32_e32 vcc_lo, 12, v57
	v_pk_add_f32 v[52:53], v[52:53], v[58:59]
	s_or_b32 s3, vcc_lo, s3
	s_delay_alu instid0(SALU_CYCLE_1)
	s_and_not1_b32 exec_lo, exec_lo, s3
	s_cbranch_execnz .LBB87_367
; %bb.368:
	s_or_b32 exec_lo, exec_lo, s3
.LBB87_369:
	s_delay_alu instid0(SALU_CYCLE_1) | instskip(SKIP_4) | instid1(VALU_DEP_1)
	s_or_b32 exec_lo, exec_lo, s2
	v_mov_b32_e32 v55, 0
	ds_load_b64 v[56:57], v55 offset:112
	s_wait_dscnt 0x0
	v_pk_mul_f32 v[58:59], v[52:53], v[56:57] op_sel:[1,1] op_sel_hi:[0,1]
	v_pk_fma_f32 v[60:61], v[52:53], v[56:57], v[58:59] op_sel_hi:[1,0,1]
	v_pk_fma_f32 v[52:53], v[52:53], v[56:57], v[58:59] neg_lo:[0,0,1] neg_hi:[0,0,1]
	s_delay_alu instid0(VALU_DEP_2)
	v_mov_b32_e32 v53, v61
	scratch_store_b64 off, v[52:53], off offset:112
.LBB87_370:
	s_wait_xcnt 0x0
	s_or_b32 exec_lo, exec_lo, s0
	scratch_load_b64 v[52:53], off, off offset:120
	s_mov_b32 s0, exec_lo
	s_wait_loadcnt 0x0
	ds_store_b64 v1, v[52:53]
	s_wait_storecnt_dscnt 0x0
	s_barrier_signal -1
	s_barrier_wait -1
	s_wait_xcnt 0x0
	v_cmpx_gt_u32_e32 15, v0
	s_cbranch_execz .LBB87_380
; %bb.371:
	v_cmp_ne_u32_e32 vcc_lo, 1, v54
	s_cbranch_vccnz .LBB87_373
; %bb.372:
	scratch_load_b64 v[52:53], v51, off
	ds_load_b64 v[56:57], v1
	s_wait_loadcnt_dscnt 0x0
	v_pk_mul_f32 v[58:59], v[56:57], v[52:53] op_sel:[1,1] op_sel_hi:[0,1]
	s_delay_alu instid0(VALU_DEP_1) | instskip(SKIP_1) | instid1(VALU_DEP_2)
	v_pk_fma_f32 v[60:61], v[56:57], v[52:53], v[58:59] op_sel_hi:[1,0,1]
	v_pk_fma_f32 v[52:53], v[56:57], v[52:53], v[58:59] neg_lo:[0,0,1] neg_hi:[0,0,1]
	v_mov_b32_e32 v53, v61
	s_cbranch_execz .LBB87_374
	s_branch .LBB87_375
.LBB87_373:
                                        ; implicit-def: $vgpr52_vgpr53
.LBB87_374:
	ds_load_b64 v[52:53], v1
.LBB87_375:
	s_mov_b32 s2, exec_lo
	v_cmpx_ne_u32_e32 14, v0
	s_cbranch_execz .LBB87_379
; %bb.376:
	v_add_nc_u32_e32 v55, 0xc8, v50
	v_add3_u32 v56, 0, v50, 8
	v_mov_b32_e32 v57, v0
	s_mov_b32 s3, 0
.LBB87_377:                             ; =>This Inner Loop Header: Depth=1
	scratch_load_b64 v[58:59], v56, off
	ds_load_b64 v[60:61], v55
	s_wait_xcnt 0x0
	v_dual_add_nc_u32 v55, 8, v55 :: v_dual_add_nc_u32 v56, 8, v56
	s_wait_loadcnt_dscnt 0x0
	v_pk_mul_f32 v[62:63], v[60:61], v[58:59] op_sel:[1,1] op_sel_hi:[0,1]
	s_delay_alu instid0(VALU_DEP_1) | instskip(SKIP_2) | instid1(VALU_DEP_3)
	v_pk_fma_f32 v[64:65], v[60:61], v[58:59], v[62:63] op_sel_hi:[1,0,1]
	v_add_nc_u32_e32 v57, 1, v57
	v_pk_fma_f32 v[58:59], v[60:61], v[58:59], v[62:63] neg_lo:[0,0,1] neg_hi:[0,0,1]
	v_mov_b32_e32 v59, v65
	s_delay_alu instid0(VALU_DEP_3) | instskip(NEXT) | instid1(VALU_DEP_2)
	v_cmp_lt_u32_e32 vcc_lo, 13, v57
	v_pk_add_f32 v[52:53], v[52:53], v[58:59]
	s_or_b32 s3, vcc_lo, s3
	s_delay_alu instid0(SALU_CYCLE_1)
	s_and_not1_b32 exec_lo, exec_lo, s3
	s_cbranch_execnz .LBB87_377
; %bb.378:
	s_or_b32 exec_lo, exec_lo, s3
.LBB87_379:
	s_delay_alu instid0(SALU_CYCLE_1) | instskip(SKIP_4) | instid1(VALU_DEP_1)
	s_or_b32 exec_lo, exec_lo, s2
	v_mov_b32_e32 v55, 0
	ds_load_b64 v[56:57], v55 offset:120
	s_wait_dscnt 0x0
	v_pk_mul_f32 v[58:59], v[52:53], v[56:57] op_sel:[1,1] op_sel_hi:[0,1]
	v_pk_fma_f32 v[60:61], v[52:53], v[56:57], v[58:59] op_sel_hi:[1,0,1]
	v_pk_fma_f32 v[52:53], v[52:53], v[56:57], v[58:59] neg_lo:[0,0,1] neg_hi:[0,0,1]
	s_delay_alu instid0(VALU_DEP_2)
	v_mov_b32_e32 v53, v61
	scratch_store_b64 off, v[52:53], off offset:120
.LBB87_380:
	s_wait_xcnt 0x0
	s_or_b32 exec_lo, exec_lo, s0
	scratch_load_b64 v[52:53], off, off offset:128
	s_mov_b32 s0, exec_lo
	s_wait_loadcnt 0x0
	ds_store_b64 v1, v[52:53]
	s_wait_storecnt_dscnt 0x0
	s_barrier_signal -1
	s_barrier_wait -1
	s_wait_xcnt 0x0
	v_cmpx_gt_u32_e32 16, v0
	s_cbranch_execz .LBB87_390
; %bb.381:
	v_cmp_ne_u32_e32 vcc_lo, 1, v54
	s_cbranch_vccnz .LBB87_383
; %bb.382:
	scratch_load_b64 v[52:53], v51, off
	ds_load_b64 v[56:57], v1
	s_wait_loadcnt_dscnt 0x0
	v_pk_mul_f32 v[58:59], v[56:57], v[52:53] op_sel:[1,1] op_sel_hi:[0,1]
	s_delay_alu instid0(VALU_DEP_1) | instskip(SKIP_1) | instid1(VALU_DEP_2)
	v_pk_fma_f32 v[60:61], v[56:57], v[52:53], v[58:59] op_sel_hi:[1,0,1]
	v_pk_fma_f32 v[52:53], v[56:57], v[52:53], v[58:59] neg_lo:[0,0,1] neg_hi:[0,0,1]
	v_mov_b32_e32 v53, v61
	s_cbranch_execz .LBB87_384
	s_branch .LBB87_385
.LBB87_383:
                                        ; implicit-def: $vgpr52_vgpr53
.LBB87_384:
	ds_load_b64 v[52:53], v1
.LBB87_385:
	s_mov_b32 s2, exec_lo
	v_cmpx_ne_u32_e32 15, v0
	s_cbranch_execz .LBB87_389
; %bb.386:
	v_add_nc_u32_e32 v55, 0xc8, v50
	v_add3_u32 v56, 0, v50, 8
	v_mov_b32_e32 v57, v0
	s_mov_b32 s3, 0
.LBB87_387:                             ; =>This Inner Loop Header: Depth=1
	scratch_load_b64 v[58:59], v56, off
	ds_load_b64 v[60:61], v55
	s_wait_xcnt 0x0
	v_dual_add_nc_u32 v55, 8, v55 :: v_dual_add_nc_u32 v56, 8, v56
	s_wait_loadcnt_dscnt 0x0
	v_pk_mul_f32 v[62:63], v[60:61], v[58:59] op_sel:[1,1] op_sel_hi:[0,1]
	s_delay_alu instid0(VALU_DEP_1) | instskip(SKIP_2) | instid1(VALU_DEP_3)
	v_pk_fma_f32 v[64:65], v[60:61], v[58:59], v[62:63] op_sel_hi:[1,0,1]
	v_add_nc_u32_e32 v57, 1, v57
	v_pk_fma_f32 v[58:59], v[60:61], v[58:59], v[62:63] neg_lo:[0,0,1] neg_hi:[0,0,1]
	v_mov_b32_e32 v59, v65
	s_delay_alu instid0(VALU_DEP_3) | instskip(NEXT) | instid1(VALU_DEP_2)
	v_cmp_lt_u32_e32 vcc_lo, 14, v57
	v_pk_add_f32 v[52:53], v[52:53], v[58:59]
	s_or_b32 s3, vcc_lo, s3
	s_delay_alu instid0(SALU_CYCLE_1)
	s_and_not1_b32 exec_lo, exec_lo, s3
	s_cbranch_execnz .LBB87_387
; %bb.388:
	s_or_b32 exec_lo, exec_lo, s3
.LBB87_389:
	s_delay_alu instid0(SALU_CYCLE_1) | instskip(SKIP_4) | instid1(VALU_DEP_1)
	s_or_b32 exec_lo, exec_lo, s2
	v_mov_b32_e32 v55, 0
	ds_load_b64 v[56:57], v55 offset:128
	s_wait_dscnt 0x0
	v_pk_mul_f32 v[58:59], v[52:53], v[56:57] op_sel:[1,1] op_sel_hi:[0,1]
	v_pk_fma_f32 v[60:61], v[52:53], v[56:57], v[58:59] op_sel_hi:[1,0,1]
	v_pk_fma_f32 v[52:53], v[52:53], v[56:57], v[58:59] neg_lo:[0,0,1] neg_hi:[0,0,1]
	s_delay_alu instid0(VALU_DEP_2)
	v_mov_b32_e32 v53, v61
	scratch_store_b64 off, v[52:53], off offset:128
.LBB87_390:
	s_wait_xcnt 0x0
	s_or_b32 exec_lo, exec_lo, s0
	scratch_load_b64 v[52:53], off, off offset:136
	s_mov_b32 s0, exec_lo
	s_wait_loadcnt 0x0
	ds_store_b64 v1, v[52:53]
	s_wait_storecnt_dscnt 0x0
	s_barrier_signal -1
	s_barrier_wait -1
	s_wait_xcnt 0x0
	v_cmpx_gt_u32_e32 17, v0
	s_cbranch_execz .LBB87_400
; %bb.391:
	v_cmp_ne_u32_e32 vcc_lo, 1, v54
	s_cbranch_vccnz .LBB87_393
; %bb.392:
	scratch_load_b64 v[52:53], v51, off
	ds_load_b64 v[56:57], v1
	s_wait_loadcnt_dscnt 0x0
	v_pk_mul_f32 v[58:59], v[56:57], v[52:53] op_sel:[1,1] op_sel_hi:[0,1]
	s_delay_alu instid0(VALU_DEP_1) | instskip(SKIP_1) | instid1(VALU_DEP_2)
	v_pk_fma_f32 v[60:61], v[56:57], v[52:53], v[58:59] op_sel_hi:[1,0,1]
	v_pk_fma_f32 v[52:53], v[56:57], v[52:53], v[58:59] neg_lo:[0,0,1] neg_hi:[0,0,1]
	v_mov_b32_e32 v53, v61
	s_cbranch_execz .LBB87_394
	s_branch .LBB87_395
.LBB87_393:
                                        ; implicit-def: $vgpr52_vgpr53
.LBB87_394:
	ds_load_b64 v[52:53], v1
.LBB87_395:
	s_mov_b32 s2, exec_lo
	v_cmpx_ne_u32_e32 16, v0
	s_cbranch_execz .LBB87_399
; %bb.396:
	v_add_nc_u32_e32 v55, 0xc8, v50
	v_add3_u32 v56, 0, v50, 8
	v_mov_b32_e32 v57, v0
	s_mov_b32 s3, 0
.LBB87_397:                             ; =>This Inner Loop Header: Depth=1
	scratch_load_b64 v[58:59], v56, off
	ds_load_b64 v[60:61], v55
	s_wait_xcnt 0x0
	v_dual_add_nc_u32 v55, 8, v55 :: v_dual_add_nc_u32 v56, 8, v56
	s_wait_loadcnt_dscnt 0x0
	v_pk_mul_f32 v[62:63], v[60:61], v[58:59] op_sel:[1,1] op_sel_hi:[0,1]
	s_delay_alu instid0(VALU_DEP_1) | instskip(SKIP_2) | instid1(VALU_DEP_3)
	v_pk_fma_f32 v[64:65], v[60:61], v[58:59], v[62:63] op_sel_hi:[1,0,1]
	v_add_nc_u32_e32 v57, 1, v57
	v_pk_fma_f32 v[58:59], v[60:61], v[58:59], v[62:63] neg_lo:[0,0,1] neg_hi:[0,0,1]
	v_mov_b32_e32 v59, v65
	s_delay_alu instid0(VALU_DEP_3) | instskip(NEXT) | instid1(VALU_DEP_2)
	v_cmp_lt_u32_e32 vcc_lo, 15, v57
	v_pk_add_f32 v[52:53], v[52:53], v[58:59]
	s_or_b32 s3, vcc_lo, s3
	s_delay_alu instid0(SALU_CYCLE_1)
	s_and_not1_b32 exec_lo, exec_lo, s3
	s_cbranch_execnz .LBB87_397
; %bb.398:
	s_or_b32 exec_lo, exec_lo, s3
.LBB87_399:
	s_delay_alu instid0(SALU_CYCLE_1) | instskip(SKIP_4) | instid1(VALU_DEP_1)
	s_or_b32 exec_lo, exec_lo, s2
	v_mov_b32_e32 v55, 0
	ds_load_b64 v[56:57], v55 offset:136
	s_wait_dscnt 0x0
	v_pk_mul_f32 v[58:59], v[52:53], v[56:57] op_sel:[1,1] op_sel_hi:[0,1]
	v_pk_fma_f32 v[60:61], v[52:53], v[56:57], v[58:59] op_sel_hi:[1,0,1]
	v_pk_fma_f32 v[52:53], v[52:53], v[56:57], v[58:59] neg_lo:[0,0,1] neg_hi:[0,0,1]
	s_delay_alu instid0(VALU_DEP_2)
	v_mov_b32_e32 v53, v61
	scratch_store_b64 off, v[52:53], off offset:136
.LBB87_400:
	s_wait_xcnt 0x0
	s_or_b32 exec_lo, exec_lo, s0
	scratch_load_b64 v[52:53], off, off offset:144
	s_mov_b32 s0, exec_lo
	s_wait_loadcnt 0x0
	ds_store_b64 v1, v[52:53]
	s_wait_storecnt_dscnt 0x0
	s_barrier_signal -1
	s_barrier_wait -1
	s_wait_xcnt 0x0
	v_cmpx_gt_u32_e32 18, v0
	s_cbranch_execz .LBB87_410
; %bb.401:
	v_cmp_ne_u32_e32 vcc_lo, 1, v54
	s_cbranch_vccnz .LBB87_403
; %bb.402:
	scratch_load_b64 v[52:53], v51, off
	ds_load_b64 v[56:57], v1
	s_wait_loadcnt_dscnt 0x0
	v_pk_mul_f32 v[58:59], v[56:57], v[52:53] op_sel:[1,1] op_sel_hi:[0,1]
	s_delay_alu instid0(VALU_DEP_1) | instskip(SKIP_1) | instid1(VALU_DEP_2)
	v_pk_fma_f32 v[60:61], v[56:57], v[52:53], v[58:59] op_sel_hi:[1,0,1]
	v_pk_fma_f32 v[52:53], v[56:57], v[52:53], v[58:59] neg_lo:[0,0,1] neg_hi:[0,0,1]
	v_mov_b32_e32 v53, v61
	s_cbranch_execz .LBB87_404
	s_branch .LBB87_405
.LBB87_403:
                                        ; implicit-def: $vgpr52_vgpr53
.LBB87_404:
	ds_load_b64 v[52:53], v1
.LBB87_405:
	s_mov_b32 s2, exec_lo
	v_cmpx_ne_u32_e32 17, v0
	s_cbranch_execz .LBB87_409
; %bb.406:
	v_add_nc_u32_e32 v55, 0xc8, v50
	v_add3_u32 v56, 0, v50, 8
	v_mov_b32_e32 v57, v0
	s_mov_b32 s3, 0
.LBB87_407:                             ; =>This Inner Loop Header: Depth=1
	scratch_load_b64 v[58:59], v56, off
	ds_load_b64 v[60:61], v55
	s_wait_xcnt 0x0
	v_dual_add_nc_u32 v55, 8, v55 :: v_dual_add_nc_u32 v56, 8, v56
	s_wait_loadcnt_dscnt 0x0
	v_pk_mul_f32 v[62:63], v[60:61], v[58:59] op_sel:[1,1] op_sel_hi:[0,1]
	s_delay_alu instid0(VALU_DEP_1) | instskip(SKIP_2) | instid1(VALU_DEP_3)
	v_pk_fma_f32 v[64:65], v[60:61], v[58:59], v[62:63] op_sel_hi:[1,0,1]
	v_add_nc_u32_e32 v57, 1, v57
	v_pk_fma_f32 v[58:59], v[60:61], v[58:59], v[62:63] neg_lo:[0,0,1] neg_hi:[0,0,1]
	v_mov_b32_e32 v59, v65
	s_delay_alu instid0(VALU_DEP_3) | instskip(NEXT) | instid1(VALU_DEP_2)
	v_cmp_lt_u32_e32 vcc_lo, 16, v57
	v_pk_add_f32 v[52:53], v[52:53], v[58:59]
	s_or_b32 s3, vcc_lo, s3
	s_delay_alu instid0(SALU_CYCLE_1)
	s_and_not1_b32 exec_lo, exec_lo, s3
	s_cbranch_execnz .LBB87_407
; %bb.408:
	s_or_b32 exec_lo, exec_lo, s3
.LBB87_409:
	s_delay_alu instid0(SALU_CYCLE_1) | instskip(SKIP_4) | instid1(VALU_DEP_1)
	s_or_b32 exec_lo, exec_lo, s2
	v_mov_b32_e32 v55, 0
	ds_load_b64 v[56:57], v55 offset:144
	s_wait_dscnt 0x0
	v_pk_mul_f32 v[58:59], v[52:53], v[56:57] op_sel:[1,1] op_sel_hi:[0,1]
	v_pk_fma_f32 v[60:61], v[52:53], v[56:57], v[58:59] op_sel_hi:[1,0,1]
	v_pk_fma_f32 v[52:53], v[52:53], v[56:57], v[58:59] neg_lo:[0,0,1] neg_hi:[0,0,1]
	s_delay_alu instid0(VALU_DEP_2)
	v_mov_b32_e32 v53, v61
	scratch_store_b64 off, v[52:53], off offset:144
.LBB87_410:
	s_wait_xcnt 0x0
	s_or_b32 exec_lo, exec_lo, s0
	scratch_load_b64 v[52:53], off, off offset:152
	s_mov_b32 s0, exec_lo
	s_wait_loadcnt 0x0
	ds_store_b64 v1, v[52:53]
	s_wait_storecnt_dscnt 0x0
	s_barrier_signal -1
	s_barrier_wait -1
	s_wait_xcnt 0x0
	v_cmpx_gt_u32_e32 19, v0
	s_cbranch_execz .LBB87_420
; %bb.411:
	v_cmp_ne_u32_e32 vcc_lo, 1, v54
	s_cbranch_vccnz .LBB87_413
; %bb.412:
	scratch_load_b64 v[52:53], v51, off
	ds_load_b64 v[56:57], v1
	s_wait_loadcnt_dscnt 0x0
	v_pk_mul_f32 v[58:59], v[56:57], v[52:53] op_sel:[1,1] op_sel_hi:[0,1]
	s_delay_alu instid0(VALU_DEP_1) | instskip(SKIP_1) | instid1(VALU_DEP_2)
	v_pk_fma_f32 v[60:61], v[56:57], v[52:53], v[58:59] op_sel_hi:[1,0,1]
	v_pk_fma_f32 v[52:53], v[56:57], v[52:53], v[58:59] neg_lo:[0,0,1] neg_hi:[0,0,1]
	v_mov_b32_e32 v53, v61
	s_cbranch_execz .LBB87_414
	s_branch .LBB87_415
.LBB87_413:
                                        ; implicit-def: $vgpr52_vgpr53
.LBB87_414:
	ds_load_b64 v[52:53], v1
.LBB87_415:
	s_mov_b32 s2, exec_lo
	v_cmpx_ne_u32_e32 18, v0
	s_cbranch_execz .LBB87_419
; %bb.416:
	v_add_nc_u32_e32 v55, 0xc8, v50
	v_add3_u32 v56, 0, v50, 8
	v_mov_b32_e32 v57, v0
	s_mov_b32 s3, 0
.LBB87_417:                             ; =>This Inner Loop Header: Depth=1
	scratch_load_b64 v[58:59], v56, off
	ds_load_b64 v[60:61], v55
	s_wait_xcnt 0x0
	v_dual_add_nc_u32 v55, 8, v55 :: v_dual_add_nc_u32 v56, 8, v56
	s_wait_loadcnt_dscnt 0x0
	v_pk_mul_f32 v[62:63], v[60:61], v[58:59] op_sel:[1,1] op_sel_hi:[0,1]
	s_delay_alu instid0(VALU_DEP_1) | instskip(SKIP_2) | instid1(VALU_DEP_3)
	v_pk_fma_f32 v[64:65], v[60:61], v[58:59], v[62:63] op_sel_hi:[1,0,1]
	v_add_nc_u32_e32 v57, 1, v57
	v_pk_fma_f32 v[58:59], v[60:61], v[58:59], v[62:63] neg_lo:[0,0,1] neg_hi:[0,0,1]
	v_mov_b32_e32 v59, v65
	s_delay_alu instid0(VALU_DEP_3) | instskip(NEXT) | instid1(VALU_DEP_2)
	v_cmp_lt_u32_e32 vcc_lo, 17, v57
	v_pk_add_f32 v[52:53], v[52:53], v[58:59]
	s_or_b32 s3, vcc_lo, s3
	s_delay_alu instid0(SALU_CYCLE_1)
	s_and_not1_b32 exec_lo, exec_lo, s3
	s_cbranch_execnz .LBB87_417
; %bb.418:
	s_or_b32 exec_lo, exec_lo, s3
.LBB87_419:
	s_delay_alu instid0(SALU_CYCLE_1) | instskip(SKIP_4) | instid1(VALU_DEP_1)
	s_or_b32 exec_lo, exec_lo, s2
	v_mov_b32_e32 v55, 0
	ds_load_b64 v[56:57], v55 offset:152
	s_wait_dscnt 0x0
	v_pk_mul_f32 v[58:59], v[52:53], v[56:57] op_sel:[1,1] op_sel_hi:[0,1]
	v_pk_fma_f32 v[60:61], v[52:53], v[56:57], v[58:59] op_sel_hi:[1,0,1]
	v_pk_fma_f32 v[52:53], v[52:53], v[56:57], v[58:59] neg_lo:[0,0,1] neg_hi:[0,0,1]
	s_delay_alu instid0(VALU_DEP_2)
	v_mov_b32_e32 v53, v61
	scratch_store_b64 off, v[52:53], off offset:152
.LBB87_420:
	s_wait_xcnt 0x0
	s_or_b32 exec_lo, exec_lo, s0
	scratch_load_b64 v[52:53], off, off offset:160
	s_mov_b32 s0, exec_lo
	s_wait_loadcnt 0x0
	ds_store_b64 v1, v[52:53]
	s_wait_storecnt_dscnt 0x0
	s_barrier_signal -1
	s_barrier_wait -1
	s_wait_xcnt 0x0
	v_cmpx_gt_u32_e32 20, v0
	s_cbranch_execz .LBB87_430
; %bb.421:
	v_cmp_ne_u32_e32 vcc_lo, 1, v54
	s_cbranch_vccnz .LBB87_423
; %bb.422:
	scratch_load_b64 v[52:53], v51, off
	ds_load_b64 v[56:57], v1
	s_wait_loadcnt_dscnt 0x0
	v_pk_mul_f32 v[58:59], v[56:57], v[52:53] op_sel:[1,1] op_sel_hi:[0,1]
	s_delay_alu instid0(VALU_DEP_1) | instskip(SKIP_1) | instid1(VALU_DEP_2)
	v_pk_fma_f32 v[60:61], v[56:57], v[52:53], v[58:59] op_sel_hi:[1,0,1]
	v_pk_fma_f32 v[52:53], v[56:57], v[52:53], v[58:59] neg_lo:[0,0,1] neg_hi:[0,0,1]
	v_mov_b32_e32 v53, v61
	s_cbranch_execz .LBB87_424
	s_branch .LBB87_425
.LBB87_423:
                                        ; implicit-def: $vgpr52_vgpr53
.LBB87_424:
	ds_load_b64 v[52:53], v1
.LBB87_425:
	s_mov_b32 s2, exec_lo
	v_cmpx_ne_u32_e32 19, v0
	s_cbranch_execz .LBB87_429
; %bb.426:
	v_add_nc_u32_e32 v55, 0xc8, v50
	v_add3_u32 v56, 0, v50, 8
	v_mov_b32_e32 v57, v0
	s_mov_b32 s3, 0
.LBB87_427:                             ; =>This Inner Loop Header: Depth=1
	scratch_load_b64 v[58:59], v56, off
	ds_load_b64 v[60:61], v55
	s_wait_xcnt 0x0
	v_dual_add_nc_u32 v55, 8, v55 :: v_dual_add_nc_u32 v56, 8, v56
	s_wait_loadcnt_dscnt 0x0
	v_pk_mul_f32 v[62:63], v[60:61], v[58:59] op_sel:[1,1] op_sel_hi:[0,1]
	s_delay_alu instid0(VALU_DEP_1) | instskip(SKIP_2) | instid1(VALU_DEP_3)
	v_pk_fma_f32 v[64:65], v[60:61], v[58:59], v[62:63] op_sel_hi:[1,0,1]
	v_add_nc_u32_e32 v57, 1, v57
	v_pk_fma_f32 v[58:59], v[60:61], v[58:59], v[62:63] neg_lo:[0,0,1] neg_hi:[0,0,1]
	v_mov_b32_e32 v59, v65
	s_delay_alu instid0(VALU_DEP_3) | instskip(NEXT) | instid1(VALU_DEP_2)
	v_cmp_lt_u32_e32 vcc_lo, 18, v57
	v_pk_add_f32 v[52:53], v[52:53], v[58:59]
	s_or_b32 s3, vcc_lo, s3
	s_delay_alu instid0(SALU_CYCLE_1)
	s_and_not1_b32 exec_lo, exec_lo, s3
	s_cbranch_execnz .LBB87_427
; %bb.428:
	s_or_b32 exec_lo, exec_lo, s3
.LBB87_429:
	s_delay_alu instid0(SALU_CYCLE_1) | instskip(SKIP_4) | instid1(VALU_DEP_1)
	s_or_b32 exec_lo, exec_lo, s2
	v_mov_b32_e32 v55, 0
	ds_load_b64 v[56:57], v55 offset:160
	s_wait_dscnt 0x0
	v_pk_mul_f32 v[58:59], v[52:53], v[56:57] op_sel:[1,1] op_sel_hi:[0,1]
	v_pk_fma_f32 v[60:61], v[52:53], v[56:57], v[58:59] op_sel_hi:[1,0,1]
	v_pk_fma_f32 v[52:53], v[52:53], v[56:57], v[58:59] neg_lo:[0,0,1] neg_hi:[0,0,1]
	s_delay_alu instid0(VALU_DEP_2)
	v_mov_b32_e32 v53, v61
	scratch_store_b64 off, v[52:53], off offset:160
.LBB87_430:
	s_wait_xcnt 0x0
	s_or_b32 exec_lo, exec_lo, s0
	scratch_load_b64 v[52:53], off, off offset:168
	s_mov_b32 s0, exec_lo
	s_wait_loadcnt 0x0
	ds_store_b64 v1, v[52:53]
	s_wait_storecnt_dscnt 0x0
	s_barrier_signal -1
	s_barrier_wait -1
	s_wait_xcnt 0x0
	v_cmpx_gt_u32_e32 21, v0
	s_cbranch_execz .LBB87_440
; %bb.431:
	v_cmp_ne_u32_e32 vcc_lo, 1, v54
	s_cbranch_vccnz .LBB87_433
; %bb.432:
	scratch_load_b64 v[52:53], v51, off
	ds_load_b64 v[56:57], v1
	s_wait_loadcnt_dscnt 0x0
	v_pk_mul_f32 v[58:59], v[56:57], v[52:53] op_sel:[1,1] op_sel_hi:[0,1]
	s_delay_alu instid0(VALU_DEP_1) | instskip(SKIP_1) | instid1(VALU_DEP_2)
	v_pk_fma_f32 v[60:61], v[56:57], v[52:53], v[58:59] op_sel_hi:[1,0,1]
	v_pk_fma_f32 v[52:53], v[56:57], v[52:53], v[58:59] neg_lo:[0,0,1] neg_hi:[0,0,1]
	v_mov_b32_e32 v53, v61
	s_cbranch_execz .LBB87_434
	s_branch .LBB87_435
.LBB87_433:
                                        ; implicit-def: $vgpr52_vgpr53
.LBB87_434:
	ds_load_b64 v[52:53], v1
.LBB87_435:
	s_mov_b32 s2, exec_lo
	v_cmpx_ne_u32_e32 20, v0
	s_cbranch_execz .LBB87_439
; %bb.436:
	v_add_nc_u32_e32 v55, 0xc8, v50
	v_add3_u32 v56, 0, v50, 8
	v_mov_b32_e32 v57, v0
	s_mov_b32 s3, 0
.LBB87_437:                             ; =>This Inner Loop Header: Depth=1
	scratch_load_b64 v[58:59], v56, off
	ds_load_b64 v[60:61], v55
	s_wait_xcnt 0x0
	v_dual_add_nc_u32 v55, 8, v55 :: v_dual_add_nc_u32 v56, 8, v56
	s_wait_loadcnt_dscnt 0x0
	v_pk_mul_f32 v[62:63], v[60:61], v[58:59] op_sel:[1,1] op_sel_hi:[0,1]
	s_delay_alu instid0(VALU_DEP_1) | instskip(SKIP_2) | instid1(VALU_DEP_3)
	v_pk_fma_f32 v[64:65], v[60:61], v[58:59], v[62:63] op_sel_hi:[1,0,1]
	v_add_nc_u32_e32 v57, 1, v57
	v_pk_fma_f32 v[58:59], v[60:61], v[58:59], v[62:63] neg_lo:[0,0,1] neg_hi:[0,0,1]
	v_mov_b32_e32 v59, v65
	s_delay_alu instid0(VALU_DEP_3) | instskip(NEXT) | instid1(VALU_DEP_2)
	v_cmp_lt_u32_e32 vcc_lo, 19, v57
	v_pk_add_f32 v[52:53], v[52:53], v[58:59]
	s_or_b32 s3, vcc_lo, s3
	s_delay_alu instid0(SALU_CYCLE_1)
	s_and_not1_b32 exec_lo, exec_lo, s3
	s_cbranch_execnz .LBB87_437
; %bb.438:
	s_or_b32 exec_lo, exec_lo, s3
.LBB87_439:
	s_delay_alu instid0(SALU_CYCLE_1) | instskip(SKIP_4) | instid1(VALU_DEP_1)
	s_or_b32 exec_lo, exec_lo, s2
	v_mov_b32_e32 v55, 0
	ds_load_b64 v[56:57], v55 offset:168
	s_wait_dscnt 0x0
	v_pk_mul_f32 v[58:59], v[52:53], v[56:57] op_sel:[1,1] op_sel_hi:[0,1]
	v_pk_fma_f32 v[60:61], v[52:53], v[56:57], v[58:59] op_sel_hi:[1,0,1]
	v_pk_fma_f32 v[52:53], v[52:53], v[56:57], v[58:59] neg_lo:[0,0,1] neg_hi:[0,0,1]
	s_delay_alu instid0(VALU_DEP_2)
	v_mov_b32_e32 v53, v61
	scratch_store_b64 off, v[52:53], off offset:168
.LBB87_440:
	s_wait_xcnt 0x0
	s_or_b32 exec_lo, exec_lo, s0
	scratch_load_b64 v[52:53], off, off offset:176
	v_cmp_gt_u32_e64 s0, 22, v0
	s_wait_loadcnt 0x0
	ds_store_b64 v1, v[52:53]
	s_wait_storecnt_dscnt 0x0
	s_barrier_signal -1
	s_barrier_wait -1
	s_wait_xcnt 0x0
	s_and_saveexec_b32 s2, s0
	s_cbranch_execz .LBB87_450
; %bb.441:
	v_cmp_ne_u32_e32 vcc_lo, 1, v54
	s_cbranch_vccnz .LBB87_443
; %bb.442:
	scratch_load_b64 v[52:53], v51, off
	ds_load_b64 v[56:57], v1
	s_wait_loadcnt_dscnt 0x0
	v_pk_mul_f32 v[58:59], v[56:57], v[52:53] op_sel:[1,1] op_sel_hi:[0,1]
	s_delay_alu instid0(VALU_DEP_1) | instskip(SKIP_1) | instid1(VALU_DEP_2)
	v_pk_fma_f32 v[60:61], v[56:57], v[52:53], v[58:59] op_sel_hi:[1,0,1]
	v_pk_fma_f32 v[52:53], v[56:57], v[52:53], v[58:59] neg_lo:[0,0,1] neg_hi:[0,0,1]
	v_mov_b32_e32 v53, v61
	s_cbranch_execz .LBB87_444
	s_branch .LBB87_445
.LBB87_443:
                                        ; implicit-def: $vgpr52_vgpr53
.LBB87_444:
	ds_load_b64 v[52:53], v1
.LBB87_445:
	s_mov_b32 s3, exec_lo
	v_cmpx_ne_u32_e32 21, v0
	s_cbranch_execz .LBB87_449
; %bb.446:
	v_add_nc_u32_e32 v55, 0xc8, v50
	v_add3_u32 v56, 0, v50, 8
	v_mov_b32_e32 v57, v0
	s_mov_b32 s4, 0
.LBB87_447:                             ; =>This Inner Loop Header: Depth=1
	scratch_load_b64 v[58:59], v56, off
	ds_load_b64 v[60:61], v55
	s_wait_xcnt 0x0
	v_dual_add_nc_u32 v55, 8, v55 :: v_dual_add_nc_u32 v56, 8, v56
	s_wait_loadcnt_dscnt 0x0
	v_pk_mul_f32 v[62:63], v[60:61], v[58:59] op_sel:[1,1] op_sel_hi:[0,1]
	s_delay_alu instid0(VALU_DEP_1) | instskip(SKIP_2) | instid1(VALU_DEP_3)
	v_pk_fma_f32 v[64:65], v[60:61], v[58:59], v[62:63] op_sel_hi:[1,0,1]
	v_add_nc_u32_e32 v57, 1, v57
	v_pk_fma_f32 v[58:59], v[60:61], v[58:59], v[62:63] neg_lo:[0,0,1] neg_hi:[0,0,1]
	v_mov_b32_e32 v59, v65
	s_delay_alu instid0(VALU_DEP_3) | instskip(NEXT) | instid1(VALU_DEP_2)
	v_cmp_lt_u32_e32 vcc_lo, 20, v57
	v_pk_add_f32 v[52:53], v[52:53], v[58:59]
	s_or_b32 s4, vcc_lo, s4
	s_delay_alu instid0(SALU_CYCLE_1)
	s_and_not1_b32 exec_lo, exec_lo, s4
	s_cbranch_execnz .LBB87_447
; %bb.448:
	s_or_b32 exec_lo, exec_lo, s4
.LBB87_449:
	s_delay_alu instid0(SALU_CYCLE_1) | instskip(SKIP_4) | instid1(VALU_DEP_1)
	s_or_b32 exec_lo, exec_lo, s3
	v_mov_b32_e32 v55, 0
	ds_load_b64 v[56:57], v55 offset:176
	s_wait_dscnt 0x0
	v_pk_mul_f32 v[58:59], v[52:53], v[56:57] op_sel:[1,1] op_sel_hi:[0,1]
	v_pk_fma_f32 v[60:61], v[52:53], v[56:57], v[58:59] op_sel_hi:[1,0,1]
	v_pk_fma_f32 v[52:53], v[52:53], v[56:57], v[58:59] neg_lo:[0,0,1] neg_hi:[0,0,1]
	s_delay_alu instid0(VALU_DEP_2)
	v_mov_b32_e32 v53, v61
	scratch_store_b64 off, v[52:53], off offset:176
.LBB87_450:
	s_wait_xcnt 0x0
	s_or_b32 exec_lo, exec_lo, s2
	scratch_load_b64 v[52:53], off, off offset:184
	s_mov_b32 s2, exec_lo
                                        ; implicit-def: $vgpr70
                                        ; implicit-def: $sgpr5
	s_wait_loadcnt 0x0
	ds_store_b64 v1, v[52:53]
	s_wait_storecnt_dscnt 0x0
	s_barrier_signal -1
	s_barrier_wait -1
	s_wait_xcnt 0x0
	v_cmpx_ne_u32_e32 23, v0
	s_cbranch_execz .LBB87_460
; %bb.451:
	v_cmp_ne_u32_e32 vcc_lo, 1, v54
	s_cbranch_vccnz .LBB87_453
; %bb.452:
	scratch_load_b64 v[54:55], v51, off
	ds_load_b64 v[56:57], v1
	s_wait_loadcnt_dscnt 0x0
	v_dual_mul_f32 v51, v57, v55 :: v_dual_mul_f32 v53, v56, v55
	s_delay_alu instid0(VALU_DEP_1)
	v_dual_fma_f32 v52, v56, v54, -v51 :: v_dual_fmac_f32 v53, v57, v54
	s_cbranch_execz .LBB87_454
	s_branch .LBB87_455
.LBB87_453:
                                        ; implicit-def: $vgpr53
.LBB87_454:
	ds_load_b64 v[52:53], v1
.LBB87_455:
	s_and_saveexec_b32 s3, s0
	s_cbranch_execz .LBB87_459
; %bb.456:
	v_add_nc_u32_e32 v1, 0xc8, v50
	v_add3_u32 v50, 0, v50, 8
	s_mov_b32 s0, 0
.LBB87_457:                             ; =>This Inner Loop Header: Depth=1
	scratch_load_b64 v[54:55], v50, off
	ds_load_b64 v[56:57], v1
	s_wait_loadcnt_dscnt 0x0
	v_dual_add_nc_u32 v1, 8, v1 :: v_dual_mul_f32 v51, v57, v55
	v_dual_mul_f32 v55, v56, v55 :: v_dual_add_nc_u32 v0, 1, v0
	s_delay_alu instid0(VALU_DEP_2) | instskip(NEXT) | instid1(VALU_DEP_2)
	v_fma_f32 v51, v56, v54, -v51
	v_fmac_f32_e32 v55, v57, v54
	s_delay_alu instid0(VALU_DEP_3) | instskip(NEXT) | instid1(VALU_DEP_3)
	v_cmp_lt_u32_e32 vcc_lo, 21, v0
	v_dual_add_nc_u32 v50, 8, v50 :: v_dual_add_f32 v52, v52, v51
	s_delay_alu instid0(VALU_DEP_3) | instskip(SKIP_1) | instid1(SALU_CYCLE_1)
	v_add_f32_e32 v53, v53, v55
	s_or_b32 s0, vcc_lo, s0
	s_and_not1_b32 exec_lo, exec_lo, s0
	s_cbranch_execnz .LBB87_457
; %bb.458:
	s_or_b32 exec_lo, exec_lo, s0
.LBB87_459:
	s_delay_alu instid0(SALU_CYCLE_1)
	s_or_b32 exec_lo, exec_lo, s3
	v_mov_b32_e32 v0, 0
	s_movk_i32 s5, 0xbc
	s_or_b32 s1, s1, exec_lo
	ds_load_b64 v[0:1], v0 offset:184
	s_wait_dscnt 0x0
	v_dual_mul_f32 v50, v53, v1 :: v_dual_mul_f32 v70, v52, v1
	s_delay_alu instid0(VALU_DEP_1) | instskip(NEXT) | instid1(VALU_DEP_2)
	v_fma_f32 v1, v52, v0, -v50
	v_fmac_f32_e32 v70, v53, v0
	scratch_store_b32 off, v1, off offset:184
.LBB87_460:
	s_wait_xcnt 0x0
	s_or_b32 exec_lo, exec_lo, s2
.LBB87_461:
	v_lshl_add_u64 v[68:69], v[6:7], 3, s[6:7]
	v_lshl_add_u64 v[66:67], v[8:9], 3, s[6:7]
	;; [unrolled: 1-line block ×22, first 2 shown]
	s_and_saveexec_b32 s0, s1
	s_cbranch_execz .LBB87_463
; %bb.462:
	scratch_store_b32 off, v70, s5
.LBB87_463:
	s_wait_xcnt 0x0
	s_or_b32 exec_lo, exec_lo, s0
	scratch_load_b64 v[28:29], off, off
	s_wait_loadcnt 0x0
	flat_store_b64 v[2:3], v[28:29]
	scratch_load_b64 v[2:3], off, off offset:8
	s_wait_loadcnt 0x0
	flat_store_b64 v[4:5], v[2:3]
	scratch_load_b64 v[2:3], off, off offset:16
	;; [unrolled: 3-line block ×23, first 2 shown]
	s_wait_loadcnt 0x0
	flat_store_b64 v[0:1], v[2:3]
.LBB87_464:
	s_sendmsg sendmsg(MSG_DEALLOC_VGPRS)
	s_endpgm
	.section	.rodata,"a",@progbits
	.p2align	6, 0x0
	.amdhsa_kernel _ZN9rocsolver6v33100L18trti2_kernel_smallILi24E19rocblas_complex_numIfEPKPS3_EEv13rocblas_fill_17rocblas_diagonal_T1_iil
		.amdhsa_group_segment_fixed_size 384
		.amdhsa_private_segment_fixed_size 208
		.amdhsa_kernarg_size 32
		.amdhsa_user_sgpr_count 2
		.amdhsa_user_sgpr_dispatch_ptr 0
		.amdhsa_user_sgpr_queue_ptr 0
		.amdhsa_user_sgpr_kernarg_segment_ptr 1
		.amdhsa_user_sgpr_dispatch_id 0
		.amdhsa_user_sgpr_kernarg_preload_length 0
		.amdhsa_user_sgpr_kernarg_preload_offset 0
		.amdhsa_user_sgpr_private_segment_size 0
		.amdhsa_wavefront_size32 1
		.amdhsa_uses_dynamic_stack 0
		.amdhsa_enable_private_segment 1
		.amdhsa_system_sgpr_workgroup_id_x 1
		.amdhsa_system_sgpr_workgroup_id_y 0
		.amdhsa_system_sgpr_workgroup_id_z 0
		.amdhsa_system_sgpr_workgroup_info 0
		.amdhsa_system_vgpr_workitem_id 0
		.amdhsa_next_free_vgpr 71
		.amdhsa_next_free_sgpr 29
		.amdhsa_named_barrier_count 0
		.amdhsa_reserve_vcc 1
		.amdhsa_float_round_mode_32 0
		.amdhsa_float_round_mode_16_64 0
		.amdhsa_float_denorm_mode_32 3
		.amdhsa_float_denorm_mode_16_64 3
		.amdhsa_fp16_overflow 0
		.amdhsa_memory_ordered 1
		.amdhsa_forward_progress 1
		.amdhsa_inst_pref_size 144
		.amdhsa_round_robin_scheduling 0
		.amdhsa_exception_fp_ieee_invalid_op 0
		.amdhsa_exception_fp_denorm_src 0
		.amdhsa_exception_fp_ieee_div_zero 0
		.amdhsa_exception_fp_ieee_overflow 0
		.amdhsa_exception_fp_ieee_underflow 0
		.amdhsa_exception_fp_ieee_inexact 0
		.amdhsa_exception_int_div_zero 0
	.end_amdhsa_kernel
	.section	.text._ZN9rocsolver6v33100L18trti2_kernel_smallILi24E19rocblas_complex_numIfEPKPS3_EEv13rocblas_fill_17rocblas_diagonal_T1_iil,"axG",@progbits,_ZN9rocsolver6v33100L18trti2_kernel_smallILi24E19rocblas_complex_numIfEPKPS3_EEv13rocblas_fill_17rocblas_diagonal_T1_iil,comdat
.Lfunc_end87:
	.size	_ZN9rocsolver6v33100L18trti2_kernel_smallILi24E19rocblas_complex_numIfEPKPS3_EEv13rocblas_fill_17rocblas_diagonal_T1_iil, .Lfunc_end87-_ZN9rocsolver6v33100L18trti2_kernel_smallILi24E19rocblas_complex_numIfEPKPS3_EEv13rocblas_fill_17rocblas_diagonal_T1_iil
                                        ; -- End function
	.set _ZN9rocsolver6v33100L18trti2_kernel_smallILi24E19rocblas_complex_numIfEPKPS3_EEv13rocblas_fill_17rocblas_diagonal_T1_iil.num_vgpr, 71
	.set _ZN9rocsolver6v33100L18trti2_kernel_smallILi24E19rocblas_complex_numIfEPKPS3_EEv13rocblas_fill_17rocblas_diagonal_T1_iil.num_agpr, 0
	.set _ZN9rocsolver6v33100L18trti2_kernel_smallILi24E19rocblas_complex_numIfEPKPS3_EEv13rocblas_fill_17rocblas_diagonal_T1_iil.numbered_sgpr, 29
	.set _ZN9rocsolver6v33100L18trti2_kernel_smallILi24E19rocblas_complex_numIfEPKPS3_EEv13rocblas_fill_17rocblas_diagonal_T1_iil.num_named_barrier, 0
	.set _ZN9rocsolver6v33100L18trti2_kernel_smallILi24E19rocblas_complex_numIfEPKPS3_EEv13rocblas_fill_17rocblas_diagonal_T1_iil.private_seg_size, 208
	.set _ZN9rocsolver6v33100L18trti2_kernel_smallILi24E19rocblas_complex_numIfEPKPS3_EEv13rocblas_fill_17rocblas_diagonal_T1_iil.uses_vcc, 1
	.set _ZN9rocsolver6v33100L18trti2_kernel_smallILi24E19rocblas_complex_numIfEPKPS3_EEv13rocblas_fill_17rocblas_diagonal_T1_iil.uses_flat_scratch, 0
	.set _ZN9rocsolver6v33100L18trti2_kernel_smallILi24E19rocblas_complex_numIfEPKPS3_EEv13rocblas_fill_17rocblas_diagonal_T1_iil.has_dyn_sized_stack, 0
	.set _ZN9rocsolver6v33100L18trti2_kernel_smallILi24E19rocblas_complex_numIfEPKPS3_EEv13rocblas_fill_17rocblas_diagonal_T1_iil.has_recursion, 0
	.set _ZN9rocsolver6v33100L18trti2_kernel_smallILi24E19rocblas_complex_numIfEPKPS3_EEv13rocblas_fill_17rocblas_diagonal_T1_iil.has_indirect_call, 0
	.section	.AMDGPU.csdata,"",@progbits
; Kernel info:
; codeLenInByte = 18388
; TotalNumSgprs: 31
; NumVgprs: 71
; ScratchSize: 208
; MemoryBound: 0
; FloatMode: 240
; IeeeMode: 1
; LDSByteSize: 384 bytes/workgroup (compile time only)
; SGPRBlocks: 0
; VGPRBlocks: 4
; NumSGPRsForWavesPerEU: 31
; NumVGPRsForWavesPerEU: 71
; NamedBarCnt: 0
; Occupancy: 12
; WaveLimiterHint : 1
; COMPUTE_PGM_RSRC2:SCRATCH_EN: 1
; COMPUTE_PGM_RSRC2:USER_SGPR: 2
; COMPUTE_PGM_RSRC2:TRAP_HANDLER: 0
; COMPUTE_PGM_RSRC2:TGID_X_EN: 1
; COMPUTE_PGM_RSRC2:TGID_Y_EN: 0
; COMPUTE_PGM_RSRC2:TGID_Z_EN: 0
; COMPUTE_PGM_RSRC2:TIDIG_COMP_CNT: 0
	.section	.text._ZN9rocsolver6v33100L18trti2_kernel_smallILi25E19rocblas_complex_numIfEPKPS3_EEv13rocblas_fill_17rocblas_diagonal_T1_iil,"axG",@progbits,_ZN9rocsolver6v33100L18trti2_kernel_smallILi25E19rocblas_complex_numIfEPKPS3_EEv13rocblas_fill_17rocblas_diagonal_T1_iil,comdat
	.globl	_ZN9rocsolver6v33100L18trti2_kernel_smallILi25E19rocblas_complex_numIfEPKPS3_EEv13rocblas_fill_17rocblas_diagonal_T1_iil ; -- Begin function _ZN9rocsolver6v33100L18trti2_kernel_smallILi25E19rocblas_complex_numIfEPKPS3_EEv13rocblas_fill_17rocblas_diagonal_T1_iil
	.p2align	8
	.type	_ZN9rocsolver6v33100L18trti2_kernel_smallILi25E19rocblas_complex_numIfEPKPS3_EEv13rocblas_fill_17rocblas_diagonal_T1_iil,@function
_ZN9rocsolver6v33100L18trti2_kernel_smallILi25E19rocblas_complex_numIfEPKPS3_EEv13rocblas_fill_17rocblas_diagonal_T1_iil: ; @_ZN9rocsolver6v33100L18trti2_kernel_smallILi25E19rocblas_complex_numIfEPKPS3_EEv13rocblas_fill_17rocblas_diagonal_T1_iil
; %bb.0:
	s_mov_b32 s2, exec_lo
	v_cmpx_gt_u32_e32 25, v0
	s_cbranch_execz .LBB88_484
; %bb.1:
	s_clause 0x1
	s_load_b64 s[8:9], s[0:1], 0x10
	s_load_b128 s[4:7], s[0:1], 0x0
	s_wait_xcnt 0x0
	s_bfe_u32 s0, ttmp6, 0x4000c
	s_and_b32 s1, ttmp6, 15
	s_add_co_i32 s0, s0, 1
	s_getreg_b32 s2, hwreg(HW_REG_IB_STS2, 6, 4)
	s_mul_i32 s0, ttmp9, s0
	v_dual_mov_b32 v53, 0 :: v_dual_lshlrev_b32 v52, 3, v0
	s_add_co_i32 s0, s1, s0
	s_wait_kmcnt 0x0
	s_ashr_i32 s1, s8, 31
	s_cmp_eq_u32 s2, 0
	s_cselect_b32 s2, ttmp9, s0
	s_mov_b32 s0, s8
	s_ashr_i32 s3, s2, 31
	s_lshl_b64 s[0:1], s[0:1], 3
	s_lshl_b64 s[2:3], s[2:3], 3
	s_delay_alu instid0(SALU_CYCLE_1)
	s_add_nc_u64 s[2:3], s[6:7], s[2:3]
	s_load_b64 s[2:3], s[2:3], 0x0
	s_wait_kmcnt 0x0
	s_add_nc_u64 s[2:3], s[2:3], s[0:1]
	s_mov_b32 s0, s9
	flat_load_b64 v[6:7], v0, s[2:3] scale_offset
	v_add_nc_u64_e32 v[2:3], s[2:3], v[52:53]
	s_ashr_i32 s1, s9, 31
	s_cmp_lg_u32 s5, 0x84
	s_cselect_b32 s5, -1, 0
	s_delay_alu instid0(SALU_CYCLE_1) | instskip(NEXT) | instid1(VALU_DEP_1)
	s_and_b32 vcc_lo, exec_lo, s5
	v_lshl_add_u64 v[4:5], s[0:1], 3, v[2:3]
	s_mov_b32 s0, -1
	s_wait_loadcnt_dscnt 0x0
	scratch_store_b64 off, v[6:7], off
	flat_load_b64 v[8:9], v[4:5]
	s_wait_xcnt 0x1
	v_add3_u32 v6, s9, s9, v0
	s_wait_loadcnt_dscnt 0x0
	scratch_store_b64 off, v[8:9], off offset:8
	flat_load_b64 v[10:11], v6, s[2:3] scale_offset
	s_wait_xcnt 0x1
	v_add_nc_u32_e32 v8, s9, v6
	s_wait_loadcnt_dscnt 0x0
	scratch_store_b64 off, v[10:11], off offset:16
	flat_load_b64 v[12:13], v8, s[2:3] scale_offset
	s_wait_xcnt 0x1
	v_add_nc_u32_e32 v10, s9, v8
	;; [unrolled: 5-line block ×22, first 2 shown]
	s_wait_loadcnt_dscnt 0x0
	scratch_store_b64 off, v[54:55], off offset:184
	flat_load_b64 v[54:55], v50, s[2:3] scale_offset
	s_wait_loadcnt_dscnt 0x0
	scratch_store_b64 off, v[54:55], off offset:192
	s_cbranch_vccz .LBB88_7
; %bb.2:
	scratch_load_b64 v[54:55], v0, off scale_offset
                                        ; implicit-def: $vgpr59
                                        ; implicit-def: $vgpr56
	s_wait_loadcnt 0x0
	v_cmp_ngt_f32_e64 s0, |v54|, |v55|
	s_wait_xcnt 0x0
	s_and_saveexec_b32 s1, s0
	s_delay_alu instid0(SALU_CYCLE_1)
	s_xor_b32 s0, exec_lo, s1
	s_cbranch_execz .LBB88_4
; %bb.3:
	v_div_scale_f32 v1, null, v55, v55, v54
	v_div_scale_f32 v11, vcc_lo, v54, v55, v54
	s_delay_alu instid0(VALU_DEP_2) | instskip(SKIP_1) | instid1(TRANS32_DEP_1)
	v_rcp_f32_e32 v7, v1
	v_nop
	v_fma_f32 v9, -v1, v7, 1.0
	s_delay_alu instid0(VALU_DEP_1) | instskip(NEXT) | instid1(VALU_DEP_1)
	v_fmac_f32_e32 v7, v9, v7
	v_mul_f32_e32 v9, v11, v7
	s_delay_alu instid0(VALU_DEP_1) | instskip(NEXT) | instid1(VALU_DEP_1)
	v_fma_f32 v13, -v1, v9, v11
	v_fmac_f32_e32 v9, v13, v7
	s_delay_alu instid0(VALU_DEP_1) | instskip(NEXT) | instid1(VALU_DEP_1)
	v_fma_f32 v1, -v1, v9, v11
	v_div_fmas_f32 v1, v1, v7, v9
	s_delay_alu instid0(VALU_DEP_1) | instskip(NEXT) | instid1(VALU_DEP_1)
	v_div_fixup_f32 v1, v1, v55, v54
	v_fmac_f32_e32 v55, v54, v1
	s_delay_alu instid0(VALU_DEP_1) | instskip(NEXT) | instid1(VALU_DEP_1)
	v_div_scale_f32 v7, null, v55, v55, -1.0
	v_rcp_f32_e32 v9, v7
	v_nop
	s_delay_alu instid0(TRANS32_DEP_1) | instskip(NEXT) | instid1(VALU_DEP_1)
	v_fma_f32 v11, -v7, v9, 1.0
	v_fmac_f32_e32 v9, v11, v9
	v_div_scale_f32 v11, vcc_lo, -1.0, v55, -1.0
	s_delay_alu instid0(VALU_DEP_1) | instskip(NEXT) | instid1(VALU_DEP_1)
	v_mul_f32_e32 v13, v11, v9
	v_fma_f32 v15, -v7, v13, v11
	s_delay_alu instid0(VALU_DEP_1) | instskip(NEXT) | instid1(VALU_DEP_1)
	v_fmac_f32_e32 v13, v15, v9
	v_fma_f32 v7, -v7, v13, v11
	s_delay_alu instid0(VALU_DEP_1) | instskip(NEXT) | instid1(VALU_DEP_1)
	v_div_fmas_f32 v7, v7, v9, v13
	v_div_fixup_f32 v59, v7, v55, -1.0
                                        ; implicit-def: $vgpr54_vgpr55
	s_delay_alu instid0(VALU_DEP_1) | instskip(NEXT) | instid1(VALU_DEP_1)
	v_mul_f32_e32 v56, v1, v59
	v_xor_b32_e32 v58, 0x80000000, v56
.LBB88_4:
	s_or_saveexec_b32 s0, s0
	v_lshl_add_u32 v1, v0, 3, 0
	s_xor_b32 exec_lo, exec_lo, s0
	s_cbranch_execz .LBB88_6
; %bb.5:
	v_div_scale_f32 v7, null, v54, v54, v55
	v_div_scale_f32 v13, vcc_lo, v55, v54, v55
	s_delay_alu instid0(VALU_DEP_2) | instskip(SKIP_1) | instid1(TRANS32_DEP_1)
	v_rcp_f32_e32 v9, v7
	v_nop
	v_fma_f32 v11, -v7, v9, 1.0
	s_delay_alu instid0(VALU_DEP_1) | instskip(NEXT) | instid1(VALU_DEP_1)
	v_fmac_f32_e32 v9, v11, v9
	v_mul_f32_e32 v11, v13, v9
	s_delay_alu instid0(VALU_DEP_1) | instskip(NEXT) | instid1(VALU_DEP_1)
	v_fma_f32 v15, -v7, v11, v13
	v_fmac_f32_e32 v11, v15, v9
	s_delay_alu instid0(VALU_DEP_1) | instskip(NEXT) | instid1(VALU_DEP_1)
	v_fma_f32 v7, -v7, v11, v13
	v_div_fmas_f32 v7, v7, v9, v11
	s_delay_alu instid0(VALU_DEP_1) | instskip(NEXT) | instid1(VALU_DEP_1)
	v_div_fixup_f32 v7, v7, v54, v55
	v_fmac_f32_e32 v54, v55, v7
	s_delay_alu instid0(VALU_DEP_1) | instskip(SKIP_1) | instid1(VALU_DEP_2)
	v_div_scale_f32 v9, null, v54, v54, 1.0
	v_div_scale_f32 v15, vcc_lo, 1.0, v54, 1.0
	v_rcp_f32_e32 v11, v9
	v_nop
	s_delay_alu instid0(TRANS32_DEP_1) | instskip(NEXT) | instid1(VALU_DEP_1)
	v_fma_f32 v13, -v9, v11, 1.0
	v_fmac_f32_e32 v11, v13, v11
	s_delay_alu instid0(VALU_DEP_1) | instskip(NEXT) | instid1(VALU_DEP_1)
	v_mul_f32_e32 v13, v15, v11
	v_fma_f32 v17, -v9, v13, v15
	s_delay_alu instid0(VALU_DEP_1) | instskip(NEXT) | instid1(VALU_DEP_1)
	v_fmac_f32_e32 v13, v17, v11
	v_fma_f32 v9, -v9, v13, v15
	s_delay_alu instid0(VALU_DEP_1) | instskip(NEXT) | instid1(VALU_DEP_1)
	v_div_fmas_f32 v9, v9, v11, v13
	v_div_fixup_f32 v58, v9, v54, 1.0
	s_delay_alu instid0(VALU_DEP_1)
	v_xor_b32_e32 v56, 0x80000000, v58
	v_mul_f32_e64 v59, v7, -v58
.LBB88_6:
	s_or_b32 exec_lo, exec_lo, s0
	s_delay_alu instid0(VALU_DEP_1)
	v_xor_b32_e32 v57, 0x80000000, v59
	s_mov_b32 s0, 0
	scratch_store_b64 v1, v[58:59], off
	ds_store_b64 v52, v[56:57]
.LBB88_7:
	s_and_b32 vcc_lo, exec_lo, s0
	s_cbranch_vccz .LBB88_9
; %bb.8:
	s_mov_b64 s[0:1], 0xbf800000
	s_wait_xcnt 0x0
	v_mov_b64_e32 v[54:55], s[0:1]
	ds_store_b64 v52, v[54:55]
.LBB88_9:
	v_dual_ashrrev_i32 v7, 31, v6 :: v_dual_ashrrev_i32 v9, 31, v8
	v_dual_ashrrev_i32 v11, 31, v10 :: v_dual_ashrrev_i32 v13, 31, v12
	v_dual_ashrrev_i32 v15, 31, v14 :: v_dual_ashrrev_i32 v17, 31, v16
	v_dual_ashrrev_i32 v19, 31, v18 :: v_dual_ashrrev_i32 v21, 31, v20
	v_dual_ashrrev_i32 v23, 31, v22 :: v_dual_ashrrev_i32 v25, 31, v24
	v_dual_ashrrev_i32 v27, 31, v26 :: v_dual_ashrrev_i32 v29, 31, v28
	v_dual_ashrrev_i32 v31, 31, v30 :: v_dual_ashrrev_i32 v33, 31, v32
	v_dual_ashrrev_i32 v35, 31, v34 :: v_dual_ashrrev_i32 v37, 31, v36
	v_dual_ashrrev_i32 v39, 31, v38 :: v_dual_ashrrev_i32 v41, 31, v40
	v_dual_ashrrev_i32 v43, 31, v42 :: v_dual_ashrrev_i32 v45, 31, v44
	v_dual_ashrrev_i32 v47, 31, v46 :: v_dual_ashrrev_i32 v49, 31, v48
	v_dual_ashrrev_i32 v51, 31, v50 :: v_dual_mov_b32 v53, v52
	s_wait_xcnt 0x0
	v_add_nc_u32_e32 v1, 0xd0, v52
	s_cmp_eq_u32 s4, 0x79
	s_cbranch_scc1 .LBB88_13
; %bb.10:
	scratch_load_b64 v[54:55], off, off offset:184
	v_cmp_eq_u32_e64 s0, 24, v0
	s_movk_i32 s1, 0x48
	s_movk_i32 s14, 0x50
	;; [unrolled: 1-line block ×14, first 2 shown]
	s_wait_loadcnt 0x0
	ds_store_b64 v1, v[54:55]
	s_wait_storecnt_dscnt 0x0
	s_barrier_signal -1
	s_barrier_wait -1
	s_wait_xcnt 0x0
	s_and_saveexec_b32 s4, s0
	s_cbranch_execz .LBB88_17
; %bb.11:
	s_and_b32 vcc_lo, exec_lo, s5
	s_cbranch_vccz .LBB88_14
; %bb.12:
	scratch_load_b64 v[54:55], v53, off
	ds_load_b64 v[56:57], v1
	s_wait_loadcnt_dscnt 0x0
	v_pk_mul_f32 v[58:59], v[56:57], v[54:55] op_sel:[1,1] op_sel_hi:[0,1]
	v_pk_mul_f32 v[60:61], v[56:57], v[54:55] op_sel_hi:[1,0]
	s_delay_alu instid0(VALU_DEP_2) | instskip(NEXT) | instid1(VALU_DEP_2)
	v_pk_fma_f32 v[54:55], v[56:57], v[54:55], v[58:59] op_sel_hi:[1,0,1]
	v_sub_f32_e32 v54, v60, v58
	s_cbranch_execz .LBB88_15
	s_branch .LBB88_16
.LBB88_13:
	s_mov_b32 s1, 0
                                        ; implicit-def: $vgpr74
                                        ; implicit-def: $sgpr7
	s_cbranch_execnz .LBB88_246
	s_branch .LBB88_481
.LBB88_14:
                                        ; implicit-def: $vgpr55
.LBB88_15:
	ds_load_b64 v[54:55], v1
.LBB88_16:
	s_wait_dscnt 0x0
	v_dual_mov_b32 v56, 0 :: v_dual_mov_b32 v58, v55
	v_mov_b32_e32 v59, v54
	ds_load_b64 v[56:57], v56 offset:184
	s_wait_dscnt 0x0
	v_pk_mul_f32 v[58:59], v[58:59], v[56:57] op_sel:[0,1]
	s_delay_alu instid0(VALU_DEP_1) | instskip(SKIP_1) | instid1(VALU_DEP_2)
	v_pk_fma_f32 v[60:61], v[54:55], v[56:57], v[58:59] op_sel_hi:[1,0,1]
	v_pk_fma_f32 v[54:55], v[54:55], v[56:57], v[58:59] neg_lo:[0,0,1] neg_hi:[0,0,1]
	v_mov_b32_e32 v55, v61
	scratch_store_b64 off, v[54:55], off offset:184
.LBB88_17:
	s_wait_xcnt 0x0
	s_or_b32 exec_lo, exec_lo, s4
	scratch_load_b64 v[54:55], off, off offset:176
	s_mov_b32 s13, s1
	v_cmp_lt_u32_e64 s1, 22, v0
	s_or_b32 s4, 0, 8
	s_mov_b32 s6, 16
	s_mov_b32 s7, 24
	;; [unrolled: 1-line block ×7, first 2 shown]
	s_wait_loadcnt 0x0
	ds_store_b64 v1, v[54:55]
	s_wait_storecnt_dscnt 0x0
	s_barrier_signal -1
	s_barrier_wait -1
	s_wait_xcnt 0x0
	s_and_saveexec_b32 s27, s1
	s_cbranch_execz .LBB88_25
; %bb.18:
	s_and_not1_b32 vcc_lo, exec_lo, s5
	s_cbranch_vccnz .LBB88_20
; %bb.19:
	scratch_load_b64 v[54:55], v53, off
	ds_load_b64 v[56:57], v1
	s_wait_loadcnt_dscnt 0x0
	v_pk_mul_f32 v[58:59], v[56:57], v[54:55] op_sel:[1,1] op_sel_hi:[0,1]
	s_delay_alu instid0(VALU_DEP_1) | instskip(SKIP_1) | instid1(VALU_DEP_2)
	v_pk_fma_f32 v[60:61], v[56:57], v[54:55], v[58:59] op_sel_hi:[1,0,1]
	v_pk_fma_f32 v[54:55], v[56:57], v[54:55], v[58:59] neg_lo:[0,0,1] neg_hi:[0,0,1]
	v_mov_b32_e32 v55, v61
	s_cbranch_execz .LBB88_21
	s_branch .LBB88_22
.LBB88_20:
                                        ; implicit-def: $vgpr54_vgpr55
.LBB88_21:
	ds_load_b64 v[54:55], v1
.LBB88_22:
	s_and_saveexec_b32 s28, s0
	s_cbranch_execz .LBB88_24
; %bb.23:
	scratch_load_b64 v[56:57], off, off offset:184
	v_mov_b32_e32 v58, 0
	ds_load_b64 v[58:59], v58 offset:392
	s_wait_loadcnt_dscnt 0x0
	v_pk_mul_f32 v[60:61], v[58:59], v[56:57] op_sel:[1,1] op_sel_hi:[0,1]
	s_delay_alu instid0(VALU_DEP_1) | instskip(SKIP_1) | instid1(VALU_DEP_2)
	v_pk_fma_f32 v[62:63], v[58:59], v[56:57], v[60:61] op_sel_hi:[1,0,1]
	v_pk_fma_f32 v[56:57], v[58:59], v[56:57], v[60:61] neg_lo:[0,0,1] neg_hi:[0,0,1]
	v_mov_b32_e32 v57, v63
	s_delay_alu instid0(VALU_DEP_1)
	v_pk_add_f32 v[54:55], v[54:55], v[56:57]
.LBB88_24:
	s_or_b32 exec_lo, exec_lo, s28
	v_mov_b32_e32 v56, 0
	ds_load_b64 v[56:57], v56 offset:176
	s_wait_dscnt 0x0
	v_pk_mul_f32 v[58:59], v[54:55], v[56:57] op_sel:[1,1] op_sel_hi:[0,1]
	s_delay_alu instid0(VALU_DEP_1) | instskip(SKIP_1) | instid1(VALU_DEP_2)
	v_pk_fma_f32 v[60:61], v[54:55], v[56:57], v[58:59] op_sel_hi:[1,0,1]
	v_pk_fma_f32 v[54:55], v[54:55], v[56:57], v[58:59] neg_lo:[0,0,1] neg_hi:[0,0,1]
	v_mov_b32_e32 v55, v61
	scratch_store_b64 off, v[54:55], off offset:176
.LBB88_25:
	s_wait_xcnt 0x0
	s_or_b32 exec_lo, exec_lo, s27
	scratch_load_b64 v[54:55], off, off offset:168
	v_cmp_lt_u32_e64 s0, 21, v0
	s_wait_loadcnt 0x0
	ds_store_b64 v1, v[54:55]
	s_wait_storecnt_dscnt 0x0
	s_barrier_signal -1
	s_barrier_wait -1
	s_wait_xcnt 0x0
	s_and_saveexec_b32 s27, s0
	s_cbranch_execz .LBB88_35
; %bb.26:
	s_and_not1_b32 vcc_lo, exec_lo, s5
	s_cbranch_vccnz .LBB88_28
; %bb.27:
	scratch_load_b64 v[54:55], v53, off
	ds_load_b64 v[56:57], v1
	s_wait_loadcnt_dscnt 0x0
	v_pk_mul_f32 v[58:59], v[56:57], v[54:55] op_sel:[1,1] op_sel_hi:[0,1]
	s_delay_alu instid0(VALU_DEP_1) | instskip(SKIP_1) | instid1(VALU_DEP_2)
	v_pk_fma_f32 v[60:61], v[56:57], v[54:55], v[58:59] op_sel_hi:[1,0,1]
	v_pk_fma_f32 v[54:55], v[56:57], v[54:55], v[58:59] neg_lo:[0,0,1] neg_hi:[0,0,1]
	v_mov_b32_e32 v55, v61
	s_cbranch_execz .LBB88_29
	s_branch .LBB88_30
.LBB88_28:
                                        ; implicit-def: $vgpr54_vgpr55
.LBB88_29:
	ds_load_b64 v[54:55], v1
.LBB88_30:
	s_and_saveexec_b32 s28, s1
	s_cbranch_execz .LBB88_34
; %bb.31:
	v_subrev_nc_u32_e32 v56, 22, v0
	s_movk_i32 s29, 0x180
	s_mov_b32 s1, 0
.LBB88_32:                              ; =>This Inner Loop Header: Depth=1
	scratch_load_b64 v[58:59], off, s26
	v_dual_mov_b32 v57, s29 :: v_dual_add_nc_u32 v56, -1, v56
	s_add_co_i32 s29, s29, 8
	s_wait_xcnt 0x0
	s_add_co_i32 s26, s26, 8
	ds_load_b64 v[60:61], v57
	v_cmp_eq_u32_e32 vcc_lo, 0, v56
	s_or_b32 s1, vcc_lo, s1
	s_wait_loadcnt_dscnt 0x0
	v_pk_mul_f32 v[62:63], v[60:61], v[58:59] op_sel:[1,1] op_sel_hi:[0,1]
	s_delay_alu instid0(VALU_DEP_1) | instskip(SKIP_1) | instid1(VALU_DEP_2)
	v_pk_fma_f32 v[64:65], v[60:61], v[58:59], v[62:63] op_sel_hi:[1,0,1]
	v_pk_fma_f32 v[58:59], v[60:61], v[58:59], v[62:63] neg_lo:[0,0,1] neg_hi:[0,0,1]
	v_mov_b32_e32 v59, v65
	s_delay_alu instid0(VALU_DEP_1)
	v_pk_add_f32 v[54:55], v[54:55], v[58:59]
	s_and_not1_b32 exec_lo, exec_lo, s1
	s_cbranch_execnz .LBB88_32
; %bb.33:
	s_or_b32 exec_lo, exec_lo, s1
.LBB88_34:
	s_delay_alu instid0(SALU_CYCLE_1) | instskip(SKIP_4) | instid1(VALU_DEP_1)
	s_or_b32 exec_lo, exec_lo, s28
	v_mov_b32_e32 v56, 0
	ds_load_b64 v[56:57], v56 offset:168
	s_wait_dscnt 0x0
	v_pk_mul_f32 v[58:59], v[54:55], v[56:57] op_sel:[1,1] op_sel_hi:[0,1]
	v_pk_fma_f32 v[60:61], v[54:55], v[56:57], v[58:59] op_sel_hi:[1,0,1]
	v_pk_fma_f32 v[54:55], v[54:55], v[56:57], v[58:59] neg_lo:[0,0,1] neg_hi:[0,0,1]
	s_delay_alu instid0(VALU_DEP_2)
	v_mov_b32_e32 v55, v61
	scratch_store_b64 off, v[54:55], off offset:168
.LBB88_35:
	s_wait_xcnt 0x0
	s_or_b32 exec_lo, exec_lo, s27
	scratch_load_b64 v[54:55], off, off offset:160
	v_cmp_lt_u32_e64 s1, 20, v0
	s_wait_loadcnt 0x0
	ds_store_b64 v1, v[54:55]
	s_wait_storecnt_dscnt 0x0
	s_barrier_signal -1
	s_barrier_wait -1
	s_wait_xcnt 0x0
	s_and_saveexec_b32 s26, s1
	s_cbranch_execz .LBB88_45
; %bb.36:
	s_and_not1_b32 vcc_lo, exec_lo, s5
	s_cbranch_vccnz .LBB88_38
; %bb.37:
	scratch_load_b64 v[54:55], v53, off
	ds_load_b64 v[56:57], v1
	s_wait_loadcnt_dscnt 0x0
	v_pk_mul_f32 v[58:59], v[56:57], v[54:55] op_sel:[1,1] op_sel_hi:[0,1]
	s_delay_alu instid0(VALU_DEP_1) | instskip(SKIP_1) | instid1(VALU_DEP_2)
	v_pk_fma_f32 v[60:61], v[56:57], v[54:55], v[58:59] op_sel_hi:[1,0,1]
	v_pk_fma_f32 v[54:55], v[56:57], v[54:55], v[58:59] neg_lo:[0,0,1] neg_hi:[0,0,1]
	v_mov_b32_e32 v55, v61
	s_cbranch_execz .LBB88_39
	s_branch .LBB88_40
.LBB88_38:
                                        ; implicit-def: $vgpr54_vgpr55
.LBB88_39:
	ds_load_b64 v[54:55], v1
.LBB88_40:
	s_and_saveexec_b32 s27, s0
	s_cbranch_execz .LBB88_44
; %bb.41:
	v_subrev_nc_u32_e32 v56, 21, v0
	s_movk_i32 s28, 0x178
	s_mov_b32 s0, 0
.LBB88_42:                              ; =>This Inner Loop Header: Depth=1
	scratch_load_b64 v[58:59], off, s25
	v_dual_mov_b32 v57, s28 :: v_dual_add_nc_u32 v56, -1, v56
	s_add_co_i32 s28, s28, 8
	s_wait_xcnt 0x0
	s_add_co_i32 s25, s25, 8
	ds_load_b64 v[60:61], v57
	v_cmp_eq_u32_e32 vcc_lo, 0, v56
	s_or_b32 s0, vcc_lo, s0
	s_wait_loadcnt_dscnt 0x0
	v_pk_mul_f32 v[62:63], v[60:61], v[58:59] op_sel:[1,1] op_sel_hi:[0,1]
	s_delay_alu instid0(VALU_DEP_1) | instskip(SKIP_1) | instid1(VALU_DEP_2)
	v_pk_fma_f32 v[64:65], v[60:61], v[58:59], v[62:63] op_sel_hi:[1,0,1]
	v_pk_fma_f32 v[58:59], v[60:61], v[58:59], v[62:63] neg_lo:[0,0,1] neg_hi:[0,0,1]
	v_mov_b32_e32 v59, v65
	s_delay_alu instid0(VALU_DEP_1)
	v_pk_add_f32 v[54:55], v[54:55], v[58:59]
	s_and_not1_b32 exec_lo, exec_lo, s0
	s_cbranch_execnz .LBB88_42
; %bb.43:
	s_or_b32 exec_lo, exec_lo, s0
.LBB88_44:
	s_delay_alu instid0(SALU_CYCLE_1) | instskip(SKIP_4) | instid1(VALU_DEP_1)
	s_or_b32 exec_lo, exec_lo, s27
	v_mov_b32_e32 v56, 0
	ds_load_b64 v[56:57], v56 offset:160
	s_wait_dscnt 0x0
	v_pk_mul_f32 v[58:59], v[54:55], v[56:57] op_sel:[1,1] op_sel_hi:[0,1]
	v_pk_fma_f32 v[60:61], v[54:55], v[56:57], v[58:59] op_sel_hi:[1,0,1]
	v_pk_fma_f32 v[54:55], v[54:55], v[56:57], v[58:59] neg_lo:[0,0,1] neg_hi:[0,0,1]
	s_delay_alu instid0(VALU_DEP_2)
	v_mov_b32_e32 v55, v61
	scratch_store_b64 off, v[54:55], off offset:160
.LBB88_45:
	s_wait_xcnt 0x0
	s_or_b32 exec_lo, exec_lo, s26
	scratch_load_b64 v[54:55], off, off offset:152
	v_cmp_lt_u32_e64 s0, 19, v0
	s_wait_loadcnt 0x0
	ds_store_b64 v1, v[54:55]
	s_wait_storecnt_dscnt 0x0
	s_barrier_signal -1
	s_barrier_wait -1
	s_wait_xcnt 0x0
	s_and_saveexec_b32 s25, s0
	s_cbranch_execz .LBB88_55
; %bb.46:
	s_and_not1_b32 vcc_lo, exec_lo, s5
	s_cbranch_vccnz .LBB88_48
; %bb.47:
	scratch_load_b64 v[54:55], v53, off
	ds_load_b64 v[56:57], v1
	s_wait_loadcnt_dscnt 0x0
	v_pk_mul_f32 v[58:59], v[56:57], v[54:55] op_sel:[1,1] op_sel_hi:[0,1]
	s_delay_alu instid0(VALU_DEP_1) | instskip(SKIP_1) | instid1(VALU_DEP_2)
	v_pk_fma_f32 v[60:61], v[56:57], v[54:55], v[58:59] op_sel_hi:[1,0,1]
	v_pk_fma_f32 v[54:55], v[56:57], v[54:55], v[58:59] neg_lo:[0,0,1] neg_hi:[0,0,1]
	v_mov_b32_e32 v55, v61
	s_cbranch_execz .LBB88_49
	s_branch .LBB88_50
.LBB88_48:
                                        ; implicit-def: $vgpr54_vgpr55
.LBB88_49:
	ds_load_b64 v[54:55], v1
.LBB88_50:
	s_and_saveexec_b32 s26, s1
	s_cbranch_execz .LBB88_54
; %bb.51:
	v_subrev_nc_u32_e32 v56, 20, v0
	s_movk_i32 s27, 0x170
	s_mov_b32 s1, 0
.LBB88_52:                              ; =>This Inner Loop Header: Depth=1
	scratch_load_b64 v[58:59], off, s24
	v_dual_mov_b32 v57, s27 :: v_dual_add_nc_u32 v56, -1, v56
	s_add_co_i32 s27, s27, 8
	s_wait_xcnt 0x0
	s_add_co_i32 s24, s24, 8
	ds_load_b64 v[60:61], v57
	v_cmp_eq_u32_e32 vcc_lo, 0, v56
	s_or_b32 s1, vcc_lo, s1
	s_wait_loadcnt_dscnt 0x0
	v_pk_mul_f32 v[62:63], v[60:61], v[58:59] op_sel:[1,1] op_sel_hi:[0,1]
	s_delay_alu instid0(VALU_DEP_1) | instskip(SKIP_1) | instid1(VALU_DEP_2)
	v_pk_fma_f32 v[64:65], v[60:61], v[58:59], v[62:63] op_sel_hi:[1,0,1]
	v_pk_fma_f32 v[58:59], v[60:61], v[58:59], v[62:63] neg_lo:[0,0,1] neg_hi:[0,0,1]
	v_mov_b32_e32 v59, v65
	s_delay_alu instid0(VALU_DEP_1)
	v_pk_add_f32 v[54:55], v[54:55], v[58:59]
	s_and_not1_b32 exec_lo, exec_lo, s1
	s_cbranch_execnz .LBB88_52
; %bb.53:
	s_or_b32 exec_lo, exec_lo, s1
.LBB88_54:
	s_delay_alu instid0(SALU_CYCLE_1) | instskip(SKIP_4) | instid1(VALU_DEP_1)
	s_or_b32 exec_lo, exec_lo, s26
	v_mov_b32_e32 v56, 0
	ds_load_b64 v[56:57], v56 offset:152
	s_wait_dscnt 0x0
	v_pk_mul_f32 v[58:59], v[54:55], v[56:57] op_sel:[1,1] op_sel_hi:[0,1]
	v_pk_fma_f32 v[60:61], v[54:55], v[56:57], v[58:59] op_sel_hi:[1,0,1]
	v_pk_fma_f32 v[54:55], v[54:55], v[56:57], v[58:59] neg_lo:[0,0,1] neg_hi:[0,0,1]
	s_delay_alu instid0(VALU_DEP_2)
	v_mov_b32_e32 v55, v61
	scratch_store_b64 off, v[54:55], off offset:152
.LBB88_55:
	s_wait_xcnt 0x0
	s_or_b32 exec_lo, exec_lo, s25
	scratch_load_b64 v[54:55], off, off offset:144
	v_cmp_lt_u32_e64 s1, 18, v0
	s_wait_loadcnt 0x0
	ds_store_b64 v1, v[54:55]
	s_wait_storecnt_dscnt 0x0
	s_barrier_signal -1
	s_barrier_wait -1
	s_wait_xcnt 0x0
	s_and_saveexec_b32 s24, s1
	s_cbranch_execz .LBB88_65
; %bb.56:
	s_and_not1_b32 vcc_lo, exec_lo, s5
	s_cbranch_vccnz .LBB88_58
; %bb.57:
	scratch_load_b64 v[54:55], v53, off
	ds_load_b64 v[56:57], v1
	s_wait_loadcnt_dscnt 0x0
	v_pk_mul_f32 v[58:59], v[56:57], v[54:55] op_sel:[1,1] op_sel_hi:[0,1]
	s_delay_alu instid0(VALU_DEP_1) | instskip(SKIP_1) | instid1(VALU_DEP_2)
	v_pk_fma_f32 v[60:61], v[56:57], v[54:55], v[58:59] op_sel_hi:[1,0,1]
	v_pk_fma_f32 v[54:55], v[56:57], v[54:55], v[58:59] neg_lo:[0,0,1] neg_hi:[0,0,1]
	v_mov_b32_e32 v55, v61
	s_cbranch_execz .LBB88_59
	s_branch .LBB88_60
.LBB88_58:
                                        ; implicit-def: $vgpr54_vgpr55
.LBB88_59:
	ds_load_b64 v[54:55], v1
.LBB88_60:
	s_and_saveexec_b32 s25, s0
	s_cbranch_execz .LBB88_64
; %bb.61:
	v_subrev_nc_u32_e32 v56, 19, v0
	s_movk_i32 s26, 0x168
	s_mov_b32 s0, 0
.LBB88_62:                              ; =>This Inner Loop Header: Depth=1
	scratch_load_b64 v[58:59], off, s23
	v_dual_mov_b32 v57, s26 :: v_dual_add_nc_u32 v56, -1, v56
	s_add_co_i32 s26, s26, 8
	s_wait_xcnt 0x0
	s_add_co_i32 s23, s23, 8
	ds_load_b64 v[60:61], v57
	v_cmp_eq_u32_e32 vcc_lo, 0, v56
	s_or_b32 s0, vcc_lo, s0
	s_wait_loadcnt_dscnt 0x0
	v_pk_mul_f32 v[62:63], v[60:61], v[58:59] op_sel:[1,1] op_sel_hi:[0,1]
	s_delay_alu instid0(VALU_DEP_1) | instskip(SKIP_1) | instid1(VALU_DEP_2)
	v_pk_fma_f32 v[64:65], v[60:61], v[58:59], v[62:63] op_sel_hi:[1,0,1]
	v_pk_fma_f32 v[58:59], v[60:61], v[58:59], v[62:63] neg_lo:[0,0,1] neg_hi:[0,0,1]
	v_mov_b32_e32 v59, v65
	s_delay_alu instid0(VALU_DEP_1)
	v_pk_add_f32 v[54:55], v[54:55], v[58:59]
	s_and_not1_b32 exec_lo, exec_lo, s0
	s_cbranch_execnz .LBB88_62
; %bb.63:
	s_or_b32 exec_lo, exec_lo, s0
.LBB88_64:
	s_delay_alu instid0(SALU_CYCLE_1) | instskip(SKIP_4) | instid1(VALU_DEP_1)
	s_or_b32 exec_lo, exec_lo, s25
	v_mov_b32_e32 v56, 0
	ds_load_b64 v[56:57], v56 offset:144
	s_wait_dscnt 0x0
	v_pk_mul_f32 v[58:59], v[54:55], v[56:57] op_sel:[1,1] op_sel_hi:[0,1]
	v_pk_fma_f32 v[60:61], v[54:55], v[56:57], v[58:59] op_sel_hi:[1,0,1]
	v_pk_fma_f32 v[54:55], v[54:55], v[56:57], v[58:59] neg_lo:[0,0,1] neg_hi:[0,0,1]
	s_delay_alu instid0(VALU_DEP_2)
	v_mov_b32_e32 v55, v61
	scratch_store_b64 off, v[54:55], off offset:144
.LBB88_65:
	s_wait_xcnt 0x0
	s_or_b32 exec_lo, exec_lo, s24
	scratch_load_b64 v[54:55], off, off offset:136
	v_cmp_lt_u32_e64 s0, 17, v0
	s_wait_loadcnt 0x0
	ds_store_b64 v1, v[54:55]
	s_wait_storecnt_dscnt 0x0
	s_barrier_signal -1
	s_barrier_wait -1
	s_wait_xcnt 0x0
	s_and_saveexec_b32 s23, s0
	s_cbranch_execz .LBB88_75
; %bb.66:
	s_and_not1_b32 vcc_lo, exec_lo, s5
	s_cbranch_vccnz .LBB88_68
; %bb.67:
	scratch_load_b64 v[54:55], v53, off
	ds_load_b64 v[56:57], v1
	s_wait_loadcnt_dscnt 0x0
	v_pk_mul_f32 v[58:59], v[56:57], v[54:55] op_sel:[1,1] op_sel_hi:[0,1]
	s_delay_alu instid0(VALU_DEP_1) | instskip(SKIP_1) | instid1(VALU_DEP_2)
	v_pk_fma_f32 v[60:61], v[56:57], v[54:55], v[58:59] op_sel_hi:[1,0,1]
	v_pk_fma_f32 v[54:55], v[56:57], v[54:55], v[58:59] neg_lo:[0,0,1] neg_hi:[0,0,1]
	v_mov_b32_e32 v55, v61
	s_cbranch_execz .LBB88_69
	s_branch .LBB88_70
.LBB88_68:
                                        ; implicit-def: $vgpr54_vgpr55
.LBB88_69:
	ds_load_b64 v[54:55], v1
.LBB88_70:
	s_and_saveexec_b32 s24, s1
	s_cbranch_execz .LBB88_74
; %bb.71:
	v_subrev_nc_u32_e32 v56, 18, v0
	s_movk_i32 s25, 0x160
	s_mov_b32 s1, 0
.LBB88_72:                              ; =>This Inner Loop Header: Depth=1
	scratch_load_b64 v[58:59], off, s22
	v_dual_mov_b32 v57, s25 :: v_dual_add_nc_u32 v56, -1, v56
	s_add_co_i32 s25, s25, 8
	s_wait_xcnt 0x0
	s_add_co_i32 s22, s22, 8
	ds_load_b64 v[60:61], v57
	v_cmp_eq_u32_e32 vcc_lo, 0, v56
	s_or_b32 s1, vcc_lo, s1
	s_wait_loadcnt_dscnt 0x0
	v_pk_mul_f32 v[62:63], v[60:61], v[58:59] op_sel:[1,1] op_sel_hi:[0,1]
	s_delay_alu instid0(VALU_DEP_1) | instskip(SKIP_1) | instid1(VALU_DEP_2)
	v_pk_fma_f32 v[64:65], v[60:61], v[58:59], v[62:63] op_sel_hi:[1,0,1]
	v_pk_fma_f32 v[58:59], v[60:61], v[58:59], v[62:63] neg_lo:[0,0,1] neg_hi:[0,0,1]
	v_mov_b32_e32 v59, v65
	s_delay_alu instid0(VALU_DEP_1)
	v_pk_add_f32 v[54:55], v[54:55], v[58:59]
	s_and_not1_b32 exec_lo, exec_lo, s1
	s_cbranch_execnz .LBB88_72
; %bb.73:
	s_or_b32 exec_lo, exec_lo, s1
.LBB88_74:
	s_delay_alu instid0(SALU_CYCLE_1) | instskip(SKIP_4) | instid1(VALU_DEP_1)
	s_or_b32 exec_lo, exec_lo, s24
	v_mov_b32_e32 v56, 0
	ds_load_b64 v[56:57], v56 offset:136
	s_wait_dscnt 0x0
	v_pk_mul_f32 v[58:59], v[54:55], v[56:57] op_sel:[1,1] op_sel_hi:[0,1]
	v_pk_fma_f32 v[60:61], v[54:55], v[56:57], v[58:59] op_sel_hi:[1,0,1]
	v_pk_fma_f32 v[54:55], v[54:55], v[56:57], v[58:59] neg_lo:[0,0,1] neg_hi:[0,0,1]
	s_delay_alu instid0(VALU_DEP_2)
	v_mov_b32_e32 v55, v61
	scratch_store_b64 off, v[54:55], off offset:136
.LBB88_75:
	s_wait_xcnt 0x0
	s_or_b32 exec_lo, exec_lo, s23
	scratch_load_b64 v[54:55], off, off offset:128
	v_cmp_lt_u32_e64 s1, 16, v0
	s_wait_loadcnt 0x0
	ds_store_b64 v1, v[54:55]
	s_wait_storecnt_dscnt 0x0
	s_barrier_signal -1
	s_barrier_wait -1
	s_wait_xcnt 0x0
	s_and_saveexec_b32 s22, s1
	s_cbranch_execz .LBB88_85
; %bb.76:
	s_and_not1_b32 vcc_lo, exec_lo, s5
	s_cbranch_vccnz .LBB88_78
; %bb.77:
	scratch_load_b64 v[54:55], v53, off
	ds_load_b64 v[56:57], v1
	s_wait_loadcnt_dscnt 0x0
	v_pk_mul_f32 v[58:59], v[56:57], v[54:55] op_sel:[1,1] op_sel_hi:[0,1]
	s_delay_alu instid0(VALU_DEP_1) | instskip(SKIP_1) | instid1(VALU_DEP_2)
	v_pk_fma_f32 v[60:61], v[56:57], v[54:55], v[58:59] op_sel_hi:[1,0,1]
	v_pk_fma_f32 v[54:55], v[56:57], v[54:55], v[58:59] neg_lo:[0,0,1] neg_hi:[0,0,1]
	v_mov_b32_e32 v55, v61
	s_cbranch_execz .LBB88_79
	s_branch .LBB88_80
.LBB88_78:
                                        ; implicit-def: $vgpr54_vgpr55
.LBB88_79:
	ds_load_b64 v[54:55], v1
.LBB88_80:
	s_and_saveexec_b32 s23, s0
	s_cbranch_execz .LBB88_84
; %bb.81:
	v_subrev_nc_u32_e32 v56, 17, v0
	s_movk_i32 s24, 0x158
	s_mov_b32 s0, 0
.LBB88_82:                              ; =>This Inner Loop Header: Depth=1
	scratch_load_b64 v[58:59], off, s21
	v_dual_mov_b32 v57, s24 :: v_dual_add_nc_u32 v56, -1, v56
	s_add_co_i32 s24, s24, 8
	s_wait_xcnt 0x0
	s_add_co_i32 s21, s21, 8
	ds_load_b64 v[60:61], v57
	v_cmp_eq_u32_e32 vcc_lo, 0, v56
	s_or_b32 s0, vcc_lo, s0
	s_wait_loadcnt_dscnt 0x0
	v_pk_mul_f32 v[62:63], v[60:61], v[58:59] op_sel:[1,1] op_sel_hi:[0,1]
	s_delay_alu instid0(VALU_DEP_1) | instskip(SKIP_1) | instid1(VALU_DEP_2)
	v_pk_fma_f32 v[64:65], v[60:61], v[58:59], v[62:63] op_sel_hi:[1,0,1]
	v_pk_fma_f32 v[58:59], v[60:61], v[58:59], v[62:63] neg_lo:[0,0,1] neg_hi:[0,0,1]
	v_mov_b32_e32 v59, v65
	s_delay_alu instid0(VALU_DEP_1)
	v_pk_add_f32 v[54:55], v[54:55], v[58:59]
	s_and_not1_b32 exec_lo, exec_lo, s0
	s_cbranch_execnz .LBB88_82
; %bb.83:
	s_or_b32 exec_lo, exec_lo, s0
.LBB88_84:
	s_delay_alu instid0(SALU_CYCLE_1) | instskip(SKIP_4) | instid1(VALU_DEP_1)
	s_or_b32 exec_lo, exec_lo, s23
	v_mov_b32_e32 v56, 0
	ds_load_b64 v[56:57], v56 offset:128
	s_wait_dscnt 0x0
	v_pk_mul_f32 v[58:59], v[54:55], v[56:57] op_sel:[1,1] op_sel_hi:[0,1]
	v_pk_fma_f32 v[60:61], v[54:55], v[56:57], v[58:59] op_sel_hi:[1,0,1]
	v_pk_fma_f32 v[54:55], v[54:55], v[56:57], v[58:59] neg_lo:[0,0,1] neg_hi:[0,0,1]
	s_delay_alu instid0(VALU_DEP_2)
	v_mov_b32_e32 v55, v61
	scratch_store_b64 off, v[54:55], off offset:128
.LBB88_85:
	s_wait_xcnt 0x0
	s_or_b32 exec_lo, exec_lo, s22
	scratch_load_b64 v[54:55], off, off offset:120
	v_cmp_lt_u32_e64 s0, 15, v0
	s_wait_loadcnt 0x0
	ds_store_b64 v1, v[54:55]
	s_wait_storecnt_dscnt 0x0
	s_barrier_signal -1
	s_barrier_wait -1
	s_wait_xcnt 0x0
	s_and_saveexec_b32 s21, s0
	s_cbranch_execz .LBB88_95
; %bb.86:
	s_and_not1_b32 vcc_lo, exec_lo, s5
	s_cbranch_vccnz .LBB88_88
; %bb.87:
	scratch_load_b64 v[54:55], v53, off
	ds_load_b64 v[56:57], v1
	s_wait_loadcnt_dscnt 0x0
	v_pk_mul_f32 v[58:59], v[56:57], v[54:55] op_sel:[1,1] op_sel_hi:[0,1]
	s_delay_alu instid0(VALU_DEP_1) | instskip(SKIP_1) | instid1(VALU_DEP_2)
	v_pk_fma_f32 v[60:61], v[56:57], v[54:55], v[58:59] op_sel_hi:[1,0,1]
	v_pk_fma_f32 v[54:55], v[56:57], v[54:55], v[58:59] neg_lo:[0,0,1] neg_hi:[0,0,1]
	v_mov_b32_e32 v55, v61
	s_cbranch_execz .LBB88_89
	s_branch .LBB88_90
.LBB88_88:
                                        ; implicit-def: $vgpr54_vgpr55
.LBB88_89:
	ds_load_b64 v[54:55], v1
.LBB88_90:
	s_and_saveexec_b32 s22, s1
	s_cbranch_execz .LBB88_94
; %bb.91:
	v_add_nc_u32_e32 v56, -16, v0
	s_movk_i32 s23, 0x150
	s_mov_b32 s1, 0
.LBB88_92:                              ; =>This Inner Loop Header: Depth=1
	scratch_load_b64 v[58:59], off, s20
	v_dual_mov_b32 v57, s23 :: v_dual_add_nc_u32 v56, -1, v56
	s_add_co_i32 s23, s23, 8
	s_wait_xcnt 0x0
	s_add_co_i32 s20, s20, 8
	ds_load_b64 v[60:61], v57
	v_cmp_eq_u32_e32 vcc_lo, 0, v56
	s_or_b32 s1, vcc_lo, s1
	s_wait_loadcnt_dscnt 0x0
	v_pk_mul_f32 v[62:63], v[60:61], v[58:59] op_sel:[1,1] op_sel_hi:[0,1]
	s_delay_alu instid0(VALU_DEP_1) | instskip(SKIP_1) | instid1(VALU_DEP_2)
	v_pk_fma_f32 v[64:65], v[60:61], v[58:59], v[62:63] op_sel_hi:[1,0,1]
	v_pk_fma_f32 v[58:59], v[60:61], v[58:59], v[62:63] neg_lo:[0,0,1] neg_hi:[0,0,1]
	v_mov_b32_e32 v59, v65
	s_delay_alu instid0(VALU_DEP_1)
	v_pk_add_f32 v[54:55], v[54:55], v[58:59]
	s_and_not1_b32 exec_lo, exec_lo, s1
	s_cbranch_execnz .LBB88_92
; %bb.93:
	s_or_b32 exec_lo, exec_lo, s1
.LBB88_94:
	s_delay_alu instid0(SALU_CYCLE_1) | instskip(SKIP_4) | instid1(VALU_DEP_1)
	s_or_b32 exec_lo, exec_lo, s22
	v_mov_b32_e32 v56, 0
	ds_load_b64 v[56:57], v56 offset:120
	s_wait_dscnt 0x0
	v_pk_mul_f32 v[58:59], v[54:55], v[56:57] op_sel:[1,1] op_sel_hi:[0,1]
	v_pk_fma_f32 v[60:61], v[54:55], v[56:57], v[58:59] op_sel_hi:[1,0,1]
	v_pk_fma_f32 v[54:55], v[54:55], v[56:57], v[58:59] neg_lo:[0,0,1] neg_hi:[0,0,1]
	s_delay_alu instid0(VALU_DEP_2)
	v_mov_b32_e32 v55, v61
	scratch_store_b64 off, v[54:55], off offset:120
.LBB88_95:
	s_wait_xcnt 0x0
	s_or_b32 exec_lo, exec_lo, s21
	scratch_load_b64 v[54:55], off, off offset:112
	v_cmp_lt_u32_e64 s1, 14, v0
	s_wait_loadcnt 0x0
	ds_store_b64 v1, v[54:55]
	s_wait_storecnt_dscnt 0x0
	s_barrier_signal -1
	s_barrier_wait -1
	s_wait_xcnt 0x0
	s_and_saveexec_b32 s20, s1
	s_cbranch_execz .LBB88_105
; %bb.96:
	s_and_not1_b32 vcc_lo, exec_lo, s5
	s_cbranch_vccnz .LBB88_98
; %bb.97:
	scratch_load_b64 v[54:55], v53, off
	ds_load_b64 v[56:57], v1
	s_wait_loadcnt_dscnt 0x0
	v_pk_mul_f32 v[58:59], v[56:57], v[54:55] op_sel:[1,1] op_sel_hi:[0,1]
	s_delay_alu instid0(VALU_DEP_1) | instskip(SKIP_1) | instid1(VALU_DEP_2)
	v_pk_fma_f32 v[60:61], v[56:57], v[54:55], v[58:59] op_sel_hi:[1,0,1]
	v_pk_fma_f32 v[54:55], v[56:57], v[54:55], v[58:59] neg_lo:[0,0,1] neg_hi:[0,0,1]
	v_mov_b32_e32 v55, v61
	s_cbranch_execz .LBB88_99
	s_branch .LBB88_100
.LBB88_98:
                                        ; implicit-def: $vgpr54_vgpr55
.LBB88_99:
	ds_load_b64 v[54:55], v1
.LBB88_100:
	s_and_saveexec_b32 s21, s0
	s_cbranch_execz .LBB88_104
; %bb.101:
	v_add_nc_u32_e32 v56, -15, v0
	s_movk_i32 s22, 0x148
	s_mov_b32 s0, 0
.LBB88_102:                             ; =>This Inner Loop Header: Depth=1
	scratch_load_b64 v[58:59], off, s19
	v_dual_mov_b32 v57, s22 :: v_dual_add_nc_u32 v56, -1, v56
	s_add_co_i32 s22, s22, 8
	s_wait_xcnt 0x0
	s_add_co_i32 s19, s19, 8
	ds_load_b64 v[60:61], v57
	v_cmp_eq_u32_e32 vcc_lo, 0, v56
	s_or_b32 s0, vcc_lo, s0
	s_wait_loadcnt_dscnt 0x0
	v_pk_mul_f32 v[62:63], v[60:61], v[58:59] op_sel:[1,1] op_sel_hi:[0,1]
	s_delay_alu instid0(VALU_DEP_1) | instskip(SKIP_1) | instid1(VALU_DEP_2)
	v_pk_fma_f32 v[64:65], v[60:61], v[58:59], v[62:63] op_sel_hi:[1,0,1]
	v_pk_fma_f32 v[58:59], v[60:61], v[58:59], v[62:63] neg_lo:[0,0,1] neg_hi:[0,0,1]
	v_mov_b32_e32 v59, v65
	s_delay_alu instid0(VALU_DEP_1)
	v_pk_add_f32 v[54:55], v[54:55], v[58:59]
	s_and_not1_b32 exec_lo, exec_lo, s0
	s_cbranch_execnz .LBB88_102
; %bb.103:
	s_or_b32 exec_lo, exec_lo, s0
.LBB88_104:
	s_delay_alu instid0(SALU_CYCLE_1) | instskip(SKIP_4) | instid1(VALU_DEP_1)
	s_or_b32 exec_lo, exec_lo, s21
	v_mov_b32_e32 v56, 0
	ds_load_b64 v[56:57], v56 offset:112
	s_wait_dscnt 0x0
	v_pk_mul_f32 v[58:59], v[54:55], v[56:57] op_sel:[1,1] op_sel_hi:[0,1]
	v_pk_fma_f32 v[60:61], v[54:55], v[56:57], v[58:59] op_sel_hi:[1,0,1]
	v_pk_fma_f32 v[54:55], v[54:55], v[56:57], v[58:59] neg_lo:[0,0,1] neg_hi:[0,0,1]
	s_delay_alu instid0(VALU_DEP_2)
	v_mov_b32_e32 v55, v61
	scratch_store_b64 off, v[54:55], off offset:112
.LBB88_105:
	s_wait_xcnt 0x0
	s_or_b32 exec_lo, exec_lo, s20
	scratch_load_b64 v[54:55], off, off offset:104
	v_cmp_lt_u32_e64 s0, 13, v0
	s_wait_loadcnt 0x0
	ds_store_b64 v1, v[54:55]
	s_wait_storecnt_dscnt 0x0
	s_barrier_signal -1
	s_barrier_wait -1
	s_wait_xcnt 0x0
	s_and_saveexec_b32 s19, s0
	s_cbranch_execz .LBB88_115
; %bb.106:
	s_and_not1_b32 vcc_lo, exec_lo, s5
	s_cbranch_vccnz .LBB88_108
; %bb.107:
	scratch_load_b64 v[54:55], v53, off
	ds_load_b64 v[56:57], v1
	s_wait_loadcnt_dscnt 0x0
	v_pk_mul_f32 v[58:59], v[56:57], v[54:55] op_sel:[1,1] op_sel_hi:[0,1]
	s_delay_alu instid0(VALU_DEP_1) | instskip(SKIP_1) | instid1(VALU_DEP_2)
	v_pk_fma_f32 v[60:61], v[56:57], v[54:55], v[58:59] op_sel_hi:[1,0,1]
	v_pk_fma_f32 v[54:55], v[56:57], v[54:55], v[58:59] neg_lo:[0,0,1] neg_hi:[0,0,1]
	v_mov_b32_e32 v55, v61
	s_cbranch_execz .LBB88_109
	s_branch .LBB88_110
.LBB88_108:
                                        ; implicit-def: $vgpr54_vgpr55
.LBB88_109:
	ds_load_b64 v[54:55], v1
.LBB88_110:
	s_and_saveexec_b32 s20, s1
	s_cbranch_execz .LBB88_114
; %bb.111:
	v_add_nc_u32_e32 v56, -14, v0
	s_movk_i32 s21, 0x140
	s_mov_b32 s1, 0
.LBB88_112:                             ; =>This Inner Loop Header: Depth=1
	scratch_load_b64 v[58:59], off, s18
	v_dual_mov_b32 v57, s21 :: v_dual_add_nc_u32 v56, -1, v56
	s_add_co_i32 s21, s21, 8
	s_wait_xcnt 0x0
	s_add_co_i32 s18, s18, 8
	ds_load_b64 v[60:61], v57
	v_cmp_eq_u32_e32 vcc_lo, 0, v56
	s_or_b32 s1, vcc_lo, s1
	s_wait_loadcnt_dscnt 0x0
	v_pk_mul_f32 v[62:63], v[60:61], v[58:59] op_sel:[1,1] op_sel_hi:[0,1]
	s_delay_alu instid0(VALU_DEP_1) | instskip(SKIP_1) | instid1(VALU_DEP_2)
	v_pk_fma_f32 v[64:65], v[60:61], v[58:59], v[62:63] op_sel_hi:[1,0,1]
	v_pk_fma_f32 v[58:59], v[60:61], v[58:59], v[62:63] neg_lo:[0,0,1] neg_hi:[0,0,1]
	v_mov_b32_e32 v59, v65
	s_delay_alu instid0(VALU_DEP_1)
	v_pk_add_f32 v[54:55], v[54:55], v[58:59]
	s_and_not1_b32 exec_lo, exec_lo, s1
	s_cbranch_execnz .LBB88_112
; %bb.113:
	s_or_b32 exec_lo, exec_lo, s1
.LBB88_114:
	s_delay_alu instid0(SALU_CYCLE_1) | instskip(SKIP_4) | instid1(VALU_DEP_1)
	s_or_b32 exec_lo, exec_lo, s20
	v_mov_b32_e32 v56, 0
	ds_load_b64 v[56:57], v56 offset:104
	s_wait_dscnt 0x0
	v_pk_mul_f32 v[58:59], v[54:55], v[56:57] op_sel:[1,1] op_sel_hi:[0,1]
	v_pk_fma_f32 v[60:61], v[54:55], v[56:57], v[58:59] op_sel_hi:[1,0,1]
	v_pk_fma_f32 v[54:55], v[54:55], v[56:57], v[58:59] neg_lo:[0,0,1] neg_hi:[0,0,1]
	s_delay_alu instid0(VALU_DEP_2)
	v_mov_b32_e32 v55, v61
	scratch_store_b64 off, v[54:55], off offset:104
.LBB88_115:
	s_wait_xcnt 0x0
	s_or_b32 exec_lo, exec_lo, s19
	scratch_load_b64 v[54:55], off, off offset:96
	v_cmp_lt_u32_e64 s1, 12, v0
	s_wait_loadcnt 0x0
	ds_store_b64 v1, v[54:55]
	s_wait_storecnt_dscnt 0x0
	s_barrier_signal -1
	s_barrier_wait -1
	s_wait_xcnt 0x0
	s_and_saveexec_b32 s18, s1
	s_cbranch_execz .LBB88_125
; %bb.116:
	s_and_not1_b32 vcc_lo, exec_lo, s5
	s_cbranch_vccnz .LBB88_118
; %bb.117:
	scratch_load_b64 v[54:55], v53, off
	ds_load_b64 v[56:57], v1
	s_wait_loadcnt_dscnt 0x0
	v_pk_mul_f32 v[58:59], v[56:57], v[54:55] op_sel:[1,1] op_sel_hi:[0,1]
	s_delay_alu instid0(VALU_DEP_1) | instskip(SKIP_1) | instid1(VALU_DEP_2)
	v_pk_fma_f32 v[60:61], v[56:57], v[54:55], v[58:59] op_sel_hi:[1,0,1]
	v_pk_fma_f32 v[54:55], v[56:57], v[54:55], v[58:59] neg_lo:[0,0,1] neg_hi:[0,0,1]
	v_mov_b32_e32 v55, v61
	s_cbranch_execz .LBB88_119
	s_branch .LBB88_120
.LBB88_118:
                                        ; implicit-def: $vgpr54_vgpr55
.LBB88_119:
	ds_load_b64 v[54:55], v1
.LBB88_120:
	s_and_saveexec_b32 s19, s0
	s_cbranch_execz .LBB88_124
; %bb.121:
	v_add_nc_u32_e32 v56, -13, v0
	s_movk_i32 s20, 0x138
	s_mov_b32 s0, 0
.LBB88_122:                             ; =>This Inner Loop Header: Depth=1
	scratch_load_b64 v[58:59], off, s17
	v_dual_mov_b32 v57, s20 :: v_dual_add_nc_u32 v56, -1, v56
	s_add_co_i32 s20, s20, 8
	s_wait_xcnt 0x0
	s_add_co_i32 s17, s17, 8
	ds_load_b64 v[60:61], v57
	v_cmp_eq_u32_e32 vcc_lo, 0, v56
	s_or_b32 s0, vcc_lo, s0
	s_wait_loadcnt_dscnt 0x0
	v_pk_mul_f32 v[62:63], v[60:61], v[58:59] op_sel:[1,1] op_sel_hi:[0,1]
	s_delay_alu instid0(VALU_DEP_1) | instskip(SKIP_1) | instid1(VALU_DEP_2)
	v_pk_fma_f32 v[64:65], v[60:61], v[58:59], v[62:63] op_sel_hi:[1,0,1]
	v_pk_fma_f32 v[58:59], v[60:61], v[58:59], v[62:63] neg_lo:[0,0,1] neg_hi:[0,0,1]
	v_mov_b32_e32 v59, v65
	s_delay_alu instid0(VALU_DEP_1)
	v_pk_add_f32 v[54:55], v[54:55], v[58:59]
	s_and_not1_b32 exec_lo, exec_lo, s0
	s_cbranch_execnz .LBB88_122
; %bb.123:
	s_or_b32 exec_lo, exec_lo, s0
.LBB88_124:
	s_delay_alu instid0(SALU_CYCLE_1) | instskip(SKIP_4) | instid1(VALU_DEP_1)
	s_or_b32 exec_lo, exec_lo, s19
	v_mov_b32_e32 v56, 0
	ds_load_b64 v[56:57], v56 offset:96
	s_wait_dscnt 0x0
	v_pk_mul_f32 v[58:59], v[54:55], v[56:57] op_sel:[1,1] op_sel_hi:[0,1]
	v_pk_fma_f32 v[60:61], v[54:55], v[56:57], v[58:59] op_sel_hi:[1,0,1]
	v_pk_fma_f32 v[54:55], v[54:55], v[56:57], v[58:59] neg_lo:[0,0,1] neg_hi:[0,0,1]
	s_delay_alu instid0(VALU_DEP_2)
	v_mov_b32_e32 v55, v61
	scratch_store_b64 off, v[54:55], off offset:96
.LBB88_125:
	s_wait_xcnt 0x0
	s_or_b32 exec_lo, exec_lo, s18
	scratch_load_b64 v[54:55], off, off offset:88
	v_cmp_lt_u32_e64 s0, 11, v0
	s_wait_loadcnt 0x0
	ds_store_b64 v1, v[54:55]
	s_wait_storecnt_dscnt 0x0
	s_barrier_signal -1
	s_barrier_wait -1
	s_wait_xcnt 0x0
	s_and_saveexec_b32 s17, s0
	s_cbranch_execz .LBB88_135
; %bb.126:
	s_and_not1_b32 vcc_lo, exec_lo, s5
	s_cbranch_vccnz .LBB88_128
; %bb.127:
	scratch_load_b64 v[54:55], v53, off
	ds_load_b64 v[56:57], v1
	s_wait_loadcnt_dscnt 0x0
	v_pk_mul_f32 v[58:59], v[56:57], v[54:55] op_sel:[1,1] op_sel_hi:[0,1]
	s_delay_alu instid0(VALU_DEP_1) | instskip(SKIP_1) | instid1(VALU_DEP_2)
	v_pk_fma_f32 v[60:61], v[56:57], v[54:55], v[58:59] op_sel_hi:[1,0,1]
	v_pk_fma_f32 v[54:55], v[56:57], v[54:55], v[58:59] neg_lo:[0,0,1] neg_hi:[0,0,1]
	v_mov_b32_e32 v55, v61
	s_cbranch_execz .LBB88_129
	s_branch .LBB88_130
.LBB88_128:
                                        ; implicit-def: $vgpr54_vgpr55
.LBB88_129:
	ds_load_b64 v[54:55], v1
.LBB88_130:
	s_and_saveexec_b32 s18, s1
	s_cbranch_execz .LBB88_134
; %bb.131:
	v_add_nc_u32_e32 v56, -12, v0
	s_movk_i32 s19, 0x130
	s_mov_b32 s1, 0
.LBB88_132:                             ; =>This Inner Loop Header: Depth=1
	scratch_load_b64 v[58:59], off, s16
	v_dual_mov_b32 v57, s19 :: v_dual_add_nc_u32 v56, -1, v56
	s_add_co_i32 s19, s19, 8
	s_wait_xcnt 0x0
	s_add_co_i32 s16, s16, 8
	ds_load_b64 v[60:61], v57
	v_cmp_eq_u32_e32 vcc_lo, 0, v56
	s_or_b32 s1, vcc_lo, s1
	s_wait_loadcnt_dscnt 0x0
	v_pk_mul_f32 v[62:63], v[60:61], v[58:59] op_sel:[1,1] op_sel_hi:[0,1]
	s_delay_alu instid0(VALU_DEP_1) | instskip(SKIP_1) | instid1(VALU_DEP_2)
	v_pk_fma_f32 v[64:65], v[60:61], v[58:59], v[62:63] op_sel_hi:[1,0,1]
	v_pk_fma_f32 v[58:59], v[60:61], v[58:59], v[62:63] neg_lo:[0,0,1] neg_hi:[0,0,1]
	v_mov_b32_e32 v59, v65
	s_delay_alu instid0(VALU_DEP_1)
	v_pk_add_f32 v[54:55], v[54:55], v[58:59]
	s_and_not1_b32 exec_lo, exec_lo, s1
	s_cbranch_execnz .LBB88_132
; %bb.133:
	s_or_b32 exec_lo, exec_lo, s1
.LBB88_134:
	s_delay_alu instid0(SALU_CYCLE_1) | instskip(SKIP_4) | instid1(VALU_DEP_1)
	s_or_b32 exec_lo, exec_lo, s18
	v_mov_b32_e32 v56, 0
	ds_load_b64 v[56:57], v56 offset:88
	s_wait_dscnt 0x0
	v_pk_mul_f32 v[58:59], v[54:55], v[56:57] op_sel:[1,1] op_sel_hi:[0,1]
	v_pk_fma_f32 v[60:61], v[54:55], v[56:57], v[58:59] op_sel_hi:[1,0,1]
	v_pk_fma_f32 v[54:55], v[54:55], v[56:57], v[58:59] neg_lo:[0,0,1] neg_hi:[0,0,1]
	s_delay_alu instid0(VALU_DEP_2)
	v_mov_b32_e32 v55, v61
	scratch_store_b64 off, v[54:55], off offset:88
.LBB88_135:
	s_wait_xcnt 0x0
	s_or_b32 exec_lo, exec_lo, s17
	scratch_load_b64 v[54:55], off, off offset:80
	v_cmp_lt_u32_e64 s1, 10, v0
	s_wait_loadcnt 0x0
	ds_store_b64 v1, v[54:55]
	s_wait_storecnt_dscnt 0x0
	s_barrier_signal -1
	s_barrier_wait -1
	s_wait_xcnt 0x0
	s_and_saveexec_b32 s16, s1
	s_cbranch_execz .LBB88_145
; %bb.136:
	s_and_not1_b32 vcc_lo, exec_lo, s5
	s_cbranch_vccnz .LBB88_138
; %bb.137:
	scratch_load_b64 v[54:55], v53, off
	ds_load_b64 v[56:57], v1
	s_wait_loadcnt_dscnt 0x0
	v_pk_mul_f32 v[58:59], v[56:57], v[54:55] op_sel:[1,1] op_sel_hi:[0,1]
	s_delay_alu instid0(VALU_DEP_1) | instskip(SKIP_1) | instid1(VALU_DEP_2)
	v_pk_fma_f32 v[60:61], v[56:57], v[54:55], v[58:59] op_sel_hi:[1,0,1]
	v_pk_fma_f32 v[54:55], v[56:57], v[54:55], v[58:59] neg_lo:[0,0,1] neg_hi:[0,0,1]
	v_mov_b32_e32 v55, v61
	s_cbranch_execz .LBB88_139
	s_branch .LBB88_140
.LBB88_138:
                                        ; implicit-def: $vgpr54_vgpr55
.LBB88_139:
	ds_load_b64 v[54:55], v1
.LBB88_140:
	s_and_saveexec_b32 s17, s0
	s_cbranch_execz .LBB88_144
; %bb.141:
	v_add_nc_u32_e32 v56, -11, v0
	s_movk_i32 s18, 0x128
	s_mov_b32 s0, 0
.LBB88_142:                             ; =>This Inner Loop Header: Depth=1
	scratch_load_b64 v[58:59], off, s15
	v_dual_mov_b32 v57, s18 :: v_dual_add_nc_u32 v56, -1, v56
	s_add_co_i32 s18, s18, 8
	s_wait_xcnt 0x0
	s_add_co_i32 s15, s15, 8
	ds_load_b64 v[60:61], v57
	v_cmp_eq_u32_e32 vcc_lo, 0, v56
	s_or_b32 s0, vcc_lo, s0
	s_wait_loadcnt_dscnt 0x0
	v_pk_mul_f32 v[62:63], v[60:61], v[58:59] op_sel:[1,1] op_sel_hi:[0,1]
	s_delay_alu instid0(VALU_DEP_1) | instskip(SKIP_1) | instid1(VALU_DEP_2)
	v_pk_fma_f32 v[64:65], v[60:61], v[58:59], v[62:63] op_sel_hi:[1,0,1]
	v_pk_fma_f32 v[58:59], v[60:61], v[58:59], v[62:63] neg_lo:[0,0,1] neg_hi:[0,0,1]
	v_mov_b32_e32 v59, v65
	s_delay_alu instid0(VALU_DEP_1)
	v_pk_add_f32 v[54:55], v[54:55], v[58:59]
	s_and_not1_b32 exec_lo, exec_lo, s0
	s_cbranch_execnz .LBB88_142
; %bb.143:
	s_or_b32 exec_lo, exec_lo, s0
.LBB88_144:
	s_delay_alu instid0(SALU_CYCLE_1) | instskip(SKIP_4) | instid1(VALU_DEP_1)
	s_or_b32 exec_lo, exec_lo, s17
	v_mov_b32_e32 v56, 0
	ds_load_b64 v[56:57], v56 offset:80
	s_wait_dscnt 0x0
	v_pk_mul_f32 v[58:59], v[54:55], v[56:57] op_sel:[1,1] op_sel_hi:[0,1]
	v_pk_fma_f32 v[60:61], v[54:55], v[56:57], v[58:59] op_sel_hi:[1,0,1]
	v_pk_fma_f32 v[54:55], v[54:55], v[56:57], v[58:59] neg_lo:[0,0,1] neg_hi:[0,0,1]
	s_delay_alu instid0(VALU_DEP_2)
	v_mov_b32_e32 v55, v61
	scratch_store_b64 off, v[54:55], off offset:80
.LBB88_145:
	s_wait_xcnt 0x0
	s_or_b32 exec_lo, exec_lo, s16
	scratch_load_b64 v[54:55], off, off offset:72
	v_cmp_lt_u32_e64 s0, 9, v0
	s_wait_loadcnt 0x0
	ds_store_b64 v1, v[54:55]
	s_wait_storecnt_dscnt 0x0
	s_barrier_signal -1
	s_barrier_wait -1
	s_wait_xcnt 0x0
	s_and_saveexec_b32 s15, s0
	s_cbranch_execz .LBB88_155
; %bb.146:
	s_and_not1_b32 vcc_lo, exec_lo, s5
	s_cbranch_vccnz .LBB88_148
; %bb.147:
	scratch_load_b64 v[54:55], v53, off
	ds_load_b64 v[56:57], v1
	s_wait_loadcnt_dscnt 0x0
	v_pk_mul_f32 v[58:59], v[56:57], v[54:55] op_sel:[1,1] op_sel_hi:[0,1]
	s_delay_alu instid0(VALU_DEP_1) | instskip(SKIP_1) | instid1(VALU_DEP_2)
	v_pk_fma_f32 v[60:61], v[56:57], v[54:55], v[58:59] op_sel_hi:[1,0,1]
	v_pk_fma_f32 v[54:55], v[56:57], v[54:55], v[58:59] neg_lo:[0,0,1] neg_hi:[0,0,1]
	v_mov_b32_e32 v55, v61
	s_cbranch_execz .LBB88_149
	s_branch .LBB88_150
.LBB88_148:
                                        ; implicit-def: $vgpr54_vgpr55
.LBB88_149:
	ds_load_b64 v[54:55], v1
.LBB88_150:
	s_and_saveexec_b32 s16, s1
	s_cbranch_execz .LBB88_154
; %bb.151:
	v_add_nc_u32_e32 v56, -10, v0
	s_movk_i32 s17, 0x120
	s_mov_b32 s1, 0
.LBB88_152:                             ; =>This Inner Loop Header: Depth=1
	scratch_load_b64 v[58:59], off, s14
	v_dual_mov_b32 v57, s17 :: v_dual_add_nc_u32 v56, -1, v56
	s_add_co_i32 s17, s17, 8
	s_wait_xcnt 0x0
	s_add_co_i32 s14, s14, 8
	ds_load_b64 v[60:61], v57
	v_cmp_eq_u32_e32 vcc_lo, 0, v56
	s_or_b32 s1, vcc_lo, s1
	s_wait_loadcnt_dscnt 0x0
	v_pk_mul_f32 v[62:63], v[60:61], v[58:59] op_sel:[1,1] op_sel_hi:[0,1]
	s_delay_alu instid0(VALU_DEP_1) | instskip(SKIP_1) | instid1(VALU_DEP_2)
	v_pk_fma_f32 v[64:65], v[60:61], v[58:59], v[62:63] op_sel_hi:[1,0,1]
	v_pk_fma_f32 v[58:59], v[60:61], v[58:59], v[62:63] neg_lo:[0,0,1] neg_hi:[0,0,1]
	v_mov_b32_e32 v59, v65
	s_delay_alu instid0(VALU_DEP_1)
	v_pk_add_f32 v[54:55], v[54:55], v[58:59]
	s_and_not1_b32 exec_lo, exec_lo, s1
	s_cbranch_execnz .LBB88_152
; %bb.153:
	s_or_b32 exec_lo, exec_lo, s1
.LBB88_154:
	s_delay_alu instid0(SALU_CYCLE_1) | instskip(SKIP_4) | instid1(VALU_DEP_1)
	s_or_b32 exec_lo, exec_lo, s16
	v_mov_b32_e32 v56, 0
	ds_load_b64 v[56:57], v56 offset:72
	s_wait_dscnt 0x0
	v_pk_mul_f32 v[58:59], v[54:55], v[56:57] op_sel:[1,1] op_sel_hi:[0,1]
	v_pk_fma_f32 v[60:61], v[54:55], v[56:57], v[58:59] op_sel_hi:[1,0,1]
	v_pk_fma_f32 v[54:55], v[54:55], v[56:57], v[58:59] neg_lo:[0,0,1] neg_hi:[0,0,1]
	s_delay_alu instid0(VALU_DEP_2)
	v_mov_b32_e32 v55, v61
	scratch_store_b64 off, v[54:55], off offset:72
.LBB88_155:
	s_wait_xcnt 0x0
	s_or_b32 exec_lo, exec_lo, s15
	scratch_load_b64 v[54:55], off, off offset:64
	v_cmp_lt_u32_e64 s1, 8, v0
	s_wait_loadcnt 0x0
	ds_store_b64 v1, v[54:55]
	s_wait_storecnt_dscnt 0x0
	s_barrier_signal -1
	s_barrier_wait -1
	s_wait_xcnt 0x0
	s_and_saveexec_b32 s14, s1
	s_cbranch_execz .LBB88_165
; %bb.156:
	s_and_not1_b32 vcc_lo, exec_lo, s5
	s_cbranch_vccnz .LBB88_158
; %bb.157:
	scratch_load_b64 v[54:55], v53, off
	ds_load_b64 v[56:57], v1
	s_wait_loadcnt_dscnt 0x0
	v_pk_mul_f32 v[58:59], v[56:57], v[54:55] op_sel:[1,1] op_sel_hi:[0,1]
	s_delay_alu instid0(VALU_DEP_1) | instskip(SKIP_1) | instid1(VALU_DEP_2)
	v_pk_fma_f32 v[60:61], v[56:57], v[54:55], v[58:59] op_sel_hi:[1,0,1]
	v_pk_fma_f32 v[54:55], v[56:57], v[54:55], v[58:59] neg_lo:[0,0,1] neg_hi:[0,0,1]
	v_mov_b32_e32 v55, v61
	s_cbranch_execz .LBB88_159
	s_branch .LBB88_160
.LBB88_158:
                                        ; implicit-def: $vgpr54_vgpr55
.LBB88_159:
	ds_load_b64 v[54:55], v1
.LBB88_160:
	s_and_saveexec_b32 s15, s0
	s_cbranch_execz .LBB88_164
; %bb.161:
	v_add_nc_u32_e32 v56, -9, v0
	s_movk_i32 s16, 0x118
	s_mov_b32 s0, 0
.LBB88_162:                             ; =>This Inner Loop Header: Depth=1
	scratch_load_b64 v[58:59], off, s13
	v_dual_mov_b32 v57, s16 :: v_dual_add_nc_u32 v56, -1, v56
	s_add_co_i32 s16, s16, 8
	s_wait_xcnt 0x0
	s_add_co_i32 s13, s13, 8
	ds_load_b64 v[60:61], v57
	v_cmp_eq_u32_e32 vcc_lo, 0, v56
	s_or_b32 s0, vcc_lo, s0
	s_wait_loadcnt_dscnt 0x0
	v_pk_mul_f32 v[62:63], v[60:61], v[58:59] op_sel:[1,1] op_sel_hi:[0,1]
	s_delay_alu instid0(VALU_DEP_1) | instskip(SKIP_1) | instid1(VALU_DEP_2)
	v_pk_fma_f32 v[64:65], v[60:61], v[58:59], v[62:63] op_sel_hi:[1,0,1]
	v_pk_fma_f32 v[58:59], v[60:61], v[58:59], v[62:63] neg_lo:[0,0,1] neg_hi:[0,0,1]
	v_mov_b32_e32 v59, v65
	s_delay_alu instid0(VALU_DEP_1)
	v_pk_add_f32 v[54:55], v[54:55], v[58:59]
	s_and_not1_b32 exec_lo, exec_lo, s0
	s_cbranch_execnz .LBB88_162
; %bb.163:
	s_or_b32 exec_lo, exec_lo, s0
.LBB88_164:
	s_delay_alu instid0(SALU_CYCLE_1) | instskip(SKIP_4) | instid1(VALU_DEP_1)
	s_or_b32 exec_lo, exec_lo, s15
	v_mov_b32_e32 v56, 0
	ds_load_b64 v[56:57], v56 offset:64
	s_wait_dscnt 0x0
	v_pk_mul_f32 v[58:59], v[54:55], v[56:57] op_sel:[1,1] op_sel_hi:[0,1]
	v_pk_fma_f32 v[60:61], v[54:55], v[56:57], v[58:59] op_sel_hi:[1,0,1]
	v_pk_fma_f32 v[54:55], v[54:55], v[56:57], v[58:59] neg_lo:[0,0,1] neg_hi:[0,0,1]
	s_delay_alu instid0(VALU_DEP_2)
	v_mov_b32_e32 v55, v61
	scratch_store_b64 off, v[54:55], off offset:64
.LBB88_165:
	s_wait_xcnt 0x0
	s_or_b32 exec_lo, exec_lo, s14
	scratch_load_b64 v[54:55], off, off offset:56
	v_cmp_lt_u32_e64 s0, 7, v0
	s_wait_loadcnt 0x0
	ds_store_b64 v1, v[54:55]
	s_wait_storecnt_dscnt 0x0
	s_barrier_signal -1
	s_barrier_wait -1
	s_wait_xcnt 0x0
	s_and_saveexec_b32 s13, s0
	s_cbranch_execz .LBB88_175
; %bb.166:
	s_and_not1_b32 vcc_lo, exec_lo, s5
	s_cbranch_vccnz .LBB88_168
; %bb.167:
	scratch_load_b64 v[54:55], v53, off
	ds_load_b64 v[56:57], v1
	s_wait_loadcnt_dscnt 0x0
	v_pk_mul_f32 v[58:59], v[56:57], v[54:55] op_sel:[1,1] op_sel_hi:[0,1]
	s_delay_alu instid0(VALU_DEP_1) | instskip(SKIP_1) | instid1(VALU_DEP_2)
	v_pk_fma_f32 v[60:61], v[56:57], v[54:55], v[58:59] op_sel_hi:[1,0,1]
	v_pk_fma_f32 v[54:55], v[56:57], v[54:55], v[58:59] neg_lo:[0,0,1] neg_hi:[0,0,1]
	v_mov_b32_e32 v55, v61
	s_cbranch_execz .LBB88_169
	s_branch .LBB88_170
.LBB88_168:
                                        ; implicit-def: $vgpr54_vgpr55
.LBB88_169:
	ds_load_b64 v[54:55], v1
.LBB88_170:
	s_and_saveexec_b32 s14, s1
	s_cbranch_execz .LBB88_174
; %bb.171:
	v_add_nc_u32_e32 v56, -8, v0
	s_movk_i32 s15, 0x110
	s_mov_b32 s1, 0
.LBB88_172:                             ; =>This Inner Loop Header: Depth=1
	scratch_load_b64 v[58:59], off, s12
	v_dual_mov_b32 v57, s15 :: v_dual_add_nc_u32 v56, -1, v56
	s_add_co_i32 s15, s15, 8
	s_wait_xcnt 0x0
	s_add_co_i32 s12, s12, 8
	ds_load_b64 v[60:61], v57
	v_cmp_eq_u32_e32 vcc_lo, 0, v56
	s_or_b32 s1, vcc_lo, s1
	s_wait_loadcnt_dscnt 0x0
	v_pk_mul_f32 v[62:63], v[60:61], v[58:59] op_sel:[1,1] op_sel_hi:[0,1]
	s_delay_alu instid0(VALU_DEP_1) | instskip(SKIP_1) | instid1(VALU_DEP_2)
	v_pk_fma_f32 v[64:65], v[60:61], v[58:59], v[62:63] op_sel_hi:[1,0,1]
	v_pk_fma_f32 v[58:59], v[60:61], v[58:59], v[62:63] neg_lo:[0,0,1] neg_hi:[0,0,1]
	v_mov_b32_e32 v59, v65
	s_delay_alu instid0(VALU_DEP_1)
	v_pk_add_f32 v[54:55], v[54:55], v[58:59]
	s_and_not1_b32 exec_lo, exec_lo, s1
	s_cbranch_execnz .LBB88_172
; %bb.173:
	s_or_b32 exec_lo, exec_lo, s1
.LBB88_174:
	s_delay_alu instid0(SALU_CYCLE_1) | instskip(SKIP_4) | instid1(VALU_DEP_1)
	s_or_b32 exec_lo, exec_lo, s14
	v_mov_b32_e32 v56, 0
	ds_load_b64 v[56:57], v56 offset:56
	s_wait_dscnt 0x0
	v_pk_mul_f32 v[58:59], v[54:55], v[56:57] op_sel:[1,1] op_sel_hi:[0,1]
	v_pk_fma_f32 v[60:61], v[54:55], v[56:57], v[58:59] op_sel_hi:[1,0,1]
	v_pk_fma_f32 v[54:55], v[54:55], v[56:57], v[58:59] neg_lo:[0,0,1] neg_hi:[0,0,1]
	s_delay_alu instid0(VALU_DEP_2)
	v_mov_b32_e32 v55, v61
	scratch_store_b64 off, v[54:55], off offset:56
.LBB88_175:
	s_wait_xcnt 0x0
	s_or_b32 exec_lo, exec_lo, s13
	scratch_load_b64 v[54:55], off, off offset:48
	v_cmp_lt_u32_e64 s1, 6, v0
	s_wait_loadcnt 0x0
	ds_store_b64 v1, v[54:55]
	s_wait_storecnt_dscnt 0x0
	s_barrier_signal -1
	s_barrier_wait -1
	s_wait_xcnt 0x0
	s_and_saveexec_b32 s12, s1
	s_cbranch_execz .LBB88_185
; %bb.176:
	s_and_not1_b32 vcc_lo, exec_lo, s5
	s_cbranch_vccnz .LBB88_178
; %bb.177:
	scratch_load_b64 v[54:55], v53, off
	ds_load_b64 v[56:57], v1
	s_wait_loadcnt_dscnt 0x0
	v_pk_mul_f32 v[58:59], v[56:57], v[54:55] op_sel:[1,1] op_sel_hi:[0,1]
	s_delay_alu instid0(VALU_DEP_1) | instskip(SKIP_1) | instid1(VALU_DEP_2)
	v_pk_fma_f32 v[60:61], v[56:57], v[54:55], v[58:59] op_sel_hi:[1,0,1]
	v_pk_fma_f32 v[54:55], v[56:57], v[54:55], v[58:59] neg_lo:[0,0,1] neg_hi:[0,0,1]
	v_mov_b32_e32 v55, v61
	s_cbranch_execz .LBB88_179
	s_branch .LBB88_180
.LBB88_178:
                                        ; implicit-def: $vgpr54_vgpr55
.LBB88_179:
	ds_load_b64 v[54:55], v1
.LBB88_180:
	s_and_saveexec_b32 s13, s0
	s_cbranch_execz .LBB88_184
; %bb.181:
	v_add_nc_u32_e32 v56, -7, v0
	s_movk_i32 s14, 0x108
	s_mov_b32 s0, 0
.LBB88_182:                             ; =>This Inner Loop Header: Depth=1
	scratch_load_b64 v[58:59], off, s11
	v_dual_mov_b32 v57, s14 :: v_dual_add_nc_u32 v56, -1, v56
	s_add_co_i32 s14, s14, 8
	s_wait_xcnt 0x0
	s_add_co_i32 s11, s11, 8
	ds_load_b64 v[60:61], v57
	v_cmp_eq_u32_e32 vcc_lo, 0, v56
	s_or_b32 s0, vcc_lo, s0
	s_wait_loadcnt_dscnt 0x0
	v_pk_mul_f32 v[62:63], v[60:61], v[58:59] op_sel:[1,1] op_sel_hi:[0,1]
	s_delay_alu instid0(VALU_DEP_1) | instskip(SKIP_1) | instid1(VALU_DEP_2)
	v_pk_fma_f32 v[64:65], v[60:61], v[58:59], v[62:63] op_sel_hi:[1,0,1]
	v_pk_fma_f32 v[58:59], v[60:61], v[58:59], v[62:63] neg_lo:[0,0,1] neg_hi:[0,0,1]
	v_mov_b32_e32 v59, v65
	s_delay_alu instid0(VALU_DEP_1)
	v_pk_add_f32 v[54:55], v[54:55], v[58:59]
	s_and_not1_b32 exec_lo, exec_lo, s0
	s_cbranch_execnz .LBB88_182
; %bb.183:
	s_or_b32 exec_lo, exec_lo, s0
.LBB88_184:
	s_delay_alu instid0(SALU_CYCLE_1) | instskip(SKIP_4) | instid1(VALU_DEP_1)
	s_or_b32 exec_lo, exec_lo, s13
	v_mov_b32_e32 v56, 0
	ds_load_b64 v[56:57], v56 offset:48
	s_wait_dscnt 0x0
	v_pk_mul_f32 v[58:59], v[54:55], v[56:57] op_sel:[1,1] op_sel_hi:[0,1]
	v_pk_fma_f32 v[60:61], v[54:55], v[56:57], v[58:59] op_sel_hi:[1,0,1]
	v_pk_fma_f32 v[54:55], v[54:55], v[56:57], v[58:59] neg_lo:[0,0,1] neg_hi:[0,0,1]
	s_delay_alu instid0(VALU_DEP_2)
	v_mov_b32_e32 v55, v61
	scratch_store_b64 off, v[54:55], off offset:48
.LBB88_185:
	s_wait_xcnt 0x0
	s_or_b32 exec_lo, exec_lo, s12
	scratch_load_b64 v[54:55], off, off offset:40
	v_cmp_lt_u32_e64 s0, 5, v0
	s_wait_loadcnt 0x0
	ds_store_b64 v1, v[54:55]
	s_wait_storecnt_dscnt 0x0
	s_barrier_signal -1
	s_barrier_wait -1
	s_wait_xcnt 0x0
	s_and_saveexec_b32 s11, s0
	s_cbranch_execz .LBB88_195
; %bb.186:
	s_and_not1_b32 vcc_lo, exec_lo, s5
	s_cbranch_vccnz .LBB88_188
; %bb.187:
	scratch_load_b64 v[54:55], v53, off
	ds_load_b64 v[56:57], v1
	s_wait_loadcnt_dscnt 0x0
	v_pk_mul_f32 v[58:59], v[56:57], v[54:55] op_sel:[1,1] op_sel_hi:[0,1]
	s_delay_alu instid0(VALU_DEP_1) | instskip(SKIP_1) | instid1(VALU_DEP_2)
	v_pk_fma_f32 v[60:61], v[56:57], v[54:55], v[58:59] op_sel_hi:[1,0,1]
	v_pk_fma_f32 v[54:55], v[56:57], v[54:55], v[58:59] neg_lo:[0,0,1] neg_hi:[0,0,1]
	v_mov_b32_e32 v55, v61
	s_cbranch_execz .LBB88_189
	s_branch .LBB88_190
.LBB88_188:
                                        ; implicit-def: $vgpr54_vgpr55
.LBB88_189:
	ds_load_b64 v[54:55], v1
.LBB88_190:
	s_and_saveexec_b32 s12, s1
	s_cbranch_execz .LBB88_194
; %bb.191:
	v_add_nc_u32_e32 v56, -6, v0
	s_movk_i32 s13, 0x100
	s_mov_b32 s1, 0
.LBB88_192:                             ; =>This Inner Loop Header: Depth=1
	scratch_load_b64 v[58:59], off, s10
	v_dual_mov_b32 v57, s13 :: v_dual_add_nc_u32 v56, -1, v56
	s_add_co_i32 s13, s13, 8
	s_wait_xcnt 0x0
	s_add_co_i32 s10, s10, 8
	ds_load_b64 v[60:61], v57
	v_cmp_eq_u32_e32 vcc_lo, 0, v56
	s_or_b32 s1, vcc_lo, s1
	s_wait_loadcnt_dscnt 0x0
	v_pk_mul_f32 v[62:63], v[60:61], v[58:59] op_sel:[1,1] op_sel_hi:[0,1]
	s_delay_alu instid0(VALU_DEP_1) | instskip(SKIP_1) | instid1(VALU_DEP_2)
	v_pk_fma_f32 v[64:65], v[60:61], v[58:59], v[62:63] op_sel_hi:[1,0,1]
	v_pk_fma_f32 v[58:59], v[60:61], v[58:59], v[62:63] neg_lo:[0,0,1] neg_hi:[0,0,1]
	v_mov_b32_e32 v59, v65
	s_delay_alu instid0(VALU_DEP_1)
	v_pk_add_f32 v[54:55], v[54:55], v[58:59]
	s_and_not1_b32 exec_lo, exec_lo, s1
	s_cbranch_execnz .LBB88_192
; %bb.193:
	s_or_b32 exec_lo, exec_lo, s1
.LBB88_194:
	s_delay_alu instid0(SALU_CYCLE_1) | instskip(SKIP_4) | instid1(VALU_DEP_1)
	s_or_b32 exec_lo, exec_lo, s12
	v_mov_b32_e32 v56, 0
	ds_load_b64 v[56:57], v56 offset:40
	s_wait_dscnt 0x0
	v_pk_mul_f32 v[58:59], v[54:55], v[56:57] op_sel:[1,1] op_sel_hi:[0,1]
	v_pk_fma_f32 v[60:61], v[54:55], v[56:57], v[58:59] op_sel_hi:[1,0,1]
	v_pk_fma_f32 v[54:55], v[54:55], v[56:57], v[58:59] neg_lo:[0,0,1] neg_hi:[0,0,1]
	s_delay_alu instid0(VALU_DEP_2)
	v_mov_b32_e32 v55, v61
	scratch_store_b64 off, v[54:55], off offset:40
.LBB88_195:
	s_wait_xcnt 0x0
	s_or_b32 exec_lo, exec_lo, s11
	scratch_load_b64 v[54:55], off, off offset:32
	v_cmp_lt_u32_e64 s1, 4, v0
	s_wait_loadcnt 0x0
	ds_store_b64 v1, v[54:55]
	s_wait_storecnt_dscnt 0x0
	s_barrier_signal -1
	s_barrier_wait -1
	s_wait_xcnt 0x0
	s_and_saveexec_b32 s10, s1
	s_cbranch_execz .LBB88_205
; %bb.196:
	s_and_not1_b32 vcc_lo, exec_lo, s5
	s_cbranch_vccnz .LBB88_198
; %bb.197:
	scratch_load_b64 v[54:55], v53, off
	ds_load_b64 v[56:57], v1
	s_wait_loadcnt_dscnt 0x0
	v_pk_mul_f32 v[58:59], v[56:57], v[54:55] op_sel:[1,1] op_sel_hi:[0,1]
	s_delay_alu instid0(VALU_DEP_1) | instskip(SKIP_1) | instid1(VALU_DEP_2)
	v_pk_fma_f32 v[60:61], v[56:57], v[54:55], v[58:59] op_sel_hi:[1,0,1]
	v_pk_fma_f32 v[54:55], v[56:57], v[54:55], v[58:59] neg_lo:[0,0,1] neg_hi:[0,0,1]
	v_mov_b32_e32 v55, v61
	s_cbranch_execz .LBB88_199
	s_branch .LBB88_200
.LBB88_198:
                                        ; implicit-def: $vgpr54_vgpr55
.LBB88_199:
	ds_load_b64 v[54:55], v1
.LBB88_200:
	s_and_saveexec_b32 s11, s0
	s_cbranch_execz .LBB88_204
; %bb.201:
	v_add_nc_u32_e32 v56, -5, v0
	s_movk_i32 s12, 0xf8
	s_mov_b32 s0, 0
.LBB88_202:                             ; =>This Inner Loop Header: Depth=1
	scratch_load_b64 v[58:59], off, s9
	v_dual_mov_b32 v57, s12 :: v_dual_add_nc_u32 v56, -1, v56
	s_add_co_i32 s12, s12, 8
	s_wait_xcnt 0x0
	s_add_co_i32 s9, s9, 8
	ds_load_b64 v[60:61], v57
	v_cmp_eq_u32_e32 vcc_lo, 0, v56
	s_or_b32 s0, vcc_lo, s0
	s_wait_loadcnt_dscnt 0x0
	v_pk_mul_f32 v[62:63], v[60:61], v[58:59] op_sel:[1,1] op_sel_hi:[0,1]
	s_delay_alu instid0(VALU_DEP_1) | instskip(SKIP_1) | instid1(VALU_DEP_2)
	v_pk_fma_f32 v[64:65], v[60:61], v[58:59], v[62:63] op_sel_hi:[1,0,1]
	v_pk_fma_f32 v[58:59], v[60:61], v[58:59], v[62:63] neg_lo:[0,0,1] neg_hi:[0,0,1]
	v_mov_b32_e32 v59, v65
	s_delay_alu instid0(VALU_DEP_1)
	v_pk_add_f32 v[54:55], v[54:55], v[58:59]
	s_and_not1_b32 exec_lo, exec_lo, s0
	s_cbranch_execnz .LBB88_202
; %bb.203:
	s_or_b32 exec_lo, exec_lo, s0
.LBB88_204:
	s_delay_alu instid0(SALU_CYCLE_1) | instskip(SKIP_4) | instid1(VALU_DEP_1)
	s_or_b32 exec_lo, exec_lo, s11
	v_mov_b32_e32 v56, 0
	ds_load_b64 v[56:57], v56 offset:32
	s_wait_dscnt 0x0
	v_pk_mul_f32 v[58:59], v[54:55], v[56:57] op_sel:[1,1] op_sel_hi:[0,1]
	v_pk_fma_f32 v[60:61], v[54:55], v[56:57], v[58:59] op_sel_hi:[1,0,1]
	v_pk_fma_f32 v[54:55], v[54:55], v[56:57], v[58:59] neg_lo:[0,0,1] neg_hi:[0,0,1]
	s_delay_alu instid0(VALU_DEP_2)
	v_mov_b32_e32 v55, v61
	scratch_store_b64 off, v[54:55], off offset:32
.LBB88_205:
	s_wait_xcnt 0x0
	s_or_b32 exec_lo, exec_lo, s10
	scratch_load_b64 v[54:55], off, off offset:24
	v_cmp_lt_u32_e64 s0, 3, v0
	s_wait_loadcnt 0x0
	ds_store_b64 v1, v[54:55]
	s_wait_storecnt_dscnt 0x0
	s_barrier_signal -1
	s_barrier_wait -1
	s_wait_xcnt 0x0
	s_and_saveexec_b32 s9, s0
	s_cbranch_execz .LBB88_215
; %bb.206:
	s_and_not1_b32 vcc_lo, exec_lo, s5
	s_cbranch_vccnz .LBB88_208
; %bb.207:
	scratch_load_b64 v[54:55], v53, off
	ds_load_b64 v[56:57], v1
	s_wait_loadcnt_dscnt 0x0
	v_pk_mul_f32 v[58:59], v[56:57], v[54:55] op_sel:[1,1] op_sel_hi:[0,1]
	s_delay_alu instid0(VALU_DEP_1) | instskip(SKIP_1) | instid1(VALU_DEP_2)
	v_pk_fma_f32 v[60:61], v[56:57], v[54:55], v[58:59] op_sel_hi:[1,0,1]
	v_pk_fma_f32 v[54:55], v[56:57], v[54:55], v[58:59] neg_lo:[0,0,1] neg_hi:[0,0,1]
	v_mov_b32_e32 v55, v61
	s_cbranch_execz .LBB88_209
	s_branch .LBB88_210
.LBB88_208:
                                        ; implicit-def: $vgpr54_vgpr55
.LBB88_209:
	ds_load_b64 v[54:55], v1
.LBB88_210:
	s_and_saveexec_b32 s10, s1
	s_cbranch_execz .LBB88_214
; %bb.211:
	v_add_nc_u32_e32 v56, -4, v0
	s_movk_i32 s11, 0xf0
	s_mov_b32 s1, 0
.LBB88_212:                             ; =>This Inner Loop Header: Depth=1
	scratch_load_b64 v[58:59], off, s8
	v_dual_mov_b32 v57, s11 :: v_dual_add_nc_u32 v56, -1, v56
	s_add_co_i32 s11, s11, 8
	s_wait_xcnt 0x0
	s_add_co_i32 s8, s8, 8
	ds_load_b64 v[60:61], v57
	v_cmp_eq_u32_e32 vcc_lo, 0, v56
	s_or_b32 s1, vcc_lo, s1
	s_wait_loadcnt_dscnt 0x0
	v_pk_mul_f32 v[62:63], v[60:61], v[58:59] op_sel:[1,1] op_sel_hi:[0,1]
	s_delay_alu instid0(VALU_DEP_1) | instskip(SKIP_1) | instid1(VALU_DEP_2)
	v_pk_fma_f32 v[64:65], v[60:61], v[58:59], v[62:63] op_sel_hi:[1,0,1]
	v_pk_fma_f32 v[58:59], v[60:61], v[58:59], v[62:63] neg_lo:[0,0,1] neg_hi:[0,0,1]
	v_mov_b32_e32 v59, v65
	s_delay_alu instid0(VALU_DEP_1)
	v_pk_add_f32 v[54:55], v[54:55], v[58:59]
	s_and_not1_b32 exec_lo, exec_lo, s1
	s_cbranch_execnz .LBB88_212
; %bb.213:
	s_or_b32 exec_lo, exec_lo, s1
.LBB88_214:
	s_delay_alu instid0(SALU_CYCLE_1) | instskip(SKIP_4) | instid1(VALU_DEP_1)
	s_or_b32 exec_lo, exec_lo, s10
	v_mov_b32_e32 v56, 0
	ds_load_b64 v[56:57], v56 offset:24
	s_wait_dscnt 0x0
	v_pk_mul_f32 v[58:59], v[54:55], v[56:57] op_sel:[1,1] op_sel_hi:[0,1]
	v_pk_fma_f32 v[60:61], v[54:55], v[56:57], v[58:59] op_sel_hi:[1,0,1]
	v_pk_fma_f32 v[54:55], v[54:55], v[56:57], v[58:59] neg_lo:[0,0,1] neg_hi:[0,0,1]
	s_delay_alu instid0(VALU_DEP_2)
	v_mov_b32_e32 v55, v61
	scratch_store_b64 off, v[54:55], off offset:24
.LBB88_215:
	s_wait_xcnt 0x0
	s_or_b32 exec_lo, exec_lo, s9
	scratch_load_b64 v[54:55], off, off offset:16
	v_cmp_lt_u32_e64 s1, 2, v0
	s_wait_loadcnt 0x0
	ds_store_b64 v1, v[54:55]
	s_wait_storecnt_dscnt 0x0
	s_barrier_signal -1
	s_barrier_wait -1
	s_wait_xcnt 0x0
	s_and_saveexec_b32 s8, s1
	s_cbranch_execz .LBB88_225
; %bb.216:
	s_and_not1_b32 vcc_lo, exec_lo, s5
	s_cbranch_vccnz .LBB88_218
; %bb.217:
	scratch_load_b64 v[54:55], v53, off
	ds_load_b64 v[56:57], v1
	s_wait_loadcnt_dscnt 0x0
	v_pk_mul_f32 v[58:59], v[56:57], v[54:55] op_sel:[1,1] op_sel_hi:[0,1]
	s_delay_alu instid0(VALU_DEP_1) | instskip(SKIP_1) | instid1(VALU_DEP_2)
	v_pk_fma_f32 v[60:61], v[56:57], v[54:55], v[58:59] op_sel_hi:[1,0,1]
	v_pk_fma_f32 v[54:55], v[56:57], v[54:55], v[58:59] neg_lo:[0,0,1] neg_hi:[0,0,1]
	v_mov_b32_e32 v55, v61
	s_cbranch_execz .LBB88_219
	s_branch .LBB88_220
.LBB88_218:
                                        ; implicit-def: $vgpr54_vgpr55
.LBB88_219:
	ds_load_b64 v[54:55], v1
.LBB88_220:
	s_and_saveexec_b32 s9, s0
	s_cbranch_execz .LBB88_224
; %bb.221:
	v_add_nc_u32_e32 v56, -3, v0
	s_movk_i32 s10, 0xe8
	s_mov_b32 s0, 0
.LBB88_222:                             ; =>This Inner Loop Header: Depth=1
	scratch_load_b64 v[58:59], off, s7
	v_dual_mov_b32 v57, s10 :: v_dual_add_nc_u32 v56, -1, v56
	s_add_co_i32 s10, s10, 8
	s_wait_xcnt 0x0
	s_add_co_i32 s7, s7, 8
	ds_load_b64 v[60:61], v57
	v_cmp_eq_u32_e32 vcc_lo, 0, v56
	s_or_b32 s0, vcc_lo, s0
	s_wait_loadcnt_dscnt 0x0
	v_pk_mul_f32 v[62:63], v[60:61], v[58:59] op_sel:[1,1] op_sel_hi:[0,1]
	s_delay_alu instid0(VALU_DEP_1) | instskip(SKIP_1) | instid1(VALU_DEP_2)
	v_pk_fma_f32 v[64:65], v[60:61], v[58:59], v[62:63] op_sel_hi:[1,0,1]
	v_pk_fma_f32 v[58:59], v[60:61], v[58:59], v[62:63] neg_lo:[0,0,1] neg_hi:[0,0,1]
	v_mov_b32_e32 v59, v65
	s_delay_alu instid0(VALU_DEP_1)
	v_pk_add_f32 v[54:55], v[54:55], v[58:59]
	s_and_not1_b32 exec_lo, exec_lo, s0
	s_cbranch_execnz .LBB88_222
; %bb.223:
	s_or_b32 exec_lo, exec_lo, s0
.LBB88_224:
	s_delay_alu instid0(SALU_CYCLE_1) | instskip(SKIP_4) | instid1(VALU_DEP_1)
	s_or_b32 exec_lo, exec_lo, s9
	v_mov_b32_e32 v56, 0
	ds_load_b64 v[56:57], v56 offset:16
	s_wait_dscnt 0x0
	v_pk_mul_f32 v[58:59], v[54:55], v[56:57] op_sel:[1,1] op_sel_hi:[0,1]
	v_pk_fma_f32 v[60:61], v[54:55], v[56:57], v[58:59] op_sel_hi:[1,0,1]
	v_pk_fma_f32 v[54:55], v[54:55], v[56:57], v[58:59] neg_lo:[0,0,1] neg_hi:[0,0,1]
	s_delay_alu instid0(VALU_DEP_2)
	v_mov_b32_e32 v55, v61
	scratch_store_b64 off, v[54:55], off offset:16
.LBB88_225:
	s_wait_xcnt 0x0
	s_or_b32 exec_lo, exec_lo, s8
	scratch_load_b64 v[54:55], off, off offset:8
	v_cmp_lt_u32_e64 s0, 1, v0
	s_wait_loadcnt 0x0
	ds_store_b64 v1, v[54:55]
	s_wait_storecnt_dscnt 0x0
	s_barrier_signal -1
	s_barrier_wait -1
	s_wait_xcnt 0x0
	s_and_saveexec_b32 s7, s0
	s_cbranch_execz .LBB88_235
; %bb.226:
	s_and_not1_b32 vcc_lo, exec_lo, s5
	s_cbranch_vccnz .LBB88_228
; %bb.227:
	scratch_load_b64 v[54:55], v53, off
	ds_load_b64 v[56:57], v1
	s_wait_loadcnt_dscnt 0x0
	v_pk_mul_f32 v[58:59], v[56:57], v[54:55] op_sel:[1,1] op_sel_hi:[0,1]
	s_delay_alu instid0(VALU_DEP_1) | instskip(SKIP_1) | instid1(VALU_DEP_2)
	v_pk_fma_f32 v[60:61], v[56:57], v[54:55], v[58:59] op_sel_hi:[1,0,1]
	v_pk_fma_f32 v[54:55], v[56:57], v[54:55], v[58:59] neg_lo:[0,0,1] neg_hi:[0,0,1]
	v_mov_b32_e32 v55, v61
	s_cbranch_execz .LBB88_229
	s_branch .LBB88_230
.LBB88_228:
                                        ; implicit-def: $vgpr54_vgpr55
.LBB88_229:
	ds_load_b64 v[54:55], v1
.LBB88_230:
	s_and_saveexec_b32 s8, s1
	s_cbranch_execz .LBB88_234
; %bb.231:
	v_add_nc_u32_e32 v56, -2, v0
	s_movk_i32 s9, 0xe0
	s_mov_b32 s1, 0
.LBB88_232:                             ; =>This Inner Loop Header: Depth=1
	scratch_load_b64 v[58:59], off, s6
	v_dual_mov_b32 v57, s9 :: v_dual_add_nc_u32 v56, -1, v56
	s_add_co_i32 s9, s9, 8
	s_wait_xcnt 0x0
	s_add_co_i32 s6, s6, 8
	ds_load_b64 v[60:61], v57
	v_cmp_eq_u32_e32 vcc_lo, 0, v56
	s_or_b32 s1, vcc_lo, s1
	s_wait_loadcnt_dscnt 0x0
	v_pk_mul_f32 v[62:63], v[60:61], v[58:59] op_sel:[1,1] op_sel_hi:[0,1]
	s_delay_alu instid0(VALU_DEP_1) | instskip(SKIP_1) | instid1(VALU_DEP_2)
	v_pk_fma_f32 v[64:65], v[60:61], v[58:59], v[62:63] op_sel_hi:[1,0,1]
	v_pk_fma_f32 v[58:59], v[60:61], v[58:59], v[62:63] neg_lo:[0,0,1] neg_hi:[0,0,1]
	v_mov_b32_e32 v59, v65
	s_delay_alu instid0(VALU_DEP_1)
	v_pk_add_f32 v[54:55], v[54:55], v[58:59]
	s_and_not1_b32 exec_lo, exec_lo, s1
	s_cbranch_execnz .LBB88_232
; %bb.233:
	s_or_b32 exec_lo, exec_lo, s1
.LBB88_234:
	s_delay_alu instid0(SALU_CYCLE_1) | instskip(SKIP_4) | instid1(VALU_DEP_1)
	s_or_b32 exec_lo, exec_lo, s8
	v_mov_b32_e32 v56, 0
	ds_load_b64 v[56:57], v56 offset:8
	s_wait_dscnt 0x0
	v_pk_mul_f32 v[58:59], v[54:55], v[56:57] op_sel:[1,1] op_sel_hi:[0,1]
	v_pk_fma_f32 v[60:61], v[54:55], v[56:57], v[58:59] op_sel_hi:[1,0,1]
	v_pk_fma_f32 v[54:55], v[54:55], v[56:57], v[58:59] neg_lo:[0,0,1] neg_hi:[0,0,1]
	s_delay_alu instid0(VALU_DEP_2)
	v_mov_b32_e32 v55, v61
	scratch_store_b64 off, v[54:55], off offset:8
.LBB88_235:
	s_wait_xcnt 0x0
	s_or_b32 exec_lo, exec_lo, s7
	scratch_load_b64 v[54:55], off, off
	s_mov_b32 s6, 0
	s_mov_b32 s1, 0
	s_mov_b32 s8, exec_lo
                                        ; implicit-def: $vgpr74
                                        ; implicit-def: $sgpr7
	s_wait_loadcnt 0x0
	ds_store_b64 v1, v[54:55]
	s_wait_storecnt_dscnt 0x0
	s_barrier_signal -1
	s_barrier_wait -1
	s_wait_xcnt 0x0
	v_cmpx_ne_u32_e32 0, v0
	s_cbranch_execz .LBB88_245
; %bb.236:
	s_and_not1_b32 vcc_lo, exec_lo, s5
	s_cbranch_vccnz .LBB88_238
; %bb.237:
	scratch_load_b64 v[56:57], v53, off
	ds_load_b64 v[58:59], v1
	s_wait_loadcnt_dscnt 0x0
	v_dual_mul_f32 v54, v59, v57 :: v_dual_mul_f32 v55, v58, v57
	s_delay_alu instid0(VALU_DEP_1)
	v_dual_fma_f32 v54, v58, v56, -v54 :: v_dual_fmac_f32 v55, v59, v56
	s_and_not1_b32 vcc_lo, exec_lo, s1
	s_cbranch_vccz .LBB88_239
	s_branch .LBB88_240
.LBB88_238:
                                        ; implicit-def: $vgpr54
.LBB88_239:
	ds_load_b64 v[54:55], v1
.LBB88_240:
	s_and_saveexec_b32 s1, s0
	s_cbranch_execz .LBB88_244
; %bb.241:
	v_add_nc_u32_e32 v56, -1, v0
	s_movk_i32 s7, 0xd8
	s_mov_b32 s0, 0
.LBB88_242:                             ; =>This Inner Loop Header: Depth=1
	scratch_load_b64 v[58:59], off, s4
	v_mov_b32_e32 v57, s7
	s_add_co_i32 s7, s7, 8
	s_wait_xcnt 0x0
	s_add_co_i32 s4, s4, 8
	v_add_nc_u32_e32 v56, -1, v56
	ds_load_b64 v[60:61], v57
	v_cmp_eq_u32_e32 vcc_lo, 0, v56
	s_or_b32 s0, vcc_lo, s0
	s_wait_loadcnt_dscnt 0x0
	v_dual_mul_f32 v57, v61, v59 :: v_dual_mul_f32 v59, v60, v59
	s_delay_alu instid0(VALU_DEP_1) | instskip(NEXT) | instid1(VALU_DEP_1)
	v_dual_fma_f32 v57, v60, v58, -v57 :: v_dual_fmac_f32 v59, v61, v58
	v_dual_add_f32 v54, v54, v57 :: v_dual_add_f32 v55, v55, v59
	s_and_not1_b32 exec_lo, exec_lo, s0
	s_cbranch_execnz .LBB88_242
; %bb.243:
	s_or_b32 exec_lo, exec_lo, s0
.LBB88_244:
	s_delay_alu instid0(SALU_CYCLE_1)
	s_or_b32 exec_lo, exec_lo, s1
	v_mov_b32_e32 v56, 0
	s_mov_b32 s1, exec_lo
	s_or_b32 s7, 0, 4
	ds_load_b64 v[56:57], v56
	s_wait_dscnt 0x0
	v_dual_mul_f32 v58, v55, v57 :: v_dual_mul_f32 v74, v54, v57
	s_delay_alu instid0(VALU_DEP_1) | instskip(NEXT) | instid1(VALU_DEP_2)
	v_fma_f32 v54, v54, v56, -v58
	v_fmac_f32_e32 v74, v55, v56
	scratch_store_b32 off, v54, off
.LBB88_245:
	s_wait_xcnt 0x0
	s_or_b32 exec_lo, exec_lo, s8
	s_delay_alu instid0(SALU_CYCLE_1)
	s_and_b32 vcc_lo, exec_lo, s6
	s_cbranch_vccz .LBB88_481
.LBB88_246:
	scratch_load_b64 v[54:55], off, off offset:8
	v_cmp_eq_u32_e64 s0, 0, v0
	s_wait_loadcnt 0x0
	ds_store_b64 v1, v[54:55]
	s_wait_storecnt_dscnt 0x0
	s_barrier_signal -1
	s_barrier_wait -1
	s_wait_xcnt 0x0
	s_and_saveexec_b32 s4, s0
	s_cbranch_execz .LBB88_252
; %bb.247:
	s_and_b32 vcc_lo, exec_lo, s5
	s_cbranch_vccz .LBB88_249
; %bb.248:
	scratch_load_b64 v[54:55], v53, off
	ds_load_b64 v[56:57], v1
	s_wait_loadcnt_dscnt 0x0
	v_pk_mul_f32 v[58:59], v[56:57], v[54:55] op_sel:[1,1] op_sel_hi:[0,1]
	v_pk_mul_f32 v[60:61], v[56:57], v[54:55] op_sel_hi:[1,0]
	s_delay_alu instid0(VALU_DEP_2) | instskip(NEXT) | instid1(VALU_DEP_2)
	v_pk_fma_f32 v[54:55], v[56:57], v[54:55], v[58:59] op_sel_hi:[1,0,1]
	v_sub_f32_e32 v54, v60, v58
	s_cbranch_execz .LBB88_250
	s_branch .LBB88_251
.LBB88_249:
                                        ; implicit-def: $vgpr55
.LBB88_250:
	ds_load_b64 v[54:55], v1
.LBB88_251:
	s_wait_dscnt 0x0
	v_dual_mov_b32 v56, 0 :: v_dual_mov_b32 v58, v55
	v_mov_b32_e32 v59, v54
	ds_load_b64 v[56:57], v56 offset:8
	s_wait_dscnt 0x0
	v_pk_mul_f32 v[58:59], v[58:59], v[56:57] op_sel:[0,1]
	s_delay_alu instid0(VALU_DEP_1) | instskip(SKIP_1) | instid1(VALU_DEP_2)
	v_pk_fma_f32 v[60:61], v[54:55], v[56:57], v[58:59] op_sel_hi:[1,0,1]
	v_pk_fma_f32 v[54:55], v[54:55], v[56:57], v[58:59] neg_lo:[0,0,1] neg_hi:[0,0,1]
	v_mov_b32_e32 v55, v61
	scratch_store_b64 off, v[54:55], off offset:8
.LBB88_252:
	s_wait_xcnt 0x0
	s_or_b32 exec_lo, exec_lo, s4
	scratch_load_b64 v[54:55], off, off offset:16
	v_cndmask_b32_e64 v56, 0, 1, s5
	s_mov_b32 s4, exec_lo
	s_wait_loadcnt 0x0
	ds_store_b64 v1, v[54:55]
	s_wait_storecnt_dscnt 0x0
	s_barrier_signal -1
	s_barrier_wait -1
	s_wait_xcnt 0x0
	v_cmpx_gt_u32_e32 2, v0
	s_cbranch_execz .LBB88_260
; %bb.253:
	s_and_not1_b32 vcc_lo, exec_lo, s5
	s_cbranch_vccnz .LBB88_255
; %bb.254:
	scratch_load_b64 v[54:55], v53, off
	ds_load_b64 v[58:59], v1
	s_wait_loadcnt_dscnt 0x0
	v_pk_mul_f32 v[60:61], v[58:59], v[54:55] op_sel:[1,1] op_sel_hi:[0,1]
	s_delay_alu instid0(VALU_DEP_1) | instskip(SKIP_1) | instid1(VALU_DEP_2)
	v_pk_fma_f32 v[62:63], v[58:59], v[54:55], v[60:61] op_sel_hi:[1,0,1]
	v_pk_fma_f32 v[54:55], v[58:59], v[54:55], v[60:61] neg_lo:[0,0,1] neg_hi:[0,0,1]
	v_mov_b32_e32 v55, v63
	s_cbranch_execz .LBB88_256
	s_branch .LBB88_257
.LBB88_255:
                                        ; implicit-def: $vgpr54_vgpr55
.LBB88_256:
	ds_load_b64 v[54:55], v1
.LBB88_257:
	s_and_saveexec_b32 s5, s0
	s_cbranch_execz .LBB88_259
; %bb.258:
	scratch_load_b64 v[58:59], off, off offset:8
	v_mov_b32_e32 v57, 0
	ds_load_b64 v[60:61], v57 offset:216
	s_wait_loadcnt_dscnt 0x0
	v_pk_mul_f32 v[62:63], v[60:61], v[58:59] op_sel:[1,1] op_sel_hi:[0,1]
	s_delay_alu instid0(VALU_DEP_1) | instskip(SKIP_1) | instid1(VALU_DEP_2)
	v_pk_fma_f32 v[64:65], v[60:61], v[58:59], v[62:63] op_sel_hi:[1,0,1]
	v_pk_fma_f32 v[58:59], v[60:61], v[58:59], v[62:63] neg_lo:[0,0,1] neg_hi:[0,0,1]
	v_mov_b32_e32 v59, v65
	s_delay_alu instid0(VALU_DEP_1)
	v_pk_add_f32 v[54:55], v[54:55], v[58:59]
.LBB88_259:
	s_or_b32 exec_lo, exec_lo, s5
	v_mov_b32_e32 v57, 0
	ds_load_b64 v[58:59], v57 offset:16
	s_wait_dscnt 0x0
	v_pk_mul_f32 v[60:61], v[54:55], v[58:59] op_sel:[1,1] op_sel_hi:[0,1]
	s_delay_alu instid0(VALU_DEP_1) | instskip(SKIP_1) | instid1(VALU_DEP_2)
	v_pk_fma_f32 v[62:63], v[54:55], v[58:59], v[60:61] op_sel_hi:[1,0,1]
	v_pk_fma_f32 v[54:55], v[54:55], v[58:59], v[60:61] neg_lo:[0,0,1] neg_hi:[0,0,1]
	v_mov_b32_e32 v55, v63
	scratch_store_b64 off, v[54:55], off offset:16
.LBB88_260:
	s_wait_xcnt 0x0
	s_or_b32 exec_lo, exec_lo, s4
	scratch_load_b64 v[54:55], off, off offset:24
	s_mov_b32 s4, exec_lo
	s_wait_loadcnt 0x0
	ds_store_b64 v1, v[54:55]
	s_wait_storecnt_dscnt 0x0
	s_barrier_signal -1
	s_barrier_wait -1
	s_wait_xcnt 0x0
	v_cmpx_gt_u32_e32 3, v0
	s_cbranch_execz .LBB88_270
; %bb.261:
	v_cmp_ne_u32_e32 vcc_lo, 1, v56
	s_cbranch_vccnz .LBB88_263
; %bb.262:
	scratch_load_b64 v[54:55], v53, off
	ds_load_b64 v[58:59], v1
	s_wait_loadcnt_dscnt 0x0
	v_pk_mul_f32 v[60:61], v[58:59], v[54:55] op_sel:[1,1] op_sel_hi:[0,1]
	s_delay_alu instid0(VALU_DEP_1) | instskip(SKIP_1) | instid1(VALU_DEP_2)
	v_pk_fma_f32 v[62:63], v[58:59], v[54:55], v[60:61] op_sel_hi:[1,0,1]
	v_pk_fma_f32 v[54:55], v[58:59], v[54:55], v[60:61] neg_lo:[0,0,1] neg_hi:[0,0,1]
	v_mov_b32_e32 v55, v63
	s_cbranch_execz .LBB88_264
	s_branch .LBB88_265
.LBB88_263:
                                        ; implicit-def: $vgpr54_vgpr55
.LBB88_264:
	ds_load_b64 v[54:55], v1
.LBB88_265:
	s_mov_b32 s5, exec_lo
	v_cmpx_ne_u32_e32 2, v0
	s_cbranch_execz .LBB88_269
; %bb.266:
	scratch_load_b64 v[58:59], v53, off offset:8
	ds_load_b64 v[60:61], v1 offset:8
	s_wait_loadcnt_dscnt 0x0
	v_pk_mul_f32 v[62:63], v[60:61], v[58:59] op_sel:[1,1] op_sel_hi:[0,1]
	s_delay_alu instid0(VALU_DEP_1) | instskip(SKIP_1) | instid1(VALU_DEP_2)
	v_pk_fma_f32 v[64:65], v[60:61], v[58:59], v[62:63] op_sel_hi:[1,0,1]
	v_pk_fma_f32 v[58:59], v[60:61], v[58:59], v[62:63] neg_lo:[0,0,1] neg_hi:[0,0,1]
	v_mov_b32_e32 v59, v65
	s_delay_alu instid0(VALU_DEP_1)
	v_pk_add_f32 v[54:55], v[54:55], v[58:59]
	s_and_saveexec_b32 s6, s0
	s_cbranch_execz .LBB88_268
; %bb.267:
	scratch_load_b64 v[58:59], off, off offset:16
	v_mov_b32_e32 v57, 0
	ds_load_b64 v[60:61], v57 offset:224
	s_wait_loadcnt_dscnt 0x0
	v_pk_mul_f32 v[62:63], v[60:61], v[58:59] op_sel:[1,1] op_sel_hi:[0,1]
	s_delay_alu instid0(VALU_DEP_1) | instskip(SKIP_1) | instid1(VALU_DEP_2)
	v_pk_fma_f32 v[64:65], v[60:61], v[58:59], v[62:63] op_sel_hi:[1,0,1]
	v_pk_fma_f32 v[58:59], v[60:61], v[58:59], v[62:63] neg_lo:[0,0,1] neg_hi:[0,0,1]
	v_mov_b32_e32 v59, v65
	s_delay_alu instid0(VALU_DEP_1)
	v_pk_add_f32 v[54:55], v[54:55], v[58:59]
.LBB88_268:
	s_or_b32 exec_lo, exec_lo, s6
.LBB88_269:
	s_delay_alu instid0(SALU_CYCLE_1) | instskip(SKIP_4) | instid1(VALU_DEP_1)
	s_or_b32 exec_lo, exec_lo, s5
	v_mov_b32_e32 v57, 0
	ds_load_b64 v[58:59], v57 offset:24
	s_wait_dscnt 0x0
	v_pk_mul_f32 v[60:61], v[54:55], v[58:59] op_sel:[1,1] op_sel_hi:[0,1]
	v_pk_fma_f32 v[62:63], v[54:55], v[58:59], v[60:61] op_sel_hi:[1,0,1]
	v_pk_fma_f32 v[54:55], v[54:55], v[58:59], v[60:61] neg_lo:[0,0,1] neg_hi:[0,0,1]
	s_delay_alu instid0(VALU_DEP_2)
	v_mov_b32_e32 v55, v63
	scratch_store_b64 off, v[54:55], off offset:24
.LBB88_270:
	s_wait_xcnt 0x0
	s_or_b32 exec_lo, exec_lo, s4
	scratch_load_b64 v[54:55], off, off offset:32
	s_mov_b32 s0, exec_lo
	s_wait_loadcnt 0x0
	ds_store_b64 v1, v[54:55]
	s_wait_storecnt_dscnt 0x0
	s_barrier_signal -1
	s_barrier_wait -1
	s_wait_xcnt 0x0
	v_cmpx_gt_u32_e32 4, v0
	s_cbranch_execz .LBB88_280
; %bb.271:
	v_cmp_ne_u32_e32 vcc_lo, 1, v56
	s_cbranch_vccnz .LBB88_273
; %bb.272:
	scratch_load_b64 v[54:55], v53, off
	ds_load_b64 v[58:59], v1
	s_wait_loadcnt_dscnt 0x0
	v_pk_mul_f32 v[60:61], v[58:59], v[54:55] op_sel:[1,1] op_sel_hi:[0,1]
	s_delay_alu instid0(VALU_DEP_1) | instskip(SKIP_1) | instid1(VALU_DEP_2)
	v_pk_fma_f32 v[62:63], v[58:59], v[54:55], v[60:61] op_sel_hi:[1,0,1]
	v_pk_fma_f32 v[54:55], v[58:59], v[54:55], v[60:61] neg_lo:[0,0,1] neg_hi:[0,0,1]
	v_mov_b32_e32 v55, v63
	s_cbranch_execz .LBB88_274
	s_branch .LBB88_275
.LBB88_273:
                                        ; implicit-def: $vgpr54_vgpr55
.LBB88_274:
	ds_load_b64 v[54:55], v1
.LBB88_275:
	s_mov_b32 s4, exec_lo
	v_cmpx_ne_u32_e32 3, v0
	s_cbranch_execz .LBB88_279
; %bb.276:
	v_add_nc_u32_e32 v57, 0xd8, v52
	v_add3_u32 v58, 0, v52, 8
	v_mov_b32_e32 v59, v0
	s_mov_b32 s5, 0
.LBB88_277:                             ; =>This Inner Loop Header: Depth=1
	scratch_load_b64 v[60:61], v58, off
	ds_load_b64 v[62:63], v57
	s_wait_xcnt 0x0
	v_dual_add_nc_u32 v57, 8, v57 :: v_dual_add_nc_u32 v58, 8, v58
	s_wait_loadcnt_dscnt 0x0
	v_pk_mul_f32 v[64:65], v[62:63], v[60:61] op_sel:[1,1] op_sel_hi:[0,1]
	s_delay_alu instid0(VALU_DEP_1) | instskip(SKIP_2) | instid1(VALU_DEP_3)
	v_pk_fma_f32 v[66:67], v[62:63], v[60:61], v[64:65] op_sel_hi:[1,0,1]
	v_add_nc_u32_e32 v59, 1, v59
	v_pk_fma_f32 v[60:61], v[62:63], v[60:61], v[64:65] neg_lo:[0,0,1] neg_hi:[0,0,1]
	v_mov_b32_e32 v61, v67
	s_delay_alu instid0(VALU_DEP_3) | instskip(NEXT) | instid1(VALU_DEP_2)
	v_cmp_lt_u32_e32 vcc_lo, 2, v59
	v_pk_add_f32 v[54:55], v[54:55], v[60:61]
	s_or_b32 s5, vcc_lo, s5
	s_delay_alu instid0(SALU_CYCLE_1)
	s_and_not1_b32 exec_lo, exec_lo, s5
	s_cbranch_execnz .LBB88_277
; %bb.278:
	s_or_b32 exec_lo, exec_lo, s5
.LBB88_279:
	s_delay_alu instid0(SALU_CYCLE_1) | instskip(SKIP_4) | instid1(VALU_DEP_1)
	s_or_b32 exec_lo, exec_lo, s4
	v_mov_b32_e32 v57, 0
	ds_load_b64 v[58:59], v57 offset:32
	s_wait_dscnt 0x0
	v_pk_mul_f32 v[60:61], v[54:55], v[58:59] op_sel:[1,1] op_sel_hi:[0,1]
	v_pk_fma_f32 v[62:63], v[54:55], v[58:59], v[60:61] op_sel_hi:[1,0,1]
	v_pk_fma_f32 v[54:55], v[54:55], v[58:59], v[60:61] neg_lo:[0,0,1] neg_hi:[0,0,1]
	s_delay_alu instid0(VALU_DEP_2)
	v_mov_b32_e32 v55, v63
	scratch_store_b64 off, v[54:55], off offset:32
.LBB88_280:
	s_wait_xcnt 0x0
	s_or_b32 exec_lo, exec_lo, s0
	scratch_load_b64 v[54:55], off, off offset:40
	s_mov_b32 s0, exec_lo
	s_wait_loadcnt 0x0
	ds_store_b64 v1, v[54:55]
	s_wait_storecnt_dscnt 0x0
	s_barrier_signal -1
	s_barrier_wait -1
	s_wait_xcnt 0x0
	v_cmpx_gt_u32_e32 5, v0
	s_cbranch_execz .LBB88_290
; %bb.281:
	v_cmp_ne_u32_e32 vcc_lo, 1, v56
	s_cbranch_vccnz .LBB88_283
; %bb.282:
	scratch_load_b64 v[54:55], v53, off
	ds_load_b64 v[58:59], v1
	s_wait_loadcnt_dscnt 0x0
	v_pk_mul_f32 v[60:61], v[58:59], v[54:55] op_sel:[1,1] op_sel_hi:[0,1]
	s_delay_alu instid0(VALU_DEP_1) | instskip(SKIP_1) | instid1(VALU_DEP_2)
	v_pk_fma_f32 v[62:63], v[58:59], v[54:55], v[60:61] op_sel_hi:[1,0,1]
	v_pk_fma_f32 v[54:55], v[58:59], v[54:55], v[60:61] neg_lo:[0,0,1] neg_hi:[0,0,1]
	v_mov_b32_e32 v55, v63
	s_cbranch_execz .LBB88_284
	s_branch .LBB88_285
.LBB88_283:
                                        ; implicit-def: $vgpr54_vgpr55
.LBB88_284:
	ds_load_b64 v[54:55], v1
.LBB88_285:
	s_mov_b32 s4, exec_lo
	v_cmpx_ne_u32_e32 4, v0
	s_cbranch_execz .LBB88_289
; %bb.286:
	v_add_nc_u32_e32 v57, 0xd8, v52
	v_add3_u32 v58, 0, v52, 8
	v_mov_b32_e32 v59, v0
	s_mov_b32 s5, 0
.LBB88_287:                             ; =>This Inner Loop Header: Depth=1
	scratch_load_b64 v[60:61], v58, off
	ds_load_b64 v[62:63], v57
	s_wait_xcnt 0x0
	v_dual_add_nc_u32 v57, 8, v57 :: v_dual_add_nc_u32 v58, 8, v58
	s_wait_loadcnt_dscnt 0x0
	v_pk_mul_f32 v[64:65], v[62:63], v[60:61] op_sel:[1,1] op_sel_hi:[0,1]
	s_delay_alu instid0(VALU_DEP_1) | instskip(SKIP_2) | instid1(VALU_DEP_3)
	v_pk_fma_f32 v[66:67], v[62:63], v[60:61], v[64:65] op_sel_hi:[1,0,1]
	v_add_nc_u32_e32 v59, 1, v59
	v_pk_fma_f32 v[60:61], v[62:63], v[60:61], v[64:65] neg_lo:[0,0,1] neg_hi:[0,0,1]
	v_mov_b32_e32 v61, v67
	s_delay_alu instid0(VALU_DEP_3) | instskip(NEXT) | instid1(VALU_DEP_2)
	v_cmp_lt_u32_e32 vcc_lo, 3, v59
	v_pk_add_f32 v[54:55], v[54:55], v[60:61]
	s_or_b32 s5, vcc_lo, s5
	s_delay_alu instid0(SALU_CYCLE_1)
	s_and_not1_b32 exec_lo, exec_lo, s5
	s_cbranch_execnz .LBB88_287
; %bb.288:
	s_or_b32 exec_lo, exec_lo, s5
.LBB88_289:
	s_delay_alu instid0(SALU_CYCLE_1) | instskip(SKIP_4) | instid1(VALU_DEP_1)
	s_or_b32 exec_lo, exec_lo, s4
	v_mov_b32_e32 v57, 0
	ds_load_b64 v[58:59], v57 offset:40
	s_wait_dscnt 0x0
	v_pk_mul_f32 v[60:61], v[54:55], v[58:59] op_sel:[1,1] op_sel_hi:[0,1]
	v_pk_fma_f32 v[62:63], v[54:55], v[58:59], v[60:61] op_sel_hi:[1,0,1]
	v_pk_fma_f32 v[54:55], v[54:55], v[58:59], v[60:61] neg_lo:[0,0,1] neg_hi:[0,0,1]
	s_delay_alu instid0(VALU_DEP_2)
	v_mov_b32_e32 v55, v63
	scratch_store_b64 off, v[54:55], off offset:40
.LBB88_290:
	s_wait_xcnt 0x0
	s_or_b32 exec_lo, exec_lo, s0
	scratch_load_b64 v[54:55], off, off offset:48
	s_mov_b32 s0, exec_lo
	s_wait_loadcnt 0x0
	ds_store_b64 v1, v[54:55]
	s_wait_storecnt_dscnt 0x0
	s_barrier_signal -1
	s_barrier_wait -1
	s_wait_xcnt 0x0
	v_cmpx_gt_u32_e32 6, v0
	s_cbranch_execz .LBB88_300
; %bb.291:
	v_cmp_ne_u32_e32 vcc_lo, 1, v56
	s_cbranch_vccnz .LBB88_293
; %bb.292:
	scratch_load_b64 v[54:55], v53, off
	ds_load_b64 v[58:59], v1
	s_wait_loadcnt_dscnt 0x0
	v_pk_mul_f32 v[60:61], v[58:59], v[54:55] op_sel:[1,1] op_sel_hi:[0,1]
	s_delay_alu instid0(VALU_DEP_1) | instskip(SKIP_1) | instid1(VALU_DEP_2)
	v_pk_fma_f32 v[62:63], v[58:59], v[54:55], v[60:61] op_sel_hi:[1,0,1]
	v_pk_fma_f32 v[54:55], v[58:59], v[54:55], v[60:61] neg_lo:[0,0,1] neg_hi:[0,0,1]
	v_mov_b32_e32 v55, v63
	s_cbranch_execz .LBB88_294
	s_branch .LBB88_295
.LBB88_293:
                                        ; implicit-def: $vgpr54_vgpr55
.LBB88_294:
	ds_load_b64 v[54:55], v1
.LBB88_295:
	s_mov_b32 s4, exec_lo
	v_cmpx_ne_u32_e32 5, v0
	s_cbranch_execz .LBB88_299
; %bb.296:
	v_add_nc_u32_e32 v57, 0xd8, v52
	v_add3_u32 v58, 0, v52, 8
	v_mov_b32_e32 v59, v0
	s_mov_b32 s5, 0
.LBB88_297:                             ; =>This Inner Loop Header: Depth=1
	scratch_load_b64 v[60:61], v58, off
	ds_load_b64 v[62:63], v57
	s_wait_xcnt 0x0
	v_dual_add_nc_u32 v57, 8, v57 :: v_dual_add_nc_u32 v58, 8, v58
	s_wait_loadcnt_dscnt 0x0
	v_pk_mul_f32 v[64:65], v[62:63], v[60:61] op_sel:[1,1] op_sel_hi:[0,1]
	s_delay_alu instid0(VALU_DEP_1) | instskip(SKIP_2) | instid1(VALU_DEP_3)
	v_pk_fma_f32 v[66:67], v[62:63], v[60:61], v[64:65] op_sel_hi:[1,0,1]
	v_add_nc_u32_e32 v59, 1, v59
	v_pk_fma_f32 v[60:61], v[62:63], v[60:61], v[64:65] neg_lo:[0,0,1] neg_hi:[0,0,1]
	v_mov_b32_e32 v61, v67
	s_delay_alu instid0(VALU_DEP_3) | instskip(NEXT) | instid1(VALU_DEP_2)
	v_cmp_lt_u32_e32 vcc_lo, 4, v59
	v_pk_add_f32 v[54:55], v[54:55], v[60:61]
	s_or_b32 s5, vcc_lo, s5
	s_delay_alu instid0(SALU_CYCLE_1)
	s_and_not1_b32 exec_lo, exec_lo, s5
	s_cbranch_execnz .LBB88_297
; %bb.298:
	s_or_b32 exec_lo, exec_lo, s5
.LBB88_299:
	s_delay_alu instid0(SALU_CYCLE_1) | instskip(SKIP_4) | instid1(VALU_DEP_1)
	s_or_b32 exec_lo, exec_lo, s4
	v_mov_b32_e32 v57, 0
	ds_load_b64 v[58:59], v57 offset:48
	s_wait_dscnt 0x0
	v_pk_mul_f32 v[60:61], v[54:55], v[58:59] op_sel:[1,1] op_sel_hi:[0,1]
	v_pk_fma_f32 v[62:63], v[54:55], v[58:59], v[60:61] op_sel_hi:[1,0,1]
	v_pk_fma_f32 v[54:55], v[54:55], v[58:59], v[60:61] neg_lo:[0,0,1] neg_hi:[0,0,1]
	s_delay_alu instid0(VALU_DEP_2)
	v_mov_b32_e32 v55, v63
	scratch_store_b64 off, v[54:55], off offset:48
.LBB88_300:
	s_wait_xcnt 0x0
	s_or_b32 exec_lo, exec_lo, s0
	scratch_load_b64 v[54:55], off, off offset:56
	s_mov_b32 s0, exec_lo
	s_wait_loadcnt 0x0
	ds_store_b64 v1, v[54:55]
	s_wait_storecnt_dscnt 0x0
	s_barrier_signal -1
	s_barrier_wait -1
	s_wait_xcnt 0x0
	v_cmpx_gt_u32_e32 7, v0
	s_cbranch_execz .LBB88_310
; %bb.301:
	v_cmp_ne_u32_e32 vcc_lo, 1, v56
	s_cbranch_vccnz .LBB88_303
; %bb.302:
	scratch_load_b64 v[54:55], v53, off
	ds_load_b64 v[58:59], v1
	s_wait_loadcnt_dscnt 0x0
	v_pk_mul_f32 v[60:61], v[58:59], v[54:55] op_sel:[1,1] op_sel_hi:[0,1]
	s_delay_alu instid0(VALU_DEP_1) | instskip(SKIP_1) | instid1(VALU_DEP_2)
	v_pk_fma_f32 v[62:63], v[58:59], v[54:55], v[60:61] op_sel_hi:[1,0,1]
	v_pk_fma_f32 v[54:55], v[58:59], v[54:55], v[60:61] neg_lo:[0,0,1] neg_hi:[0,0,1]
	v_mov_b32_e32 v55, v63
	s_cbranch_execz .LBB88_304
	s_branch .LBB88_305
.LBB88_303:
                                        ; implicit-def: $vgpr54_vgpr55
.LBB88_304:
	ds_load_b64 v[54:55], v1
.LBB88_305:
	s_mov_b32 s4, exec_lo
	v_cmpx_ne_u32_e32 6, v0
	s_cbranch_execz .LBB88_309
; %bb.306:
	v_add_nc_u32_e32 v57, 0xd8, v52
	v_add3_u32 v58, 0, v52, 8
	v_mov_b32_e32 v59, v0
	s_mov_b32 s5, 0
.LBB88_307:                             ; =>This Inner Loop Header: Depth=1
	scratch_load_b64 v[60:61], v58, off
	ds_load_b64 v[62:63], v57
	s_wait_xcnt 0x0
	v_dual_add_nc_u32 v57, 8, v57 :: v_dual_add_nc_u32 v58, 8, v58
	s_wait_loadcnt_dscnt 0x0
	v_pk_mul_f32 v[64:65], v[62:63], v[60:61] op_sel:[1,1] op_sel_hi:[0,1]
	s_delay_alu instid0(VALU_DEP_1) | instskip(SKIP_2) | instid1(VALU_DEP_3)
	v_pk_fma_f32 v[66:67], v[62:63], v[60:61], v[64:65] op_sel_hi:[1,0,1]
	v_add_nc_u32_e32 v59, 1, v59
	v_pk_fma_f32 v[60:61], v[62:63], v[60:61], v[64:65] neg_lo:[0,0,1] neg_hi:[0,0,1]
	v_mov_b32_e32 v61, v67
	s_delay_alu instid0(VALU_DEP_3) | instskip(NEXT) | instid1(VALU_DEP_2)
	v_cmp_lt_u32_e32 vcc_lo, 5, v59
	v_pk_add_f32 v[54:55], v[54:55], v[60:61]
	s_or_b32 s5, vcc_lo, s5
	s_delay_alu instid0(SALU_CYCLE_1)
	s_and_not1_b32 exec_lo, exec_lo, s5
	s_cbranch_execnz .LBB88_307
; %bb.308:
	s_or_b32 exec_lo, exec_lo, s5
.LBB88_309:
	s_delay_alu instid0(SALU_CYCLE_1) | instskip(SKIP_4) | instid1(VALU_DEP_1)
	s_or_b32 exec_lo, exec_lo, s4
	v_mov_b32_e32 v57, 0
	ds_load_b64 v[58:59], v57 offset:56
	s_wait_dscnt 0x0
	v_pk_mul_f32 v[60:61], v[54:55], v[58:59] op_sel:[1,1] op_sel_hi:[0,1]
	v_pk_fma_f32 v[62:63], v[54:55], v[58:59], v[60:61] op_sel_hi:[1,0,1]
	v_pk_fma_f32 v[54:55], v[54:55], v[58:59], v[60:61] neg_lo:[0,0,1] neg_hi:[0,0,1]
	s_delay_alu instid0(VALU_DEP_2)
	v_mov_b32_e32 v55, v63
	scratch_store_b64 off, v[54:55], off offset:56
.LBB88_310:
	s_wait_xcnt 0x0
	s_or_b32 exec_lo, exec_lo, s0
	scratch_load_b64 v[54:55], off, off offset:64
	s_mov_b32 s0, exec_lo
	s_wait_loadcnt 0x0
	ds_store_b64 v1, v[54:55]
	s_wait_storecnt_dscnt 0x0
	s_barrier_signal -1
	s_barrier_wait -1
	s_wait_xcnt 0x0
	v_cmpx_gt_u32_e32 8, v0
	s_cbranch_execz .LBB88_320
; %bb.311:
	v_cmp_ne_u32_e32 vcc_lo, 1, v56
	s_cbranch_vccnz .LBB88_313
; %bb.312:
	scratch_load_b64 v[54:55], v53, off
	ds_load_b64 v[58:59], v1
	s_wait_loadcnt_dscnt 0x0
	v_pk_mul_f32 v[60:61], v[58:59], v[54:55] op_sel:[1,1] op_sel_hi:[0,1]
	s_delay_alu instid0(VALU_DEP_1) | instskip(SKIP_1) | instid1(VALU_DEP_2)
	v_pk_fma_f32 v[62:63], v[58:59], v[54:55], v[60:61] op_sel_hi:[1,0,1]
	v_pk_fma_f32 v[54:55], v[58:59], v[54:55], v[60:61] neg_lo:[0,0,1] neg_hi:[0,0,1]
	v_mov_b32_e32 v55, v63
	s_cbranch_execz .LBB88_314
	s_branch .LBB88_315
.LBB88_313:
                                        ; implicit-def: $vgpr54_vgpr55
.LBB88_314:
	ds_load_b64 v[54:55], v1
.LBB88_315:
	s_mov_b32 s4, exec_lo
	v_cmpx_ne_u32_e32 7, v0
	s_cbranch_execz .LBB88_319
; %bb.316:
	v_add_nc_u32_e32 v57, 0xd8, v52
	v_add3_u32 v58, 0, v52, 8
	v_mov_b32_e32 v59, v0
	s_mov_b32 s5, 0
.LBB88_317:                             ; =>This Inner Loop Header: Depth=1
	scratch_load_b64 v[60:61], v58, off
	ds_load_b64 v[62:63], v57
	s_wait_xcnt 0x0
	v_dual_add_nc_u32 v57, 8, v57 :: v_dual_add_nc_u32 v58, 8, v58
	s_wait_loadcnt_dscnt 0x0
	v_pk_mul_f32 v[64:65], v[62:63], v[60:61] op_sel:[1,1] op_sel_hi:[0,1]
	s_delay_alu instid0(VALU_DEP_1) | instskip(SKIP_2) | instid1(VALU_DEP_3)
	v_pk_fma_f32 v[66:67], v[62:63], v[60:61], v[64:65] op_sel_hi:[1,0,1]
	v_add_nc_u32_e32 v59, 1, v59
	v_pk_fma_f32 v[60:61], v[62:63], v[60:61], v[64:65] neg_lo:[0,0,1] neg_hi:[0,0,1]
	v_mov_b32_e32 v61, v67
	s_delay_alu instid0(VALU_DEP_3) | instskip(NEXT) | instid1(VALU_DEP_2)
	v_cmp_lt_u32_e32 vcc_lo, 6, v59
	v_pk_add_f32 v[54:55], v[54:55], v[60:61]
	s_or_b32 s5, vcc_lo, s5
	s_delay_alu instid0(SALU_CYCLE_1)
	s_and_not1_b32 exec_lo, exec_lo, s5
	s_cbranch_execnz .LBB88_317
; %bb.318:
	s_or_b32 exec_lo, exec_lo, s5
.LBB88_319:
	s_delay_alu instid0(SALU_CYCLE_1) | instskip(SKIP_4) | instid1(VALU_DEP_1)
	s_or_b32 exec_lo, exec_lo, s4
	v_mov_b32_e32 v57, 0
	ds_load_b64 v[58:59], v57 offset:64
	s_wait_dscnt 0x0
	v_pk_mul_f32 v[60:61], v[54:55], v[58:59] op_sel:[1,1] op_sel_hi:[0,1]
	v_pk_fma_f32 v[62:63], v[54:55], v[58:59], v[60:61] op_sel_hi:[1,0,1]
	v_pk_fma_f32 v[54:55], v[54:55], v[58:59], v[60:61] neg_lo:[0,0,1] neg_hi:[0,0,1]
	s_delay_alu instid0(VALU_DEP_2)
	v_mov_b32_e32 v55, v63
	scratch_store_b64 off, v[54:55], off offset:64
.LBB88_320:
	s_wait_xcnt 0x0
	s_or_b32 exec_lo, exec_lo, s0
	scratch_load_b64 v[54:55], off, off offset:72
	s_mov_b32 s0, exec_lo
	s_wait_loadcnt 0x0
	ds_store_b64 v1, v[54:55]
	s_wait_storecnt_dscnt 0x0
	s_barrier_signal -1
	s_barrier_wait -1
	s_wait_xcnt 0x0
	v_cmpx_gt_u32_e32 9, v0
	s_cbranch_execz .LBB88_330
; %bb.321:
	v_cmp_ne_u32_e32 vcc_lo, 1, v56
	s_cbranch_vccnz .LBB88_323
; %bb.322:
	scratch_load_b64 v[54:55], v53, off
	ds_load_b64 v[58:59], v1
	s_wait_loadcnt_dscnt 0x0
	v_pk_mul_f32 v[60:61], v[58:59], v[54:55] op_sel:[1,1] op_sel_hi:[0,1]
	s_delay_alu instid0(VALU_DEP_1) | instskip(SKIP_1) | instid1(VALU_DEP_2)
	v_pk_fma_f32 v[62:63], v[58:59], v[54:55], v[60:61] op_sel_hi:[1,0,1]
	v_pk_fma_f32 v[54:55], v[58:59], v[54:55], v[60:61] neg_lo:[0,0,1] neg_hi:[0,0,1]
	v_mov_b32_e32 v55, v63
	s_cbranch_execz .LBB88_324
	s_branch .LBB88_325
.LBB88_323:
                                        ; implicit-def: $vgpr54_vgpr55
.LBB88_324:
	ds_load_b64 v[54:55], v1
.LBB88_325:
	s_mov_b32 s4, exec_lo
	v_cmpx_ne_u32_e32 8, v0
	s_cbranch_execz .LBB88_329
; %bb.326:
	v_add_nc_u32_e32 v57, 0xd8, v52
	v_add3_u32 v58, 0, v52, 8
	v_mov_b32_e32 v59, v0
	s_mov_b32 s5, 0
.LBB88_327:                             ; =>This Inner Loop Header: Depth=1
	scratch_load_b64 v[60:61], v58, off
	ds_load_b64 v[62:63], v57
	s_wait_xcnt 0x0
	v_dual_add_nc_u32 v57, 8, v57 :: v_dual_add_nc_u32 v58, 8, v58
	s_wait_loadcnt_dscnt 0x0
	v_pk_mul_f32 v[64:65], v[62:63], v[60:61] op_sel:[1,1] op_sel_hi:[0,1]
	s_delay_alu instid0(VALU_DEP_1) | instskip(SKIP_2) | instid1(VALU_DEP_3)
	v_pk_fma_f32 v[66:67], v[62:63], v[60:61], v[64:65] op_sel_hi:[1,0,1]
	v_add_nc_u32_e32 v59, 1, v59
	v_pk_fma_f32 v[60:61], v[62:63], v[60:61], v[64:65] neg_lo:[0,0,1] neg_hi:[0,0,1]
	v_mov_b32_e32 v61, v67
	s_delay_alu instid0(VALU_DEP_3) | instskip(NEXT) | instid1(VALU_DEP_2)
	v_cmp_lt_u32_e32 vcc_lo, 7, v59
	v_pk_add_f32 v[54:55], v[54:55], v[60:61]
	s_or_b32 s5, vcc_lo, s5
	s_delay_alu instid0(SALU_CYCLE_1)
	s_and_not1_b32 exec_lo, exec_lo, s5
	s_cbranch_execnz .LBB88_327
; %bb.328:
	s_or_b32 exec_lo, exec_lo, s5
.LBB88_329:
	s_delay_alu instid0(SALU_CYCLE_1) | instskip(SKIP_4) | instid1(VALU_DEP_1)
	s_or_b32 exec_lo, exec_lo, s4
	v_mov_b32_e32 v57, 0
	ds_load_b64 v[58:59], v57 offset:72
	s_wait_dscnt 0x0
	v_pk_mul_f32 v[60:61], v[54:55], v[58:59] op_sel:[1,1] op_sel_hi:[0,1]
	v_pk_fma_f32 v[62:63], v[54:55], v[58:59], v[60:61] op_sel_hi:[1,0,1]
	v_pk_fma_f32 v[54:55], v[54:55], v[58:59], v[60:61] neg_lo:[0,0,1] neg_hi:[0,0,1]
	s_delay_alu instid0(VALU_DEP_2)
	v_mov_b32_e32 v55, v63
	scratch_store_b64 off, v[54:55], off offset:72
.LBB88_330:
	s_wait_xcnt 0x0
	s_or_b32 exec_lo, exec_lo, s0
	scratch_load_b64 v[54:55], off, off offset:80
	s_mov_b32 s0, exec_lo
	s_wait_loadcnt 0x0
	ds_store_b64 v1, v[54:55]
	s_wait_storecnt_dscnt 0x0
	s_barrier_signal -1
	s_barrier_wait -1
	s_wait_xcnt 0x0
	v_cmpx_gt_u32_e32 10, v0
	s_cbranch_execz .LBB88_340
; %bb.331:
	v_cmp_ne_u32_e32 vcc_lo, 1, v56
	s_cbranch_vccnz .LBB88_333
; %bb.332:
	scratch_load_b64 v[54:55], v53, off
	ds_load_b64 v[58:59], v1
	s_wait_loadcnt_dscnt 0x0
	v_pk_mul_f32 v[60:61], v[58:59], v[54:55] op_sel:[1,1] op_sel_hi:[0,1]
	s_delay_alu instid0(VALU_DEP_1) | instskip(SKIP_1) | instid1(VALU_DEP_2)
	v_pk_fma_f32 v[62:63], v[58:59], v[54:55], v[60:61] op_sel_hi:[1,0,1]
	v_pk_fma_f32 v[54:55], v[58:59], v[54:55], v[60:61] neg_lo:[0,0,1] neg_hi:[0,0,1]
	v_mov_b32_e32 v55, v63
	s_cbranch_execz .LBB88_334
	s_branch .LBB88_335
.LBB88_333:
                                        ; implicit-def: $vgpr54_vgpr55
.LBB88_334:
	ds_load_b64 v[54:55], v1
.LBB88_335:
	s_mov_b32 s4, exec_lo
	v_cmpx_ne_u32_e32 9, v0
	s_cbranch_execz .LBB88_339
; %bb.336:
	v_add_nc_u32_e32 v57, 0xd8, v52
	v_add3_u32 v58, 0, v52, 8
	v_mov_b32_e32 v59, v0
	s_mov_b32 s5, 0
.LBB88_337:                             ; =>This Inner Loop Header: Depth=1
	scratch_load_b64 v[60:61], v58, off
	ds_load_b64 v[62:63], v57
	s_wait_xcnt 0x0
	v_dual_add_nc_u32 v57, 8, v57 :: v_dual_add_nc_u32 v58, 8, v58
	s_wait_loadcnt_dscnt 0x0
	v_pk_mul_f32 v[64:65], v[62:63], v[60:61] op_sel:[1,1] op_sel_hi:[0,1]
	s_delay_alu instid0(VALU_DEP_1) | instskip(SKIP_2) | instid1(VALU_DEP_3)
	v_pk_fma_f32 v[66:67], v[62:63], v[60:61], v[64:65] op_sel_hi:[1,0,1]
	v_add_nc_u32_e32 v59, 1, v59
	v_pk_fma_f32 v[60:61], v[62:63], v[60:61], v[64:65] neg_lo:[0,0,1] neg_hi:[0,0,1]
	v_mov_b32_e32 v61, v67
	s_delay_alu instid0(VALU_DEP_3) | instskip(NEXT) | instid1(VALU_DEP_2)
	v_cmp_lt_u32_e32 vcc_lo, 8, v59
	v_pk_add_f32 v[54:55], v[54:55], v[60:61]
	s_or_b32 s5, vcc_lo, s5
	s_delay_alu instid0(SALU_CYCLE_1)
	s_and_not1_b32 exec_lo, exec_lo, s5
	s_cbranch_execnz .LBB88_337
; %bb.338:
	s_or_b32 exec_lo, exec_lo, s5
.LBB88_339:
	s_delay_alu instid0(SALU_CYCLE_1) | instskip(SKIP_4) | instid1(VALU_DEP_1)
	s_or_b32 exec_lo, exec_lo, s4
	v_mov_b32_e32 v57, 0
	ds_load_b64 v[58:59], v57 offset:80
	s_wait_dscnt 0x0
	v_pk_mul_f32 v[60:61], v[54:55], v[58:59] op_sel:[1,1] op_sel_hi:[0,1]
	v_pk_fma_f32 v[62:63], v[54:55], v[58:59], v[60:61] op_sel_hi:[1,0,1]
	v_pk_fma_f32 v[54:55], v[54:55], v[58:59], v[60:61] neg_lo:[0,0,1] neg_hi:[0,0,1]
	s_delay_alu instid0(VALU_DEP_2)
	v_mov_b32_e32 v55, v63
	scratch_store_b64 off, v[54:55], off offset:80
.LBB88_340:
	s_wait_xcnt 0x0
	s_or_b32 exec_lo, exec_lo, s0
	scratch_load_b64 v[54:55], off, off offset:88
	s_mov_b32 s0, exec_lo
	s_wait_loadcnt 0x0
	ds_store_b64 v1, v[54:55]
	s_wait_storecnt_dscnt 0x0
	s_barrier_signal -1
	s_barrier_wait -1
	s_wait_xcnt 0x0
	v_cmpx_gt_u32_e32 11, v0
	s_cbranch_execz .LBB88_350
; %bb.341:
	v_cmp_ne_u32_e32 vcc_lo, 1, v56
	s_cbranch_vccnz .LBB88_343
; %bb.342:
	scratch_load_b64 v[54:55], v53, off
	ds_load_b64 v[58:59], v1
	s_wait_loadcnt_dscnt 0x0
	v_pk_mul_f32 v[60:61], v[58:59], v[54:55] op_sel:[1,1] op_sel_hi:[0,1]
	s_delay_alu instid0(VALU_DEP_1) | instskip(SKIP_1) | instid1(VALU_DEP_2)
	v_pk_fma_f32 v[62:63], v[58:59], v[54:55], v[60:61] op_sel_hi:[1,0,1]
	v_pk_fma_f32 v[54:55], v[58:59], v[54:55], v[60:61] neg_lo:[0,0,1] neg_hi:[0,0,1]
	v_mov_b32_e32 v55, v63
	s_cbranch_execz .LBB88_344
	s_branch .LBB88_345
.LBB88_343:
                                        ; implicit-def: $vgpr54_vgpr55
.LBB88_344:
	ds_load_b64 v[54:55], v1
.LBB88_345:
	s_mov_b32 s4, exec_lo
	v_cmpx_ne_u32_e32 10, v0
	s_cbranch_execz .LBB88_349
; %bb.346:
	v_add_nc_u32_e32 v57, 0xd8, v52
	v_add3_u32 v58, 0, v52, 8
	v_mov_b32_e32 v59, v0
	s_mov_b32 s5, 0
.LBB88_347:                             ; =>This Inner Loop Header: Depth=1
	scratch_load_b64 v[60:61], v58, off
	ds_load_b64 v[62:63], v57
	s_wait_xcnt 0x0
	v_dual_add_nc_u32 v57, 8, v57 :: v_dual_add_nc_u32 v58, 8, v58
	s_wait_loadcnt_dscnt 0x0
	v_pk_mul_f32 v[64:65], v[62:63], v[60:61] op_sel:[1,1] op_sel_hi:[0,1]
	s_delay_alu instid0(VALU_DEP_1) | instskip(SKIP_2) | instid1(VALU_DEP_3)
	v_pk_fma_f32 v[66:67], v[62:63], v[60:61], v[64:65] op_sel_hi:[1,0,1]
	v_add_nc_u32_e32 v59, 1, v59
	v_pk_fma_f32 v[60:61], v[62:63], v[60:61], v[64:65] neg_lo:[0,0,1] neg_hi:[0,0,1]
	v_mov_b32_e32 v61, v67
	s_delay_alu instid0(VALU_DEP_3) | instskip(NEXT) | instid1(VALU_DEP_2)
	v_cmp_lt_u32_e32 vcc_lo, 9, v59
	v_pk_add_f32 v[54:55], v[54:55], v[60:61]
	s_or_b32 s5, vcc_lo, s5
	s_delay_alu instid0(SALU_CYCLE_1)
	s_and_not1_b32 exec_lo, exec_lo, s5
	s_cbranch_execnz .LBB88_347
; %bb.348:
	s_or_b32 exec_lo, exec_lo, s5
.LBB88_349:
	s_delay_alu instid0(SALU_CYCLE_1) | instskip(SKIP_4) | instid1(VALU_DEP_1)
	s_or_b32 exec_lo, exec_lo, s4
	v_mov_b32_e32 v57, 0
	ds_load_b64 v[58:59], v57 offset:88
	s_wait_dscnt 0x0
	v_pk_mul_f32 v[60:61], v[54:55], v[58:59] op_sel:[1,1] op_sel_hi:[0,1]
	v_pk_fma_f32 v[62:63], v[54:55], v[58:59], v[60:61] op_sel_hi:[1,0,1]
	v_pk_fma_f32 v[54:55], v[54:55], v[58:59], v[60:61] neg_lo:[0,0,1] neg_hi:[0,0,1]
	s_delay_alu instid0(VALU_DEP_2)
	v_mov_b32_e32 v55, v63
	scratch_store_b64 off, v[54:55], off offset:88
.LBB88_350:
	s_wait_xcnt 0x0
	s_or_b32 exec_lo, exec_lo, s0
	scratch_load_b64 v[54:55], off, off offset:96
	s_mov_b32 s0, exec_lo
	s_wait_loadcnt 0x0
	ds_store_b64 v1, v[54:55]
	s_wait_storecnt_dscnt 0x0
	s_barrier_signal -1
	s_barrier_wait -1
	s_wait_xcnt 0x0
	v_cmpx_gt_u32_e32 12, v0
	s_cbranch_execz .LBB88_360
; %bb.351:
	v_cmp_ne_u32_e32 vcc_lo, 1, v56
	s_cbranch_vccnz .LBB88_353
; %bb.352:
	scratch_load_b64 v[54:55], v53, off
	ds_load_b64 v[58:59], v1
	s_wait_loadcnt_dscnt 0x0
	v_pk_mul_f32 v[60:61], v[58:59], v[54:55] op_sel:[1,1] op_sel_hi:[0,1]
	s_delay_alu instid0(VALU_DEP_1) | instskip(SKIP_1) | instid1(VALU_DEP_2)
	v_pk_fma_f32 v[62:63], v[58:59], v[54:55], v[60:61] op_sel_hi:[1,0,1]
	v_pk_fma_f32 v[54:55], v[58:59], v[54:55], v[60:61] neg_lo:[0,0,1] neg_hi:[0,0,1]
	v_mov_b32_e32 v55, v63
	s_cbranch_execz .LBB88_354
	s_branch .LBB88_355
.LBB88_353:
                                        ; implicit-def: $vgpr54_vgpr55
.LBB88_354:
	ds_load_b64 v[54:55], v1
.LBB88_355:
	s_mov_b32 s4, exec_lo
	v_cmpx_ne_u32_e32 11, v0
	s_cbranch_execz .LBB88_359
; %bb.356:
	v_add_nc_u32_e32 v57, 0xd8, v52
	v_add3_u32 v58, 0, v52, 8
	v_mov_b32_e32 v59, v0
	s_mov_b32 s5, 0
.LBB88_357:                             ; =>This Inner Loop Header: Depth=1
	scratch_load_b64 v[60:61], v58, off
	ds_load_b64 v[62:63], v57
	s_wait_xcnt 0x0
	v_dual_add_nc_u32 v57, 8, v57 :: v_dual_add_nc_u32 v58, 8, v58
	s_wait_loadcnt_dscnt 0x0
	v_pk_mul_f32 v[64:65], v[62:63], v[60:61] op_sel:[1,1] op_sel_hi:[0,1]
	s_delay_alu instid0(VALU_DEP_1) | instskip(SKIP_2) | instid1(VALU_DEP_3)
	v_pk_fma_f32 v[66:67], v[62:63], v[60:61], v[64:65] op_sel_hi:[1,0,1]
	v_add_nc_u32_e32 v59, 1, v59
	v_pk_fma_f32 v[60:61], v[62:63], v[60:61], v[64:65] neg_lo:[0,0,1] neg_hi:[0,0,1]
	v_mov_b32_e32 v61, v67
	s_delay_alu instid0(VALU_DEP_3) | instskip(NEXT) | instid1(VALU_DEP_2)
	v_cmp_lt_u32_e32 vcc_lo, 10, v59
	v_pk_add_f32 v[54:55], v[54:55], v[60:61]
	s_or_b32 s5, vcc_lo, s5
	s_delay_alu instid0(SALU_CYCLE_1)
	s_and_not1_b32 exec_lo, exec_lo, s5
	s_cbranch_execnz .LBB88_357
; %bb.358:
	s_or_b32 exec_lo, exec_lo, s5
.LBB88_359:
	s_delay_alu instid0(SALU_CYCLE_1) | instskip(SKIP_4) | instid1(VALU_DEP_1)
	s_or_b32 exec_lo, exec_lo, s4
	v_mov_b32_e32 v57, 0
	ds_load_b64 v[58:59], v57 offset:96
	s_wait_dscnt 0x0
	v_pk_mul_f32 v[60:61], v[54:55], v[58:59] op_sel:[1,1] op_sel_hi:[0,1]
	v_pk_fma_f32 v[62:63], v[54:55], v[58:59], v[60:61] op_sel_hi:[1,0,1]
	v_pk_fma_f32 v[54:55], v[54:55], v[58:59], v[60:61] neg_lo:[0,0,1] neg_hi:[0,0,1]
	s_delay_alu instid0(VALU_DEP_2)
	v_mov_b32_e32 v55, v63
	scratch_store_b64 off, v[54:55], off offset:96
.LBB88_360:
	s_wait_xcnt 0x0
	s_or_b32 exec_lo, exec_lo, s0
	scratch_load_b64 v[54:55], off, off offset:104
	s_mov_b32 s0, exec_lo
	s_wait_loadcnt 0x0
	ds_store_b64 v1, v[54:55]
	s_wait_storecnt_dscnt 0x0
	s_barrier_signal -1
	s_barrier_wait -1
	s_wait_xcnt 0x0
	v_cmpx_gt_u32_e32 13, v0
	s_cbranch_execz .LBB88_370
; %bb.361:
	v_cmp_ne_u32_e32 vcc_lo, 1, v56
	s_cbranch_vccnz .LBB88_363
; %bb.362:
	scratch_load_b64 v[54:55], v53, off
	ds_load_b64 v[58:59], v1
	s_wait_loadcnt_dscnt 0x0
	v_pk_mul_f32 v[60:61], v[58:59], v[54:55] op_sel:[1,1] op_sel_hi:[0,1]
	s_delay_alu instid0(VALU_DEP_1) | instskip(SKIP_1) | instid1(VALU_DEP_2)
	v_pk_fma_f32 v[62:63], v[58:59], v[54:55], v[60:61] op_sel_hi:[1,0,1]
	v_pk_fma_f32 v[54:55], v[58:59], v[54:55], v[60:61] neg_lo:[0,0,1] neg_hi:[0,0,1]
	v_mov_b32_e32 v55, v63
	s_cbranch_execz .LBB88_364
	s_branch .LBB88_365
.LBB88_363:
                                        ; implicit-def: $vgpr54_vgpr55
.LBB88_364:
	ds_load_b64 v[54:55], v1
.LBB88_365:
	s_mov_b32 s4, exec_lo
	v_cmpx_ne_u32_e32 12, v0
	s_cbranch_execz .LBB88_369
; %bb.366:
	v_add_nc_u32_e32 v57, 0xd8, v52
	v_add3_u32 v58, 0, v52, 8
	v_mov_b32_e32 v59, v0
	s_mov_b32 s5, 0
.LBB88_367:                             ; =>This Inner Loop Header: Depth=1
	scratch_load_b64 v[60:61], v58, off
	ds_load_b64 v[62:63], v57
	s_wait_xcnt 0x0
	v_dual_add_nc_u32 v57, 8, v57 :: v_dual_add_nc_u32 v58, 8, v58
	s_wait_loadcnt_dscnt 0x0
	v_pk_mul_f32 v[64:65], v[62:63], v[60:61] op_sel:[1,1] op_sel_hi:[0,1]
	s_delay_alu instid0(VALU_DEP_1) | instskip(SKIP_2) | instid1(VALU_DEP_3)
	v_pk_fma_f32 v[66:67], v[62:63], v[60:61], v[64:65] op_sel_hi:[1,0,1]
	v_add_nc_u32_e32 v59, 1, v59
	v_pk_fma_f32 v[60:61], v[62:63], v[60:61], v[64:65] neg_lo:[0,0,1] neg_hi:[0,0,1]
	v_mov_b32_e32 v61, v67
	s_delay_alu instid0(VALU_DEP_3) | instskip(NEXT) | instid1(VALU_DEP_2)
	v_cmp_lt_u32_e32 vcc_lo, 11, v59
	v_pk_add_f32 v[54:55], v[54:55], v[60:61]
	s_or_b32 s5, vcc_lo, s5
	s_delay_alu instid0(SALU_CYCLE_1)
	s_and_not1_b32 exec_lo, exec_lo, s5
	s_cbranch_execnz .LBB88_367
; %bb.368:
	s_or_b32 exec_lo, exec_lo, s5
.LBB88_369:
	s_delay_alu instid0(SALU_CYCLE_1) | instskip(SKIP_4) | instid1(VALU_DEP_1)
	s_or_b32 exec_lo, exec_lo, s4
	v_mov_b32_e32 v57, 0
	ds_load_b64 v[58:59], v57 offset:104
	s_wait_dscnt 0x0
	v_pk_mul_f32 v[60:61], v[54:55], v[58:59] op_sel:[1,1] op_sel_hi:[0,1]
	v_pk_fma_f32 v[62:63], v[54:55], v[58:59], v[60:61] op_sel_hi:[1,0,1]
	v_pk_fma_f32 v[54:55], v[54:55], v[58:59], v[60:61] neg_lo:[0,0,1] neg_hi:[0,0,1]
	s_delay_alu instid0(VALU_DEP_2)
	v_mov_b32_e32 v55, v63
	scratch_store_b64 off, v[54:55], off offset:104
.LBB88_370:
	s_wait_xcnt 0x0
	s_or_b32 exec_lo, exec_lo, s0
	scratch_load_b64 v[54:55], off, off offset:112
	s_mov_b32 s0, exec_lo
	s_wait_loadcnt 0x0
	ds_store_b64 v1, v[54:55]
	s_wait_storecnt_dscnt 0x0
	s_barrier_signal -1
	s_barrier_wait -1
	s_wait_xcnt 0x0
	v_cmpx_gt_u32_e32 14, v0
	s_cbranch_execz .LBB88_380
; %bb.371:
	v_cmp_ne_u32_e32 vcc_lo, 1, v56
	s_cbranch_vccnz .LBB88_373
; %bb.372:
	scratch_load_b64 v[54:55], v53, off
	ds_load_b64 v[58:59], v1
	s_wait_loadcnt_dscnt 0x0
	v_pk_mul_f32 v[60:61], v[58:59], v[54:55] op_sel:[1,1] op_sel_hi:[0,1]
	s_delay_alu instid0(VALU_DEP_1) | instskip(SKIP_1) | instid1(VALU_DEP_2)
	v_pk_fma_f32 v[62:63], v[58:59], v[54:55], v[60:61] op_sel_hi:[1,0,1]
	v_pk_fma_f32 v[54:55], v[58:59], v[54:55], v[60:61] neg_lo:[0,0,1] neg_hi:[0,0,1]
	v_mov_b32_e32 v55, v63
	s_cbranch_execz .LBB88_374
	s_branch .LBB88_375
.LBB88_373:
                                        ; implicit-def: $vgpr54_vgpr55
.LBB88_374:
	ds_load_b64 v[54:55], v1
.LBB88_375:
	s_mov_b32 s4, exec_lo
	v_cmpx_ne_u32_e32 13, v0
	s_cbranch_execz .LBB88_379
; %bb.376:
	v_add_nc_u32_e32 v57, 0xd8, v52
	v_add3_u32 v58, 0, v52, 8
	v_mov_b32_e32 v59, v0
	s_mov_b32 s5, 0
.LBB88_377:                             ; =>This Inner Loop Header: Depth=1
	scratch_load_b64 v[60:61], v58, off
	ds_load_b64 v[62:63], v57
	s_wait_xcnt 0x0
	v_dual_add_nc_u32 v57, 8, v57 :: v_dual_add_nc_u32 v58, 8, v58
	s_wait_loadcnt_dscnt 0x0
	v_pk_mul_f32 v[64:65], v[62:63], v[60:61] op_sel:[1,1] op_sel_hi:[0,1]
	s_delay_alu instid0(VALU_DEP_1) | instskip(SKIP_2) | instid1(VALU_DEP_3)
	v_pk_fma_f32 v[66:67], v[62:63], v[60:61], v[64:65] op_sel_hi:[1,0,1]
	v_add_nc_u32_e32 v59, 1, v59
	v_pk_fma_f32 v[60:61], v[62:63], v[60:61], v[64:65] neg_lo:[0,0,1] neg_hi:[0,0,1]
	v_mov_b32_e32 v61, v67
	s_delay_alu instid0(VALU_DEP_3) | instskip(NEXT) | instid1(VALU_DEP_2)
	v_cmp_lt_u32_e32 vcc_lo, 12, v59
	v_pk_add_f32 v[54:55], v[54:55], v[60:61]
	s_or_b32 s5, vcc_lo, s5
	s_delay_alu instid0(SALU_CYCLE_1)
	s_and_not1_b32 exec_lo, exec_lo, s5
	s_cbranch_execnz .LBB88_377
; %bb.378:
	s_or_b32 exec_lo, exec_lo, s5
.LBB88_379:
	s_delay_alu instid0(SALU_CYCLE_1) | instskip(SKIP_4) | instid1(VALU_DEP_1)
	s_or_b32 exec_lo, exec_lo, s4
	v_mov_b32_e32 v57, 0
	ds_load_b64 v[58:59], v57 offset:112
	s_wait_dscnt 0x0
	v_pk_mul_f32 v[60:61], v[54:55], v[58:59] op_sel:[1,1] op_sel_hi:[0,1]
	v_pk_fma_f32 v[62:63], v[54:55], v[58:59], v[60:61] op_sel_hi:[1,0,1]
	v_pk_fma_f32 v[54:55], v[54:55], v[58:59], v[60:61] neg_lo:[0,0,1] neg_hi:[0,0,1]
	s_delay_alu instid0(VALU_DEP_2)
	v_mov_b32_e32 v55, v63
	scratch_store_b64 off, v[54:55], off offset:112
.LBB88_380:
	s_wait_xcnt 0x0
	s_or_b32 exec_lo, exec_lo, s0
	scratch_load_b64 v[54:55], off, off offset:120
	s_mov_b32 s0, exec_lo
	s_wait_loadcnt 0x0
	ds_store_b64 v1, v[54:55]
	s_wait_storecnt_dscnt 0x0
	s_barrier_signal -1
	s_barrier_wait -1
	s_wait_xcnt 0x0
	v_cmpx_gt_u32_e32 15, v0
	s_cbranch_execz .LBB88_390
; %bb.381:
	v_cmp_ne_u32_e32 vcc_lo, 1, v56
	s_cbranch_vccnz .LBB88_383
; %bb.382:
	scratch_load_b64 v[54:55], v53, off
	ds_load_b64 v[58:59], v1
	s_wait_loadcnt_dscnt 0x0
	v_pk_mul_f32 v[60:61], v[58:59], v[54:55] op_sel:[1,1] op_sel_hi:[0,1]
	s_delay_alu instid0(VALU_DEP_1) | instskip(SKIP_1) | instid1(VALU_DEP_2)
	v_pk_fma_f32 v[62:63], v[58:59], v[54:55], v[60:61] op_sel_hi:[1,0,1]
	v_pk_fma_f32 v[54:55], v[58:59], v[54:55], v[60:61] neg_lo:[0,0,1] neg_hi:[0,0,1]
	v_mov_b32_e32 v55, v63
	s_cbranch_execz .LBB88_384
	s_branch .LBB88_385
.LBB88_383:
                                        ; implicit-def: $vgpr54_vgpr55
.LBB88_384:
	ds_load_b64 v[54:55], v1
.LBB88_385:
	s_mov_b32 s4, exec_lo
	v_cmpx_ne_u32_e32 14, v0
	s_cbranch_execz .LBB88_389
; %bb.386:
	v_add_nc_u32_e32 v57, 0xd8, v52
	v_add3_u32 v58, 0, v52, 8
	v_mov_b32_e32 v59, v0
	s_mov_b32 s5, 0
.LBB88_387:                             ; =>This Inner Loop Header: Depth=1
	scratch_load_b64 v[60:61], v58, off
	ds_load_b64 v[62:63], v57
	s_wait_xcnt 0x0
	v_dual_add_nc_u32 v57, 8, v57 :: v_dual_add_nc_u32 v58, 8, v58
	s_wait_loadcnt_dscnt 0x0
	v_pk_mul_f32 v[64:65], v[62:63], v[60:61] op_sel:[1,1] op_sel_hi:[0,1]
	s_delay_alu instid0(VALU_DEP_1) | instskip(SKIP_2) | instid1(VALU_DEP_3)
	v_pk_fma_f32 v[66:67], v[62:63], v[60:61], v[64:65] op_sel_hi:[1,0,1]
	v_add_nc_u32_e32 v59, 1, v59
	v_pk_fma_f32 v[60:61], v[62:63], v[60:61], v[64:65] neg_lo:[0,0,1] neg_hi:[0,0,1]
	v_mov_b32_e32 v61, v67
	s_delay_alu instid0(VALU_DEP_3) | instskip(NEXT) | instid1(VALU_DEP_2)
	v_cmp_lt_u32_e32 vcc_lo, 13, v59
	v_pk_add_f32 v[54:55], v[54:55], v[60:61]
	s_or_b32 s5, vcc_lo, s5
	s_delay_alu instid0(SALU_CYCLE_1)
	s_and_not1_b32 exec_lo, exec_lo, s5
	s_cbranch_execnz .LBB88_387
; %bb.388:
	s_or_b32 exec_lo, exec_lo, s5
.LBB88_389:
	s_delay_alu instid0(SALU_CYCLE_1) | instskip(SKIP_4) | instid1(VALU_DEP_1)
	s_or_b32 exec_lo, exec_lo, s4
	v_mov_b32_e32 v57, 0
	ds_load_b64 v[58:59], v57 offset:120
	s_wait_dscnt 0x0
	v_pk_mul_f32 v[60:61], v[54:55], v[58:59] op_sel:[1,1] op_sel_hi:[0,1]
	v_pk_fma_f32 v[62:63], v[54:55], v[58:59], v[60:61] op_sel_hi:[1,0,1]
	v_pk_fma_f32 v[54:55], v[54:55], v[58:59], v[60:61] neg_lo:[0,0,1] neg_hi:[0,0,1]
	s_delay_alu instid0(VALU_DEP_2)
	v_mov_b32_e32 v55, v63
	scratch_store_b64 off, v[54:55], off offset:120
.LBB88_390:
	s_wait_xcnt 0x0
	s_or_b32 exec_lo, exec_lo, s0
	scratch_load_b64 v[54:55], off, off offset:128
	s_mov_b32 s0, exec_lo
	s_wait_loadcnt 0x0
	ds_store_b64 v1, v[54:55]
	s_wait_storecnt_dscnt 0x0
	s_barrier_signal -1
	s_barrier_wait -1
	s_wait_xcnt 0x0
	v_cmpx_gt_u32_e32 16, v0
	s_cbranch_execz .LBB88_400
; %bb.391:
	v_cmp_ne_u32_e32 vcc_lo, 1, v56
	s_cbranch_vccnz .LBB88_393
; %bb.392:
	scratch_load_b64 v[54:55], v53, off
	ds_load_b64 v[58:59], v1
	s_wait_loadcnt_dscnt 0x0
	v_pk_mul_f32 v[60:61], v[58:59], v[54:55] op_sel:[1,1] op_sel_hi:[0,1]
	s_delay_alu instid0(VALU_DEP_1) | instskip(SKIP_1) | instid1(VALU_DEP_2)
	v_pk_fma_f32 v[62:63], v[58:59], v[54:55], v[60:61] op_sel_hi:[1,0,1]
	v_pk_fma_f32 v[54:55], v[58:59], v[54:55], v[60:61] neg_lo:[0,0,1] neg_hi:[0,0,1]
	v_mov_b32_e32 v55, v63
	s_cbranch_execz .LBB88_394
	s_branch .LBB88_395
.LBB88_393:
                                        ; implicit-def: $vgpr54_vgpr55
.LBB88_394:
	ds_load_b64 v[54:55], v1
.LBB88_395:
	s_mov_b32 s4, exec_lo
	v_cmpx_ne_u32_e32 15, v0
	s_cbranch_execz .LBB88_399
; %bb.396:
	v_add_nc_u32_e32 v57, 0xd8, v52
	v_add3_u32 v58, 0, v52, 8
	v_mov_b32_e32 v59, v0
	s_mov_b32 s5, 0
.LBB88_397:                             ; =>This Inner Loop Header: Depth=1
	scratch_load_b64 v[60:61], v58, off
	ds_load_b64 v[62:63], v57
	s_wait_xcnt 0x0
	v_dual_add_nc_u32 v57, 8, v57 :: v_dual_add_nc_u32 v58, 8, v58
	s_wait_loadcnt_dscnt 0x0
	v_pk_mul_f32 v[64:65], v[62:63], v[60:61] op_sel:[1,1] op_sel_hi:[0,1]
	s_delay_alu instid0(VALU_DEP_1) | instskip(SKIP_2) | instid1(VALU_DEP_3)
	v_pk_fma_f32 v[66:67], v[62:63], v[60:61], v[64:65] op_sel_hi:[1,0,1]
	v_add_nc_u32_e32 v59, 1, v59
	v_pk_fma_f32 v[60:61], v[62:63], v[60:61], v[64:65] neg_lo:[0,0,1] neg_hi:[0,0,1]
	v_mov_b32_e32 v61, v67
	s_delay_alu instid0(VALU_DEP_3) | instskip(NEXT) | instid1(VALU_DEP_2)
	v_cmp_lt_u32_e32 vcc_lo, 14, v59
	v_pk_add_f32 v[54:55], v[54:55], v[60:61]
	s_or_b32 s5, vcc_lo, s5
	s_delay_alu instid0(SALU_CYCLE_1)
	s_and_not1_b32 exec_lo, exec_lo, s5
	s_cbranch_execnz .LBB88_397
; %bb.398:
	s_or_b32 exec_lo, exec_lo, s5
.LBB88_399:
	s_delay_alu instid0(SALU_CYCLE_1) | instskip(SKIP_4) | instid1(VALU_DEP_1)
	s_or_b32 exec_lo, exec_lo, s4
	v_mov_b32_e32 v57, 0
	ds_load_b64 v[58:59], v57 offset:128
	s_wait_dscnt 0x0
	v_pk_mul_f32 v[60:61], v[54:55], v[58:59] op_sel:[1,1] op_sel_hi:[0,1]
	v_pk_fma_f32 v[62:63], v[54:55], v[58:59], v[60:61] op_sel_hi:[1,0,1]
	v_pk_fma_f32 v[54:55], v[54:55], v[58:59], v[60:61] neg_lo:[0,0,1] neg_hi:[0,0,1]
	s_delay_alu instid0(VALU_DEP_2)
	v_mov_b32_e32 v55, v63
	scratch_store_b64 off, v[54:55], off offset:128
.LBB88_400:
	s_wait_xcnt 0x0
	s_or_b32 exec_lo, exec_lo, s0
	scratch_load_b64 v[54:55], off, off offset:136
	s_mov_b32 s0, exec_lo
	s_wait_loadcnt 0x0
	ds_store_b64 v1, v[54:55]
	s_wait_storecnt_dscnt 0x0
	s_barrier_signal -1
	s_barrier_wait -1
	s_wait_xcnt 0x0
	v_cmpx_gt_u32_e32 17, v0
	s_cbranch_execz .LBB88_410
; %bb.401:
	v_cmp_ne_u32_e32 vcc_lo, 1, v56
	s_cbranch_vccnz .LBB88_403
; %bb.402:
	scratch_load_b64 v[54:55], v53, off
	ds_load_b64 v[58:59], v1
	s_wait_loadcnt_dscnt 0x0
	v_pk_mul_f32 v[60:61], v[58:59], v[54:55] op_sel:[1,1] op_sel_hi:[0,1]
	s_delay_alu instid0(VALU_DEP_1) | instskip(SKIP_1) | instid1(VALU_DEP_2)
	v_pk_fma_f32 v[62:63], v[58:59], v[54:55], v[60:61] op_sel_hi:[1,0,1]
	v_pk_fma_f32 v[54:55], v[58:59], v[54:55], v[60:61] neg_lo:[0,0,1] neg_hi:[0,0,1]
	v_mov_b32_e32 v55, v63
	s_cbranch_execz .LBB88_404
	s_branch .LBB88_405
.LBB88_403:
                                        ; implicit-def: $vgpr54_vgpr55
.LBB88_404:
	ds_load_b64 v[54:55], v1
.LBB88_405:
	s_mov_b32 s4, exec_lo
	v_cmpx_ne_u32_e32 16, v0
	s_cbranch_execz .LBB88_409
; %bb.406:
	v_add_nc_u32_e32 v57, 0xd8, v52
	v_add3_u32 v58, 0, v52, 8
	v_mov_b32_e32 v59, v0
	s_mov_b32 s5, 0
.LBB88_407:                             ; =>This Inner Loop Header: Depth=1
	scratch_load_b64 v[60:61], v58, off
	ds_load_b64 v[62:63], v57
	s_wait_xcnt 0x0
	v_dual_add_nc_u32 v57, 8, v57 :: v_dual_add_nc_u32 v58, 8, v58
	s_wait_loadcnt_dscnt 0x0
	v_pk_mul_f32 v[64:65], v[62:63], v[60:61] op_sel:[1,1] op_sel_hi:[0,1]
	s_delay_alu instid0(VALU_DEP_1) | instskip(SKIP_2) | instid1(VALU_DEP_3)
	v_pk_fma_f32 v[66:67], v[62:63], v[60:61], v[64:65] op_sel_hi:[1,0,1]
	v_add_nc_u32_e32 v59, 1, v59
	v_pk_fma_f32 v[60:61], v[62:63], v[60:61], v[64:65] neg_lo:[0,0,1] neg_hi:[0,0,1]
	v_mov_b32_e32 v61, v67
	s_delay_alu instid0(VALU_DEP_3) | instskip(NEXT) | instid1(VALU_DEP_2)
	v_cmp_lt_u32_e32 vcc_lo, 15, v59
	v_pk_add_f32 v[54:55], v[54:55], v[60:61]
	s_or_b32 s5, vcc_lo, s5
	s_delay_alu instid0(SALU_CYCLE_1)
	s_and_not1_b32 exec_lo, exec_lo, s5
	s_cbranch_execnz .LBB88_407
; %bb.408:
	s_or_b32 exec_lo, exec_lo, s5
.LBB88_409:
	s_delay_alu instid0(SALU_CYCLE_1) | instskip(SKIP_4) | instid1(VALU_DEP_1)
	s_or_b32 exec_lo, exec_lo, s4
	v_mov_b32_e32 v57, 0
	ds_load_b64 v[58:59], v57 offset:136
	s_wait_dscnt 0x0
	v_pk_mul_f32 v[60:61], v[54:55], v[58:59] op_sel:[1,1] op_sel_hi:[0,1]
	v_pk_fma_f32 v[62:63], v[54:55], v[58:59], v[60:61] op_sel_hi:[1,0,1]
	v_pk_fma_f32 v[54:55], v[54:55], v[58:59], v[60:61] neg_lo:[0,0,1] neg_hi:[0,0,1]
	s_delay_alu instid0(VALU_DEP_2)
	v_mov_b32_e32 v55, v63
	scratch_store_b64 off, v[54:55], off offset:136
.LBB88_410:
	s_wait_xcnt 0x0
	s_or_b32 exec_lo, exec_lo, s0
	scratch_load_b64 v[54:55], off, off offset:144
	s_mov_b32 s0, exec_lo
	s_wait_loadcnt 0x0
	ds_store_b64 v1, v[54:55]
	s_wait_storecnt_dscnt 0x0
	s_barrier_signal -1
	s_barrier_wait -1
	s_wait_xcnt 0x0
	v_cmpx_gt_u32_e32 18, v0
	s_cbranch_execz .LBB88_420
; %bb.411:
	v_cmp_ne_u32_e32 vcc_lo, 1, v56
	s_cbranch_vccnz .LBB88_413
; %bb.412:
	scratch_load_b64 v[54:55], v53, off
	ds_load_b64 v[58:59], v1
	s_wait_loadcnt_dscnt 0x0
	v_pk_mul_f32 v[60:61], v[58:59], v[54:55] op_sel:[1,1] op_sel_hi:[0,1]
	s_delay_alu instid0(VALU_DEP_1) | instskip(SKIP_1) | instid1(VALU_DEP_2)
	v_pk_fma_f32 v[62:63], v[58:59], v[54:55], v[60:61] op_sel_hi:[1,0,1]
	v_pk_fma_f32 v[54:55], v[58:59], v[54:55], v[60:61] neg_lo:[0,0,1] neg_hi:[0,0,1]
	v_mov_b32_e32 v55, v63
	s_cbranch_execz .LBB88_414
	s_branch .LBB88_415
.LBB88_413:
                                        ; implicit-def: $vgpr54_vgpr55
.LBB88_414:
	ds_load_b64 v[54:55], v1
.LBB88_415:
	s_mov_b32 s4, exec_lo
	v_cmpx_ne_u32_e32 17, v0
	s_cbranch_execz .LBB88_419
; %bb.416:
	v_add_nc_u32_e32 v57, 0xd8, v52
	v_add3_u32 v58, 0, v52, 8
	v_mov_b32_e32 v59, v0
	s_mov_b32 s5, 0
.LBB88_417:                             ; =>This Inner Loop Header: Depth=1
	scratch_load_b64 v[60:61], v58, off
	ds_load_b64 v[62:63], v57
	s_wait_xcnt 0x0
	v_dual_add_nc_u32 v57, 8, v57 :: v_dual_add_nc_u32 v58, 8, v58
	s_wait_loadcnt_dscnt 0x0
	v_pk_mul_f32 v[64:65], v[62:63], v[60:61] op_sel:[1,1] op_sel_hi:[0,1]
	s_delay_alu instid0(VALU_DEP_1) | instskip(SKIP_2) | instid1(VALU_DEP_3)
	v_pk_fma_f32 v[66:67], v[62:63], v[60:61], v[64:65] op_sel_hi:[1,0,1]
	v_add_nc_u32_e32 v59, 1, v59
	v_pk_fma_f32 v[60:61], v[62:63], v[60:61], v[64:65] neg_lo:[0,0,1] neg_hi:[0,0,1]
	v_mov_b32_e32 v61, v67
	s_delay_alu instid0(VALU_DEP_3) | instskip(NEXT) | instid1(VALU_DEP_2)
	v_cmp_lt_u32_e32 vcc_lo, 16, v59
	v_pk_add_f32 v[54:55], v[54:55], v[60:61]
	s_or_b32 s5, vcc_lo, s5
	s_delay_alu instid0(SALU_CYCLE_1)
	s_and_not1_b32 exec_lo, exec_lo, s5
	s_cbranch_execnz .LBB88_417
; %bb.418:
	s_or_b32 exec_lo, exec_lo, s5
.LBB88_419:
	s_delay_alu instid0(SALU_CYCLE_1) | instskip(SKIP_4) | instid1(VALU_DEP_1)
	s_or_b32 exec_lo, exec_lo, s4
	v_mov_b32_e32 v57, 0
	ds_load_b64 v[58:59], v57 offset:144
	s_wait_dscnt 0x0
	v_pk_mul_f32 v[60:61], v[54:55], v[58:59] op_sel:[1,1] op_sel_hi:[0,1]
	v_pk_fma_f32 v[62:63], v[54:55], v[58:59], v[60:61] op_sel_hi:[1,0,1]
	v_pk_fma_f32 v[54:55], v[54:55], v[58:59], v[60:61] neg_lo:[0,0,1] neg_hi:[0,0,1]
	s_delay_alu instid0(VALU_DEP_2)
	v_mov_b32_e32 v55, v63
	scratch_store_b64 off, v[54:55], off offset:144
.LBB88_420:
	s_wait_xcnt 0x0
	s_or_b32 exec_lo, exec_lo, s0
	scratch_load_b64 v[54:55], off, off offset:152
	s_mov_b32 s0, exec_lo
	s_wait_loadcnt 0x0
	ds_store_b64 v1, v[54:55]
	s_wait_storecnt_dscnt 0x0
	s_barrier_signal -1
	s_barrier_wait -1
	s_wait_xcnt 0x0
	v_cmpx_gt_u32_e32 19, v0
	s_cbranch_execz .LBB88_430
; %bb.421:
	v_cmp_ne_u32_e32 vcc_lo, 1, v56
	s_cbranch_vccnz .LBB88_423
; %bb.422:
	scratch_load_b64 v[54:55], v53, off
	ds_load_b64 v[58:59], v1
	s_wait_loadcnt_dscnt 0x0
	v_pk_mul_f32 v[60:61], v[58:59], v[54:55] op_sel:[1,1] op_sel_hi:[0,1]
	s_delay_alu instid0(VALU_DEP_1) | instskip(SKIP_1) | instid1(VALU_DEP_2)
	v_pk_fma_f32 v[62:63], v[58:59], v[54:55], v[60:61] op_sel_hi:[1,0,1]
	v_pk_fma_f32 v[54:55], v[58:59], v[54:55], v[60:61] neg_lo:[0,0,1] neg_hi:[0,0,1]
	v_mov_b32_e32 v55, v63
	s_cbranch_execz .LBB88_424
	s_branch .LBB88_425
.LBB88_423:
                                        ; implicit-def: $vgpr54_vgpr55
.LBB88_424:
	ds_load_b64 v[54:55], v1
.LBB88_425:
	s_mov_b32 s4, exec_lo
	v_cmpx_ne_u32_e32 18, v0
	s_cbranch_execz .LBB88_429
; %bb.426:
	v_add_nc_u32_e32 v57, 0xd8, v52
	v_add3_u32 v58, 0, v52, 8
	v_mov_b32_e32 v59, v0
	s_mov_b32 s5, 0
.LBB88_427:                             ; =>This Inner Loop Header: Depth=1
	scratch_load_b64 v[60:61], v58, off
	ds_load_b64 v[62:63], v57
	s_wait_xcnt 0x0
	v_dual_add_nc_u32 v57, 8, v57 :: v_dual_add_nc_u32 v58, 8, v58
	s_wait_loadcnt_dscnt 0x0
	v_pk_mul_f32 v[64:65], v[62:63], v[60:61] op_sel:[1,1] op_sel_hi:[0,1]
	s_delay_alu instid0(VALU_DEP_1) | instskip(SKIP_2) | instid1(VALU_DEP_3)
	v_pk_fma_f32 v[66:67], v[62:63], v[60:61], v[64:65] op_sel_hi:[1,0,1]
	v_add_nc_u32_e32 v59, 1, v59
	v_pk_fma_f32 v[60:61], v[62:63], v[60:61], v[64:65] neg_lo:[0,0,1] neg_hi:[0,0,1]
	v_mov_b32_e32 v61, v67
	s_delay_alu instid0(VALU_DEP_3) | instskip(NEXT) | instid1(VALU_DEP_2)
	v_cmp_lt_u32_e32 vcc_lo, 17, v59
	v_pk_add_f32 v[54:55], v[54:55], v[60:61]
	s_or_b32 s5, vcc_lo, s5
	s_delay_alu instid0(SALU_CYCLE_1)
	s_and_not1_b32 exec_lo, exec_lo, s5
	s_cbranch_execnz .LBB88_427
; %bb.428:
	s_or_b32 exec_lo, exec_lo, s5
.LBB88_429:
	s_delay_alu instid0(SALU_CYCLE_1) | instskip(SKIP_4) | instid1(VALU_DEP_1)
	s_or_b32 exec_lo, exec_lo, s4
	v_mov_b32_e32 v57, 0
	ds_load_b64 v[58:59], v57 offset:152
	s_wait_dscnt 0x0
	v_pk_mul_f32 v[60:61], v[54:55], v[58:59] op_sel:[1,1] op_sel_hi:[0,1]
	v_pk_fma_f32 v[62:63], v[54:55], v[58:59], v[60:61] op_sel_hi:[1,0,1]
	v_pk_fma_f32 v[54:55], v[54:55], v[58:59], v[60:61] neg_lo:[0,0,1] neg_hi:[0,0,1]
	s_delay_alu instid0(VALU_DEP_2)
	v_mov_b32_e32 v55, v63
	scratch_store_b64 off, v[54:55], off offset:152
.LBB88_430:
	s_wait_xcnt 0x0
	s_or_b32 exec_lo, exec_lo, s0
	scratch_load_b64 v[54:55], off, off offset:160
	s_mov_b32 s0, exec_lo
	s_wait_loadcnt 0x0
	ds_store_b64 v1, v[54:55]
	s_wait_storecnt_dscnt 0x0
	s_barrier_signal -1
	s_barrier_wait -1
	s_wait_xcnt 0x0
	v_cmpx_gt_u32_e32 20, v0
	s_cbranch_execz .LBB88_440
; %bb.431:
	v_cmp_ne_u32_e32 vcc_lo, 1, v56
	s_cbranch_vccnz .LBB88_433
; %bb.432:
	scratch_load_b64 v[54:55], v53, off
	ds_load_b64 v[58:59], v1
	s_wait_loadcnt_dscnt 0x0
	v_pk_mul_f32 v[60:61], v[58:59], v[54:55] op_sel:[1,1] op_sel_hi:[0,1]
	s_delay_alu instid0(VALU_DEP_1) | instskip(SKIP_1) | instid1(VALU_DEP_2)
	v_pk_fma_f32 v[62:63], v[58:59], v[54:55], v[60:61] op_sel_hi:[1,0,1]
	v_pk_fma_f32 v[54:55], v[58:59], v[54:55], v[60:61] neg_lo:[0,0,1] neg_hi:[0,0,1]
	v_mov_b32_e32 v55, v63
	s_cbranch_execz .LBB88_434
	s_branch .LBB88_435
.LBB88_433:
                                        ; implicit-def: $vgpr54_vgpr55
.LBB88_434:
	ds_load_b64 v[54:55], v1
.LBB88_435:
	s_mov_b32 s4, exec_lo
	v_cmpx_ne_u32_e32 19, v0
	s_cbranch_execz .LBB88_439
; %bb.436:
	v_add_nc_u32_e32 v57, 0xd8, v52
	v_add3_u32 v58, 0, v52, 8
	v_mov_b32_e32 v59, v0
	s_mov_b32 s5, 0
.LBB88_437:                             ; =>This Inner Loop Header: Depth=1
	scratch_load_b64 v[60:61], v58, off
	ds_load_b64 v[62:63], v57
	s_wait_xcnt 0x0
	v_dual_add_nc_u32 v57, 8, v57 :: v_dual_add_nc_u32 v58, 8, v58
	s_wait_loadcnt_dscnt 0x0
	v_pk_mul_f32 v[64:65], v[62:63], v[60:61] op_sel:[1,1] op_sel_hi:[0,1]
	s_delay_alu instid0(VALU_DEP_1) | instskip(SKIP_2) | instid1(VALU_DEP_3)
	v_pk_fma_f32 v[66:67], v[62:63], v[60:61], v[64:65] op_sel_hi:[1,0,1]
	v_add_nc_u32_e32 v59, 1, v59
	v_pk_fma_f32 v[60:61], v[62:63], v[60:61], v[64:65] neg_lo:[0,0,1] neg_hi:[0,0,1]
	v_mov_b32_e32 v61, v67
	s_delay_alu instid0(VALU_DEP_3) | instskip(NEXT) | instid1(VALU_DEP_2)
	v_cmp_lt_u32_e32 vcc_lo, 18, v59
	v_pk_add_f32 v[54:55], v[54:55], v[60:61]
	s_or_b32 s5, vcc_lo, s5
	s_delay_alu instid0(SALU_CYCLE_1)
	s_and_not1_b32 exec_lo, exec_lo, s5
	s_cbranch_execnz .LBB88_437
; %bb.438:
	s_or_b32 exec_lo, exec_lo, s5
.LBB88_439:
	s_delay_alu instid0(SALU_CYCLE_1) | instskip(SKIP_4) | instid1(VALU_DEP_1)
	s_or_b32 exec_lo, exec_lo, s4
	v_mov_b32_e32 v57, 0
	ds_load_b64 v[58:59], v57 offset:160
	s_wait_dscnt 0x0
	v_pk_mul_f32 v[60:61], v[54:55], v[58:59] op_sel:[1,1] op_sel_hi:[0,1]
	v_pk_fma_f32 v[62:63], v[54:55], v[58:59], v[60:61] op_sel_hi:[1,0,1]
	v_pk_fma_f32 v[54:55], v[54:55], v[58:59], v[60:61] neg_lo:[0,0,1] neg_hi:[0,0,1]
	s_delay_alu instid0(VALU_DEP_2)
	v_mov_b32_e32 v55, v63
	scratch_store_b64 off, v[54:55], off offset:160
.LBB88_440:
	s_wait_xcnt 0x0
	s_or_b32 exec_lo, exec_lo, s0
	scratch_load_b64 v[54:55], off, off offset:168
	s_mov_b32 s0, exec_lo
	s_wait_loadcnt 0x0
	ds_store_b64 v1, v[54:55]
	s_wait_storecnt_dscnt 0x0
	s_barrier_signal -1
	s_barrier_wait -1
	s_wait_xcnt 0x0
	v_cmpx_gt_u32_e32 21, v0
	s_cbranch_execz .LBB88_450
; %bb.441:
	v_cmp_ne_u32_e32 vcc_lo, 1, v56
	s_cbranch_vccnz .LBB88_443
; %bb.442:
	scratch_load_b64 v[54:55], v53, off
	ds_load_b64 v[58:59], v1
	s_wait_loadcnt_dscnt 0x0
	v_pk_mul_f32 v[60:61], v[58:59], v[54:55] op_sel:[1,1] op_sel_hi:[0,1]
	s_delay_alu instid0(VALU_DEP_1) | instskip(SKIP_1) | instid1(VALU_DEP_2)
	v_pk_fma_f32 v[62:63], v[58:59], v[54:55], v[60:61] op_sel_hi:[1,0,1]
	v_pk_fma_f32 v[54:55], v[58:59], v[54:55], v[60:61] neg_lo:[0,0,1] neg_hi:[0,0,1]
	v_mov_b32_e32 v55, v63
	s_cbranch_execz .LBB88_444
	s_branch .LBB88_445
.LBB88_443:
                                        ; implicit-def: $vgpr54_vgpr55
.LBB88_444:
	ds_load_b64 v[54:55], v1
.LBB88_445:
	s_mov_b32 s4, exec_lo
	v_cmpx_ne_u32_e32 20, v0
	s_cbranch_execz .LBB88_449
; %bb.446:
	v_add_nc_u32_e32 v57, 0xd8, v52
	v_add3_u32 v58, 0, v52, 8
	v_mov_b32_e32 v59, v0
	s_mov_b32 s5, 0
.LBB88_447:                             ; =>This Inner Loop Header: Depth=1
	scratch_load_b64 v[60:61], v58, off
	ds_load_b64 v[62:63], v57
	s_wait_xcnt 0x0
	v_dual_add_nc_u32 v57, 8, v57 :: v_dual_add_nc_u32 v58, 8, v58
	s_wait_loadcnt_dscnt 0x0
	v_pk_mul_f32 v[64:65], v[62:63], v[60:61] op_sel:[1,1] op_sel_hi:[0,1]
	s_delay_alu instid0(VALU_DEP_1) | instskip(SKIP_2) | instid1(VALU_DEP_3)
	v_pk_fma_f32 v[66:67], v[62:63], v[60:61], v[64:65] op_sel_hi:[1,0,1]
	v_add_nc_u32_e32 v59, 1, v59
	v_pk_fma_f32 v[60:61], v[62:63], v[60:61], v[64:65] neg_lo:[0,0,1] neg_hi:[0,0,1]
	v_mov_b32_e32 v61, v67
	s_delay_alu instid0(VALU_DEP_3) | instskip(NEXT) | instid1(VALU_DEP_2)
	v_cmp_lt_u32_e32 vcc_lo, 19, v59
	v_pk_add_f32 v[54:55], v[54:55], v[60:61]
	s_or_b32 s5, vcc_lo, s5
	s_delay_alu instid0(SALU_CYCLE_1)
	s_and_not1_b32 exec_lo, exec_lo, s5
	s_cbranch_execnz .LBB88_447
; %bb.448:
	s_or_b32 exec_lo, exec_lo, s5
.LBB88_449:
	s_delay_alu instid0(SALU_CYCLE_1) | instskip(SKIP_4) | instid1(VALU_DEP_1)
	s_or_b32 exec_lo, exec_lo, s4
	v_mov_b32_e32 v57, 0
	ds_load_b64 v[58:59], v57 offset:168
	s_wait_dscnt 0x0
	v_pk_mul_f32 v[60:61], v[54:55], v[58:59] op_sel:[1,1] op_sel_hi:[0,1]
	v_pk_fma_f32 v[62:63], v[54:55], v[58:59], v[60:61] op_sel_hi:[1,0,1]
	v_pk_fma_f32 v[54:55], v[54:55], v[58:59], v[60:61] neg_lo:[0,0,1] neg_hi:[0,0,1]
	s_delay_alu instid0(VALU_DEP_2)
	v_mov_b32_e32 v55, v63
	scratch_store_b64 off, v[54:55], off offset:168
.LBB88_450:
	s_wait_xcnt 0x0
	s_or_b32 exec_lo, exec_lo, s0
	scratch_load_b64 v[54:55], off, off offset:176
	s_mov_b32 s0, exec_lo
	s_wait_loadcnt 0x0
	ds_store_b64 v1, v[54:55]
	s_wait_storecnt_dscnt 0x0
	s_barrier_signal -1
	s_barrier_wait -1
	s_wait_xcnt 0x0
	v_cmpx_gt_u32_e32 22, v0
	s_cbranch_execz .LBB88_460
; %bb.451:
	v_cmp_ne_u32_e32 vcc_lo, 1, v56
	s_cbranch_vccnz .LBB88_453
; %bb.452:
	scratch_load_b64 v[54:55], v53, off
	ds_load_b64 v[58:59], v1
	s_wait_loadcnt_dscnt 0x0
	v_pk_mul_f32 v[60:61], v[58:59], v[54:55] op_sel:[1,1] op_sel_hi:[0,1]
	s_delay_alu instid0(VALU_DEP_1) | instskip(SKIP_1) | instid1(VALU_DEP_2)
	v_pk_fma_f32 v[62:63], v[58:59], v[54:55], v[60:61] op_sel_hi:[1,0,1]
	v_pk_fma_f32 v[54:55], v[58:59], v[54:55], v[60:61] neg_lo:[0,0,1] neg_hi:[0,0,1]
	v_mov_b32_e32 v55, v63
	s_cbranch_execz .LBB88_454
	s_branch .LBB88_455
.LBB88_453:
                                        ; implicit-def: $vgpr54_vgpr55
.LBB88_454:
	ds_load_b64 v[54:55], v1
.LBB88_455:
	s_mov_b32 s4, exec_lo
	v_cmpx_ne_u32_e32 21, v0
	s_cbranch_execz .LBB88_459
; %bb.456:
	v_add_nc_u32_e32 v57, 0xd8, v52
	v_add3_u32 v58, 0, v52, 8
	v_mov_b32_e32 v59, v0
	s_mov_b32 s5, 0
.LBB88_457:                             ; =>This Inner Loop Header: Depth=1
	scratch_load_b64 v[60:61], v58, off
	ds_load_b64 v[62:63], v57
	s_wait_xcnt 0x0
	v_dual_add_nc_u32 v57, 8, v57 :: v_dual_add_nc_u32 v58, 8, v58
	s_wait_loadcnt_dscnt 0x0
	v_pk_mul_f32 v[64:65], v[62:63], v[60:61] op_sel:[1,1] op_sel_hi:[0,1]
	s_delay_alu instid0(VALU_DEP_1) | instskip(SKIP_2) | instid1(VALU_DEP_3)
	v_pk_fma_f32 v[66:67], v[62:63], v[60:61], v[64:65] op_sel_hi:[1,0,1]
	v_add_nc_u32_e32 v59, 1, v59
	v_pk_fma_f32 v[60:61], v[62:63], v[60:61], v[64:65] neg_lo:[0,0,1] neg_hi:[0,0,1]
	v_mov_b32_e32 v61, v67
	s_delay_alu instid0(VALU_DEP_3) | instskip(NEXT) | instid1(VALU_DEP_2)
	v_cmp_lt_u32_e32 vcc_lo, 20, v59
	v_pk_add_f32 v[54:55], v[54:55], v[60:61]
	s_or_b32 s5, vcc_lo, s5
	s_delay_alu instid0(SALU_CYCLE_1)
	s_and_not1_b32 exec_lo, exec_lo, s5
	s_cbranch_execnz .LBB88_457
; %bb.458:
	s_or_b32 exec_lo, exec_lo, s5
.LBB88_459:
	s_delay_alu instid0(SALU_CYCLE_1) | instskip(SKIP_4) | instid1(VALU_DEP_1)
	s_or_b32 exec_lo, exec_lo, s4
	v_mov_b32_e32 v57, 0
	ds_load_b64 v[58:59], v57 offset:176
	s_wait_dscnt 0x0
	v_pk_mul_f32 v[60:61], v[54:55], v[58:59] op_sel:[1,1] op_sel_hi:[0,1]
	v_pk_fma_f32 v[62:63], v[54:55], v[58:59], v[60:61] op_sel_hi:[1,0,1]
	v_pk_fma_f32 v[54:55], v[54:55], v[58:59], v[60:61] neg_lo:[0,0,1] neg_hi:[0,0,1]
	s_delay_alu instid0(VALU_DEP_2)
	v_mov_b32_e32 v55, v63
	scratch_store_b64 off, v[54:55], off offset:176
.LBB88_460:
	s_wait_xcnt 0x0
	s_or_b32 exec_lo, exec_lo, s0
	scratch_load_b64 v[54:55], off, off offset:184
	v_cmp_gt_u32_e64 s0, 23, v0
	s_wait_loadcnt 0x0
	ds_store_b64 v1, v[54:55]
	s_wait_storecnt_dscnt 0x0
	s_barrier_signal -1
	s_barrier_wait -1
	s_wait_xcnt 0x0
	s_and_saveexec_b32 s4, s0
	s_cbranch_execz .LBB88_470
; %bb.461:
	v_cmp_ne_u32_e32 vcc_lo, 1, v56
	s_cbranch_vccnz .LBB88_463
; %bb.462:
	scratch_load_b64 v[54:55], v53, off
	ds_load_b64 v[58:59], v1
	s_wait_loadcnt_dscnt 0x0
	v_pk_mul_f32 v[60:61], v[58:59], v[54:55] op_sel:[1,1] op_sel_hi:[0,1]
	s_delay_alu instid0(VALU_DEP_1) | instskip(SKIP_1) | instid1(VALU_DEP_2)
	v_pk_fma_f32 v[62:63], v[58:59], v[54:55], v[60:61] op_sel_hi:[1,0,1]
	v_pk_fma_f32 v[54:55], v[58:59], v[54:55], v[60:61] neg_lo:[0,0,1] neg_hi:[0,0,1]
	v_mov_b32_e32 v55, v63
	s_cbranch_execz .LBB88_464
	s_branch .LBB88_465
.LBB88_463:
                                        ; implicit-def: $vgpr54_vgpr55
.LBB88_464:
	ds_load_b64 v[54:55], v1
.LBB88_465:
	s_mov_b32 s5, exec_lo
	v_cmpx_ne_u32_e32 22, v0
	s_cbranch_execz .LBB88_469
; %bb.466:
	v_add_nc_u32_e32 v57, 0xd8, v52
	v_add3_u32 v58, 0, v52, 8
	v_mov_b32_e32 v59, v0
	s_mov_b32 s6, 0
.LBB88_467:                             ; =>This Inner Loop Header: Depth=1
	scratch_load_b64 v[60:61], v58, off
	ds_load_b64 v[62:63], v57
	s_wait_xcnt 0x0
	v_dual_add_nc_u32 v57, 8, v57 :: v_dual_add_nc_u32 v58, 8, v58
	s_wait_loadcnt_dscnt 0x0
	v_pk_mul_f32 v[64:65], v[62:63], v[60:61] op_sel:[1,1] op_sel_hi:[0,1]
	s_delay_alu instid0(VALU_DEP_1) | instskip(SKIP_2) | instid1(VALU_DEP_3)
	v_pk_fma_f32 v[66:67], v[62:63], v[60:61], v[64:65] op_sel_hi:[1,0,1]
	v_add_nc_u32_e32 v59, 1, v59
	v_pk_fma_f32 v[60:61], v[62:63], v[60:61], v[64:65] neg_lo:[0,0,1] neg_hi:[0,0,1]
	v_mov_b32_e32 v61, v67
	s_delay_alu instid0(VALU_DEP_3) | instskip(NEXT) | instid1(VALU_DEP_2)
	v_cmp_lt_u32_e32 vcc_lo, 21, v59
	v_pk_add_f32 v[54:55], v[54:55], v[60:61]
	s_or_b32 s6, vcc_lo, s6
	s_delay_alu instid0(SALU_CYCLE_1)
	s_and_not1_b32 exec_lo, exec_lo, s6
	s_cbranch_execnz .LBB88_467
; %bb.468:
	s_or_b32 exec_lo, exec_lo, s6
.LBB88_469:
	s_delay_alu instid0(SALU_CYCLE_1) | instskip(SKIP_4) | instid1(VALU_DEP_1)
	s_or_b32 exec_lo, exec_lo, s5
	v_mov_b32_e32 v57, 0
	ds_load_b64 v[58:59], v57 offset:184
	s_wait_dscnt 0x0
	v_pk_mul_f32 v[60:61], v[54:55], v[58:59] op_sel:[1,1] op_sel_hi:[0,1]
	v_pk_fma_f32 v[62:63], v[54:55], v[58:59], v[60:61] op_sel_hi:[1,0,1]
	v_pk_fma_f32 v[54:55], v[54:55], v[58:59], v[60:61] neg_lo:[0,0,1] neg_hi:[0,0,1]
	s_delay_alu instid0(VALU_DEP_2)
	v_mov_b32_e32 v55, v63
	scratch_store_b64 off, v[54:55], off offset:184
.LBB88_470:
	s_wait_xcnt 0x0
	s_or_b32 exec_lo, exec_lo, s4
	scratch_load_b64 v[54:55], off, off offset:192
	s_mov_b32 s4, exec_lo
                                        ; implicit-def: $vgpr74
                                        ; implicit-def: $sgpr7
	s_wait_loadcnt 0x0
	ds_store_b64 v1, v[54:55]
	s_wait_storecnt_dscnt 0x0
	s_barrier_signal -1
	s_barrier_wait -1
	s_wait_xcnt 0x0
	v_cmpx_ne_u32_e32 24, v0
	s_cbranch_execz .LBB88_480
; %bb.471:
	v_cmp_ne_u32_e32 vcc_lo, 1, v56
	s_cbranch_vccnz .LBB88_473
; %bb.472:
	scratch_load_b64 v[56:57], v53, off
	ds_load_b64 v[58:59], v1
	s_wait_loadcnt_dscnt 0x0
	v_dual_mul_f32 v53, v59, v57 :: v_dual_mul_f32 v55, v58, v57
	s_delay_alu instid0(VALU_DEP_1)
	v_dual_fma_f32 v54, v58, v56, -v53 :: v_dual_fmac_f32 v55, v59, v56
	s_cbranch_execz .LBB88_474
	s_branch .LBB88_475
.LBB88_473:
                                        ; implicit-def: $vgpr55
.LBB88_474:
	ds_load_b64 v[54:55], v1
.LBB88_475:
	s_and_saveexec_b32 s5, s0
	s_cbranch_execz .LBB88_479
; %bb.476:
	v_add_nc_u32_e32 v1, 0xd8, v52
	v_add3_u32 v52, 0, v52, 8
	s_mov_b32 s0, 0
.LBB88_477:                             ; =>This Inner Loop Header: Depth=1
	scratch_load_b64 v[56:57], v52, off
	ds_load_b64 v[58:59], v1
	v_dual_add_nc_u32 v0, 1, v0 :: v_dual_add_nc_u32 v1, 8, v1
	s_wait_xcnt 0x0
	v_add_nc_u32_e32 v52, 8, v52
	s_delay_alu instid0(VALU_DEP_2) | instskip(SKIP_3) | instid1(VALU_DEP_1)
	v_cmp_lt_u32_e32 vcc_lo, 22, v0
	s_or_b32 s0, vcc_lo, s0
	s_wait_loadcnt_dscnt 0x0
	v_dual_mul_f32 v53, v59, v57 :: v_dual_mul_f32 v57, v58, v57
	v_fmac_f32_e32 v57, v59, v56
	s_delay_alu instid0(VALU_DEP_1) | instskip(NEXT) | instid1(VALU_DEP_1)
	v_dual_fma_f32 v53, v58, v56, -v53 :: v_dual_add_f32 v55, v55, v57
	v_add_f32_e32 v54, v54, v53
	s_and_not1_b32 exec_lo, exec_lo, s0
	s_cbranch_execnz .LBB88_477
; %bb.478:
	s_or_b32 exec_lo, exec_lo, s0
.LBB88_479:
	s_delay_alu instid0(SALU_CYCLE_1)
	s_or_b32 exec_lo, exec_lo, s5
	v_mov_b32_e32 v0, 0
	s_movk_i32 s7, 0xc4
	s_or_b32 s1, s1, exec_lo
	ds_load_b64 v[0:1], v0 offset:192
	s_wait_dscnt 0x0
	v_dual_mul_f32 v52, v55, v1 :: v_dual_mul_f32 v74, v54, v1
	s_delay_alu instid0(VALU_DEP_1)
	v_dual_fma_f32 v1, v54, v0, -v52 :: v_dual_fmac_f32 v74, v55, v0
	scratch_store_b32 off, v1, off offset:192
.LBB88_480:
	s_wait_xcnt 0x0
	s_or_b32 exec_lo, exec_lo, s4
.LBB88_481:
	v_lshl_add_u64 v[72:73], v[6:7], 3, s[2:3]
	v_lshl_add_u64 v[70:71], v[8:9], 3, s[2:3]
	;; [unrolled: 1-line block ×23, first 2 shown]
	s_and_saveexec_b32 s0, s1
	s_cbranch_execz .LBB88_483
; %bb.482:
	scratch_store_b32 off, v74, s7
.LBB88_483:
	s_wait_xcnt 0x0
	s_or_b32 exec_lo, exec_lo, s0
	scratch_load_b64 v[28:29], off, off
	s_wait_loadcnt 0x0
	flat_store_b64 v[2:3], v[28:29]
	scratch_load_b64 v[2:3], off, off offset:8
	s_wait_loadcnt 0x0
	flat_store_b64 v[4:5], v[2:3]
	scratch_load_b64 v[2:3], off, off offset:16
	;; [unrolled: 3-line block ×24, first 2 shown]
	s_wait_loadcnt 0x0
	flat_store_b64 v[0:1], v[2:3]
.LBB88_484:
	s_sendmsg sendmsg(MSG_DEALLOC_VGPRS)
	s_endpgm
	.section	.rodata,"a",@progbits
	.p2align	6, 0x0
	.amdhsa_kernel _ZN9rocsolver6v33100L18trti2_kernel_smallILi25E19rocblas_complex_numIfEPKPS3_EEv13rocblas_fill_17rocblas_diagonal_T1_iil
		.amdhsa_group_segment_fixed_size 408
		.amdhsa_private_segment_fixed_size 208
		.amdhsa_kernarg_size 32
		.amdhsa_user_sgpr_count 2
		.amdhsa_user_sgpr_dispatch_ptr 0
		.amdhsa_user_sgpr_queue_ptr 0
		.amdhsa_user_sgpr_kernarg_segment_ptr 1
		.amdhsa_user_sgpr_dispatch_id 0
		.amdhsa_user_sgpr_kernarg_preload_length 0
		.amdhsa_user_sgpr_kernarg_preload_offset 0
		.amdhsa_user_sgpr_private_segment_size 0
		.amdhsa_wavefront_size32 1
		.amdhsa_uses_dynamic_stack 0
		.amdhsa_enable_private_segment 1
		.amdhsa_system_sgpr_workgroup_id_x 1
		.amdhsa_system_sgpr_workgroup_id_y 0
		.amdhsa_system_sgpr_workgroup_id_z 0
		.amdhsa_system_sgpr_workgroup_info 0
		.amdhsa_system_vgpr_workitem_id 0
		.amdhsa_next_free_vgpr 75
		.amdhsa_next_free_sgpr 30
		.amdhsa_named_barrier_count 0
		.amdhsa_reserve_vcc 1
		.amdhsa_float_round_mode_32 0
		.amdhsa_float_round_mode_16_64 0
		.amdhsa_float_denorm_mode_32 3
		.amdhsa_float_denorm_mode_16_64 3
		.amdhsa_fp16_overflow 0
		.amdhsa_memory_ordered 1
		.amdhsa_forward_progress 1
		.amdhsa_inst_pref_size 150
		.amdhsa_round_robin_scheduling 0
		.amdhsa_exception_fp_ieee_invalid_op 0
		.amdhsa_exception_fp_denorm_src 0
		.amdhsa_exception_fp_ieee_div_zero 0
		.amdhsa_exception_fp_ieee_overflow 0
		.amdhsa_exception_fp_ieee_underflow 0
		.amdhsa_exception_fp_ieee_inexact 0
		.amdhsa_exception_int_div_zero 0
	.end_amdhsa_kernel
	.section	.text._ZN9rocsolver6v33100L18trti2_kernel_smallILi25E19rocblas_complex_numIfEPKPS3_EEv13rocblas_fill_17rocblas_diagonal_T1_iil,"axG",@progbits,_ZN9rocsolver6v33100L18trti2_kernel_smallILi25E19rocblas_complex_numIfEPKPS3_EEv13rocblas_fill_17rocblas_diagonal_T1_iil,comdat
.Lfunc_end88:
	.size	_ZN9rocsolver6v33100L18trti2_kernel_smallILi25E19rocblas_complex_numIfEPKPS3_EEv13rocblas_fill_17rocblas_diagonal_T1_iil, .Lfunc_end88-_ZN9rocsolver6v33100L18trti2_kernel_smallILi25E19rocblas_complex_numIfEPKPS3_EEv13rocblas_fill_17rocblas_diagonal_T1_iil
                                        ; -- End function
	.set _ZN9rocsolver6v33100L18trti2_kernel_smallILi25E19rocblas_complex_numIfEPKPS3_EEv13rocblas_fill_17rocblas_diagonal_T1_iil.num_vgpr, 75
	.set _ZN9rocsolver6v33100L18trti2_kernel_smallILi25E19rocblas_complex_numIfEPKPS3_EEv13rocblas_fill_17rocblas_diagonal_T1_iil.num_agpr, 0
	.set _ZN9rocsolver6v33100L18trti2_kernel_smallILi25E19rocblas_complex_numIfEPKPS3_EEv13rocblas_fill_17rocblas_diagonal_T1_iil.numbered_sgpr, 30
	.set _ZN9rocsolver6v33100L18trti2_kernel_smallILi25E19rocblas_complex_numIfEPKPS3_EEv13rocblas_fill_17rocblas_diagonal_T1_iil.num_named_barrier, 0
	.set _ZN9rocsolver6v33100L18trti2_kernel_smallILi25E19rocblas_complex_numIfEPKPS3_EEv13rocblas_fill_17rocblas_diagonal_T1_iil.private_seg_size, 208
	.set _ZN9rocsolver6v33100L18trti2_kernel_smallILi25E19rocblas_complex_numIfEPKPS3_EEv13rocblas_fill_17rocblas_diagonal_T1_iil.uses_vcc, 1
	.set _ZN9rocsolver6v33100L18trti2_kernel_smallILi25E19rocblas_complex_numIfEPKPS3_EEv13rocblas_fill_17rocblas_diagonal_T1_iil.uses_flat_scratch, 0
	.set _ZN9rocsolver6v33100L18trti2_kernel_smallILi25E19rocblas_complex_numIfEPKPS3_EEv13rocblas_fill_17rocblas_diagonal_T1_iil.has_dyn_sized_stack, 0
	.set _ZN9rocsolver6v33100L18trti2_kernel_smallILi25E19rocblas_complex_numIfEPKPS3_EEv13rocblas_fill_17rocblas_diagonal_T1_iil.has_recursion, 0
	.set _ZN9rocsolver6v33100L18trti2_kernel_smallILi25E19rocblas_complex_numIfEPKPS3_EEv13rocblas_fill_17rocblas_diagonal_T1_iil.has_indirect_call, 0
	.section	.AMDGPU.csdata,"",@progbits
; Kernel info:
; codeLenInByte = 19164
; TotalNumSgprs: 32
; NumVgprs: 75
; ScratchSize: 208
; MemoryBound: 0
; FloatMode: 240
; IeeeMode: 1
; LDSByteSize: 408 bytes/workgroup (compile time only)
; SGPRBlocks: 0
; VGPRBlocks: 4
; NumSGPRsForWavesPerEU: 32
; NumVGPRsForWavesPerEU: 75
; NamedBarCnt: 0
; Occupancy: 12
; WaveLimiterHint : 1
; COMPUTE_PGM_RSRC2:SCRATCH_EN: 1
; COMPUTE_PGM_RSRC2:USER_SGPR: 2
; COMPUTE_PGM_RSRC2:TRAP_HANDLER: 0
; COMPUTE_PGM_RSRC2:TGID_X_EN: 1
; COMPUTE_PGM_RSRC2:TGID_Y_EN: 0
; COMPUTE_PGM_RSRC2:TGID_Z_EN: 0
; COMPUTE_PGM_RSRC2:TIDIG_COMP_CNT: 0
	.section	.text._ZN9rocsolver6v33100L18trti2_kernel_smallILi26E19rocblas_complex_numIfEPKPS3_EEv13rocblas_fill_17rocblas_diagonal_T1_iil,"axG",@progbits,_ZN9rocsolver6v33100L18trti2_kernel_smallILi26E19rocblas_complex_numIfEPKPS3_EEv13rocblas_fill_17rocblas_diagonal_T1_iil,comdat
	.globl	_ZN9rocsolver6v33100L18trti2_kernel_smallILi26E19rocblas_complex_numIfEPKPS3_EEv13rocblas_fill_17rocblas_diagonal_T1_iil ; -- Begin function _ZN9rocsolver6v33100L18trti2_kernel_smallILi26E19rocblas_complex_numIfEPKPS3_EEv13rocblas_fill_17rocblas_diagonal_T1_iil
	.p2align	8
	.type	_ZN9rocsolver6v33100L18trti2_kernel_smallILi26E19rocblas_complex_numIfEPKPS3_EEv13rocblas_fill_17rocblas_diagonal_T1_iil,@function
_ZN9rocsolver6v33100L18trti2_kernel_smallILi26E19rocblas_complex_numIfEPKPS3_EEv13rocblas_fill_17rocblas_diagonal_T1_iil: ; @_ZN9rocsolver6v33100L18trti2_kernel_smallILi26E19rocblas_complex_numIfEPKPS3_EEv13rocblas_fill_17rocblas_diagonal_T1_iil
; %bb.0:
	s_mov_b32 s2, exec_lo
	v_cmpx_gt_u32_e32 26, v0
	s_cbranch_execz .LBB89_504
; %bb.1:
	s_clause 0x1
	s_load_b64 s[2:3], s[0:1], 0x10
	s_load_b128 s[4:7], s[0:1], 0x0
	s_wait_xcnt 0x0
	s_bfe_u32 s0, ttmp6, 0x4000c
	s_and_b32 s1, ttmp6, 15
	s_add_co_i32 s0, s0, 1
	s_getreg_b32 s8, hwreg(HW_REG_IB_STS2, 6, 4)
	s_mul_i32 s0, ttmp9, s0
	v_dual_mov_b32 v55, 0 :: v_dual_lshlrev_b32 v54, 3, v0
	s_add_co_i32 s0, s1, s0
	s_wait_kmcnt 0x0
	s_ashr_i32 s1, s2, 31
	s_cmp_eq_u32 s8, 0
	s_cselect_b32 s8, ttmp9, s0
	s_mov_b32 s0, s2
	s_ashr_i32 s9, s8, 31
	s_lshl_b64 s[0:1], s[0:1], 3
	s_lshl_b64 s[8:9], s[8:9], 3
	s_delay_alu instid0(SALU_CYCLE_1)
	s_add_nc_u64 s[6:7], s[6:7], s[8:9]
	s_load_b64 s[6:7], s[6:7], 0x0
	s_wait_kmcnt 0x0
	s_add_nc_u64 s[6:7], s[6:7], s[0:1]
	s_mov_b32 s0, s3
	flat_load_b64 v[6:7], v0, s[6:7] scale_offset
	v_add_nc_u64_e32 v[2:3], s[6:7], v[54:55]
	s_ashr_i32 s1, s3, 31
	s_cmp_lg_u32 s5, 0x84
	s_delay_alu instid0(VALU_DEP_1)
	v_lshl_add_u64 v[4:5], s[0:1], 3, v[2:3]
	s_mov_b32 s0, -1
	s_wait_loadcnt_dscnt 0x0
	scratch_store_b64 off, v[6:7], off
	flat_load_b64 v[8:9], v[4:5]
	s_wait_xcnt 0x1
	v_add3_u32 v6, s3, s3, v0
	s_wait_loadcnt_dscnt 0x0
	scratch_store_b64 off, v[8:9], off offset:8
	flat_load_b64 v[10:11], v6, s[6:7] scale_offset
	s_wait_xcnt 0x1
	v_add_nc_u32_e32 v8, s3, v6
	s_wait_loadcnt_dscnt 0x0
	scratch_store_b64 off, v[10:11], off offset:16
	flat_load_b64 v[12:13], v8, s[6:7] scale_offset
	s_wait_xcnt 0x1
	v_add_nc_u32_e32 v10, s3, v8
	;; [unrolled: 5-line block ×23, first 2 shown]
	s_cselect_b32 s3, -1, 0
	s_delay_alu instid0(SALU_CYCLE_1)
	s_and_b32 vcc_lo, exec_lo, s3
	s_wait_loadcnt_dscnt 0x0
	scratch_store_b64 off, v[56:57], off offset:192
	flat_load_b64 v[56:57], v52, s[6:7] scale_offset
	s_wait_loadcnt_dscnt 0x0
	scratch_store_b64 off, v[56:57], off offset:200
	s_cbranch_vccz .LBB89_7
; %bb.2:
	scratch_load_b64 v[56:57], v0, off scale_offset
                                        ; implicit-def: $vgpr61
                                        ; implicit-def: $vgpr58
	s_wait_loadcnt 0x0
	v_cmp_ngt_f32_e64 s0, |v56|, |v57|
	s_wait_xcnt 0x0
	s_and_saveexec_b32 s1, s0
	s_delay_alu instid0(SALU_CYCLE_1)
	s_xor_b32 s0, exec_lo, s1
	s_cbranch_execz .LBB89_4
; %bb.3:
	v_div_scale_f32 v1, null, v57, v57, v56
	v_div_scale_f32 v11, vcc_lo, v56, v57, v56
	s_delay_alu instid0(VALU_DEP_2) | instskip(SKIP_1) | instid1(TRANS32_DEP_1)
	v_rcp_f32_e32 v7, v1
	v_nop
	v_fma_f32 v9, -v1, v7, 1.0
	s_delay_alu instid0(VALU_DEP_1) | instskip(NEXT) | instid1(VALU_DEP_1)
	v_fmac_f32_e32 v7, v9, v7
	v_mul_f32_e32 v9, v11, v7
	s_delay_alu instid0(VALU_DEP_1) | instskip(NEXT) | instid1(VALU_DEP_1)
	v_fma_f32 v13, -v1, v9, v11
	v_fmac_f32_e32 v9, v13, v7
	s_delay_alu instid0(VALU_DEP_1) | instskip(NEXT) | instid1(VALU_DEP_1)
	v_fma_f32 v1, -v1, v9, v11
	v_div_fmas_f32 v1, v1, v7, v9
	s_delay_alu instid0(VALU_DEP_1) | instskip(NEXT) | instid1(VALU_DEP_1)
	v_div_fixup_f32 v1, v1, v57, v56
	v_fmac_f32_e32 v57, v56, v1
	s_delay_alu instid0(VALU_DEP_1) | instskip(NEXT) | instid1(VALU_DEP_1)
	v_div_scale_f32 v7, null, v57, v57, -1.0
	v_rcp_f32_e32 v9, v7
	v_nop
	s_delay_alu instid0(TRANS32_DEP_1) | instskip(NEXT) | instid1(VALU_DEP_1)
	v_fma_f32 v11, -v7, v9, 1.0
	v_fmac_f32_e32 v9, v11, v9
	v_div_scale_f32 v11, vcc_lo, -1.0, v57, -1.0
	s_delay_alu instid0(VALU_DEP_1) | instskip(NEXT) | instid1(VALU_DEP_1)
	v_mul_f32_e32 v13, v11, v9
	v_fma_f32 v15, -v7, v13, v11
	s_delay_alu instid0(VALU_DEP_1) | instskip(NEXT) | instid1(VALU_DEP_1)
	v_fmac_f32_e32 v13, v15, v9
	v_fma_f32 v7, -v7, v13, v11
	s_delay_alu instid0(VALU_DEP_1) | instskip(NEXT) | instid1(VALU_DEP_1)
	v_div_fmas_f32 v7, v7, v9, v13
	v_div_fixup_f32 v61, v7, v57, -1.0
                                        ; implicit-def: $vgpr56_vgpr57
	s_delay_alu instid0(VALU_DEP_1) | instskip(NEXT) | instid1(VALU_DEP_1)
	v_mul_f32_e32 v58, v1, v61
	v_xor_b32_e32 v60, 0x80000000, v58
.LBB89_4:
	s_or_saveexec_b32 s0, s0
	v_lshl_add_u32 v1, v0, 3, 0
	s_xor_b32 exec_lo, exec_lo, s0
	s_cbranch_execz .LBB89_6
; %bb.5:
	v_div_scale_f32 v7, null, v56, v56, v57
	v_div_scale_f32 v13, vcc_lo, v57, v56, v57
	s_delay_alu instid0(VALU_DEP_2) | instskip(SKIP_1) | instid1(TRANS32_DEP_1)
	v_rcp_f32_e32 v9, v7
	v_nop
	v_fma_f32 v11, -v7, v9, 1.0
	s_delay_alu instid0(VALU_DEP_1) | instskip(NEXT) | instid1(VALU_DEP_1)
	v_fmac_f32_e32 v9, v11, v9
	v_mul_f32_e32 v11, v13, v9
	s_delay_alu instid0(VALU_DEP_1) | instskip(NEXT) | instid1(VALU_DEP_1)
	v_fma_f32 v15, -v7, v11, v13
	v_fmac_f32_e32 v11, v15, v9
	s_delay_alu instid0(VALU_DEP_1) | instskip(NEXT) | instid1(VALU_DEP_1)
	v_fma_f32 v7, -v7, v11, v13
	v_div_fmas_f32 v7, v7, v9, v11
	s_delay_alu instid0(VALU_DEP_1) | instskip(NEXT) | instid1(VALU_DEP_1)
	v_div_fixup_f32 v7, v7, v56, v57
	v_fmac_f32_e32 v56, v57, v7
	s_delay_alu instid0(VALU_DEP_1) | instskip(SKIP_1) | instid1(VALU_DEP_2)
	v_div_scale_f32 v9, null, v56, v56, 1.0
	v_div_scale_f32 v15, vcc_lo, 1.0, v56, 1.0
	v_rcp_f32_e32 v11, v9
	v_nop
	s_delay_alu instid0(TRANS32_DEP_1) | instskip(NEXT) | instid1(VALU_DEP_1)
	v_fma_f32 v13, -v9, v11, 1.0
	v_fmac_f32_e32 v11, v13, v11
	s_delay_alu instid0(VALU_DEP_1) | instskip(NEXT) | instid1(VALU_DEP_1)
	v_mul_f32_e32 v13, v15, v11
	v_fma_f32 v17, -v9, v13, v15
	s_delay_alu instid0(VALU_DEP_1) | instskip(NEXT) | instid1(VALU_DEP_1)
	v_fmac_f32_e32 v13, v17, v11
	v_fma_f32 v9, -v9, v13, v15
	s_delay_alu instid0(VALU_DEP_1) | instskip(NEXT) | instid1(VALU_DEP_1)
	v_div_fmas_f32 v9, v9, v11, v13
	v_div_fixup_f32 v60, v9, v56, 1.0
	s_delay_alu instid0(VALU_DEP_1)
	v_xor_b32_e32 v58, 0x80000000, v60
	v_mul_f32_e64 v61, v7, -v60
.LBB89_6:
	s_or_b32 exec_lo, exec_lo, s0
	s_delay_alu instid0(VALU_DEP_1)
	v_xor_b32_e32 v59, 0x80000000, v61
	s_mov_b32 s0, 0
	scratch_store_b64 v1, v[60:61], off
	ds_store_b64 v54, v[58:59]
.LBB89_7:
	s_and_b32 vcc_lo, exec_lo, s0
	s_cbranch_vccz .LBB89_9
; %bb.8:
	s_mov_b64 s[0:1], 0xbf800000
	s_wait_xcnt 0x0
	v_mov_b64_e32 v[56:57], s[0:1]
	ds_store_b64 v54, v[56:57]
.LBB89_9:
	v_dual_ashrrev_i32 v7, 31, v6 :: v_dual_ashrrev_i32 v9, 31, v8
	v_dual_ashrrev_i32 v11, 31, v10 :: v_dual_ashrrev_i32 v13, 31, v12
	v_dual_ashrrev_i32 v15, 31, v14 :: v_dual_ashrrev_i32 v17, 31, v16
	v_dual_ashrrev_i32 v19, 31, v18 :: v_dual_ashrrev_i32 v21, 31, v20
	v_dual_ashrrev_i32 v23, 31, v22 :: v_dual_ashrrev_i32 v25, 31, v24
	v_dual_ashrrev_i32 v27, 31, v26 :: v_dual_ashrrev_i32 v29, 31, v28
	v_dual_ashrrev_i32 v31, 31, v30 :: v_dual_ashrrev_i32 v33, 31, v32
	v_dual_ashrrev_i32 v35, 31, v34 :: v_dual_ashrrev_i32 v37, 31, v36
	v_dual_ashrrev_i32 v39, 31, v38 :: v_dual_ashrrev_i32 v41, 31, v40
	v_dual_ashrrev_i32 v43, 31, v42 :: v_dual_ashrrev_i32 v45, 31, v44
	v_dual_ashrrev_i32 v47, 31, v46 :: v_dual_ashrrev_i32 v49, 31, v48
	v_dual_ashrrev_i32 v51, 31, v50 :: v_dual_ashrrev_i32 v53, 31, v52
	s_wait_xcnt 0x0
	v_add_nc_u32_e32 v1, 0xd0, v54
	v_mov_b32_e32 v55, v54
	s_cmp_eq_u32 s4, 0x79
	s_cbranch_scc1 .LBB89_13
; %bb.10:
	scratch_load_b64 v[56:57], off, off offset:192
	v_cmp_eq_u32_e64 s0, 25, v0
	s_movk_i32 s1, 0x48
	s_movk_i32 s14, 0x50
	s_movk_i32 s15, 0x58
	s_movk_i32 s16, 0x60
	s_movk_i32 s17, 0x68
	s_movk_i32 s18, 0x70
	s_movk_i32 s19, 0x78
	s_movk_i32 s20, 0x80
	s_movk_i32 s21, 0x88
	s_movk_i32 s22, 0x90
	s_movk_i32 s23, 0x98
	s_movk_i32 s24, 0xa0
	s_movk_i32 s25, 0xa8
	s_movk_i32 s26, 0xb0
	s_movk_i32 s27, 0xb8
	s_wait_loadcnt 0x0
	ds_store_b64 v1, v[56:57]
	s_wait_storecnt_dscnt 0x0
	s_barrier_signal -1
	s_barrier_wait -1
	s_wait_xcnt 0x0
	s_and_saveexec_b32 s2, s0
	s_cbranch_execz .LBB89_17
; %bb.11:
	s_and_b32 vcc_lo, exec_lo, s3
	s_cbranch_vccz .LBB89_14
; %bb.12:
	scratch_load_b64 v[56:57], v55, off
	ds_load_b64 v[58:59], v1
	s_wait_loadcnt_dscnt 0x0
	v_pk_mul_f32 v[60:61], v[58:59], v[56:57] op_sel:[1,1] op_sel_hi:[0,1]
	v_pk_mul_f32 v[62:63], v[58:59], v[56:57] op_sel_hi:[1,0]
	s_delay_alu instid0(VALU_DEP_2) | instskip(NEXT) | instid1(VALU_DEP_2)
	v_pk_fma_f32 v[56:57], v[58:59], v[56:57], v[60:61] op_sel_hi:[1,0,1]
	v_sub_f32_e32 v56, v62, v60
	s_cbranch_execz .LBB89_15
	s_branch .LBB89_16
.LBB89_13:
	s_mov_b32 s1, 0
                                        ; implicit-def: $vgpr76
                                        ; implicit-def: $sgpr5
	s_cbranch_execnz .LBB89_256
	s_branch .LBB89_501
.LBB89_14:
                                        ; implicit-def: $vgpr57
.LBB89_15:
	ds_load_b64 v[56:57], v1
.LBB89_16:
	s_wait_dscnt 0x0
	v_dual_mov_b32 v58, 0 :: v_dual_mov_b32 v60, v57
	v_mov_b32_e32 v61, v56
	ds_load_b64 v[58:59], v58 offset:192
	s_wait_dscnt 0x0
	v_pk_mul_f32 v[60:61], v[60:61], v[58:59] op_sel:[0,1]
	s_delay_alu instid0(VALU_DEP_1) | instskip(SKIP_1) | instid1(VALU_DEP_2)
	v_pk_fma_f32 v[62:63], v[56:57], v[58:59], v[60:61] op_sel_hi:[1,0,1]
	v_pk_fma_f32 v[56:57], v[56:57], v[58:59], v[60:61] neg_lo:[0,0,1] neg_hi:[0,0,1]
	v_mov_b32_e32 v57, v63
	scratch_store_b64 off, v[56:57], off offset:192
.LBB89_17:
	s_wait_xcnt 0x0
	s_or_b32 exec_lo, exec_lo, s2
	scratch_load_b64 v[56:57], off, off offset:184
	s_mov_b32 s13, s1
	v_cmp_lt_u32_e64 s1, 23, v0
	s_or_b32 s4, 0, 8
	s_mov_b32 s5, 16
	s_mov_b32 s8, 24
	;; [unrolled: 1-line block ×7, first 2 shown]
	s_wait_loadcnt 0x0
	ds_store_b64 v1, v[56:57]
	s_wait_storecnt_dscnt 0x0
	s_barrier_signal -1
	s_barrier_wait -1
	s_wait_xcnt 0x0
	s_and_saveexec_b32 s28, s1
	s_cbranch_execz .LBB89_25
; %bb.18:
	s_and_not1_b32 vcc_lo, exec_lo, s3
	s_cbranch_vccnz .LBB89_20
; %bb.19:
	scratch_load_b64 v[56:57], v55, off
	ds_load_b64 v[58:59], v1
	s_wait_loadcnt_dscnt 0x0
	v_pk_mul_f32 v[60:61], v[58:59], v[56:57] op_sel:[1,1] op_sel_hi:[0,1]
	s_delay_alu instid0(VALU_DEP_1) | instskip(SKIP_1) | instid1(VALU_DEP_2)
	v_pk_fma_f32 v[62:63], v[58:59], v[56:57], v[60:61] op_sel_hi:[1,0,1]
	v_pk_fma_f32 v[56:57], v[58:59], v[56:57], v[60:61] neg_lo:[0,0,1] neg_hi:[0,0,1]
	v_mov_b32_e32 v57, v63
	s_cbranch_execz .LBB89_21
	s_branch .LBB89_22
.LBB89_20:
                                        ; implicit-def: $vgpr56_vgpr57
.LBB89_21:
	ds_load_b64 v[56:57], v1
.LBB89_22:
	s_and_saveexec_b32 s29, s0
	s_cbranch_execz .LBB89_24
; %bb.23:
	scratch_load_b64 v[58:59], off, off offset:192
	v_mov_b32_e32 v60, 0
	ds_load_b64 v[60:61], v60 offset:400
	s_wait_loadcnt_dscnt 0x0
	v_pk_mul_f32 v[62:63], v[60:61], v[58:59] op_sel:[1,1] op_sel_hi:[0,1]
	s_delay_alu instid0(VALU_DEP_1) | instskip(SKIP_1) | instid1(VALU_DEP_2)
	v_pk_fma_f32 v[64:65], v[60:61], v[58:59], v[62:63] op_sel_hi:[1,0,1]
	v_pk_fma_f32 v[58:59], v[60:61], v[58:59], v[62:63] neg_lo:[0,0,1] neg_hi:[0,0,1]
	v_mov_b32_e32 v59, v65
	s_delay_alu instid0(VALU_DEP_1)
	v_pk_add_f32 v[56:57], v[56:57], v[58:59]
.LBB89_24:
	s_or_b32 exec_lo, exec_lo, s29
	v_mov_b32_e32 v58, 0
	ds_load_b64 v[58:59], v58 offset:184
	s_wait_dscnt 0x0
	v_pk_mul_f32 v[60:61], v[56:57], v[58:59] op_sel:[1,1] op_sel_hi:[0,1]
	s_delay_alu instid0(VALU_DEP_1) | instskip(SKIP_1) | instid1(VALU_DEP_2)
	v_pk_fma_f32 v[62:63], v[56:57], v[58:59], v[60:61] op_sel_hi:[1,0,1]
	v_pk_fma_f32 v[56:57], v[56:57], v[58:59], v[60:61] neg_lo:[0,0,1] neg_hi:[0,0,1]
	v_mov_b32_e32 v57, v63
	scratch_store_b64 off, v[56:57], off offset:184
.LBB89_25:
	s_wait_xcnt 0x0
	s_or_b32 exec_lo, exec_lo, s28
	scratch_load_b64 v[56:57], off, off offset:176
	v_cmp_lt_u32_e64 s0, 22, v0
	s_wait_loadcnt 0x0
	ds_store_b64 v1, v[56:57]
	s_wait_storecnt_dscnt 0x0
	s_barrier_signal -1
	s_barrier_wait -1
	s_wait_xcnt 0x0
	s_and_saveexec_b32 s28, s0
	s_cbranch_execz .LBB89_35
; %bb.26:
	s_and_not1_b32 vcc_lo, exec_lo, s3
	s_cbranch_vccnz .LBB89_28
; %bb.27:
	scratch_load_b64 v[56:57], v55, off
	ds_load_b64 v[58:59], v1
	s_wait_loadcnt_dscnt 0x0
	v_pk_mul_f32 v[60:61], v[58:59], v[56:57] op_sel:[1,1] op_sel_hi:[0,1]
	s_delay_alu instid0(VALU_DEP_1) | instskip(SKIP_1) | instid1(VALU_DEP_2)
	v_pk_fma_f32 v[62:63], v[58:59], v[56:57], v[60:61] op_sel_hi:[1,0,1]
	v_pk_fma_f32 v[56:57], v[58:59], v[56:57], v[60:61] neg_lo:[0,0,1] neg_hi:[0,0,1]
	v_mov_b32_e32 v57, v63
	s_cbranch_execz .LBB89_29
	s_branch .LBB89_30
.LBB89_28:
                                        ; implicit-def: $vgpr56_vgpr57
.LBB89_29:
	ds_load_b64 v[56:57], v1
.LBB89_30:
	s_and_saveexec_b32 s29, s1
	s_cbranch_execz .LBB89_34
; %bb.31:
	v_subrev_nc_u32_e32 v58, 23, v0
	s_movk_i32 s30, 0x188
	s_mov_b32 s1, 0
.LBB89_32:                              ; =>This Inner Loop Header: Depth=1
	scratch_load_b64 v[60:61], off, s27
	v_dual_mov_b32 v59, s30 :: v_dual_add_nc_u32 v58, -1, v58
	s_add_co_i32 s30, s30, 8
	s_wait_xcnt 0x0
	s_add_co_i32 s27, s27, 8
	ds_load_b64 v[62:63], v59
	v_cmp_eq_u32_e32 vcc_lo, 0, v58
	s_or_b32 s1, vcc_lo, s1
	s_wait_loadcnt_dscnt 0x0
	v_pk_mul_f32 v[64:65], v[62:63], v[60:61] op_sel:[1,1] op_sel_hi:[0,1]
	s_delay_alu instid0(VALU_DEP_1) | instskip(SKIP_1) | instid1(VALU_DEP_2)
	v_pk_fma_f32 v[66:67], v[62:63], v[60:61], v[64:65] op_sel_hi:[1,0,1]
	v_pk_fma_f32 v[60:61], v[62:63], v[60:61], v[64:65] neg_lo:[0,0,1] neg_hi:[0,0,1]
	v_mov_b32_e32 v61, v67
	s_delay_alu instid0(VALU_DEP_1)
	v_pk_add_f32 v[56:57], v[56:57], v[60:61]
	s_and_not1_b32 exec_lo, exec_lo, s1
	s_cbranch_execnz .LBB89_32
; %bb.33:
	s_or_b32 exec_lo, exec_lo, s1
.LBB89_34:
	s_delay_alu instid0(SALU_CYCLE_1) | instskip(SKIP_4) | instid1(VALU_DEP_1)
	s_or_b32 exec_lo, exec_lo, s29
	v_mov_b32_e32 v58, 0
	ds_load_b64 v[58:59], v58 offset:176
	s_wait_dscnt 0x0
	v_pk_mul_f32 v[60:61], v[56:57], v[58:59] op_sel:[1,1] op_sel_hi:[0,1]
	v_pk_fma_f32 v[62:63], v[56:57], v[58:59], v[60:61] op_sel_hi:[1,0,1]
	v_pk_fma_f32 v[56:57], v[56:57], v[58:59], v[60:61] neg_lo:[0,0,1] neg_hi:[0,0,1]
	s_delay_alu instid0(VALU_DEP_2)
	v_mov_b32_e32 v57, v63
	scratch_store_b64 off, v[56:57], off offset:176
.LBB89_35:
	s_wait_xcnt 0x0
	s_or_b32 exec_lo, exec_lo, s28
	scratch_load_b64 v[56:57], off, off offset:168
	v_cmp_lt_u32_e64 s1, 21, v0
	s_wait_loadcnt 0x0
	ds_store_b64 v1, v[56:57]
	s_wait_storecnt_dscnt 0x0
	s_barrier_signal -1
	s_barrier_wait -1
	s_wait_xcnt 0x0
	s_and_saveexec_b32 s27, s1
	s_cbranch_execz .LBB89_45
; %bb.36:
	s_and_not1_b32 vcc_lo, exec_lo, s3
	s_cbranch_vccnz .LBB89_38
; %bb.37:
	scratch_load_b64 v[56:57], v55, off
	ds_load_b64 v[58:59], v1
	s_wait_loadcnt_dscnt 0x0
	v_pk_mul_f32 v[60:61], v[58:59], v[56:57] op_sel:[1,1] op_sel_hi:[0,1]
	s_delay_alu instid0(VALU_DEP_1) | instskip(SKIP_1) | instid1(VALU_DEP_2)
	v_pk_fma_f32 v[62:63], v[58:59], v[56:57], v[60:61] op_sel_hi:[1,0,1]
	v_pk_fma_f32 v[56:57], v[58:59], v[56:57], v[60:61] neg_lo:[0,0,1] neg_hi:[0,0,1]
	v_mov_b32_e32 v57, v63
	s_cbranch_execz .LBB89_39
	s_branch .LBB89_40
.LBB89_38:
                                        ; implicit-def: $vgpr56_vgpr57
.LBB89_39:
	ds_load_b64 v[56:57], v1
.LBB89_40:
	s_and_saveexec_b32 s28, s0
	s_cbranch_execz .LBB89_44
; %bb.41:
	v_subrev_nc_u32_e32 v58, 22, v0
	s_movk_i32 s29, 0x180
	s_mov_b32 s0, 0
.LBB89_42:                              ; =>This Inner Loop Header: Depth=1
	scratch_load_b64 v[60:61], off, s26
	v_dual_mov_b32 v59, s29 :: v_dual_add_nc_u32 v58, -1, v58
	s_add_co_i32 s29, s29, 8
	s_wait_xcnt 0x0
	s_add_co_i32 s26, s26, 8
	ds_load_b64 v[62:63], v59
	v_cmp_eq_u32_e32 vcc_lo, 0, v58
	s_or_b32 s0, vcc_lo, s0
	s_wait_loadcnt_dscnt 0x0
	v_pk_mul_f32 v[64:65], v[62:63], v[60:61] op_sel:[1,1] op_sel_hi:[0,1]
	s_delay_alu instid0(VALU_DEP_1) | instskip(SKIP_1) | instid1(VALU_DEP_2)
	v_pk_fma_f32 v[66:67], v[62:63], v[60:61], v[64:65] op_sel_hi:[1,0,1]
	v_pk_fma_f32 v[60:61], v[62:63], v[60:61], v[64:65] neg_lo:[0,0,1] neg_hi:[0,0,1]
	v_mov_b32_e32 v61, v67
	s_delay_alu instid0(VALU_DEP_1)
	v_pk_add_f32 v[56:57], v[56:57], v[60:61]
	s_and_not1_b32 exec_lo, exec_lo, s0
	s_cbranch_execnz .LBB89_42
; %bb.43:
	s_or_b32 exec_lo, exec_lo, s0
.LBB89_44:
	s_delay_alu instid0(SALU_CYCLE_1) | instskip(SKIP_4) | instid1(VALU_DEP_1)
	s_or_b32 exec_lo, exec_lo, s28
	v_mov_b32_e32 v58, 0
	ds_load_b64 v[58:59], v58 offset:168
	s_wait_dscnt 0x0
	v_pk_mul_f32 v[60:61], v[56:57], v[58:59] op_sel:[1,1] op_sel_hi:[0,1]
	v_pk_fma_f32 v[62:63], v[56:57], v[58:59], v[60:61] op_sel_hi:[1,0,1]
	v_pk_fma_f32 v[56:57], v[56:57], v[58:59], v[60:61] neg_lo:[0,0,1] neg_hi:[0,0,1]
	s_delay_alu instid0(VALU_DEP_2)
	v_mov_b32_e32 v57, v63
	scratch_store_b64 off, v[56:57], off offset:168
.LBB89_45:
	s_wait_xcnt 0x0
	s_or_b32 exec_lo, exec_lo, s27
	scratch_load_b64 v[56:57], off, off offset:160
	v_cmp_lt_u32_e64 s0, 20, v0
	s_wait_loadcnt 0x0
	ds_store_b64 v1, v[56:57]
	s_wait_storecnt_dscnt 0x0
	s_barrier_signal -1
	s_barrier_wait -1
	s_wait_xcnt 0x0
	s_and_saveexec_b32 s26, s0
	s_cbranch_execz .LBB89_55
; %bb.46:
	s_and_not1_b32 vcc_lo, exec_lo, s3
	s_cbranch_vccnz .LBB89_48
; %bb.47:
	scratch_load_b64 v[56:57], v55, off
	ds_load_b64 v[58:59], v1
	s_wait_loadcnt_dscnt 0x0
	v_pk_mul_f32 v[60:61], v[58:59], v[56:57] op_sel:[1,1] op_sel_hi:[0,1]
	s_delay_alu instid0(VALU_DEP_1) | instskip(SKIP_1) | instid1(VALU_DEP_2)
	v_pk_fma_f32 v[62:63], v[58:59], v[56:57], v[60:61] op_sel_hi:[1,0,1]
	v_pk_fma_f32 v[56:57], v[58:59], v[56:57], v[60:61] neg_lo:[0,0,1] neg_hi:[0,0,1]
	v_mov_b32_e32 v57, v63
	s_cbranch_execz .LBB89_49
	s_branch .LBB89_50
.LBB89_48:
                                        ; implicit-def: $vgpr56_vgpr57
.LBB89_49:
	ds_load_b64 v[56:57], v1
.LBB89_50:
	s_and_saveexec_b32 s27, s1
	s_cbranch_execz .LBB89_54
; %bb.51:
	v_subrev_nc_u32_e32 v58, 21, v0
	s_movk_i32 s28, 0x178
	s_mov_b32 s1, 0
.LBB89_52:                              ; =>This Inner Loop Header: Depth=1
	scratch_load_b64 v[60:61], off, s25
	v_dual_mov_b32 v59, s28 :: v_dual_add_nc_u32 v58, -1, v58
	s_add_co_i32 s28, s28, 8
	s_wait_xcnt 0x0
	s_add_co_i32 s25, s25, 8
	ds_load_b64 v[62:63], v59
	v_cmp_eq_u32_e32 vcc_lo, 0, v58
	s_or_b32 s1, vcc_lo, s1
	s_wait_loadcnt_dscnt 0x0
	v_pk_mul_f32 v[64:65], v[62:63], v[60:61] op_sel:[1,1] op_sel_hi:[0,1]
	s_delay_alu instid0(VALU_DEP_1) | instskip(SKIP_1) | instid1(VALU_DEP_2)
	v_pk_fma_f32 v[66:67], v[62:63], v[60:61], v[64:65] op_sel_hi:[1,0,1]
	v_pk_fma_f32 v[60:61], v[62:63], v[60:61], v[64:65] neg_lo:[0,0,1] neg_hi:[0,0,1]
	v_mov_b32_e32 v61, v67
	s_delay_alu instid0(VALU_DEP_1)
	v_pk_add_f32 v[56:57], v[56:57], v[60:61]
	s_and_not1_b32 exec_lo, exec_lo, s1
	s_cbranch_execnz .LBB89_52
; %bb.53:
	s_or_b32 exec_lo, exec_lo, s1
.LBB89_54:
	s_delay_alu instid0(SALU_CYCLE_1) | instskip(SKIP_4) | instid1(VALU_DEP_1)
	s_or_b32 exec_lo, exec_lo, s27
	v_mov_b32_e32 v58, 0
	ds_load_b64 v[58:59], v58 offset:160
	s_wait_dscnt 0x0
	v_pk_mul_f32 v[60:61], v[56:57], v[58:59] op_sel:[1,1] op_sel_hi:[0,1]
	v_pk_fma_f32 v[62:63], v[56:57], v[58:59], v[60:61] op_sel_hi:[1,0,1]
	v_pk_fma_f32 v[56:57], v[56:57], v[58:59], v[60:61] neg_lo:[0,0,1] neg_hi:[0,0,1]
	s_delay_alu instid0(VALU_DEP_2)
	v_mov_b32_e32 v57, v63
	scratch_store_b64 off, v[56:57], off offset:160
.LBB89_55:
	s_wait_xcnt 0x0
	s_or_b32 exec_lo, exec_lo, s26
	scratch_load_b64 v[56:57], off, off offset:152
	v_cmp_lt_u32_e64 s1, 19, v0
	s_wait_loadcnt 0x0
	ds_store_b64 v1, v[56:57]
	s_wait_storecnt_dscnt 0x0
	s_barrier_signal -1
	s_barrier_wait -1
	s_wait_xcnt 0x0
	s_and_saveexec_b32 s25, s1
	s_cbranch_execz .LBB89_65
; %bb.56:
	s_and_not1_b32 vcc_lo, exec_lo, s3
	s_cbranch_vccnz .LBB89_58
; %bb.57:
	scratch_load_b64 v[56:57], v55, off
	ds_load_b64 v[58:59], v1
	s_wait_loadcnt_dscnt 0x0
	v_pk_mul_f32 v[60:61], v[58:59], v[56:57] op_sel:[1,1] op_sel_hi:[0,1]
	s_delay_alu instid0(VALU_DEP_1) | instskip(SKIP_1) | instid1(VALU_DEP_2)
	v_pk_fma_f32 v[62:63], v[58:59], v[56:57], v[60:61] op_sel_hi:[1,0,1]
	v_pk_fma_f32 v[56:57], v[58:59], v[56:57], v[60:61] neg_lo:[0,0,1] neg_hi:[0,0,1]
	v_mov_b32_e32 v57, v63
	s_cbranch_execz .LBB89_59
	s_branch .LBB89_60
.LBB89_58:
                                        ; implicit-def: $vgpr56_vgpr57
.LBB89_59:
	ds_load_b64 v[56:57], v1
.LBB89_60:
	s_and_saveexec_b32 s26, s0
	s_cbranch_execz .LBB89_64
; %bb.61:
	v_subrev_nc_u32_e32 v58, 20, v0
	s_movk_i32 s27, 0x170
	s_mov_b32 s0, 0
.LBB89_62:                              ; =>This Inner Loop Header: Depth=1
	scratch_load_b64 v[60:61], off, s24
	v_dual_mov_b32 v59, s27 :: v_dual_add_nc_u32 v58, -1, v58
	s_add_co_i32 s27, s27, 8
	s_wait_xcnt 0x0
	s_add_co_i32 s24, s24, 8
	ds_load_b64 v[62:63], v59
	v_cmp_eq_u32_e32 vcc_lo, 0, v58
	s_or_b32 s0, vcc_lo, s0
	s_wait_loadcnt_dscnt 0x0
	v_pk_mul_f32 v[64:65], v[62:63], v[60:61] op_sel:[1,1] op_sel_hi:[0,1]
	s_delay_alu instid0(VALU_DEP_1) | instskip(SKIP_1) | instid1(VALU_DEP_2)
	v_pk_fma_f32 v[66:67], v[62:63], v[60:61], v[64:65] op_sel_hi:[1,0,1]
	v_pk_fma_f32 v[60:61], v[62:63], v[60:61], v[64:65] neg_lo:[0,0,1] neg_hi:[0,0,1]
	v_mov_b32_e32 v61, v67
	s_delay_alu instid0(VALU_DEP_1)
	v_pk_add_f32 v[56:57], v[56:57], v[60:61]
	s_and_not1_b32 exec_lo, exec_lo, s0
	s_cbranch_execnz .LBB89_62
; %bb.63:
	s_or_b32 exec_lo, exec_lo, s0
.LBB89_64:
	s_delay_alu instid0(SALU_CYCLE_1) | instskip(SKIP_4) | instid1(VALU_DEP_1)
	s_or_b32 exec_lo, exec_lo, s26
	v_mov_b32_e32 v58, 0
	ds_load_b64 v[58:59], v58 offset:152
	s_wait_dscnt 0x0
	v_pk_mul_f32 v[60:61], v[56:57], v[58:59] op_sel:[1,1] op_sel_hi:[0,1]
	v_pk_fma_f32 v[62:63], v[56:57], v[58:59], v[60:61] op_sel_hi:[1,0,1]
	v_pk_fma_f32 v[56:57], v[56:57], v[58:59], v[60:61] neg_lo:[0,0,1] neg_hi:[0,0,1]
	s_delay_alu instid0(VALU_DEP_2)
	v_mov_b32_e32 v57, v63
	scratch_store_b64 off, v[56:57], off offset:152
.LBB89_65:
	s_wait_xcnt 0x0
	s_or_b32 exec_lo, exec_lo, s25
	scratch_load_b64 v[56:57], off, off offset:144
	v_cmp_lt_u32_e64 s0, 18, v0
	s_wait_loadcnt 0x0
	ds_store_b64 v1, v[56:57]
	s_wait_storecnt_dscnt 0x0
	s_barrier_signal -1
	s_barrier_wait -1
	s_wait_xcnt 0x0
	s_and_saveexec_b32 s24, s0
	s_cbranch_execz .LBB89_75
; %bb.66:
	s_and_not1_b32 vcc_lo, exec_lo, s3
	s_cbranch_vccnz .LBB89_68
; %bb.67:
	scratch_load_b64 v[56:57], v55, off
	ds_load_b64 v[58:59], v1
	s_wait_loadcnt_dscnt 0x0
	v_pk_mul_f32 v[60:61], v[58:59], v[56:57] op_sel:[1,1] op_sel_hi:[0,1]
	s_delay_alu instid0(VALU_DEP_1) | instskip(SKIP_1) | instid1(VALU_DEP_2)
	v_pk_fma_f32 v[62:63], v[58:59], v[56:57], v[60:61] op_sel_hi:[1,0,1]
	v_pk_fma_f32 v[56:57], v[58:59], v[56:57], v[60:61] neg_lo:[0,0,1] neg_hi:[0,0,1]
	v_mov_b32_e32 v57, v63
	s_cbranch_execz .LBB89_69
	s_branch .LBB89_70
.LBB89_68:
                                        ; implicit-def: $vgpr56_vgpr57
.LBB89_69:
	ds_load_b64 v[56:57], v1
.LBB89_70:
	s_and_saveexec_b32 s25, s1
	s_cbranch_execz .LBB89_74
; %bb.71:
	v_subrev_nc_u32_e32 v58, 19, v0
	s_movk_i32 s26, 0x168
	s_mov_b32 s1, 0
.LBB89_72:                              ; =>This Inner Loop Header: Depth=1
	scratch_load_b64 v[60:61], off, s23
	v_dual_mov_b32 v59, s26 :: v_dual_add_nc_u32 v58, -1, v58
	s_add_co_i32 s26, s26, 8
	s_wait_xcnt 0x0
	s_add_co_i32 s23, s23, 8
	ds_load_b64 v[62:63], v59
	v_cmp_eq_u32_e32 vcc_lo, 0, v58
	s_or_b32 s1, vcc_lo, s1
	s_wait_loadcnt_dscnt 0x0
	v_pk_mul_f32 v[64:65], v[62:63], v[60:61] op_sel:[1,1] op_sel_hi:[0,1]
	s_delay_alu instid0(VALU_DEP_1) | instskip(SKIP_1) | instid1(VALU_DEP_2)
	v_pk_fma_f32 v[66:67], v[62:63], v[60:61], v[64:65] op_sel_hi:[1,0,1]
	v_pk_fma_f32 v[60:61], v[62:63], v[60:61], v[64:65] neg_lo:[0,0,1] neg_hi:[0,0,1]
	v_mov_b32_e32 v61, v67
	s_delay_alu instid0(VALU_DEP_1)
	v_pk_add_f32 v[56:57], v[56:57], v[60:61]
	s_and_not1_b32 exec_lo, exec_lo, s1
	s_cbranch_execnz .LBB89_72
; %bb.73:
	s_or_b32 exec_lo, exec_lo, s1
.LBB89_74:
	s_delay_alu instid0(SALU_CYCLE_1) | instskip(SKIP_4) | instid1(VALU_DEP_1)
	s_or_b32 exec_lo, exec_lo, s25
	v_mov_b32_e32 v58, 0
	ds_load_b64 v[58:59], v58 offset:144
	s_wait_dscnt 0x0
	v_pk_mul_f32 v[60:61], v[56:57], v[58:59] op_sel:[1,1] op_sel_hi:[0,1]
	v_pk_fma_f32 v[62:63], v[56:57], v[58:59], v[60:61] op_sel_hi:[1,0,1]
	v_pk_fma_f32 v[56:57], v[56:57], v[58:59], v[60:61] neg_lo:[0,0,1] neg_hi:[0,0,1]
	s_delay_alu instid0(VALU_DEP_2)
	v_mov_b32_e32 v57, v63
	scratch_store_b64 off, v[56:57], off offset:144
.LBB89_75:
	s_wait_xcnt 0x0
	s_or_b32 exec_lo, exec_lo, s24
	scratch_load_b64 v[56:57], off, off offset:136
	v_cmp_lt_u32_e64 s1, 17, v0
	s_wait_loadcnt 0x0
	ds_store_b64 v1, v[56:57]
	s_wait_storecnt_dscnt 0x0
	s_barrier_signal -1
	s_barrier_wait -1
	s_wait_xcnt 0x0
	s_and_saveexec_b32 s23, s1
	s_cbranch_execz .LBB89_85
; %bb.76:
	s_and_not1_b32 vcc_lo, exec_lo, s3
	s_cbranch_vccnz .LBB89_78
; %bb.77:
	scratch_load_b64 v[56:57], v55, off
	ds_load_b64 v[58:59], v1
	s_wait_loadcnt_dscnt 0x0
	v_pk_mul_f32 v[60:61], v[58:59], v[56:57] op_sel:[1,1] op_sel_hi:[0,1]
	s_delay_alu instid0(VALU_DEP_1) | instskip(SKIP_1) | instid1(VALU_DEP_2)
	v_pk_fma_f32 v[62:63], v[58:59], v[56:57], v[60:61] op_sel_hi:[1,0,1]
	v_pk_fma_f32 v[56:57], v[58:59], v[56:57], v[60:61] neg_lo:[0,0,1] neg_hi:[0,0,1]
	v_mov_b32_e32 v57, v63
	s_cbranch_execz .LBB89_79
	s_branch .LBB89_80
.LBB89_78:
                                        ; implicit-def: $vgpr56_vgpr57
.LBB89_79:
	ds_load_b64 v[56:57], v1
.LBB89_80:
	s_and_saveexec_b32 s24, s0
	s_cbranch_execz .LBB89_84
; %bb.81:
	v_subrev_nc_u32_e32 v58, 18, v0
	s_movk_i32 s25, 0x160
	s_mov_b32 s0, 0
.LBB89_82:                              ; =>This Inner Loop Header: Depth=1
	scratch_load_b64 v[60:61], off, s22
	v_dual_mov_b32 v59, s25 :: v_dual_add_nc_u32 v58, -1, v58
	s_add_co_i32 s25, s25, 8
	s_wait_xcnt 0x0
	s_add_co_i32 s22, s22, 8
	ds_load_b64 v[62:63], v59
	v_cmp_eq_u32_e32 vcc_lo, 0, v58
	s_or_b32 s0, vcc_lo, s0
	s_wait_loadcnt_dscnt 0x0
	v_pk_mul_f32 v[64:65], v[62:63], v[60:61] op_sel:[1,1] op_sel_hi:[0,1]
	s_delay_alu instid0(VALU_DEP_1) | instskip(SKIP_1) | instid1(VALU_DEP_2)
	v_pk_fma_f32 v[66:67], v[62:63], v[60:61], v[64:65] op_sel_hi:[1,0,1]
	v_pk_fma_f32 v[60:61], v[62:63], v[60:61], v[64:65] neg_lo:[0,0,1] neg_hi:[0,0,1]
	v_mov_b32_e32 v61, v67
	s_delay_alu instid0(VALU_DEP_1)
	v_pk_add_f32 v[56:57], v[56:57], v[60:61]
	s_and_not1_b32 exec_lo, exec_lo, s0
	s_cbranch_execnz .LBB89_82
; %bb.83:
	s_or_b32 exec_lo, exec_lo, s0
.LBB89_84:
	s_delay_alu instid0(SALU_CYCLE_1) | instskip(SKIP_4) | instid1(VALU_DEP_1)
	s_or_b32 exec_lo, exec_lo, s24
	v_mov_b32_e32 v58, 0
	ds_load_b64 v[58:59], v58 offset:136
	s_wait_dscnt 0x0
	v_pk_mul_f32 v[60:61], v[56:57], v[58:59] op_sel:[1,1] op_sel_hi:[0,1]
	v_pk_fma_f32 v[62:63], v[56:57], v[58:59], v[60:61] op_sel_hi:[1,0,1]
	v_pk_fma_f32 v[56:57], v[56:57], v[58:59], v[60:61] neg_lo:[0,0,1] neg_hi:[0,0,1]
	s_delay_alu instid0(VALU_DEP_2)
	v_mov_b32_e32 v57, v63
	scratch_store_b64 off, v[56:57], off offset:136
.LBB89_85:
	s_wait_xcnt 0x0
	s_or_b32 exec_lo, exec_lo, s23
	scratch_load_b64 v[56:57], off, off offset:128
	v_cmp_lt_u32_e64 s0, 16, v0
	s_wait_loadcnt 0x0
	ds_store_b64 v1, v[56:57]
	s_wait_storecnt_dscnt 0x0
	s_barrier_signal -1
	s_barrier_wait -1
	s_wait_xcnt 0x0
	s_and_saveexec_b32 s22, s0
	s_cbranch_execz .LBB89_95
; %bb.86:
	s_and_not1_b32 vcc_lo, exec_lo, s3
	s_cbranch_vccnz .LBB89_88
; %bb.87:
	scratch_load_b64 v[56:57], v55, off
	ds_load_b64 v[58:59], v1
	s_wait_loadcnt_dscnt 0x0
	v_pk_mul_f32 v[60:61], v[58:59], v[56:57] op_sel:[1,1] op_sel_hi:[0,1]
	s_delay_alu instid0(VALU_DEP_1) | instskip(SKIP_1) | instid1(VALU_DEP_2)
	v_pk_fma_f32 v[62:63], v[58:59], v[56:57], v[60:61] op_sel_hi:[1,0,1]
	v_pk_fma_f32 v[56:57], v[58:59], v[56:57], v[60:61] neg_lo:[0,0,1] neg_hi:[0,0,1]
	v_mov_b32_e32 v57, v63
	s_cbranch_execz .LBB89_89
	s_branch .LBB89_90
.LBB89_88:
                                        ; implicit-def: $vgpr56_vgpr57
.LBB89_89:
	ds_load_b64 v[56:57], v1
.LBB89_90:
	s_and_saveexec_b32 s23, s1
	s_cbranch_execz .LBB89_94
; %bb.91:
	v_subrev_nc_u32_e32 v58, 17, v0
	s_movk_i32 s24, 0x158
	s_mov_b32 s1, 0
.LBB89_92:                              ; =>This Inner Loop Header: Depth=1
	scratch_load_b64 v[60:61], off, s21
	v_dual_mov_b32 v59, s24 :: v_dual_add_nc_u32 v58, -1, v58
	s_add_co_i32 s24, s24, 8
	s_wait_xcnt 0x0
	s_add_co_i32 s21, s21, 8
	ds_load_b64 v[62:63], v59
	v_cmp_eq_u32_e32 vcc_lo, 0, v58
	s_or_b32 s1, vcc_lo, s1
	s_wait_loadcnt_dscnt 0x0
	v_pk_mul_f32 v[64:65], v[62:63], v[60:61] op_sel:[1,1] op_sel_hi:[0,1]
	s_delay_alu instid0(VALU_DEP_1) | instskip(SKIP_1) | instid1(VALU_DEP_2)
	v_pk_fma_f32 v[66:67], v[62:63], v[60:61], v[64:65] op_sel_hi:[1,0,1]
	v_pk_fma_f32 v[60:61], v[62:63], v[60:61], v[64:65] neg_lo:[0,0,1] neg_hi:[0,0,1]
	v_mov_b32_e32 v61, v67
	s_delay_alu instid0(VALU_DEP_1)
	v_pk_add_f32 v[56:57], v[56:57], v[60:61]
	s_and_not1_b32 exec_lo, exec_lo, s1
	s_cbranch_execnz .LBB89_92
; %bb.93:
	s_or_b32 exec_lo, exec_lo, s1
.LBB89_94:
	s_delay_alu instid0(SALU_CYCLE_1) | instskip(SKIP_4) | instid1(VALU_DEP_1)
	s_or_b32 exec_lo, exec_lo, s23
	v_mov_b32_e32 v58, 0
	ds_load_b64 v[58:59], v58 offset:128
	s_wait_dscnt 0x0
	v_pk_mul_f32 v[60:61], v[56:57], v[58:59] op_sel:[1,1] op_sel_hi:[0,1]
	v_pk_fma_f32 v[62:63], v[56:57], v[58:59], v[60:61] op_sel_hi:[1,0,1]
	v_pk_fma_f32 v[56:57], v[56:57], v[58:59], v[60:61] neg_lo:[0,0,1] neg_hi:[0,0,1]
	s_delay_alu instid0(VALU_DEP_2)
	v_mov_b32_e32 v57, v63
	scratch_store_b64 off, v[56:57], off offset:128
.LBB89_95:
	s_wait_xcnt 0x0
	s_or_b32 exec_lo, exec_lo, s22
	scratch_load_b64 v[56:57], off, off offset:120
	v_cmp_lt_u32_e64 s1, 15, v0
	s_wait_loadcnt 0x0
	ds_store_b64 v1, v[56:57]
	s_wait_storecnt_dscnt 0x0
	s_barrier_signal -1
	s_barrier_wait -1
	s_wait_xcnt 0x0
	s_and_saveexec_b32 s21, s1
	s_cbranch_execz .LBB89_105
; %bb.96:
	s_and_not1_b32 vcc_lo, exec_lo, s3
	s_cbranch_vccnz .LBB89_98
; %bb.97:
	scratch_load_b64 v[56:57], v55, off
	ds_load_b64 v[58:59], v1
	s_wait_loadcnt_dscnt 0x0
	v_pk_mul_f32 v[60:61], v[58:59], v[56:57] op_sel:[1,1] op_sel_hi:[0,1]
	s_delay_alu instid0(VALU_DEP_1) | instskip(SKIP_1) | instid1(VALU_DEP_2)
	v_pk_fma_f32 v[62:63], v[58:59], v[56:57], v[60:61] op_sel_hi:[1,0,1]
	v_pk_fma_f32 v[56:57], v[58:59], v[56:57], v[60:61] neg_lo:[0,0,1] neg_hi:[0,0,1]
	v_mov_b32_e32 v57, v63
	s_cbranch_execz .LBB89_99
	s_branch .LBB89_100
.LBB89_98:
                                        ; implicit-def: $vgpr56_vgpr57
.LBB89_99:
	ds_load_b64 v[56:57], v1
.LBB89_100:
	s_and_saveexec_b32 s22, s0
	s_cbranch_execz .LBB89_104
; %bb.101:
	v_add_nc_u32_e32 v58, -16, v0
	s_movk_i32 s23, 0x150
	s_mov_b32 s0, 0
.LBB89_102:                             ; =>This Inner Loop Header: Depth=1
	scratch_load_b64 v[60:61], off, s20
	v_dual_mov_b32 v59, s23 :: v_dual_add_nc_u32 v58, -1, v58
	s_add_co_i32 s23, s23, 8
	s_wait_xcnt 0x0
	s_add_co_i32 s20, s20, 8
	ds_load_b64 v[62:63], v59
	v_cmp_eq_u32_e32 vcc_lo, 0, v58
	s_or_b32 s0, vcc_lo, s0
	s_wait_loadcnt_dscnt 0x0
	v_pk_mul_f32 v[64:65], v[62:63], v[60:61] op_sel:[1,1] op_sel_hi:[0,1]
	s_delay_alu instid0(VALU_DEP_1) | instskip(SKIP_1) | instid1(VALU_DEP_2)
	v_pk_fma_f32 v[66:67], v[62:63], v[60:61], v[64:65] op_sel_hi:[1,0,1]
	v_pk_fma_f32 v[60:61], v[62:63], v[60:61], v[64:65] neg_lo:[0,0,1] neg_hi:[0,0,1]
	v_mov_b32_e32 v61, v67
	s_delay_alu instid0(VALU_DEP_1)
	v_pk_add_f32 v[56:57], v[56:57], v[60:61]
	s_and_not1_b32 exec_lo, exec_lo, s0
	s_cbranch_execnz .LBB89_102
; %bb.103:
	s_or_b32 exec_lo, exec_lo, s0
.LBB89_104:
	s_delay_alu instid0(SALU_CYCLE_1) | instskip(SKIP_4) | instid1(VALU_DEP_1)
	s_or_b32 exec_lo, exec_lo, s22
	v_mov_b32_e32 v58, 0
	ds_load_b64 v[58:59], v58 offset:120
	s_wait_dscnt 0x0
	v_pk_mul_f32 v[60:61], v[56:57], v[58:59] op_sel:[1,1] op_sel_hi:[0,1]
	v_pk_fma_f32 v[62:63], v[56:57], v[58:59], v[60:61] op_sel_hi:[1,0,1]
	v_pk_fma_f32 v[56:57], v[56:57], v[58:59], v[60:61] neg_lo:[0,0,1] neg_hi:[0,0,1]
	s_delay_alu instid0(VALU_DEP_2)
	v_mov_b32_e32 v57, v63
	scratch_store_b64 off, v[56:57], off offset:120
.LBB89_105:
	s_wait_xcnt 0x0
	s_or_b32 exec_lo, exec_lo, s21
	scratch_load_b64 v[56:57], off, off offset:112
	v_cmp_lt_u32_e64 s0, 14, v0
	s_wait_loadcnt 0x0
	ds_store_b64 v1, v[56:57]
	s_wait_storecnt_dscnt 0x0
	s_barrier_signal -1
	s_barrier_wait -1
	s_wait_xcnt 0x0
	s_and_saveexec_b32 s20, s0
	s_cbranch_execz .LBB89_115
; %bb.106:
	s_and_not1_b32 vcc_lo, exec_lo, s3
	s_cbranch_vccnz .LBB89_108
; %bb.107:
	scratch_load_b64 v[56:57], v55, off
	ds_load_b64 v[58:59], v1
	s_wait_loadcnt_dscnt 0x0
	v_pk_mul_f32 v[60:61], v[58:59], v[56:57] op_sel:[1,1] op_sel_hi:[0,1]
	s_delay_alu instid0(VALU_DEP_1) | instskip(SKIP_1) | instid1(VALU_DEP_2)
	v_pk_fma_f32 v[62:63], v[58:59], v[56:57], v[60:61] op_sel_hi:[1,0,1]
	v_pk_fma_f32 v[56:57], v[58:59], v[56:57], v[60:61] neg_lo:[0,0,1] neg_hi:[0,0,1]
	v_mov_b32_e32 v57, v63
	s_cbranch_execz .LBB89_109
	s_branch .LBB89_110
.LBB89_108:
                                        ; implicit-def: $vgpr56_vgpr57
.LBB89_109:
	ds_load_b64 v[56:57], v1
.LBB89_110:
	s_and_saveexec_b32 s21, s1
	s_cbranch_execz .LBB89_114
; %bb.111:
	v_add_nc_u32_e32 v58, -15, v0
	s_movk_i32 s22, 0x148
	s_mov_b32 s1, 0
.LBB89_112:                             ; =>This Inner Loop Header: Depth=1
	scratch_load_b64 v[60:61], off, s19
	v_dual_mov_b32 v59, s22 :: v_dual_add_nc_u32 v58, -1, v58
	s_add_co_i32 s22, s22, 8
	s_wait_xcnt 0x0
	s_add_co_i32 s19, s19, 8
	ds_load_b64 v[62:63], v59
	v_cmp_eq_u32_e32 vcc_lo, 0, v58
	s_or_b32 s1, vcc_lo, s1
	s_wait_loadcnt_dscnt 0x0
	v_pk_mul_f32 v[64:65], v[62:63], v[60:61] op_sel:[1,1] op_sel_hi:[0,1]
	s_delay_alu instid0(VALU_DEP_1) | instskip(SKIP_1) | instid1(VALU_DEP_2)
	v_pk_fma_f32 v[66:67], v[62:63], v[60:61], v[64:65] op_sel_hi:[1,0,1]
	v_pk_fma_f32 v[60:61], v[62:63], v[60:61], v[64:65] neg_lo:[0,0,1] neg_hi:[0,0,1]
	v_mov_b32_e32 v61, v67
	s_delay_alu instid0(VALU_DEP_1)
	v_pk_add_f32 v[56:57], v[56:57], v[60:61]
	s_and_not1_b32 exec_lo, exec_lo, s1
	s_cbranch_execnz .LBB89_112
; %bb.113:
	s_or_b32 exec_lo, exec_lo, s1
.LBB89_114:
	s_delay_alu instid0(SALU_CYCLE_1) | instskip(SKIP_4) | instid1(VALU_DEP_1)
	s_or_b32 exec_lo, exec_lo, s21
	v_mov_b32_e32 v58, 0
	ds_load_b64 v[58:59], v58 offset:112
	s_wait_dscnt 0x0
	v_pk_mul_f32 v[60:61], v[56:57], v[58:59] op_sel:[1,1] op_sel_hi:[0,1]
	v_pk_fma_f32 v[62:63], v[56:57], v[58:59], v[60:61] op_sel_hi:[1,0,1]
	v_pk_fma_f32 v[56:57], v[56:57], v[58:59], v[60:61] neg_lo:[0,0,1] neg_hi:[0,0,1]
	s_delay_alu instid0(VALU_DEP_2)
	v_mov_b32_e32 v57, v63
	scratch_store_b64 off, v[56:57], off offset:112
.LBB89_115:
	s_wait_xcnt 0x0
	s_or_b32 exec_lo, exec_lo, s20
	scratch_load_b64 v[56:57], off, off offset:104
	v_cmp_lt_u32_e64 s1, 13, v0
	s_wait_loadcnt 0x0
	ds_store_b64 v1, v[56:57]
	s_wait_storecnt_dscnt 0x0
	s_barrier_signal -1
	s_barrier_wait -1
	s_wait_xcnt 0x0
	s_and_saveexec_b32 s19, s1
	s_cbranch_execz .LBB89_125
; %bb.116:
	s_and_not1_b32 vcc_lo, exec_lo, s3
	s_cbranch_vccnz .LBB89_118
; %bb.117:
	scratch_load_b64 v[56:57], v55, off
	ds_load_b64 v[58:59], v1
	s_wait_loadcnt_dscnt 0x0
	v_pk_mul_f32 v[60:61], v[58:59], v[56:57] op_sel:[1,1] op_sel_hi:[0,1]
	s_delay_alu instid0(VALU_DEP_1) | instskip(SKIP_1) | instid1(VALU_DEP_2)
	v_pk_fma_f32 v[62:63], v[58:59], v[56:57], v[60:61] op_sel_hi:[1,0,1]
	v_pk_fma_f32 v[56:57], v[58:59], v[56:57], v[60:61] neg_lo:[0,0,1] neg_hi:[0,0,1]
	v_mov_b32_e32 v57, v63
	s_cbranch_execz .LBB89_119
	s_branch .LBB89_120
.LBB89_118:
                                        ; implicit-def: $vgpr56_vgpr57
.LBB89_119:
	ds_load_b64 v[56:57], v1
.LBB89_120:
	s_and_saveexec_b32 s20, s0
	s_cbranch_execz .LBB89_124
; %bb.121:
	v_add_nc_u32_e32 v58, -14, v0
	s_movk_i32 s21, 0x140
	s_mov_b32 s0, 0
.LBB89_122:                             ; =>This Inner Loop Header: Depth=1
	scratch_load_b64 v[60:61], off, s18
	v_dual_mov_b32 v59, s21 :: v_dual_add_nc_u32 v58, -1, v58
	s_add_co_i32 s21, s21, 8
	s_wait_xcnt 0x0
	s_add_co_i32 s18, s18, 8
	ds_load_b64 v[62:63], v59
	v_cmp_eq_u32_e32 vcc_lo, 0, v58
	s_or_b32 s0, vcc_lo, s0
	s_wait_loadcnt_dscnt 0x0
	v_pk_mul_f32 v[64:65], v[62:63], v[60:61] op_sel:[1,1] op_sel_hi:[0,1]
	s_delay_alu instid0(VALU_DEP_1) | instskip(SKIP_1) | instid1(VALU_DEP_2)
	v_pk_fma_f32 v[66:67], v[62:63], v[60:61], v[64:65] op_sel_hi:[1,0,1]
	v_pk_fma_f32 v[60:61], v[62:63], v[60:61], v[64:65] neg_lo:[0,0,1] neg_hi:[0,0,1]
	v_mov_b32_e32 v61, v67
	s_delay_alu instid0(VALU_DEP_1)
	v_pk_add_f32 v[56:57], v[56:57], v[60:61]
	s_and_not1_b32 exec_lo, exec_lo, s0
	s_cbranch_execnz .LBB89_122
; %bb.123:
	s_or_b32 exec_lo, exec_lo, s0
.LBB89_124:
	s_delay_alu instid0(SALU_CYCLE_1) | instskip(SKIP_4) | instid1(VALU_DEP_1)
	s_or_b32 exec_lo, exec_lo, s20
	v_mov_b32_e32 v58, 0
	ds_load_b64 v[58:59], v58 offset:104
	s_wait_dscnt 0x0
	v_pk_mul_f32 v[60:61], v[56:57], v[58:59] op_sel:[1,1] op_sel_hi:[0,1]
	v_pk_fma_f32 v[62:63], v[56:57], v[58:59], v[60:61] op_sel_hi:[1,0,1]
	v_pk_fma_f32 v[56:57], v[56:57], v[58:59], v[60:61] neg_lo:[0,0,1] neg_hi:[0,0,1]
	s_delay_alu instid0(VALU_DEP_2)
	v_mov_b32_e32 v57, v63
	scratch_store_b64 off, v[56:57], off offset:104
.LBB89_125:
	s_wait_xcnt 0x0
	s_or_b32 exec_lo, exec_lo, s19
	scratch_load_b64 v[56:57], off, off offset:96
	v_cmp_lt_u32_e64 s0, 12, v0
	s_wait_loadcnt 0x0
	ds_store_b64 v1, v[56:57]
	s_wait_storecnt_dscnt 0x0
	s_barrier_signal -1
	s_barrier_wait -1
	s_wait_xcnt 0x0
	s_and_saveexec_b32 s18, s0
	s_cbranch_execz .LBB89_135
; %bb.126:
	s_and_not1_b32 vcc_lo, exec_lo, s3
	s_cbranch_vccnz .LBB89_128
; %bb.127:
	scratch_load_b64 v[56:57], v55, off
	ds_load_b64 v[58:59], v1
	s_wait_loadcnt_dscnt 0x0
	v_pk_mul_f32 v[60:61], v[58:59], v[56:57] op_sel:[1,1] op_sel_hi:[0,1]
	s_delay_alu instid0(VALU_DEP_1) | instskip(SKIP_1) | instid1(VALU_DEP_2)
	v_pk_fma_f32 v[62:63], v[58:59], v[56:57], v[60:61] op_sel_hi:[1,0,1]
	v_pk_fma_f32 v[56:57], v[58:59], v[56:57], v[60:61] neg_lo:[0,0,1] neg_hi:[0,0,1]
	v_mov_b32_e32 v57, v63
	s_cbranch_execz .LBB89_129
	s_branch .LBB89_130
.LBB89_128:
                                        ; implicit-def: $vgpr56_vgpr57
.LBB89_129:
	ds_load_b64 v[56:57], v1
.LBB89_130:
	s_and_saveexec_b32 s19, s1
	s_cbranch_execz .LBB89_134
; %bb.131:
	v_add_nc_u32_e32 v58, -13, v0
	s_movk_i32 s20, 0x138
	s_mov_b32 s1, 0
.LBB89_132:                             ; =>This Inner Loop Header: Depth=1
	scratch_load_b64 v[60:61], off, s17
	v_dual_mov_b32 v59, s20 :: v_dual_add_nc_u32 v58, -1, v58
	s_add_co_i32 s20, s20, 8
	s_wait_xcnt 0x0
	s_add_co_i32 s17, s17, 8
	ds_load_b64 v[62:63], v59
	v_cmp_eq_u32_e32 vcc_lo, 0, v58
	s_or_b32 s1, vcc_lo, s1
	s_wait_loadcnt_dscnt 0x0
	v_pk_mul_f32 v[64:65], v[62:63], v[60:61] op_sel:[1,1] op_sel_hi:[0,1]
	s_delay_alu instid0(VALU_DEP_1) | instskip(SKIP_1) | instid1(VALU_DEP_2)
	v_pk_fma_f32 v[66:67], v[62:63], v[60:61], v[64:65] op_sel_hi:[1,0,1]
	v_pk_fma_f32 v[60:61], v[62:63], v[60:61], v[64:65] neg_lo:[0,0,1] neg_hi:[0,0,1]
	v_mov_b32_e32 v61, v67
	s_delay_alu instid0(VALU_DEP_1)
	v_pk_add_f32 v[56:57], v[56:57], v[60:61]
	s_and_not1_b32 exec_lo, exec_lo, s1
	s_cbranch_execnz .LBB89_132
; %bb.133:
	s_or_b32 exec_lo, exec_lo, s1
.LBB89_134:
	s_delay_alu instid0(SALU_CYCLE_1) | instskip(SKIP_4) | instid1(VALU_DEP_1)
	s_or_b32 exec_lo, exec_lo, s19
	v_mov_b32_e32 v58, 0
	ds_load_b64 v[58:59], v58 offset:96
	s_wait_dscnt 0x0
	v_pk_mul_f32 v[60:61], v[56:57], v[58:59] op_sel:[1,1] op_sel_hi:[0,1]
	v_pk_fma_f32 v[62:63], v[56:57], v[58:59], v[60:61] op_sel_hi:[1,0,1]
	v_pk_fma_f32 v[56:57], v[56:57], v[58:59], v[60:61] neg_lo:[0,0,1] neg_hi:[0,0,1]
	s_delay_alu instid0(VALU_DEP_2)
	v_mov_b32_e32 v57, v63
	scratch_store_b64 off, v[56:57], off offset:96
.LBB89_135:
	s_wait_xcnt 0x0
	s_or_b32 exec_lo, exec_lo, s18
	scratch_load_b64 v[56:57], off, off offset:88
	v_cmp_lt_u32_e64 s1, 11, v0
	s_wait_loadcnt 0x0
	ds_store_b64 v1, v[56:57]
	s_wait_storecnt_dscnt 0x0
	s_barrier_signal -1
	s_barrier_wait -1
	s_wait_xcnt 0x0
	s_and_saveexec_b32 s17, s1
	s_cbranch_execz .LBB89_145
; %bb.136:
	s_and_not1_b32 vcc_lo, exec_lo, s3
	s_cbranch_vccnz .LBB89_138
; %bb.137:
	scratch_load_b64 v[56:57], v55, off
	ds_load_b64 v[58:59], v1
	s_wait_loadcnt_dscnt 0x0
	v_pk_mul_f32 v[60:61], v[58:59], v[56:57] op_sel:[1,1] op_sel_hi:[0,1]
	s_delay_alu instid0(VALU_DEP_1) | instskip(SKIP_1) | instid1(VALU_DEP_2)
	v_pk_fma_f32 v[62:63], v[58:59], v[56:57], v[60:61] op_sel_hi:[1,0,1]
	v_pk_fma_f32 v[56:57], v[58:59], v[56:57], v[60:61] neg_lo:[0,0,1] neg_hi:[0,0,1]
	v_mov_b32_e32 v57, v63
	s_cbranch_execz .LBB89_139
	s_branch .LBB89_140
.LBB89_138:
                                        ; implicit-def: $vgpr56_vgpr57
.LBB89_139:
	ds_load_b64 v[56:57], v1
.LBB89_140:
	s_and_saveexec_b32 s18, s0
	s_cbranch_execz .LBB89_144
; %bb.141:
	v_add_nc_u32_e32 v58, -12, v0
	s_movk_i32 s19, 0x130
	s_mov_b32 s0, 0
.LBB89_142:                             ; =>This Inner Loop Header: Depth=1
	scratch_load_b64 v[60:61], off, s16
	v_dual_mov_b32 v59, s19 :: v_dual_add_nc_u32 v58, -1, v58
	s_add_co_i32 s19, s19, 8
	s_wait_xcnt 0x0
	s_add_co_i32 s16, s16, 8
	ds_load_b64 v[62:63], v59
	v_cmp_eq_u32_e32 vcc_lo, 0, v58
	s_or_b32 s0, vcc_lo, s0
	s_wait_loadcnt_dscnt 0x0
	v_pk_mul_f32 v[64:65], v[62:63], v[60:61] op_sel:[1,1] op_sel_hi:[0,1]
	s_delay_alu instid0(VALU_DEP_1) | instskip(SKIP_1) | instid1(VALU_DEP_2)
	v_pk_fma_f32 v[66:67], v[62:63], v[60:61], v[64:65] op_sel_hi:[1,0,1]
	v_pk_fma_f32 v[60:61], v[62:63], v[60:61], v[64:65] neg_lo:[0,0,1] neg_hi:[0,0,1]
	v_mov_b32_e32 v61, v67
	s_delay_alu instid0(VALU_DEP_1)
	v_pk_add_f32 v[56:57], v[56:57], v[60:61]
	s_and_not1_b32 exec_lo, exec_lo, s0
	s_cbranch_execnz .LBB89_142
; %bb.143:
	s_or_b32 exec_lo, exec_lo, s0
.LBB89_144:
	s_delay_alu instid0(SALU_CYCLE_1) | instskip(SKIP_4) | instid1(VALU_DEP_1)
	s_or_b32 exec_lo, exec_lo, s18
	v_mov_b32_e32 v58, 0
	ds_load_b64 v[58:59], v58 offset:88
	s_wait_dscnt 0x0
	v_pk_mul_f32 v[60:61], v[56:57], v[58:59] op_sel:[1,1] op_sel_hi:[0,1]
	v_pk_fma_f32 v[62:63], v[56:57], v[58:59], v[60:61] op_sel_hi:[1,0,1]
	v_pk_fma_f32 v[56:57], v[56:57], v[58:59], v[60:61] neg_lo:[0,0,1] neg_hi:[0,0,1]
	s_delay_alu instid0(VALU_DEP_2)
	v_mov_b32_e32 v57, v63
	scratch_store_b64 off, v[56:57], off offset:88
.LBB89_145:
	s_wait_xcnt 0x0
	s_or_b32 exec_lo, exec_lo, s17
	scratch_load_b64 v[56:57], off, off offset:80
	v_cmp_lt_u32_e64 s0, 10, v0
	s_wait_loadcnt 0x0
	ds_store_b64 v1, v[56:57]
	s_wait_storecnt_dscnt 0x0
	s_barrier_signal -1
	s_barrier_wait -1
	s_wait_xcnt 0x0
	s_and_saveexec_b32 s16, s0
	s_cbranch_execz .LBB89_155
; %bb.146:
	s_and_not1_b32 vcc_lo, exec_lo, s3
	s_cbranch_vccnz .LBB89_148
; %bb.147:
	scratch_load_b64 v[56:57], v55, off
	ds_load_b64 v[58:59], v1
	s_wait_loadcnt_dscnt 0x0
	v_pk_mul_f32 v[60:61], v[58:59], v[56:57] op_sel:[1,1] op_sel_hi:[0,1]
	s_delay_alu instid0(VALU_DEP_1) | instskip(SKIP_1) | instid1(VALU_DEP_2)
	v_pk_fma_f32 v[62:63], v[58:59], v[56:57], v[60:61] op_sel_hi:[1,0,1]
	v_pk_fma_f32 v[56:57], v[58:59], v[56:57], v[60:61] neg_lo:[0,0,1] neg_hi:[0,0,1]
	v_mov_b32_e32 v57, v63
	s_cbranch_execz .LBB89_149
	s_branch .LBB89_150
.LBB89_148:
                                        ; implicit-def: $vgpr56_vgpr57
.LBB89_149:
	ds_load_b64 v[56:57], v1
.LBB89_150:
	s_and_saveexec_b32 s17, s1
	s_cbranch_execz .LBB89_154
; %bb.151:
	v_add_nc_u32_e32 v58, -11, v0
	s_movk_i32 s18, 0x128
	s_mov_b32 s1, 0
.LBB89_152:                             ; =>This Inner Loop Header: Depth=1
	scratch_load_b64 v[60:61], off, s15
	v_dual_mov_b32 v59, s18 :: v_dual_add_nc_u32 v58, -1, v58
	s_add_co_i32 s18, s18, 8
	s_wait_xcnt 0x0
	s_add_co_i32 s15, s15, 8
	ds_load_b64 v[62:63], v59
	v_cmp_eq_u32_e32 vcc_lo, 0, v58
	s_or_b32 s1, vcc_lo, s1
	s_wait_loadcnt_dscnt 0x0
	v_pk_mul_f32 v[64:65], v[62:63], v[60:61] op_sel:[1,1] op_sel_hi:[0,1]
	s_delay_alu instid0(VALU_DEP_1) | instskip(SKIP_1) | instid1(VALU_DEP_2)
	v_pk_fma_f32 v[66:67], v[62:63], v[60:61], v[64:65] op_sel_hi:[1,0,1]
	v_pk_fma_f32 v[60:61], v[62:63], v[60:61], v[64:65] neg_lo:[0,0,1] neg_hi:[0,0,1]
	v_mov_b32_e32 v61, v67
	s_delay_alu instid0(VALU_DEP_1)
	v_pk_add_f32 v[56:57], v[56:57], v[60:61]
	s_and_not1_b32 exec_lo, exec_lo, s1
	s_cbranch_execnz .LBB89_152
; %bb.153:
	s_or_b32 exec_lo, exec_lo, s1
.LBB89_154:
	s_delay_alu instid0(SALU_CYCLE_1) | instskip(SKIP_4) | instid1(VALU_DEP_1)
	s_or_b32 exec_lo, exec_lo, s17
	v_mov_b32_e32 v58, 0
	ds_load_b64 v[58:59], v58 offset:80
	s_wait_dscnt 0x0
	v_pk_mul_f32 v[60:61], v[56:57], v[58:59] op_sel:[1,1] op_sel_hi:[0,1]
	v_pk_fma_f32 v[62:63], v[56:57], v[58:59], v[60:61] op_sel_hi:[1,0,1]
	v_pk_fma_f32 v[56:57], v[56:57], v[58:59], v[60:61] neg_lo:[0,0,1] neg_hi:[0,0,1]
	s_delay_alu instid0(VALU_DEP_2)
	v_mov_b32_e32 v57, v63
	scratch_store_b64 off, v[56:57], off offset:80
.LBB89_155:
	s_wait_xcnt 0x0
	s_or_b32 exec_lo, exec_lo, s16
	scratch_load_b64 v[56:57], off, off offset:72
	v_cmp_lt_u32_e64 s1, 9, v0
	s_wait_loadcnt 0x0
	ds_store_b64 v1, v[56:57]
	s_wait_storecnt_dscnt 0x0
	s_barrier_signal -1
	s_barrier_wait -1
	s_wait_xcnt 0x0
	s_and_saveexec_b32 s15, s1
	s_cbranch_execz .LBB89_165
; %bb.156:
	s_and_not1_b32 vcc_lo, exec_lo, s3
	s_cbranch_vccnz .LBB89_158
; %bb.157:
	scratch_load_b64 v[56:57], v55, off
	ds_load_b64 v[58:59], v1
	s_wait_loadcnt_dscnt 0x0
	v_pk_mul_f32 v[60:61], v[58:59], v[56:57] op_sel:[1,1] op_sel_hi:[0,1]
	s_delay_alu instid0(VALU_DEP_1) | instskip(SKIP_1) | instid1(VALU_DEP_2)
	v_pk_fma_f32 v[62:63], v[58:59], v[56:57], v[60:61] op_sel_hi:[1,0,1]
	v_pk_fma_f32 v[56:57], v[58:59], v[56:57], v[60:61] neg_lo:[0,0,1] neg_hi:[0,0,1]
	v_mov_b32_e32 v57, v63
	s_cbranch_execz .LBB89_159
	s_branch .LBB89_160
.LBB89_158:
                                        ; implicit-def: $vgpr56_vgpr57
.LBB89_159:
	ds_load_b64 v[56:57], v1
.LBB89_160:
	s_and_saveexec_b32 s16, s0
	s_cbranch_execz .LBB89_164
; %bb.161:
	v_add_nc_u32_e32 v58, -10, v0
	s_movk_i32 s17, 0x120
	s_mov_b32 s0, 0
.LBB89_162:                             ; =>This Inner Loop Header: Depth=1
	scratch_load_b64 v[60:61], off, s14
	v_dual_mov_b32 v59, s17 :: v_dual_add_nc_u32 v58, -1, v58
	s_add_co_i32 s17, s17, 8
	s_wait_xcnt 0x0
	s_add_co_i32 s14, s14, 8
	ds_load_b64 v[62:63], v59
	v_cmp_eq_u32_e32 vcc_lo, 0, v58
	s_or_b32 s0, vcc_lo, s0
	s_wait_loadcnt_dscnt 0x0
	v_pk_mul_f32 v[64:65], v[62:63], v[60:61] op_sel:[1,1] op_sel_hi:[0,1]
	s_delay_alu instid0(VALU_DEP_1) | instskip(SKIP_1) | instid1(VALU_DEP_2)
	v_pk_fma_f32 v[66:67], v[62:63], v[60:61], v[64:65] op_sel_hi:[1,0,1]
	v_pk_fma_f32 v[60:61], v[62:63], v[60:61], v[64:65] neg_lo:[0,0,1] neg_hi:[0,0,1]
	v_mov_b32_e32 v61, v67
	s_delay_alu instid0(VALU_DEP_1)
	v_pk_add_f32 v[56:57], v[56:57], v[60:61]
	s_and_not1_b32 exec_lo, exec_lo, s0
	s_cbranch_execnz .LBB89_162
; %bb.163:
	s_or_b32 exec_lo, exec_lo, s0
.LBB89_164:
	s_delay_alu instid0(SALU_CYCLE_1) | instskip(SKIP_4) | instid1(VALU_DEP_1)
	s_or_b32 exec_lo, exec_lo, s16
	v_mov_b32_e32 v58, 0
	ds_load_b64 v[58:59], v58 offset:72
	s_wait_dscnt 0x0
	v_pk_mul_f32 v[60:61], v[56:57], v[58:59] op_sel:[1,1] op_sel_hi:[0,1]
	v_pk_fma_f32 v[62:63], v[56:57], v[58:59], v[60:61] op_sel_hi:[1,0,1]
	v_pk_fma_f32 v[56:57], v[56:57], v[58:59], v[60:61] neg_lo:[0,0,1] neg_hi:[0,0,1]
	s_delay_alu instid0(VALU_DEP_2)
	v_mov_b32_e32 v57, v63
	scratch_store_b64 off, v[56:57], off offset:72
.LBB89_165:
	s_wait_xcnt 0x0
	s_or_b32 exec_lo, exec_lo, s15
	scratch_load_b64 v[56:57], off, off offset:64
	v_cmp_lt_u32_e64 s0, 8, v0
	s_wait_loadcnt 0x0
	ds_store_b64 v1, v[56:57]
	s_wait_storecnt_dscnt 0x0
	s_barrier_signal -1
	s_barrier_wait -1
	s_wait_xcnt 0x0
	s_and_saveexec_b32 s14, s0
	s_cbranch_execz .LBB89_175
; %bb.166:
	s_and_not1_b32 vcc_lo, exec_lo, s3
	s_cbranch_vccnz .LBB89_168
; %bb.167:
	scratch_load_b64 v[56:57], v55, off
	ds_load_b64 v[58:59], v1
	s_wait_loadcnt_dscnt 0x0
	v_pk_mul_f32 v[60:61], v[58:59], v[56:57] op_sel:[1,1] op_sel_hi:[0,1]
	s_delay_alu instid0(VALU_DEP_1) | instskip(SKIP_1) | instid1(VALU_DEP_2)
	v_pk_fma_f32 v[62:63], v[58:59], v[56:57], v[60:61] op_sel_hi:[1,0,1]
	v_pk_fma_f32 v[56:57], v[58:59], v[56:57], v[60:61] neg_lo:[0,0,1] neg_hi:[0,0,1]
	v_mov_b32_e32 v57, v63
	s_cbranch_execz .LBB89_169
	s_branch .LBB89_170
.LBB89_168:
                                        ; implicit-def: $vgpr56_vgpr57
.LBB89_169:
	ds_load_b64 v[56:57], v1
.LBB89_170:
	s_and_saveexec_b32 s15, s1
	s_cbranch_execz .LBB89_174
; %bb.171:
	v_add_nc_u32_e32 v58, -9, v0
	s_movk_i32 s16, 0x118
	s_mov_b32 s1, 0
.LBB89_172:                             ; =>This Inner Loop Header: Depth=1
	scratch_load_b64 v[60:61], off, s13
	v_dual_mov_b32 v59, s16 :: v_dual_add_nc_u32 v58, -1, v58
	s_add_co_i32 s16, s16, 8
	s_wait_xcnt 0x0
	s_add_co_i32 s13, s13, 8
	ds_load_b64 v[62:63], v59
	v_cmp_eq_u32_e32 vcc_lo, 0, v58
	s_or_b32 s1, vcc_lo, s1
	s_wait_loadcnt_dscnt 0x0
	v_pk_mul_f32 v[64:65], v[62:63], v[60:61] op_sel:[1,1] op_sel_hi:[0,1]
	s_delay_alu instid0(VALU_DEP_1) | instskip(SKIP_1) | instid1(VALU_DEP_2)
	v_pk_fma_f32 v[66:67], v[62:63], v[60:61], v[64:65] op_sel_hi:[1,0,1]
	v_pk_fma_f32 v[60:61], v[62:63], v[60:61], v[64:65] neg_lo:[0,0,1] neg_hi:[0,0,1]
	v_mov_b32_e32 v61, v67
	s_delay_alu instid0(VALU_DEP_1)
	v_pk_add_f32 v[56:57], v[56:57], v[60:61]
	s_and_not1_b32 exec_lo, exec_lo, s1
	s_cbranch_execnz .LBB89_172
; %bb.173:
	s_or_b32 exec_lo, exec_lo, s1
.LBB89_174:
	s_delay_alu instid0(SALU_CYCLE_1) | instskip(SKIP_4) | instid1(VALU_DEP_1)
	s_or_b32 exec_lo, exec_lo, s15
	v_mov_b32_e32 v58, 0
	ds_load_b64 v[58:59], v58 offset:64
	s_wait_dscnt 0x0
	v_pk_mul_f32 v[60:61], v[56:57], v[58:59] op_sel:[1,1] op_sel_hi:[0,1]
	v_pk_fma_f32 v[62:63], v[56:57], v[58:59], v[60:61] op_sel_hi:[1,0,1]
	v_pk_fma_f32 v[56:57], v[56:57], v[58:59], v[60:61] neg_lo:[0,0,1] neg_hi:[0,0,1]
	s_delay_alu instid0(VALU_DEP_2)
	v_mov_b32_e32 v57, v63
	scratch_store_b64 off, v[56:57], off offset:64
.LBB89_175:
	s_wait_xcnt 0x0
	s_or_b32 exec_lo, exec_lo, s14
	scratch_load_b64 v[56:57], off, off offset:56
	v_cmp_lt_u32_e64 s1, 7, v0
	s_wait_loadcnt 0x0
	ds_store_b64 v1, v[56:57]
	s_wait_storecnt_dscnt 0x0
	s_barrier_signal -1
	s_barrier_wait -1
	s_wait_xcnt 0x0
	s_and_saveexec_b32 s13, s1
	s_cbranch_execz .LBB89_185
; %bb.176:
	s_and_not1_b32 vcc_lo, exec_lo, s3
	s_cbranch_vccnz .LBB89_178
; %bb.177:
	scratch_load_b64 v[56:57], v55, off
	ds_load_b64 v[58:59], v1
	s_wait_loadcnt_dscnt 0x0
	v_pk_mul_f32 v[60:61], v[58:59], v[56:57] op_sel:[1,1] op_sel_hi:[0,1]
	s_delay_alu instid0(VALU_DEP_1) | instskip(SKIP_1) | instid1(VALU_DEP_2)
	v_pk_fma_f32 v[62:63], v[58:59], v[56:57], v[60:61] op_sel_hi:[1,0,1]
	v_pk_fma_f32 v[56:57], v[58:59], v[56:57], v[60:61] neg_lo:[0,0,1] neg_hi:[0,0,1]
	v_mov_b32_e32 v57, v63
	s_cbranch_execz .LBB89_179
	s_branch .LBB89_180
.LBB89_178:
                                        ; implicit-def: $vgpr56_vgpr57
.LBB89_179:
	ds_load_b64 v[56:57], v1
.LBB89_180:
	s_and_saveexec_b32 s14, s0
	s_cbranch_execz .LBB89_184
; %bb.181:
	v_add_nc_u32_e32 v58, -8, v0
	s_movk_i32 s15, 0x110
	s_mov_b32 s0, 0
.LBB89_182:                             ; =>This Inner Loop Header: Depth=1
	scratch_load_b64 v[60:61], off, s12
	v_dual_mov_b32 v59, s15 :: v_dual_add_nc_u32 v58, -1, v58
	s_add_co_i32 s15, s15, 8
	s_wait_xcnt 0x0
	s_add_co_i32 s12, s12, 8
	ds_load_b64 v[62:63], v59
	v_cmp_eq_u32_e32 vcc_lo, 0, v58
	s_or_b32 s0, vcc_lo, s0
	s_wait_loadcnt_dscnt 0x0
	v_pk_mul_f32 v[64:65], v[62:63], v[60:61] op_sel:[1,1] op_sel_hi:[0,1]
	s_delay_alu instid0(VALU_DEP_1) | instskip(SKIP_1) | instid1(VALU_DEP_2)
	v_pk_fma_f32 v[66:67], v[62:63], v[60:61], v[64:65] op_sel_hi:[1,0,1]
	v_pk_fma_f32 v[60:61], v[62:63], v[60:61], v[64:65] neg_lo:[0,0,1] neg_hi:[0,0,1]
	v_mov_b32_e32 v61, v67
	s_delay_alu instid0(VALU_DEP_1)
	v_pk_add_f32 v[56:57], v[56:57], v[60:61]
	s_and_not1_b32 exec_lo, exec_lo, s0
	s_cbranch_execnz .LBB89_182
; %bb.183:
	s_or_b32 exec_lo, exec_lo, s0
.LBB89_184:
	s_delay_alu instid0(SALU_CYCLE_1) | instskip(SKIP_4) | instid1(VALU_DEP_1)
	s_or_b32 exec_lo, exec_lo, s14
	v_mov_b32_e32 v58, 0
	ds_load_b64 v[58:59], v58 offset:56
	s_wait_dscnt 0x0
	v_pk_mul_f32 v[60:61], v[56:57], v[58:59] op_sel:[1,1] op_sel_hi:[0,1]
	v_pk_fma_f32 v[62:63], v[56:57], v[58:59], v[60:61] op_sel_hi:[1,0,1]
	v_pk_fma_f32 v[56:57], v[56:57], v[58:59], v[60:61] neg_lo:[0,0,1] neg_hi:[0,0,1]
	s_delay_alu instid0(VALU_DEP_2)
	v_mov_b32_e32 v57, v63
	scratch_store_b64 off, v[56:57], off offset:56
.LBB89_185:
	s_wait_xcnt 0x0
	s_or_b32 exec_lo, exec_lo, s13
	scratch_load_b64 v[56:57], off, off offset:48
	v_cmp_lt_u32_e64 s0, 6, v0
	s_wait_loadcnt 0x0
	ds_store_b64 v1, v[56:57]
	s_wait_storecnt_dscnt 0x0
	s_barrier_signal -1
	s_barrier_wait -1
	s_wait_xcnt 0x0
	s_and_saveexec_b32 s12, s0
	s_cbranch_execz .LBB89_195
; %bb.186:
	s_and_not1_b32 vcc_lo, exec_lo, s3
	s_cbranch_vccnz .LBB89_188
; %bb.187:
	scratch_load_b64 v[56:57], v55, off
	ds_load_b64 v[58:59], v1
	s_wait_loadcnt_dscnt 0x0
	v_pk_mul_f32 v[60:61], v[58:59], v[56:57] op_sel:[1,1] op_sel_hi:[0,1]
	s_delay_alu instid0(VALU_DEP_1) | instskip(SKIP_1) | instid1(VALU_DEP_2)
	v_pk_fma_f32 v[62:63], v[58:59], v[56:57], v[60:61] op_sel_hi:[1,0,1]
	v_pk_fma_f32 v[56:57], v[58:59], v[56:57], v[60:61] neg_lo:[0,0,1] neg_hi:[0,0,1]
	v_mov_b32_e32 v57, v63
	s_cbranch_execz .LBB89_189
	s_branch .LBB89_190
.LBB89_188:
                                        ; implicit-def: $vgpr56_vgpr57
.LBB89_189:
	ds_load_b64 v[56:57], v1
.LBB89_190:
	s_and_saveexec_b32 s13, s1
	s_cbranch_execz .LBB89_194
; %bb.191:
	v_add_nc_u32_e32 v58, -7, v0
	s_movk_i32 s14, 0x108
	s_mov_b32 s1, 0
.LBB89_192:                             ; =>This Inner Loop Header: Depth=1
	scratch_load_b64 v[60:61], off, s11
	v_dual_mov_b32 v59, s14 :: v_dual_add_nc_u32 v58, -1, v58
	s_add_co_i32 s14, s14, 8
	s_wait_xcnt 0x0
	s_add_co_i32 s11, s11, 8
	ds_load_b64 v[62:63], v59
	v_cmp_eq_u32_e32 vcc_lo, 0, v58
	s_or_b32 s1, vcc_lo, s1
	s_wait_loadcnt_dscnt 0x0
	v_pk_mul_f32 v[64:65], v[62:63], v[60:61] op_sel:[1,1] op_sel_hi:[0,1]
	s_delay_alu instid0(VALU_DEP_1) | instskip(SKIP_1) | instid1(VALU_DEP_2)
	v_pk_fma_f32 v[66:67], v[62:63], v[60:61], v[64:65] op_sel_hi:[1,0,1]
	v_pk_fma_f32 v[60:61], v[62:63], v[60:61], v[64:65] neg_lo:[0,0,1] neg_hi:[0,0,1]
	v_mov_b32_e32 v61, v67
	s_delay_alu instid0(VALU_DEP_1)
	v_pk_add_f32 v[56:57], v[56:57], v[60:61]
	s_and_not1_b32 exec_lo, exec_lo, s1
	s_cbranch_execnz .LBB89_192
; %bb.193:
	s_or_b32 exec_lo, exec_lo, s1
.LBB89_194:
	s_delay_alu instid0(SALU_CYCLE_1) | instskip(SKIP_4) | instid1(VALU_DEP_1)
	s_or_b32 exec_lo, exec_lo, s13
	v_mov_b32_e32 v58, 0
	ds_load_b64 v[58:59], v58 offset:48
	s_wait_dscnt 0x0
	v_pk_mul_f32 v[60:61], v[56:57], v[58:59] op_sel:[1,1] op_sel_hi:[0,1]
	v_pk_fma_f32 v[62:63], v[56:57], v[58:59], v[60:61] op_sel_hi:[1,0,1]
	v_pk_fma_f32 v[56:57], v[56:57], v[58:59], v[60:61] neg_lo:[0,0,1] neg_hi:[0,0,1]
	s_delay_alu instid0(VALU_DEP_2)
	v_mov_b32_e32 v57, v63
	scratch_store_b64 off, v[56:57], off offset:48
.LBB89_195:
	s_wait_xcnt 0x0
	s_or_b32 exec_lo, exec_lo, s12
	scratch_load_b64 v[56:57], off, off offset:40
	v_cmp_lt_u32_e64 s1, 5, v0
	s_wait_loadcnt 0x0
	ds_store_b64 v1, v[56:57]
	s_wait_storecnt_dscnt 0x0
	s_barrier_signal -1
	s_barrier_wait -1
	s_wait_xcnt 0x0
	s_and_saveexec_b32 s11, s1
	s_cbranch_execz .LBB89_205
; %bb.196:
	s_and_not1_b32 vcc_lo, exec_lo, s3
	s_cbranch_vccnz .LBB89_198
; %bb.197:
	scratch_load_b64 v[56:57], v55, off
	ds_load_b64 v[58:59], v1
	s_wait_loadcnt_dscnt 0x0
	v_pk_mul_f32 v[60:61], v[58:59], v[56:57] op_sel:[1,1] op_sel_hi:[0,1]
	s_delay_alu instid0(VALU_DEP_1) | instskip(SKIP_1) | instid1(VALU_DEP_2)
	v_pk_fma_f32 v[62:63], v[58:59], v[56:57], v[60:61] op_sel_hi:[1,0,1]
	v_pk_fma_f32 v[56:57], v[58:59], v[56:57], v[60:61] neg_lo:[0,0,1] neg_hi:[0,0,1]
	v_mov_b32_e32 v57, v63
	s_cbranch_execz .LBB89_199
	s_branch .LBB89_200
.LBB89_198:
                                        ; implicit-def: $vgpr56_vgpr57
.LBB89_199:
	ds_load_b64 v[56:57], v1
.LBB89_200:
	s_and_saveexec_b32 s12, s0
	s_cbranch_execz .LBB89_204
; %bb.201:
	v_add_nc_u32_e32 v58, -6, v0
	s_movk_i32 s13, 0x100
	s_mov_b32 s0, 0
.LBB89_202:                             ; =>This Inner Loop Header: Depth=1
	scratch_load_b64 v[60:61], off, s10
	v_dual_mov_b32 v59, s13 :: v_dual_add_nc_u32 v58, -1, v58
	s_add_co_i32 s13, s13, 8
	s_wait_xcnt 0x0
	s_add_co_i32 s10, s10, 8
	ds_load_b64 v[62:63], v59
	v_cmp_eq_u32_e32 vcc_lo, 0, v58
	s_or_b32 s0, vcc_lo, s0
	s_wait_loadcnt_dscnt 0x0
	v_pk_mul_f32 v[64:65], v[62:63], v[60:61] op_sel:[1,1] op_sel_hi:[0,1]
	s_delay_alu instid0(VALU_DEP_1) | instskip(SKIP_1) | instid1(VALU_DEP_2)
	v_pk_fma_f32 v[66:67], v[62:63], v[60:61], v[64:65] op_sel_hi:[1,0,1]
	v_pk_fma_f32 v[60:61], v[62:63], v[60:61], v[64:65] neg_lo:[0,0,1] neg_hi:[0,0,1]
	v_mov_b32_e32 v61, v67
	s_delay_alu instid0(VALU_DEP_1)
	v_pk_add_f32 v[56:57], v[56:57], v[60:61]
	s_and_not1_b32 exec_lo, exec_lo, s0
	s_cbranch_execnz .LBB89_202
; %bb.203:
	s_or_b32 exec_lo, exec_lo, s0
.LBB89_204:
	s_delay_alu instid0(SALU_CYCLE_1) | instskip(SKIP_4) | instid1(VALU_DEP_1)
	s_or_b32 exec_lo, exec_lo, s12
	v_mov_b32_e32 v58, 0
	ds_load_b64 v[58:59], v58 offset:40
	s_wait_dscnt 0x0
	v_pk_mul_f32 v[60:61], v[56:57], v[58:59] op_sel:[1,1] op_sel_hi:[0,1]
	v_pk_fma_f32 v[62:63], v[56:57], v[58:59], v[60:61] op_sel_hi:[1,0,1]
	v_pk_fma_f32 v[56:57], v[56:57], v[58:59], v[60:61] neg_lo:[0,0,1] neg_hi:[0,0,1]
	s_delay_alu instid0(VALU_DEP_2)
	v_mov_b32_e32 v57, v63
	scratch_store_b64 off, v[56:57], off offset:40
.LBB89_205:
	s_wait_xcnt 0x0
	s_or_b32 exec_lo, exec_lo, s11
	scratch_load_b64 v[56:57], off, off offset:32
	v_cmp_lt_u32_e64 s0, 4, v0
	s_wait_loadcnt 0x0
	ds_store_b64 v1, v[56:57]
	s_wait_storecnt_dscnt 0x0
	s_barrier_signal -1
	s_barrier_wait -1
	s_wait_xcnt 0x0
	s_and_saveexec_b32 s10, s0
	s_cbranch_execz .LBB89_215
; %bb.206:
	s_and_not1_b32 vcc_lo, exec_lo, s3
	s_cbranch_vccnz .LBB89_208
; %bb.207:
	scratch_load_b64 v[56:57], v55, off
	ds_load_b64 v[58:59], v1
	s_wait_loadcnt_dscnt 0x0
	v_pk_mul_f32 v[60:61], v[58:59], v[56:57] op_sel:[1,1] op_sel_hi:[0,1]
	s_delay_alu instid0(VALU_DEP_1) | instskip(SKIP_1) | instid1(VALU_DEP_2)
	v_pk_fma_f32 v[62:63], v[58:59], v[56:57], v[60:61] op_sel_hi:[1,0,1]
	v_pk_fma_f32 v[56:57], v[58:59], v[56:57], v[60:61] neg_lo:[0,0,1] neg_hi:[0,0,1]
	v_mov_b32_e32 v57, v63
	s_cbranch_execz .LBB89_209
	s_branch .LBB89_210
.LBB89_208:
                                        ; implicit-def: $vgpr56_vgpr57
.LBB89_209:
	ds_load_b64 v[56:57], v1
.LBB89_210:
	s_and_saveexec_b32 s11, s1
	s_cbranch_execz .LBB89_214
; %bb.211:
	v_add_nc_u32_e32 v58, -5, v0
	s_movk_i32 s12, 0xf8
	s_mov_b32 s1, 0
.LBB89_212:                             ; =>This Inner Loop Header: Depth=1
	scratch_load_b64 v[60:61], off, s9
	v_dual_mov_b32 v59, s12 :: v_dual_add_nc_u32 v58, -1, v58
	s_add_co_i32 s12, s12, 8
	s_wait_xcnt 0x0
	s_add_co_i32 s9, s9, 8
	ds_load_b64 v[62:63], v59
	v_cmp_eq_u32_e32 vcc_lo, 0, v58
	s_or_b32 s1, vcc_lo, s1
	s_wait_loadcnt_dscnt 0x0
	v_pk_mul_f32 v[64:65], v[62:63], v[60:61] op_sel:[1,1] op_sel_hi:[0,1]
	s_delay_alu instid0(VALU_DEP_1) | instskip(SKIP_1) | instid1(VALU_DEP_2)
	v_pk_fma_f32 v[66:67], v[62:63], v[60:61], v[64:65] op_sel_hi:[1,0,1]
	v_pk_fma_f32 v[60:61], v[62:63], v[60:61], v[64:65] neg_lo:[0,0,1] neg_hi:[0,0,1]
	v_mov_b32_e32 v61, v67
	s_delay_alu instid0(VALU_DEP_1)
	v_pk_add_f32 v[56:57], v[56:57], v[60:61]
	s_and_not1_b32 exec_lo, exec_lo, s1
	s_cbranch_execnz .LBB89_212
; %bb.213:
	s_or_b32 exec_lo, exec_lo, s1
.LBB89_214:
	s_delay_alu instid0(SALU_CYCLE_1) | instskip(SKIP_4) | instid1(VALU_DEP_1)
	s_or_b32 exec_lo, exec_lo, s11
	v_mov_b32_e32 v58, 0
	ds_load_b64 v[58:59], v58 offset:32
	s_wait_dscnt 0x0
	v_pk_mul_f32 v[60:61], v[56:57], v[58:59] op_sel:[1,1] op_sel_hi:[0,1]
	v_pk_fma_f32 v[62:63], v[56:57], v[58:59], v[60:61] op_sel_hi:[1,0,1]
	v_pk_fma_f32 v[56:57], v[56:57], v[58:59], v[60:61] neg_lo:[0,0,1] neg_hi:[0,0,1]
	s_delay_alu instid0(VALU_DEP_2)
	v_mov_b32_e32 v57, v63
	scratch_store_b64 off, v[56:57], off offset:32
.LBB89_215:
	s_wait_xcnt 0x0
	s_or_b32 exec_lo, exec_lo, s10
	scratch_load_b64 v[56:57], off, off offset:24
	v_cmp_lt_u32_e64 s1, 3, v0
	s_wait_loadcnt 0x0
	ds_store_b64 v1, v[56:57]
	s_wait_storecnt_dscnt 0x0
	s_barrier_signal -1
	s_barrier_wait -1
	s_wait_xcnt 0x0
	s_and_saveexec_b32 s9, s1
	s_cbranch_execz .LBB89_225
; %bb.216:
	s_and_not1_b32 vcc_lo, exec_lo, s3
	s_cbranch_vccnz .LBB89_218
; %bb.217:
	scratch_load_b64 v[56:57], v55, off
	ds_load_b64 v[58:59], v1
	s_wait_loadcnt_dscnt 0x0
	v_pk_mul_f32 v[60:61], v[58:59], v[56:57] op_sel:[1,1] op_sel_hi:[0,1]
	s_delay_alu instid0(VALU_DEP_1) | instskip(SKIP_1) | instid1(VALU_DEP_2)
	v_pk_fma_f32 v[62:63], v[58:59], v[56:57], v[60:61] op_sel_hi:[1,0,1]
	v_pk_fma_f32 v[56:57], v[58:59], v[56:57], v[60:61] neg_lo:[0,0,1] neg_hi:[0,0,1]
	v_mov_b32_e32 v57, v63
	s_cbranch_execz .LBB89_219
	s_branch .LBB89_220
.LBB89_218:
                                        ; implicit-def: $vgpr56_vgpr57
.LBB89_219:
	ds_load_b64 v[56:57], v1
.LBB89_220:
	s_and_saveexec_b32 s10, s0
	s_cbranch_execz .LBB89_224
; %bb.221:
	v_add_nc_u32_e32 v58, -4, v0
	s_movk_i32 s11, 0xf0
	s_mov_b32 s0, 0
.LBB89_222:                             ; =>This Inner Loop Header: Depth=1
	scratch_load_b64 v[60:61], off, s2
	v_dual_mov_b32 v59, s11 :: v_dual_add_nc_u32 v58, -1, v58
	s_add_co_i32 s11, s11, 8
	s_wait_xcnt 0x0
	s_add_co_i32 s2, s2, 8
	ds_load_b64 v[62:63], v59
	v_cmp_eq_u32_e32 vcc_lo, 0, v58
	s_or_b32 s0, vcc_lo, s0
	s_wait_loadcnt_dscnt 0x0
	v_pk_mul_f32 v[64:65], v[62:63], v[60:61] op_sel:[1,1] op_sel_hi:[0,1]
	s_delay_alu instid0(VALU_DEP_1) | instskip(SKIP_1) | instid1(VALU_DEP_2)
	v_pk_fma_f32 v[66:67], v[62:63], v[60:61], v[64:65] op_sel_hi:[1,0,1]
	v_pk_fma_f32 v[60:61], v[62:63], v[60:61], v[64:65] neg_lo:[0,0,1] neg_hi:[0,0,1]
	v_mov_b32_e32 v61, v67
	s_delay_alu instid0(VALU_DEP_1)
	v_pk_add_f32 v[56:57], v[56:57], v[60:61]
	s_and_not1_b32 exec_lo, exec_lo, s0
	s_cbranch_execnz .LBB89_222
; %bb.223:
	s_or_b32 exec_lo, exec_lo, s0
.LBB89_224:
	s_delay_alu instid0(SALU_CYCLE_1) | instskip(SKIP_4) | instid1(VALU_DEP_1)
	s_or_b32 exec_lo, exec_lo, s10
	v_mov_b32_e32 v58, 0
	ds_load_b64 v[58:59], v58 offset:24
	s_wait_dscnt 0x0
	v_pk_mul_f32 v[60:61], v[56:57], v[58:59] op_sel:[1,1] op_sel_hi:[0,1]
	v_pk_fma_f32 v[62:63], v[56:57], v[58:59], v[60:61] op_sel_hi:[1,0,1]
	v_pk_fma_f32 v[56:57], v[56:57], v[58:59], v[60:61] neg_lo:[0,0,1] neg_hi:[0,0,1]
	s_delay_alu instid0(VALU_DEP_2)
	v_mov_b32_e32 v57, v63
	scratch_store_b64 off, v[56:57], off offset:24
.LBB89_225:
	s_wait_xcnt 0x0
	s_or_b32 exec_lo, exec_lo, s9
	scratch_load_b64 v[56:57], off, off offset:16
	v_cmp_lt_u32_e64 s2, 2, v0
	s_wait_loadcnt 0x0
	ds_store_b64 v1, v[56:57]
	s_wait_storecnt_dscnt 0x0
	s_barrier_signal -1
	s_barrier_wait -1
	s_wait_xcnt 0x0
	s_and_saveexec_b32 s0, s2
	s_cbranch_execz .LBB89_235
; %bb.226:
	s_and_not1_b32 vcc_lo, exec_lo, s3
	s_cbranch_vccnz .LBB89_228
; %bb.227:
	scratch_load_b64 v[56:57], v55, off
	ds_load_b64 v[58:59], v1
	s_wait_loadcnt_dscnt 0x0
	v_pk_mul_f32 v[60:61], v[58:59], v[56:57] op_sel:[1,1] op_sel_hi:[0,1]
	s_delay_alu instid0(VALU_DEP_1) | instskip(SKIP_1) | instid1(VALU_DEP_2)
	v_pk_fma_f32 v[62:63], v[58:59], v[56:57], v[60:61] op_sel_hi:[1,0,1]
	v_pk_fma_f32 v[56:57], v[58:59], v[56:57], v[60:61] neg_lo:[0,0,1] neg_hi:[0,0,1]
	v_mov_b32_e32 v57, v63
	s_cbranch_execz .LBB89_229
	s_branch .LBB89_230
.LBB89_228:
                                        ; implicit-def: $vgpr56_vgpr57
.LBB89_229:
	ds_load_b64 v[56:57], v1
.LBB89_230:
	s_and_saveexec_b32 s9, s1
	s_cbranch_execz .LBB89_234
; %bb.231:
	v_add_nc_u32_e32 v58, -3, v0
	s_movk_i32 s10, 0xe8
	s_mov_b32 s1, 0
.LBB89_232:                             ; =>This Inner Loop Header: Depth=1
	scratch_load_b64 v[60:61], off, s8
	v_dual_mov_b32 v59, s10 :: v_dual_add_nc_u32 v58, -1, v58
	s_add_co_i32 s10, s10, 8
	s_wait_xcnt 0x0
	s_add_co_i32 s8, s8, 8
	ds_load_b64 v[62:63], v59
	v_cmp_eq_u32_e32 vcc_lo, 0, v58
	s_or_b32 s1, vcc_lo, s1
	s_wait_loadcnt_dscnt 0x0
	v_pk_mul_f32 v[64:65], v[62:63], v[60:61] op_sel:[1,1] op_sel_hi:[0,1]
	s_delay_alu instid0(VALU_DEP_1) | instskip(SKIP_1) | instid1(VALU_DEP_2)
	v_pk_fma_f32 v[66:67], v[62:63], v[60:61], v[64:65] op_sel_hi:[1,0,1]
	v_pk_fma_f32 v[60:61], v[62:63], v[60:61], v[64:65] neg_lo:[0,0,1] neg_hi:[0,0,1]
	v_mov_b32_e32 v61, v67
	s_delay_alu instid0(VALU_DEP_1)
	v_pk_add_f32 v[56:57], v[56:57], v[60:61]
	s_and_not1_b32 exec_lo, exec_lo, s1
	s_cbranch_execnz .LBB89_232
; %bb.233:
	s_or_b32 exec_lo, exec_lo, s1
.LBB89_234:
	s_delay_alu instid0(SALU_CYCLE_1) | instskip(SKIP_4) | instid1(VALU_DEP_1)
	s_or_b32 exec_lo, exec_lo, s9
	v_mov_b32_e32 v58, 0
	ds_load_b64 v[58:59], v58 offset:16
	s_wait_dscnt 0x0
	v_pk_mul_f32 v[60:61], v[56:57], v[58:59] op_sel:[1,1] op_sel_hi:[0,1]
	v_pk_fma_f32 v[62:63], v[56:57], v[58:59], v[60:61] op_sel_hi:[1,0,1]
	v_pk_fma_f32 v[56:57], v[56:57], v[58:59], v[60:61] neg_lo:[0,0,1] neg_hi:[0,0,1]
	s_delay_alu instid0(VALU_DEP_2)
	v_mov_b32_e32 v57, v63
	scratch_store_b64 off, v[56:57], off offset:16
.LBB89_235:
	s_wait_xcnt 0x0
	s_or_b32 exec_lo, exec_lo, s0
	scratch_load_b64 v[56:57], off, off offset:8
	v_cmp_lt_u32_e64 s0, 1, v0
	s_wait_loadcnt 0x0
	ds_store_b64 v1, v[56:57]
	s_wait_storecnt_dscnt 0x0
	s_barrier_signal -1
	s_barrier_wait -1
	s_wait_xcnt 0x0
	s_and_saveexec_b32 s1, s0
	s_cbranch_execz .LBB89_245
; %bb.236:
	s_and_not1_b32 vcc_lo, exec_lo, s3
	s_cbranch_vccnz .LBB89_238
; %bb.237:
	scratch_load_b64 v[56:57], v55, off
	ds_load_b64 v[58:59], v1
	s_wait_loadcnt_dscnt 0x0
	v_pk_mul_f32 v[60:61], v[58:59], v[56:57] op_sel:[1,1] op_sel_hi:[0,1]
	s_delay_alu instid0(VALU_DEP_1) | instskip(SKIP_1) | instid1(VALU_DEP_2)
	v_pk_fma_f32 v[62:63], v[58:59], v[56:57], v[60:61] op_sel_hi:[1,0,1]
	v_pk_fma_f32 v[56:57], v[58:59], v[56:57], v[60:61] neg_lo:[0,0,1] neg_hi:[0,0,1]
	v_mov_b32_e32 v57, v63
	s_cbranch_execz .LBB89_239
	s_branch .LBB89_240
.LBB89_238:
                                        ; implicit-def: $vgpr56_vgpr57
.LBB89_239:
	ds_load_b64 v[56:57], v1
.LBB89_240:
	s_and_saveexec_b32 s8, s2
	s_cbranch_execz .LBB89_244
; %bb.241:
	v_add_nc_u32_e32 v58, -2, v0
	s_movk_i32 s9, 0xe0
	s_mov_b32 s2, 0
.LBB89_242:                             ; =>This Inner Loop Header: Depth=1
	scratch_load_b64 v[60:61], off, s5
	v_dual_mov_b32 v59, s9 :: v_dual_add_nc_u32 v58, -1, v58
	s_add_co_i32 s9, s9, 8
	s_wait_xcnt 0x0
	s_add_co_i32 s5, s5, 8
	ds_load_b64 v[62:63], v59
	v_cmp_eq_u32_e32 vcc_lo, 0, v58
	s_or_b32 s2, vcc_lo, s2
	s_wait_loadcnt_dscnt 0x0
	v_pk_mul_f32 v[64:65], v[62:63], v[60:61] op_sel:[1,1] op_sel_hi:[0,1]
	s_delay_alu instid0(VALU_DEP_1) | instskip(SKIP_1) | instid1(VALU_DEP_2)
	v_pk_fma_f32 v[66:67], v[62:63], v[60:61], v[64:65] op_sel_hi:[1,0,1]
	v_pk_fma_f32 v[60:61], v[62:63], v[60:61], v[64:65] neg_lo:[0,0,1] neg_hi:[0,0,1]
	v_mov_b32_e32 v61, v67
	s_delay_alu instid0(VALU_DEP_1)
	v_pk_add_f32 v[56:57], v[56:57], v[60:61]
	s_and_not1_b32 exec_lo, exec_lo, s2
	s_cbranch_execnz .LBB89_242
; %bb.243:
	s_or_b32 exec_lo, exec_lo, s2
.LBB89_244:
	s_delay_alu instid0(SALU_CYCLE_1) | instskip(SKIP_4) | instid1(VALU_DEP_1)
	s_or_b32 exec_lo, exec_lo, s8
	v_mov_b32_e32 v58, 0
	ds_load_b64 v[58:59], v58 offset:8
	s_wait_dscnt 0x0
	v_pk_mul_f32 v[60:61], v[56:57], v[58:59] op_sel:[1,1] op_sel_hi:[0,1]
	v_pk_fma_f32 v[62:63], v[56:57], v[58:59], v[60:61] op_sel_hi:[1,0,1]
	v_pk_fma_f32 v[56:57], v[56:57], v[58:59], v[60:61] neg_lo:[0,0,1] neg_hi:[0,0,1]
	s_delay_alu instid0(VALU_DEP_2)
	v_mov_b32_e32 v57, v63
	scratch_store_b64 off, v[56:57], off offset:8
.LBB89_245:
	s_wait_xcnt 0x0
	s_or_b32 exec_lo, exec_lo, s1
	scratch_load_b64 v[56:57], off, off
	s_mov_b32 s2, 0
	s_mov_b32 s1, 0
	s_mov_b32 s8, exec_lo
                                        ; implicit-def: $vgpr76
                                        ; implicit-def: $sgpr5
	s_wait_loadcnt 0x0
	ds_store_b64 v1, v[56:57]
	s_wait_storecnt_dscnt 0x0
	s_barrier_signal -1
	s_barrier_wait -1
	s_wait_xcnt 0x0
	v_cmpx_ne_u32_e32 0, v0
	s_cbranch_execz .LBB89_255
; %bb.246:
	s_and_not1_b32 vcc_lo, exec_lo, s3
	s_cbranch_vccnz .LBB89_248
; %bb.247:
	scratch_load_b64 v[58:59], v55, off
	ds_load_b64 v[60:61], v1
	s_wait_loadcnt_dscnt 0x0
	v_dual_mul_f32 v56, v61, v59 :: v_dual_mul_f32 v57, v60, v59
	s_delay_alu instid0(VALU_DEP_1)
	v_dual_fma_f32 v56, v60, v58, -v56 :: v_dual_fmac_f32 v57, v61, v58
	s_and_not1_b32 vcc_lo, exec_lo, s1
	s_cbranch_vccz .LBB89_249
	s_branch .LBB89_250
.LBB89_248:
                                        ; implicit-def: $vgpr56
.LBB89_249:
	ds_load_b64 v[56:57], v1
.LBB89_250:
	s_and_saveexec_b32 s1, s0
	s_cbranch_execz .LBB89_254
; %bb.251:
	v_add_nc_u32_e32 v58, -1, v0
	s_movk_i32 s5, 0xd8
	s_mov_b32 s0, 0
.LBB89_252:                             ; =>This Inner Loop Header: Depth=1
	scratch_load_b64 v[60:61], off, s4
	v_mov_b32_e32 v59, s5
	s_add_co_i32 s5, s5, 8
	s_wait_xcnt 0x0
	s_add_co_i32 s4, s4, 8
	v_add_nc_u32_e32 v58, -1, v58
	ds_load_b64 v[62:63], v59
	v_cmp_eq_u32_e32 vcc_lo, 0, v58
	s_or_b32 s0, vcc_lo, s0
	s_wait_loadcnt_dscnt 0x0
	v_dual_mul_f32 v59, v63, v61 :: v_dual_mul_f32 v61, v62, v61
	s_delay_alu instid0(VALU_DEP_1) | instskip(NEXT) | instid1(VALU_DEP_1)
	v_dual_fma_f32 v59, v62, v60, -v59 :: v_dual_fmac_f32 v61, v63, v60
	v_dual_add_f32 v56, v56, v59 :: v_dual_add_f32 v57, v57, v61
	s_and_not1_b32 exec_lo, exec_lo, s0
	s_cbranch_execnz .LBB89_252
; %bb.253:
	s_or_b32 exec_lo, exec_lo, s0
.LBB89_254:
	s_delay_alu instid0(SALU_CYCLE_1)
	s_or_b32 exec_lo, exec_lo, s1
	v_mov_b32_e32 v58, 0
	s_mov_b32 s1, exec_lo
	s_or_b32 s5, 0, 4
	ds_load_b64 v[58:59], v58
	s_wait_dscnt 0x0
	v_dual_mul_f32 v60, v57, v59 :: v_dual_mul_f32 v76, v56, v59
	s_delay_alu instid0(VALU_DEP_1) | instskip(NEXT) | instid1(VALU_DEP_2)
	v_fma_f32 v56, v56, v58, -v60
	v_fmac_f32_e32 v76, v57, v58
	scratch_store_b32 off, v56, off
.LBB89_255:
	s_wait_xcnt 0x0
	s_or_b32 exec_lo, exec_lo, s8
	s_delay_alu instid0(SALU_CYCLE_1)
	s_and_b32 vcc_lo, exec_lo, s2
	s_cbranch_vccz .LBB89_501
.LBB89_256:
	scratch_load_b64 v[56:57], off, off offset:8
	v_cmp_eq_u32_e64 s0, 0, v0
	s_wait_loadcnt 0x0
	ds_store_b64 v1, v[56:57]
	s_wait_storecnt_dscnt 0x0
	s_barrier_signal -1
	s_barrier_wait -1
	s_wait_xcnt 0x0
	s_and_saveexec_b32 s2, s0
	s_cbranch_execz .LBB89_262
; %bb.257:
	s_and_b32 vcc_lo, exec_lo, s3
	s_cbranch_vccz .LBB89_259
; %bb.258:
	scratch_load_b64 v[56:57], v55, off
	ds_load_b64 v[58:59], v1
	s_wait_loadcnt_dscnt 0x0
	v_pk_mul_f32 v[60:61], v[58:59], v[56:57] op_sel:[1,1] op_sel_hi:[0,1]
	v_pk_mul_f32 v[62:63], v[58:59], v[56:57] op_sel_hi:[1,0]
	s_delay_alu instid0(VALU_DEP_2) | instskip(NEXT) | instid1(VALU_DEP_2)
	v_pk_fma_f32 v[56:57], v[58:59], v[56:57], v[60:61] op_sel_hi:[1,0,1]
	v_sub_f32_e32 v56, v62, v60
	s_cbranch_execz .LBB89_260
	s_branch .LBB89_261
.LBB89_259:
                                        ; implicit-def: $vgpr57
.LBB89_260:
	ds_load_b64 v[56:57], v1
.LBB89_261:
	s_wait_dscnt 0x0
	v_dual_mov_b32 v58, 0 :: v_dual_mov_b32 v60, v57
	v_mov_b32_e32 v61, v56
	ds_load_b64 v[58:59], v58 offset:8
	s_wait_dscnt 0x0
	v_pk_mul_f32 v[60:61], v[60:61], v[58:59] op_sel:[0,1]
	s_delay_alu instid0(VALU_DEP_1) | instskip(SKIP_1) | instid1(VALU_DEP_2)
	v_pk_fma_f32 v[62:63], v[56:57], v[58:59], v[60:61] op_sel_hi:[1,0,1]
	v_pk_fma_f32 v[56:57], v[56:57], v[58:59], v[60:61] neg_lo:[0,0,1] neg_hi:[0,0,1]
	v_mov_b32_e32 v57, v63
	scratch_store_b64 off, v[56:57], off offset:8
.LBB89_262:
	s_wait_xcnt 0x0
	s_or_b32 exec_lo, exec_lo, s2
	scratch_load_b64 v[56:57], off, off offset:16
	v_cndmask_b32_e64 v58, 0, 1, s3
	s_mov_b32 s2, exec_lo
	s_wait_loadcnt 0x0
	ds_store_b64 v1, v[56:57]
	s_wait_storecnt_dscnt 0x0
	s_barrier_signal -1
	s_barrier_wait -1
	s_wait_xcnt 0x0
	v_cmpx_gt_u32_e32 2, v0
	s_cbranch_execz .LBB89_270
; %bb.263:
	s_and_not1_b32 vcc_lo, exec_lo, s3
	s_cbranch_vccnz .LBB89_265
; %bb.264:
	scratch_load_b64 v[56:57], v55, off
	ds_load_b64 v[60:61], v1
	s_wait_loadcnt_dscnt 0x0
	v_pk_mul_f32 v[62:63], v[60:61], v[56:57] op_sel:[1,1] op_sel_hi:[0,1]
	s_delay_alu instid0(VALU_DEP_1) | instskip(SKIP_1) | instid1(VALU_DEP_2)
	v_pk_fma_f32 v[64:65], v[60:61], v[56:57], v[62:63] op_sel_hi:[1,0,1]
	v_pk_fma_f32 v[56:57], v[60:61], v[56:57], v[62:63] neg_lo:[0,0,1] neg_hi:[0,0,1]
	v_mov_b32_e32 v57, v65
	s_cbranch_execz .LBB89_266
	s_branch .LBB89_267
.LBB89_265:
                                        ; implicit-def: $vgpr56_vgpr57
.LBB89_266:
	ds_load_b64 v[56:57], v1
.LBB89_267:
	s_and_saveexec_b32 s3, s0
	s_cbranch_execz .LBB89_269
; %bb.268:
	scratch_load_b64 v[60:61], off, off offset:8
	v_mov_b32_e32 v59, 0
	ds_load_b64 v[62:63], v59 offset:216
	s_wait_loadcnt_dscnt 0x0
	v_pk_mul_f32 v[64:65], v[62:63], v[60:61] op_sel:[1,1] op_sel_hi:[0,1]
	s_delay_alu instid0(VALU_DEP_1) | instskip(SKIP_1) | instid1(VALU_DEP_2)
	v_pk_fma_f32 v[66:67], v[62:63], v[60:61], v[64:65] op_sel_hi:[1,0,1]
	v_pk_fma_f32 v[60:61], v[62:63], v[60:61], v[64:65] neg_lo:[0,0,1] neg_hi:[0,0,1]
	v_mov_b32_e32 v61, v67
	s_delay_alu instid0(VALU_DEP_1)
	v_pk_add_f32 v[56:57], v[56:57], v[60:61]
.LBB89_269:
	s_or_b32 exec_lo, exec_lo, s3
	v_mov_b32_e32 v59, 0
	ds_load_b64 v[60:61], v59 offset:16
	s_wait_dscnt 0x0
	v_pk_mul_f32 v[62:63], v[56:57], v[60:61] op_sel:[1,1] op_sel_hi:[0,1]
	s_delay_alu instid0(VALU_DEP_1) | instskip(SKIP_1) | instid1(VALU_DEP_2)
	v_pk_fma_f32 v[64:65], v[56:57], v[60:61], v[62:63] op_sel_hi:[1,0,1]
	v_pk_fma_f32 v[56:57], v[56:57], v[60:61], v[62:63] neg_lo:[0,0,1] neg_hi:[0,0,1]
	v_mov_b32_e32 v57, v65
	scratch_store_b64 off, v[56:57], off offset:16
.LBB89_270:
	s_wait_xcnt 0x0
	s_or_b32 exec_lo, exec_lo, s2
	scratch_load_b64 v[56:57], off, off offset:24
	s_mov_b32 s2, exec_lo
	s_wait_loadcnt 0x0
	ds_store_b64 v1, v[56:57]
	s_wait_storecnt_dscnt 0x0
	s_barrier_signal -1
	s_barrier_wait -1
	s_wait_xcnt 0x0
	v_cmpx_gt_u32_e32 3, v0
	s_cbranch_execz .LBB89_280
; %bb.271:
	v_cmp_ne_u32_e32 vcc_lo, 1, v58
	s_cbranch_vccnz .LBB89_273
; %bb.272:
	scratch_load_b64 v[56:57], v55, off
	ds_load_b64 v[60:61], v1
	s_wait_loadcnt_dscnt 0x0
	v_pk_mul_f32 v[62:63], v[60:61], v[56:57] op_sel:[1,1] op_sel_hi:[0,1]
	s_delay_alu instid0(VALU_DEP_1) | instskip(SKIP_1) | instid1(VALU_DEP_2)
	v_pk_fma_f32 v[64:65], v[60:61], v[56:57], v[62:63] op_sel_hi:[1,0,1]
	v_pk_fma_f32 v[56:57], v[60:61], v[56:57], v[62:63] neg_lo:[0,0,1] neg_hi:[0,0,1]
	v_mov_b32_e32 v57, v65
	s_cbranch_execz .LBB89_274
	s_branch .LBB89_275
.LBB89_273:
                                        ; implicit-def: $vgpr56_vgpr57
.LBB89_274:
	ds_load_b64 v[56:57], v1
.LBB89_275:
	s_mov_b32 s3, exec_lo
	v_cmpx_ne_u32_e32 2, v0
	s_cbranch_execz .LBB89_279
; %bb.276:
	scratch_load_b64 v[60:61], v55, off offset:8
	ds_load_b64 v[62:63], v1 offset:8
	s_wait_loadcnt_dscnt 0x0
	v_pk_mul_f32 v[64:65], v[62:63], v[60:61] op_sel:[1,1] op_sel_hi:[0,1]
	s_delay_alu instid0(VALU_DEP_1) | instskip(SKIP_1) | instid1(VALU_DEP_2)
	v_pk_fma_f32 v[66:67], v[62:63], v[60:61], v[64:65] op_sel_hi:[1,0,1]
	v_pk_fma_f32 v[60:61], v[62:63], v[60:61], v[64:65] neg_lo:[0,0,1] neg_hi:[0,0,1]
	v_mov_b32_e32 v61, v67
	s_delay_alu instid0(VALU_DEP_1)
	v_pk_add_f32 v[56:57], v[56:57], v[60:61]
	s_and_saveexec_b32 s4, s0
	s_cbranch_execz .LBB89_278
; %bb.277:
	scratch_load_b64 v[60:61], off, off offset:16
	v_mov_b32_e32 v59, 0
	ds_load_b64 v[62:63], v59 offset:224
	s_wait_loadcnt_dscnt 0x0
	v_pk_mul_f32 v[64:65], v[62:63], v[60:61] op_sel:[1,1] op_sel_hi:[0,1]
	s_delay_alu instid0(VALU_DEP_1) | instskip(SKIP_1) | instid1(VALU_DEP_2)
	v_pk_fma_f32 v[66:67], v[62:63], v[60:61], v[64:65] op_sel_hi:[1,0,1]
	v_pk_fma_f32 v[60:61], v[62:63], v[60:61], v[64:65] neg_lo:[0,0,1] neg_hi:[0,0,1]
	v_mov_b32_e32 v61, v67
	s_delay_alu instid0(VALU_DEP_1)
	v_pk_add_f32 v[56:57], v[56:57], v[60:61]
.LBB89_278:
	s_or_b32 exec_lo, exec_lo, s4
.LBB89_279:
	s_delay_alu instid0(SALU_CYCLE_1) | instskip(SKIP_4) | instid1(VALU_DEP_1)
	s_or_b32 exec_lo, exec_lo, s3
	v_mov_b32_e32 v59, 0
	ds_load_b64 v[60:61], v59 offset:24
	s_wait_dscnt 0x0
	v_pk_mul_f32 v[62:63], v[56:57], v[60:61] op_sel:[1,1] op_sel_hi:[0,1]
	v_pk_fma_f32 v[64:65], v[56:57], v[60:61], v[62:63] op_sel_hi:[1,0,1]
	v_pk_fma_f32 v[56:57], v[56:57], v[60:61], v[62:63] neg_lo:[0,0,1] neg_hi:[0,0,1]
	s_delay_alu instid0(VALU_DEP_2)
	v_mov_b32_e32 v57, v65
	scratch_store_b64 off, v[56:57], off offset:24
.LBB89_280:
	s_wait_xcnt 0x0
	s_or_b32 exec_lo, exec_lo, s2
	scratch_load_b64 v[56:57], off, off offset:32
	s_mov_b32 s0, exec_lo
	s_wait_loadcnt 0x0
	ds_store_b64 v1, v[56:57]
	s_wait_storecnt_dscnt 0x0
	s_barrier_signal -1
	s_barrier_wait -1
	s_wait_xcnt 0x0
	v_cmpx_gt_u32_e32 4, v0
	s_cbranch_execz .LBB89_290
; %bb.281:
	v_cmp_ne_u32_e32 vcc_lo, 1, v58
	s_cbranch_vccnz .LBB89_283
; %bb.282:
	scratch_load_b64 v[56:57], v55, off
	ds_load_b64 v[60:61], v1
	s_wait_loadcnt_dscnt 0x0
	v_pk_mul_f32 v[62:63], v[60:61], v[56:57] op_sel:[1,1] op_sel_hi:[0,1]
	s_delay_alu instid0(VALU_DEP_1) | instskip(SKIP_1) | instid1(VALU_DEP_2)
	v_pk_fma_f32 v[64:65], v[60:61], v[56:57], v[62:63] op_sel_hi:[1,0,1]
	v_pk_fma_f32 v[56:57], v[60:61], v[56:57], v[62:63] neg_lo:[0,0,1] neg_hi:[0,0,1]
	v_mov_b32_e32 v57, v65
	s_cbranch_execz .LBB89_284
	s_branch .LBB89_285
.LBB89_283:
                                        ; implicit-def: $vgpr56_vgpr57
.LBB89_284:
	ds_load_b64 v[56:57], v1
.LBB89_285:
	s_mov_b32 s2, exec_lo
	v_cmpx_ne_u32_e32 3, v0
	s_cbranch_execz .LBB89_289
; %bb.286:
	v_add_nc_u32_e32 v59, 0xd8, v54
	v_add3_u32 v60, 0, v54, 8
	v_mov_b32_e32 v61, v0
	s_mov_b32 s3, 0
.LBB89_287:                             ; =>This Inner Loop Header: Depth=1
	scratch_load_b64 v[62:63], v60, off
	ds_load_b64 v[64:65], v59
	s_wait_xcnt 0x0
	v_dual_add_nc_u32 v59, 8, v59 :: v_dual_add_nc_u32 v60, 8, v60
	s_wait_loadcnt_dscnt 0x0
	v_pk_mul_f32 v[66:67], v[64:65], v[62:63] op_sel:[1,1] op_sel_hi:[0,1]
	s_delay_alu instid0(VALU_DEP_1) | instskip(SKIP_2) | instid1(VALU_DEP_3)
	v_pk_fma_f32 v[68:69], v[64:65], v[62:63], v[66:67] op_sel_hi:[1,0,1]
	v_add_nc_u32_e32 v61, 1, v61
	v_pk_fma_f32 v[62:63], v[64:65], v[62:63], v[66:67] neg_lo:[0,0,1] neg_hi:[0,0,1]
	v_mov_b32_e32 v63, v69
	s_delay_alu instid0(VALU_DEP_3) | instskip(NEXT) | instid1(VALU_DEP_2)
	v_cmp_lt_u32_e32 vcc_lo, 2, v61
	v_pk_add_f32 v[56:57], v[56:57], v[62:63]
	s_or_b32 s3, vcc_lo, s3
	s_delay_alu instid0(SALU_CYCLE_1)
	s_and_not1_b32 exec_lo, exec_lo, s3
	s_cbranch_execnz .LBB89_287
; %bb.288:
	s_or_b32 exec_lo, exec_lo, s3
.LBB89_289:
	s_delay_alu instid0(SALU_CYCLE_1) | instskip(SKIP_4) | instid1(VALU_DEP_1)
	s_or_b32 exec_lo, exec_lo, s2
	v_mov_b32_e32 v59, 0
	ds_load_b64 v[60:61], v59 offset:32
	s_wait_dscnt 0x0
	v_pk_mul_f32 v[62:63], v[56:57], v[60:61] op_sel:[1,1] op_sel_hi:[0,1]
	v_pk_fma_f32 v[64:65], v[56:57], v[60:61], v[62:63] op_sel_hi:[1,0,1]
	v_pk_fma_f32 v[56:57], v[56:57], v[60:61], v[62:63] neg_lo:[0,0,1] neg_hi:[0,0,1]
	s_delay_alu instid0(VALU_DEP_2)
	v_mov_b32_e32 v57, v65
	scratch_store_b64 off, v[56:57], off offset:32
.LBB89_290:
	s_wait_xcnt 0x0
	s_or_b32 exec_lo, exec_lo, s0
	scratch_load_b64 v[56:57], off, off offset:40
	s_mov_b32 s0, exec_lo
	s_wait_loadcnt 0x0
	ds_store_b64 v1, v[56:57]
	s_wait_storecnt_dscnt 0x0
	s_barrier_signal -1
	s_barrier_wait -1
	s_wait_xcnt 0x0
	v_cmpx_gt_u32_e32 5, v0
	s_cbranch_execz .LBB89_300
; %bb.291:
	v_cmp_ne_u32_e32 vcc_lo, 1, v58
	s_cbranch_vccnz .LBB89_293
; %bb.292:
	scratch_load_b64 v[56:57], v55, off
	ds_load_b64 v[60:61], v1
	s_wait_loadcnt_dscnt 0x0
	v_pk_mul_f32 v[62:63], v[60:61], v[56:57] op_sel:[1,1] op_sel_hi:[0,1]
	s_delay_alu instid0(VALU_DEP_1) | instskip(SKIP_1) | instid1(VALU_DEP_2)
	v_pk_fma_f32 v[64:65], v[60:61], v[56:57], v[62:63] op_sel_hi:[1,0,1]
	v_pk_fma_f32 v[56:57], v[60:61], v[56:57], v[62:63] neg_lo:[0,0,1] neg_hi:[0,0,1]
	v_mov_b32_e32 v57, v65
	s_cbranch_execz .LBB89_294
	s_branch .LBB89_295
.LBB89_293:
                                        ; implicit-def: $vgpr56_vgpr57
.LBB89_294:
	ds_load_b64 v[56:57], v1
.LBB89_295:
	s_mov_b32 s2, exec_lo
	v_cmpx_ne_u32_e32 4, v0
	s_cbranch_execz .LBB89_299
; %bb.296:
	v_add_nc_u32_e32 v59, 0xd8, v54
	v_add3_u32 v60, 0, v54, 8
	v_mov_b32_e32 v61, v0
	s_mov_b32 s3, 0
.LBB89_297:                             ; =>This Inner Loop Header: Depth=1
	scratch_load_b64 v[62:63], v60, off
	ds_load_b64 v[64:65], v59
	s_wait_xcnt 0x0
	v_dual_add_nc_u32 v59, 8, v59 :: v_dual_add_nc_u32 v60, 8, v60
	s_wait_loadcnt_dscnt 0x0
	v_pk_mul_f32 v[66:67], v[64:65], v[62:63] op_sel:[1,1] op_sel_hi:[0,1]
	s_delay_alu instid0(VALU_DEP_1) | instskip(SKIP_2) | instid1(VALU_DEP_3)
	v_pk_fma_f32 v[68:69], v[64:65], v[62:63], v[66:67] op_sel_hi:[1,0,1]
	v_add_nc_u32_e32 v61, 1, v61
	v_pk_fma_f32 v[62:63], v[64:65], v[62:63], v[66:67] neg_lo:[0,0,1] neg_hi:[0,0,1]
	v_mov_b32_e32 v63, v69
	s_delay_alu instid0(VALU_DEP_3) | instskip(NEXT) | instid1(VALU_DEP_2)
	v_cmp_lt_u32_e32 vcc_lo, 3, v61
	v_pk_add_f32 v[56:57], v[56:57], v[62:63]
	s_or_b32 s3, vcc_lo, s3
	s_delay_alu instid0(SALU_CYCLE_1)
	s_and_not1_b32 exec_lo, exec_lo, s3
	s_cbranch_execnz .LBB89_297
; %bb.298:
	s_or_b32 exec_lo, exec_lo, s3
.LBB89_299:
	s_delay_alu instid0(SALU_CYCLE_1) | instskip(SKIP_4) | instid1(VALU_DEP_1)
	s_or_b32 exec_lo, exec_lo, s2
	v_mov_b32_e32 v59, 0
	ds_load_b64 v[60:61], v59 offset:40
	s_wait_dscnt 0x0
	v_pk_mul_f32 v[62:63], v[56:57], v[60:61] op_sel:[1,1] op_sel_hi:[0,1]
	v_pk_fma_f32 v[64:65], v[56:57], v[60:61], v[62:63] op_sel_hi:[1,0,1]
	v_pk_fma_f32 v[56:57], v[56:57], v[60:61], v[62:63] neg_lo:[0,0,1] neg_hi:[0,0,1]
	s_delay_alu instid0(VALU_DEP_2)
	v_mov_b32_e32 v57, v65
	scratch_store_b64 off, v[56:57], off offset:40
.LBB89_300:
	s_wait_xcnt 0x0
	s_or_b32 exec_lo, exec_lo, s0
	scratch_load_b64 v[56:57], off, off offset:48
	s_mov_b32 s0, exec_lo
	s_wait_loadcnt 0x0
	ds_store_b64 v1, v[56:57]
	s_wait_storecnt_dscnt 0x0
	s_barrier_signal -1
	s_barrier_wait -1
	s_wait_xcnt 0x0
	v_cmpx_gt_u32_e32 6, v0
	s_cbranch_execz .LBB89_310
; %bb.301:
	v_cmp_ne_u32_e32 vcc_lo, 1, v58
	s_cbranch_vccnz .LBB89_303
; %bb.302:
	scratch_load_b64 v[56:57], v55, off
	ds_load_b64 v[60:61], v1
	s_wait_loadcnt_dscnt 0x0
	v_pk_mul_f32 v[62:63], v[60:61], v[56:57] op_sel:[1,1] op_sel_hi:[0,1]
	s_delay_alu instid0(VALU_DEP_1) | instskip(SKIP_1) | instid1(VALU_DEP_2)
	v_pk_fma_f32 v[64:65], v[60:61], v[56:57], v[62:63] op_sel_hi:[1,0,1]
	v_pk_fma_f32 v[56:57], v[60:61], v[56:57], v[62:63] neg_lo:[0,0,1] neg_hi:[0,0,1]
	v_mov_b32_e32 v57, v65
	s_cbranch_execz .LBB89_304
	s_branch .LBB89_305
.LBB89_303:
                                        ; implicit-def: $vgpr56_vgpr57
.LBB89_304:
	ds_load_b64 v[56:57], v1
.LBB89_305:
	s_mov_b32 s2, exec_lo
	v_cmpx_ne_u32_e32 5, v0
	s_cbranch_execz .LBB89_309
; %bb.306:
	v_add_nc_u32_e32 v59, 0xd8, v54
	v_add3_u32 v60, 0, v54, 8
	v_mov_b32_e32 v61, v0
	s_mov_b32 s3, 0
.LBB89_307:                             ; =>This Inner Loop Header: Depth=1
	scratch_load_b64 v[62:63], v60, off
	ds_load_b64 v[64:65], v59
	s_wait_xcnt 0x0
	v_dual_add_nc_u32 v59, 8, v59 :: v_dual_add_nc_u32 v60, 8, v60
	s_wait_loadcnt_dscnt 0x0
	v_pk_mul_f32 v[66:67], v[64:65], v[62:63] op_sel:[1,1] op_sel_hi:[0,1]
	s_delay_alu instid0(VALU_DEP_1) | instskip(SKIP_2) | instid1(VALU_DEP_3)
	v_pk_fma_f32 v[68:69], v[64:65], v[62:63], v[66:67] op_sel_hi:[1,0,1]
	v_add_nc_u32_e32 v61, 1, v61
	v_pk_fma_f32 v[62:63], v[64:65], v[62:63], v[66:67] neg_lo:[0,0,1] neg_hi:[0,0,1]
	v_mov_b32_e32 v63, v69
	s_delay_alu instid0(VALU_DEP_3) | instskip(NEXT) | instid1(VALU_DEP_2)
	v_cmp_lt_u32_e32 vcc_lo, 4, v61
	v_pk_add_f32 v[56:57], v[56:57], v[62:63]
	s_or_b32 s3, vcc_lo, s3
	s_delay_alu instid0(SALU_CYCLE_1)
	s_and_not1_b32 exec_lo, exec_lo, s3
	s_cbranch_execnz .LBB89_307
; %bb.308:
	s_or_b32 exec_lo, exec_lo, s3
.LBB89_309:
	s_delay_alu instid0(SALU_CYCLE_1) | instskip(SKIP_4) | instid1(VALU_DEP_1)
	s_or_b32 exec_lo, exec_lo, s2
	v_mov_b32_e32 v59, 0
	ds_load_b64 v[60:61], v59 offset:48
	s_wait_dscnt 0x0
	v_pk_mul_f32 v[62:63], v[56:57], v[60:61] op_sel:[1,1] op_sel_hi:[0,1]
	v_pk_fma_f32 v[64:65], v[56:57], v[60:61], v[62:63] op_sel_hi:[1,0,1]
	v_pk_fma_f32 v[56:57], v[56:57], v[60:61], v[62:63] neg_lo:[0,0,1] neg_hi:[0,0,1]
	s_delay_alu instid0(VALU_DEP_2)
	v_mov_b32_e32 v57, v65
	scratch_store_b64 off, v[56:57], off offset:48
.LBB89_310:
	s_wait_xcnt 0x0
	s_or_b32 exec_lo, exec_lo, s0
	scratch_load_b64 v[56:57], off, off offset:56
	s_mov_b32 s0, exec_lo
	s_wait_loadcnt 0x0
	ds_store_b64 v1, v[56:57]
	s_wait_storecnt_dscnt 0x0
	s_barrier_signal -1
	s_barrier_wait -1
	s_wait_xcnt 0x0
	v_cmpx_gt_u32_e32 7, v0
	s_cbranch_execz .LBB89_320
; %bb.311:
	v_cmp_ne_u32_e32 vcc_lo, 1, v58
	s_cbranch_vccnz .LBB89_313
; %bb.312:
	scratch_load_b64 v[56:57], v55, off
	ds_load_b64 v[60:61], v1
	s_wait_loadcnt_dscnt 0x0
	v_pk_mul_f32 v[62:63], v[60:61], v[56:57] op_sel:[1,1] op_sel_hi:[0,1]
	s_delay_alu instid0(VALU_DEP_1) | instskip(SKIP_1) | instid1(VALU_DEP_2)
	v_pk_fma_f32 v[64:65], v[60:61], v[56:57], v[62:63] op_sel_hi:[1,0,1]
	v_pk_fma_f32 v[56:57], v[60:61], v[56:57], v[62:63] neg_lo:[0,0,1] neg_hi:[0,0,1]
	v_mov_b32_e32 v57, v65
	s_cbranch_execz .LBB89_314
	s_branch .LBB89_315
.LBB89_313:
                                        ; implicit-def: $vgpr56_vgpr57
.LBB89_314:
	ds_load_b64 v[56:57], v1
.LBB89_315:
	s_mov_b32 s2, exec_lo
	v_cmpx_ne_u32_e32 6, v0
	s_cbranch_execz .LBB89_319
; %bb.316:
	v_add_nc_u32_e32 v59, 0xd8, v54
	v_add3_u32 v60, 0, v54, 8
	v_mov_b32_e32 v61, v0
	s_mov_b32 s3, 0
.LBB89_317:                             ; =>This Inner Loop Header: Depth=1
	scratch_load_b64 v[62:63], v60, off
	ds_load_b64 v[64:65], v59
	s_wait_xcnt 0x0
	v_dual_add_nc_u32 v59, 8, v59 :: v_dual_add_nc_u32 v60, 8, v60
	s_wait_loadcnt_dscnt 0x0
	v_pk_mul_f32 v[66:67], v[64:65], v[62:63] op_sel:[1,1] op_sel_hi:[0,1]
	s_delay_alu instid0(VALU_DEP_1) | instskip(SKIP_2) | instid1(VALU_DEP_3)
	v_pk_fma_f32 v[68:69], v[64:65], v[62:63], v[66:67] op_sel_hi:[1,0,1]
	v_add_nc_u32_e32 v61, 1, v61
	v_pk_fma_f32 v[62:63], v[64:65], v[62:63], v[66:67] neg_lo:[0,0,1] neg_hi:[0,0,1]
	v_mov_b32_e32 v63, v69
	s_delay_alu instid0(VALU_DEP_3) | instskip(NEXT) | instid1(VALU_DEP_2)
	v_cmp_lt_u32_e32 vcc_lo, 5, v61
	v_pk_add_f32 v[56:57], v[56:57], v[62:63]
	s_or_b32 s3, vcc_lo, s3
	s_delay_alu instid0(SALU_CYCLE_1)
	s_and_not1_b32 exec_lo, exec_lo, s3
	s_cbranch_execnz .LBB89_317
; %bb.318:
	s_or_b32 exec_lo, exec_lo, s3
.LBB89_319:
	s_delay_alu instid0(SALU_CYCLE_1) | instskip(SKIP_4) | instid1(VALU_DEP_1)
	s_or_b32 exec_lo, exec_lo, s2
	v_mov_b32_e32 v59, 0
	ds_load_b64 v[60:61], v59 offset:56
	s_wait_dscnt 0x0
	v_pk_mul_f32 v[62:63], v[56:57], v[60:61] op_sel:[1,1] op_sel_hi:[0,1]
	v_pk_fma_f32 v[64:65], v[56:57], v[60:61], v[62:63] op_sel_hi:[1,0,1]
	v_pk_fma_f32 v[56:57], v[56:57], v[60:61], v[62:63] neg_lo:[0,0,1] neg_hi:[0,0,1]
	s_delay_alu instid0(VALU_DEP_2)
	v_mov_b32_e32 v57, v65
	scratch_store_b64 off, v[56:57], off offset:56
.LBB89_320:
	s_wait_xcnt 0x0
	s_or_b32 exec_lo, exec_lo, s0
	scratch_load_b64 v[56:57], off, off offset:64
	s_mov_b32 s0, exec_lo
	s_wait_loadcnt 0x0
	ds_store_b64 v1, v[56:57]
	s_wait_storecnt_dscnt 0x0
	s_barrier_signal -1
	s_barrier_wait -1
	s_wait_xcnt 0x0
	v_cmpx_gt_u32_e32 8, v0
	s_cbranch_execz .LBB89_330
; %bb.321:
	v_cmp_ne_u32_e32 vcc_lo, 1, v58
	s_cbranch_vccnz .LBB89_323
; %bb.322:
	scratch_load_b64 v[56:57], v55, off
	ds_load_b64 v[60:61], v1
	s_wait_loadcnt_dscnt 0x0
	v_pk_mul_f32 v[62:63], v[60:61], v[56:57] op_sel:[1,1] op_sel_hi:[0,1]
	s_delay_alu instid0(VALU_DEP_1) | instskip(SKIP_1) | instid1(VALU_DEP_2)
	v_pk_fma_f32 v[64:65], v[60:61], v[56:57], v[62:63] op_sel_hi:[1,0,1]
	v_pk_fma_f32 v[56:57], v[60:61], v[56:57], v[62:63] neg_lo:[0,0,1] neg_hi:[0,0,1]
	v_mov_b32_e32 v57, v65
	s_cbranch_execz .LBB89_324
	s_branch .LBB89_325
.LBB89_323:
                                        ; implicit-def: $vgpr56_vgpr57
.LBB89_324:
	ds_load_b64 v[56:57], v1
.LBB89_325:
	s_mov_b32 s2, exec_lo
	v_cmpx_ne_u32_e32 7, v0
	s_cbranch_execz .LBB89_329
; %bb.326:
	v_add_nc_u32_e32 v59, 0xd8, v54
	v_add3_u32 v60, 0, v54, 8
	v_mov_b32_e32 v61, v0
	s_mov_b32 s3, 0
.LBB89_327:                             ; =>This Inner Loop Header: Depth=1
	scratch_load_b64 v[62:63], v60, off
	ds_load_b64 v[64:65], v59
	s_wait_xcnt 0x0
	v_dual_add_nc_u32 v59, 8, v59 :: v_dual_add_nc_u32 v60, 8, v60
	s_wait_loadcnt_dscnt 0x0
	v_pk_mul_f32 v[66:67], v[64:65], v[62:63] op_sel:[1,1] op_sel_hi:[0,1]
	s_delay_alu instid0(VALU_DEP_1) | instskip(SKIP_2) | instid1(VALU_DEP_3)
	v_pk_fma_f32 v[68:69], v[64:65], v[62:63], v[66:67] op_sel_hi:[1,0,1]
	v_add_nc_u32_e32 v61, 1, v61
	v_pk_fma_f32 v[62:63], v[64:65], v[62:63], v[66:67] neg_lo:[0,0,1] neg_hi:[0,0,1]
	v_mov_b32_e32 v63, v69
	s_delay_alu instid0(VALU_DEP_3) | instskip(NEXT) | instid1(VALU_DEP_2)
	v_cmp_lt_u32_e32 vcc_lo, 6, v61
	v_pk_add_f32 v[56:57], v[56:57], v[62:63]
	s_or_b32 s3, vcc_lo, s3
	s_delay_alu instid0(SALU_CYCLE_1)
	s_and_not1_b32 exec_lo, exec_lo, s3
	s_cbranch_execnz .LBB89_327
; %bb.328:
	s_or_b32 exec_lo, exec_lo, s3
.LBB89_329:
	s_delay_alu instid0(SALU_CYCLE_1) | instskip(SKIP_4) | instid1(VALU_DEP_1)
	s_or_b32 exec_lo, exec_lo, s2
	v_mov_b32_e32 v59, 0
	ds_load_b64 v[60:61], v59 offset:64
	s_wait_dscnt 0x0
	v_pk_mul_f32 v[62:63], v[56:57], v[60:61] op_sel:[1,1] op_sel_hi:[0,1]
	v_pk_fma_f32 v[64:65], v[56:57], v[60:61], v[62:63] op_sel_hi:[1,0,1]
	v_pk_fma_f32 v[56:57], v[56:57], v[60:61], v[62:63] neg_lo:[0,0,1] neg_hi:[0,0,1]
	s_delay_alu instid0(VALU_DEP_2)
	v_mov_b32_e32 v57, v65
	scratch_store_b64 off, v[56:57], off offset:64
.LBB89_330:
	s_wait_xcnt 0x0
	s_or_b32 exec_lo, exec_lo, s0
	scratch_load_b64 v[56:57], off, off offset:72
	s_mov_b32 s0, exec_lo
	s_wait_loadcnt 0x0
	ds_store_b64 v1, v[56:57]
	s_wait_storecnt_dscnt 0x0
	s_barrier_signal -1
	s_barrier_wait -1
	s_wait_xcnt 0x0
	v_cmpx_gt_u32_e32 9, v0
	s_cbranch_execz .LBB89_340
; %bb.331:
	v_cmp_ne_u32_e32 vcc_lo, 1, v58
	s_cbranch_vccnz .LBB89_333
; %bb.332:
	scratch_load_b64 v[56:57], v55, off
	ds_load_b64 v[60:61], v1
	s_wait_loadcnt_dscnt 0x0
	v_pk_mul_f32 v[62:63], v[60:61], v[56:57] op_sel:[1,1] op_sel_hi:[0,1]
	s_delay_alu instid0(VALU_DEP_1) | instskip(SKIP_1) | instid1(VALU_DEP_2)
	v_pk_fma_f32 v[64:65], v[60:61], v[56:57], v[62:63] op_sel_hi:[1,0,1]
	v_pk_fma_f32 v[56:57], v[60:61], v[56:57], v[62:63] neg_lo:[0,0,1] neg_hi:[0,0,1]
	v_mov_b32_e32 v57, v65
	s_cbranch_execz .LBB89_334
	s_branch .LBB89_335
.LBB89_333:
                                        ; implicit-def: $vgpr56_vgpr57
.LBB89_334:
	ds_load_b64 v[56:57], v1
.LBB89_335:
	s_mov_b32 s2, exec_lo
	v_cmpx_ne_u32_e32 8, v0
	s_cbranch_execz .LBB89_339
; %bb.336:
	v_add_nc_u32_e32 v59, 0xd8, v54
	v_add3_u32 v60, 0, v54, 8
	v_mov_b32_e32 v61, v0
	s_mov_b32 s3, 0
.LBB89_337:                             ; =>This Inner Loop Header: Depth=1
	scratch_load_b64 v[62:63], v60, off
	ds_load_b64 v[64:65], v59
	s_wait_xcnt 0x0
	v_dual_add_nc_u32 v59, 8, v59 :: v_dual_add_nc_u32 v60, 8, v60
	s_wait_loadcnt_dscnt 0x0
	v_pk_mul_f32 v[66:67], v[64:65], v[62:63] op_sel:[1,1] op_sel_hi:[0,1]
	s_delay_alu instid0(VALU_DEP_1) | instskip(SKIP_2) | instid1(VALU_DEP_3)
	v_pk_fma_f32 v[68:69], v[64:65], v[62:63], v[66:67] op_sel_hi:[1,0,1]
	v_add_nc_u32_e32 v61, 1, v61
	v_pk_fma_f32 v[62:63], v[64:65], v[62:63], v[66:67] neg_lo:[0,0,1] neg_hi:[0,0,1]
	v_mov_b32_e32 v63, v69
	s_delay_alu instid0(VALU_DEP_3) | instskip(NEXT) | instid1(VALU_DEP_2)
	v_cmp_lt_u32_e32 vcc_lo, 7, v61
	v_pk_add_f32 v[56:57], v[56:57], v[62:63]
	s_or_b32 s3, vcc_lo, s3
	s_delay_alu instid0(SALU_CYCLE_1)
	s_and_not1_b32 exec_lo, exec_lo, s3
	s_cbranch_execnz .LBB89_337
; %bb.338:
	s_or_b32 exec_lo, exec_lo, s3
.LBB89_339:
	s_delay_alu instid0(SALU_CYCLE_1) | instskip(SKIP_4) | instid1(VALU_DEP_1)
	s_or_b32 exec_lo, exec_lo, s2
	v_mov_b32_e32 v59, 0
	ds_load_b64 v[60:61], v59 offset:72
	s_wait_dscnt 0x0
	v_pk_mul_f32 v[62:63], v[56:57], v[60:61] op_sel:[1,1] op_sel_hi:[0,1]
	v_pk_fma_f32 v[64:65], v[56:57], v[60:61], v[62:63] op_sel_hi:[1,0,1]
	v_pk_fma_f32 v[56:57], v[56:57], v[60:61], v[62:63] neg_lo:[0,0,1] neg_hi:[0,0,1]
	s_delay_alu instid0(VALU_DEP_2)
	v_mov_b32_e32 v57, v65
	scratch_store_b64 off, v[56:57], off offset:72
.LBB89_340:
	s_wait_xcnt 0x0
	s_or_b32 exec_lo, exec_lo, s0
	scratch_load_b64 v[56:57], off, off offset:80
	s_mov_b32 s0, exec_lo
	s_wait_loadcnt 0x0
	ds_store_b64 v1, v[56:57]
	s_wait_storecnt_dscnt 0x0
	s_barrier_signal -1
	s_barrier_wait -1
	s_wait_xcnt 0x0
	v_cmpx_gt_u32_e32 10, v0
	s_cbranch_execz .LBB89_350
; %bb.341:
	v_cmp_ne_u32_e32 vcc_lo, 1, v58
	s_cbranch_vccnz .LBB89_343
; %bb.342:
	scratch_load_b64 v[56:57], v55, off
	ds_load_b64 v[60:61], v1
	s_wait_loadcnt_dscnt 0x0
	v_pk_mul_f32 v[62:63], v[60:61], v[56:57] op_sel:[1,1] op_sel_hi:[0,1]
	s_delay_alu instid0(VALU_DEP_1) | instskip(SKIP_1) | instid1(VALU_DEP_2)
	v_pk_fma_f32 v[64:65], v[60:61], v[56:57], v[62:63] op_sel_hi:[1,0,1]
	v_pk_fma_f32 v[56:57], v[60:61], v[56:57], v[62:63] neg_lo:[0,0,1] neg_hi:[0,0,1]
	v_mov_b32_e32 v57, v65
	s_cbranch_execz .LBB89_344
	s_branch .LBB89_345
.LBB89_343:
                                        ; implicit-def: $vgpr56_vgpr57
.LBB89_344:
	ds_load_b64 v[56:57], v1
.LBB89_345:
	s_mov_b32 s2, exec_lo
	v_cmpx_ne_u32_e32 9, v0
	s_cbranch_execz .LBB89_349
; %bb.346:
	v_add_nc_u32_e32 v59, 0xd8, v54
	v_add3_u32 v60, 0, v54, 8
	v_mov_b32_e32 v61, v0
	s_mov_b32 s3, 0
.LBB89_347:                             ; =>This Inner Loop Header: Depth=1
	scratch_load_b64 v[62:63], v60, off
	ds_load_b64 v[64:65], v59
	s_wait_xcnt 0x0
	v_dual_add_nc_u32 v59, 8, v59 :: v_dual_add_nc_u32 v60, 8, v60
	s_wait_loadcnt_dscnt 0x0
	v_pk_mul_f32 v[66:67], v[64:65], v[62:63] op_sel:[1,1] op_sel_hi:[0,1]
	s_delay_alu instid0(VALU_DEP_1) | instskip(SKIP_2) | instid1(VALU_DEP_3)
	v_pk_fma_f32 v[68:69], v[64:65], v[62:63], v[66:67] op_sel_hi:[1,0,1]
	v_add_nc_u32_e32 v61, 1, v61
	v_pk_fma_f32 v[62:63], v[64:65], v[62:63], v[66:67] neg_lo:[0,0,1] neg_hi:[0,0,1]
	v_mov_b32_e32 v63, v69
	s_delay_alu instid0(VALU_DEP_3) | instskip(NEXT) | instid1(VALU_DEP_2)
	v_cmp_lt_u32_e32 vcc_lo, 8, v61
	v_pk_add_f32 v[56:57], v[56:57], v[62:63]
	s_or_b32 s3, vcc_lo, s3
	s_delay_alu instid0(SALU_CYCLE_1)
	s_and_not1_b32 exec_lo, exec_lo, s3
	s_cbranch_execnz .LBB89_347
; %bb.348:
	s_or_b32 exec_lo, exec_lo, s3
.LBB89_349:
	s_delay_alu instid0(SALU_CYCLE_1) | instskip(SKIP_4) | instid1(VALU_DEP_1)
	s_or_b32 exec_lo, exec_lo, s2
	v_mov_b32_e32 v59, 0
	ds_load_b64 v[60:61], v59 offset:80
	s_wait_dscnt 0x0
	v_pk_mul_f32 v[62:63], v[56:57], v[60:61] op_sel:[1,1] op_sel_hi:[0,1]
	v_pk_fma_f32 v[64:65], v[56:57], v[60:61], v[62:63] op_sel_hi:[1,0,1]
	v_pk_fma_f32 v[56:57], v[56:57], v[60:61], v[62:63] neg_lo:[0,0,1] neg_hi:[0,0,1]
	s_delay_alu instid0(VALU_DEP_2)
	v_mov_b32_e32 v57, v65
	scratch_store_b64 off, v[56:57], off offset:80
.LBB89_350:
	s_wait_xcnt 0x0
	s_or_b32 exec_lo, exec_lo, s0
	scratch_load_b64 v[56:57], off, off offset:88
	s_mov_b32 s0, exec_lo
	s_wait_loadcnt 0x0
	ds_store_b64 v1, v[56:57]
	s_wait_storecnt_dscnt 0x0
	s_barrier_signal -1
	s_barrier_wait -1
	s_wait_xcnt 0x0
	v_cmpx_gt_u32_e32 11, v0
	s_cbranch_execz .LBB89_360
; %bb.351:
	v_cmp_ne_u32_e32 vcc_lo, 1, v58
	s_cbranch_vccnz .LBB89_353
; %bb.352:
	scratch_load_b64 v[56:57], v55, off
	ds_load_b64 v[60:61], v1
	s_wait_loadcnt_dscnt 0x0
	v_pk_mul_f32 v[62:63], v[60:61], v[56:57] op_sel:[1,1] op_sel_hi:[0,1]
	s_delay_alu instid0(VALU_DEP_1) | instskip(SKIP_1) | instid1(VALU_DEP_2)
	v_pk_fma_f32 v[64:65], v[60:61], v[56:57], v[62:63] op_sel_hi:[1,0,1]
	v_pk_fma_f32 v[56:57], v[60:61], v[56:57], v[62:63] neg_lo:[0,0,1] neg_hi:[0,0,1]
	v_mov_b32_e32 v57, v65
	s_cbranch_execz .LBB89_354
	s_branch .LBB89_355
.LBB89_353:
                                        ; implicit-def: $vgpr56_vgpr57
.LBB89_354:
	ds_load_b64 v[56:57], v1
.LBB89_355:
	s_mov_b32 s2, exec_lo
	v_cmpx_ne_u32_e32 10, v0
	s_cbranch_execz .LBB89_359
; %bb.356:
	v_add_nc_u32_e32 v59, 0xd8, v54
	v_add3_u32 v60, 0, v54, 8
	v_mov_b32_e32 v61, v0
	s_mov_b32 s3, 0
.LBB89_357:                             ; =>This Inner Loop Header: Depth=1
	scratch_load_b64 v[62:63], v60, off
	ds_load_b64 v[64:65], v59
	s_wait_xcnt 0x0
	v_dual_add_nc_u32 v59, 8, v59 :: v_dual_add_nc_u32 v60, 8, v60
	s_wait_loadcnt_dscnt 0x0
	v_pk_mul_f32 v[66:67], v[64:65], v[62:63] op_sel:[1,1] op_sel_hi:[0,1]
	s_delay_alu instid0(VALU_DEP_1) | instskip(SKIP_2) | instid1(VALU_DEP_3)
	v_pk_fma_f32 v[68:69], v[64:65], v[62:63], v[66:67] op_sel_hi:[1,0,1]
	v_add_nc_u32_e32 v61, 1, v61
	v_pk_fma_f32 v[62:63], v[64:65], v[62:63], v[66:67] neg_lo:[0,0,1] neg_hi:[0,0,1]
	v_mov_b32_e32 v63, v69
	s_delay_alu instid0(VALU_DEP_3) | instskip(NEXT) | instid1(VALU_DEP_2)
	v_cmp_lt_u32_e32 vcc_lo, 9, v61
	v_pk_add_f32 v[56:57], v[56:57], v[62:63]
	s_or_b32 s3, vcc_lo, s3
	s_delay_alu instid0(SALU_CYCLE_1)
	s_and_not1_b32 exec_lo, exec_lo, s3
	s_cbranch_execnz .LBB89_357
; %bb.358:
	s_or_b32 exec_lo, exec_lo, s3
.LBB89_359:
	s_delay_alu instid0(SALU_CYCLE_1) | instskip(SKIP_4) | instid1(VALU_DEP_1)
	s_or_b32 exec_lo, exec_lo, s2
	v_mov_b32_e32 v59, 0
	ds_load_b64 v[60:61], v59 offset:88
	s_wait_dscnt 0x0
	v_pk_mul_f32 v[62:63], v[56:57], v[60:61] op_sel:[1,1] op_sel_hi:[0,1]
	v_pk_fma_f32 v[64:65], v[56:57], v[60:61], v[62:63] op_sel_hi:[1,0,1]
	v_pk_fma_f32 v[56:57], v[56:57], v[60:61], v[62:63] neg_lo:[0,0,1] neg_hi:[0,0,1]
	s_delay_alu instid0(VALU_DEP_2)
	v_mov_b32_e32 v57, v65
	scratch_store_b64 off, v[56:57], off offset:88
.LBB89_360:
	s_wait_xcnt 0x0
	s_or_b32 exec_lo, exec_lo, s0
	scratch_load_b64 v[56:57], off, off offset:96
	s_mov_b32 s0, exec_lo
	s_wait_loadcnt 0x0
	ds_store_b64 v1, v[56:57]
	s_wait_storecnt_dscnt 0x0
	s_barrier_signal -1
	s_barrier_wait -1
	s_wait_xcnt 0x0
	v_cmpx_gt_u32_e32 12, v0
	s_cbranch_execz .LBB89_370
; %bb.361:
	v_cmp_ne_u32_e32 vcc_lo, 1, v58
	s_cbranch_vccnz .LBB89_363
; %bb.362:
	scratch_load_b64 v[56:57], v55, off
	ds_load_b64 v[60:61], v1
	s_wait_loadcnt_dscnt 0x0
	v_pk_mul_f32 v[62:63], v[60:61], v[56:57] op_sel:[1,1] op_sel_hi:[0,1]
	s_delay_alu instid0(VALU_DEP_1) | instskip(SKIP_1) | instid1(VALU_DEP_2)
	v_pk_fma_f32 v[64:65], v[60:61], v[56:57], v[62:63] op_sel_hi:[1,0,1]
	v_pk_fma_f32 v[56:57], v[60:61], v[56:57], v[62:63] neg_lo:[0,0,1] neg_hi:[0,0,1]
	v_mov_b32_e32 v57, v65
	s_cbranch_execz .LBB89_364
	s_branch .LBB89_365
.LBB89_363:
                                        ; implicit-def: $vgpr56_vgpr57
.LBB89_364:
	ds_load_b64 v[56:57], v1
.LBB89_365:
	s_mov_b32 s2, exec_lo
	v_cmpx_ne_u32_e32 11, v0
	s_cbranch_execz .LBB89_369
; %bb.366:
	v_add_nc_u32_e32 v59, 0xd8, v54
	v_add3_u32 v60, 0, v54, 8
	v_mov_b32_e32 v61, v0
	s_mov_b32 s3, 0
.LBB89_367:                             ; =>This Inner Loop Header: Depth=1
	scratch_load_b64 v[62:63], v60, off
	ds_load_b64 v[64:65], v59
	s_wait_xcnt 0x0
	v_dual_add_nc_u32 v59, 8, v59 :: v_dual_add_nc_u32 v60, 8, v60
	s_wait_loadcnt_dscnt 0x0
	v_pk_mul_f32 v[66:67], v[64:65], v[62:63] op_sel:[1,1] op_sel_hi:[0,1]
	s_delay_alu instid0(VALU_DEP_1) | instskip(SKIP_2) | instid1(VALU_DEP_3)
	v_pk_fma_f32 v[68:69], v[64:65], v[62:63], v[66:67] op_sel_hi:[1,0,1]
	v_add_nc_u32_e32 v61, 1, v61
	v_pk_fma_f32 v[62:63], v[64:65], v[62:63], v[66:67] neg_lo:[0,0,1] neg_hi:[0,0,1]
	v_mov_b32_e32 v63, v69
	s_delay_alu instid0(VALU_DEP_3) | instskip(NEXT) | instid1(VALU_DEP_2)
	v_cmp_lt_u32_e32 vcc_lo, 10, v61
	v_pk_add_f32 v[56:57], v[56:57], v[62:63]
	s_or_b32 s3, vcc_lo, s3
	s_delay_alu instid0(SALU_CYCLE_1)
	s_and_not1_b32 exec_lo, exec_lo, s3
	s_cbranch_execnz .LBB89_367
; %bb.368:
	s_or_b32 exec_lo, exec_lo, s3
.LBB89_369:
	s_delay_alu instid0(SALU_CYCLE_1) | instskip(SKIP_4) | instid1(VALU_DEP_1)
	s_or_b32 exec_lo, exec_lo, s2
	v_mov_b32_e32 v59, 0
	ds_load_b64 v[60:61], v59 offset:96
	s_wait_dscnt 0x0
	v_pk_mul_f32 v[62:63], v[56:57], v[60:61] op_sel:[1,1] op_sel_hi:[0,1]
	v_pk_fma_f32 v[64:65], v[56:57], v[60:61], v[62:63] op_sel_hi:[1,0,1]
	v_pk_fma_f32 v[56:57], v[56:57], v[60:61], v[62:63] neg_lo:[0,0,1] neg_hi:[0,0,1]
	s_delay_alu instid0(VALU_DEP_2)
	v_mov_b32_e32 v57, v65
	scratch_store_b64 off, v[56:57], off offset:96
.LBB89_370:
	s_wait_xcnt 0x0
	s_or_b32 exec_lo, exec_lo, s0
	scratch_load_b64 v[56:57], off, off offset:104
	s_mov_b32 s0, exec_lo
	s_wait_loadcnt 0x0
	ds_store_b64 v1, v[56:57]
	s_wait_storecnt_dscnt 0x0
	s_barrier_signal -1
	s_barrier_wait -1
	s_wait_xcnt 0x0
	v_cmpx_gt_u32_e32 13, v0
	s_cbranch_execz .LBB89_380
; %bb.371:
	v_cmp_ne_u32_e32 vcc_lo, 1, v58
	s_cbranch_vccnz .LBB89_373
; %bb.372:
	scratch_load_b64 v[56:57], v55, off
	ds_load_b64 v[60:61], v1
	s_wait_loadcnt_dscnt 0x0
	v_pk_mul_f32 v[62:63], v[60:61], v[56:57] op_sel:[1,1] op_sel_hi:[0,1]
	s_delay_alu instid0(VALU_DEP_1) | instskip(SKIP_1) | instid1(VALU_DEP_2)
	v_pk_fma_f32 v[64:65], v[60:61], v[56:57], v[62:63] op_sel_hi:[1,0,1]
	v_pk_fma_f32 v[56:57], v[60:61], v[56:57], v[62:63] neg_lo:[0,0,1] neg_hi:[0,0,1]
	v_mov_b32_e32 v57, v65
	s_cbranch_execz .LBB89_374
	s_branch .LBB89_375
.LBB89_373:
                                        ; implicit-def: $vgpr56_vgpr57
.LBB89_374:
	ds_load_b64 v[56:57], v1
.LBB89_375:
	s_mov_b32 s2, exec_lo
	v_cmpx_ne_u32_e32 12, v0
	s_cbranch_execz .LBB89_379
; %bb.376:
	v_add_nc_u32_e32 v59, 0xd8, v54
	v_add3_u32 v60, 0, v54, 8
	v_mov_b32_e32 v61, v0
	s_mov_b32 s3, 0
.LBB89_377:                             ; =>This Inner Loop Header: Depth=1
	scratch_load_b64 v[62:63], v60, off
	ds_load_b64 v[64:65], v59
	s_wait_xcnt 0x0
	v_dual_add_nc_u32 v59, 8, v59 :: v_dual_add_nc_u32 v60, 8, v60
	s_wait_loadcnt_dscnt 0x0
	v_pk_mul_f32 v[66:67], v[64:65], v[62:63] op_sel:[1,1] op_sel_hi:[0,1]
	s_delay_alu instid0(VALU_DEP_1) | instskip(SKIP_2) | instid1(VALU_DEP_3)
	v_pk_fma_f32 v[68:69], v[64:65], v[62:63], v[66:67] op_sel_hi:[1,0,1]
	v_add_nc_u32_e32 v61, 1, v61
	v_pk_fma_f32 v[62:63], v[64:65], v[62:63], v[66:67] neg_lo:[0,0,1] neg_hi:[0,0,1]
	v_mov_b32_e32 v63, v69
	s_delay_alu instid0(VALU_DEP_3) | instskip(NEXT) | instid1(VALU_DEP_2)
	v_cmp_lt_u32_e32 vcc_lo, 11, v61
	v_pk_add_f32 v[56:57], v[56:57], v[62:63]
	s_or_b32 s3, vcc_lo, s3
	s_delay_alu instid0(SALU_CYCLE_1)
	s_and_not1_b32 exec_lo, exec_lo, s3
	s_cbranch_execnz .LBB89_377
; %bb.378:
	s_or_b32 exec_lo, exec_lo, s3
.LBB89_379:
	s_delay_alu instid0(SALU_CYCLE_1) | instskip(SKIP_4) | instid1(VALU_DEP_1)
	s_or_b32 exec_lo, exec_lo, s2
	v_mov_b32_e32 v59, 0
	ds_load_b64 v[60:61], v59 offset:104
	s_wait_dscnt 0x0
	v_pk_mul_f32 v[62:63], v[56:57], v[60:61] op_sel:[1,1] op_sel_hi:[0,1]
	v_pk_fma_f32 v[64:65], v[56:57], v[60:61], v[62:63] op_sel_hi:[1,0,1]
	v_pk_fma_f32 v[56:57], v[56:57], v[60:61], v[62:63] neg_lo:[0,0,1] neg_hi:[0,0,1]
	s_delay_alu instid0(VALU_DEP_2)
	v_mov_b32_e32 v57, v65
	scratch_store_b64 off, v[56:57], off offset:104
.LBB89_380:
	s_wait_xcnt 0x0
	s_or_b32 exec_lo, exec_lo, s0
	scratch_load_b64 v[56:57], off, off offset:112
	s_mov_b32 s0, exec_lo
	s_wait_loadcnt 0x0
	ds_store_b64 v1, v[56:57]
	s_wait_storecnt_dscnt 0x0
	s_barrier_signal -1
	s_barrier_wait -1
	s_wait_xcnt 0x0
	v_cmpx_gt_u32_e32 14, v0
	s_cbranch_execz .LBB89_390
; %bb.381:
	v_cmp_ne_u32_e32 vcc_lo, 1, v58
	s_cbranch_vccnz .LBB89_383
; %bb.382:
	scratch_load_b64 v[56:57], v55, off
	ds_load_b64 v[60:61], v1
	s_wait_loadcnt_dscnt 0x0
	v_pk_mul_f32 v[62:63], v[60:61], v[56:57] op_sel:[1,1] op_sel_hi:[0,1]
	s_delay_alu instid0(VALU_DEP_1) | instskip(SKIP_1) | instid1(VALU_DEP_2)
	v_pk_fma_f32 v[64:65], v[60:61], v[56:57], v[62:63] op_sel_hi:[1,0,1]
	v_pk_fma_f32 v[56:57], v[60:61], v[56:57], v[62:63] neg_lo:[0,0,1] neg_hi:[0,0,1]
	v_mov_b32_e32 v57, v65
	s_cbranch_execz .LBB89_384
	s_branch .LBB89_385
.LBB89_383:
                                        ; implicit-def: $vgpr56_vgpr57
.LBB89_384:
	ds_load_b64 v[56:57], v1
.LBB89_385:
	s_mov_b32 s2, exec_lo
	v_cmpx_ne_u32_e32 13, v0
	s_cbranch_execz .LBB89_389
; %bb.386:
	v_add_nc_u32_e32 v59, 0xd8, v54
	v_add3_u32 v60, 0, v54, 8
	v_mov_b32_e32 v61, v0
	s_mov_b32 s3, 0
.LBB89_387:                             ; =>This Inner Loop Header: Depth=1
	scratch_load_b64 v[62:63], v60, off
	ds_load_b64 v[64:65], v59
	s_wait_xcnt 0x0
	v_dual_add_nc_u32 v59, 8, v59 :: v_dual_add_nc_u32 v60, 8, v60
	s_wait_loadcnt_dscnt 0x0
	v_pk_mul_f32 v[66:67], v[64:65], v[62:63] op_sel:[1,1] op_sel_hi:[0,1]
	s_delay_alu instid0(VALU_DEP_1) | instskip(SKIP_2) | instid1(VALU_DEP_3)
	v_pk_fma_f32 v[68:69], v[64:65], v[62:63], v[66:67] op_sel_hi:[1,0,1]
	v_add_nc_u32_e32 v61, 1, v61
	v_pk_fma_f32 v[62:63], v[64:65], v[62:63], v[66:67] neg_lo:[0,0,1] neg_hi:[0,0,1]
	v_mov_b32_e32 v63, v69
	s_delay_alu instid0(VALU_DEP_3) | instskip(NEXT) | instid1(VALU_DEP_2)
	v_cmp_lt_u32_e32 vcc_lo, 12, v61
	v_pk_add_f32 v[56:57], v[56:57], v[62:63]
	s_or_b32 s3, vcc_lo, s3
	s_delay_alu instid0(SALU_CYCLE_1)
	s_and_not1_b32 exec_lo, exec_lo, s3
	s_cbranch_execnz .LBB89_387
; %bb.388:
	s_or_b32 exec_lo, exec_lo, s3
.LBB89_389:
	s_delay_alu instid0(SALU_CYCLE_1) | instskip(SKIP_4) | instid1(VALU_DEP_1)
	s_or_b32 exec_lo, exec_lo, s2
	v_mov_b32_e32 v59, 0
	ds_load_b64 v[60:61], v59 offset:112
	s_wait_dscnt 0x0
	v_pk_mul_f32 v[62:63], v[56:57], v[60:61] op_sel:[1,1] op_sel_hi:[0,1]
	v_pk_fma_f32 v[64:65], v[56:57], v[60:61], v[62:63] op_sel_hi:[1,0,1]
	v_pk_fma_f32 v[56:57], v[56:57], v[60:61], v[62:63] neg_lo:[0,0,1] neg_hi:[0,0,1]
	s_delay_alu instid0(VALU_DEP_2)
	v_mov_b32_e32 v57, v65
	scratch_store_b64 off, v[56:57], off offset:112
.LBB89_390:
	s_wait_xcnt 0x0
	s_or_b32 exec_lo, exec_lo, s0
	scratch_load_b64 v[56:57], off, off offset:120
	s_mov_b32 s0, exec_lo
	s_wait_loadcnt 0x0
	ds_store_b64 v1, v[56:57]
	s_wait_storecnt_dscnt 0x0
	s_barrier_signal -1
	s_barrier_wait -1
	s_wait_xcnt 0x0
	v_cmpx_gt_u32_e32 15, v0
	s_cbranch_execz .LBB89_400
; %bb.391:
	v_cmp_ne_u32_e32 vcc_lo, 1, v58
	s_cbranch_vccnz .LBB89_393
; %bb.392:
	scratch_load_b64 v[56:57], v55, off
	ds_load_b64 v[60:61], v1
	s_wait_loadcnt_dscnt 0x0
	v_pk_mul_f32 v[62:63], v[60:61], v[56:57] op_sel:[1,1] op_sel_hi:[0,1]
	s_delay_alu instid0(VALU_DEP_1) | instskip(SKIP_1) | instid1(VALU_DEP_2)
	v_pk_fma_f32 v[64:65], v[60:61], v[56:57], v[62:63] op_sel_hi:[1,0,1]
	v_pk_fma_f32 v[56:57], v[60:61], v[56:57], v[62:63] neg_lo:[0,0,1] neg_hi:[0,0,1]
	v_mov_b32_e32 v57, v65
	s_cbranch_execz .LBB89_394
	s_branch .LBB89_395
.LBB89_393:
                                        ; implicit-def: $vgpr56_vgpr57
.LBB89_394:
	ds_load_b64 v[56:57], v1
.LBB89_395:
	s_mov_b32 s2, exec_lo
	v_cmpx_ne_u32_e32 14, v0
	s_cbranch_execz .LBB89_399
; %bb.396:
	v_add_nc_u32_e32 v59, 0xd8, v54
	v_add3_u32 v60, 0, v54, 8
	v_mov_b32_e32 v61, v0
	s_mov_b32 s3, 0
.LBB89_397:                             ; =>This Inner Loop Header: Depth=1
	scratch_load_b64 v[62:63], v60, off
	ds_load_b64 v[64:65], v59
	s_wait_xcnt 0x0
	v_dual_add_nc_u32 v59, 8, v59 :: v_dual_add_nc_u32 v60, 8, v60
	s_wait_loadcnt_dscnt 0x0
	v_pk_mul_f32 v[66:67], v[64:65], v[62:63] op_sel:[1,1] op_sel_hi:[0,1]
	s_delay_alu instid0(VALU_DEP_1) | instskip(SKIP_2) | instid1(VALU_DEP_3)
	v_pk_fma_f32 v[68:69], v[64:65], v[62:63], v[66:67] op_sel_hi:[1,0,1]
	v_add_nc_u32_e32 v61, 1, v61
	v_pk_fma_f32 v[62:63], v[64:65], v[62:63], v[66:67] neg_lo:[0,0,1] neg_hi:[0,0,1]
	v_mov_b32_e32 v63, v69
	s_delay_alu instid0(VALU_DEP_3) | instskip(NEXT) | instid1(VALU_DEP_2)
	v_cmp_lt_u32_e32 vcc_lo, 13, v61
	v_pk_add_f32 v[56:57], v[56:57], v[62:63]
	s_or_b32 s3, vcc_lo, s3
	s_delay_alu instid0(SALU_CYCLE_1)
	s_and_not1_b32 exec_lo, exec_lo, s3
	s_cbranch_execnz .LBB89_397
; %bb.398:
	s_or_b32 exec_lo, exec_lo, s3
.LBB89_399:
	s_delay_alu instid0(SALU_CYCLE_1) | instskip(SKIP_4) | instid1(VALU_DEP_1)
	s_or_b32 exec_lo, exec_lo, s2
	v_mov_b32_e32 v59, 0
	ds_load_b64 v[60:61], v59 offset:120
	s_wait_dscnt 0x0
	v_pk_mul_f32 v[62:63], v[56:57], v[60:61] op_sel:[1,1] op_sel_hi:[0,1]
	v_pk_fma_f32 v[64:65], v[56:57], v[60:61], v[62:63] op_sel_hi:[1,0,1]
	v_pk_fma_f32 v[56:57], v[56:57], v[60:61], v[62:63] neg_lo:[0,0,1] neg_hi:[0,0,1]
	s_delay_alu instid0(VALU_DEP_2)
	v_mov_b32_e32 v57, v65
	scratch_store_b64 off, v[56:57], off offset:120
.LBB89_400:
	s_wait_xcnt 0x0
	s_or_b32 exec_lo, exec_lo, s0
	scratch_load_b64 v[56:57], off, off offset:128
	s_mov_b32 s0, exec_lo
	s_wait_loadcnt 0x0
	ds_store_b64 v1, v[56:57]
	s_wait_storecnt_dscnt 0x0
	s_barrier_signal -1
	s_barrier_wait -1
	s_wait_xcnt 0x0
	v_cmpx_gt_u32_e32 16, v0
	s_cbranch_execz .LBB89_410
; %bb.401:
	v_cmp_ne_u32_e32 vcc_lo, 1, v58
	s_cbranch_vccnz .LBB89_403
; %bb.402:
	scratch_load_b64 v[56:57], v55, off
	ds_load_b64 v[60:61], v1
	s_wait_loadcnt_dscnt 0x0
	v_pk_mul_f32 v[62:63], v[60:61], v[56:57] op_sel:[1,1] op_sel_hi:[0,1]
	s_delay_alu instid0(VALU_DEP_1) | instskip(SKIP_1) | instid1(VALU_DEP_2)
	v_pk_fma_f32 v[64:65], v[60:61], v[56:57], v[62:63] op_sel_hi:[1,0,1]
	v_pk_fma_f32 v[56:57], v[60:61], v[56:57], v[62:63] neg_lo:[0,0,1] neg_hi:[0,0,1]
	v_mov_b32_e32 v57, v65
	s_cbranch_execz .LBB89_404
	s_branch .LBB89_405
.LBB89_403:
                                        ; implicit-def: $vgpr56_vgpr57
.LBB89_404:
	ds_load_b64 v[56:57], v1
.LBB89_405:
	s_mov_b32 s2, exec_lo
	v_cmpx_ne_u32_e32 15, v0
	s_cbranch_execz .LBB89_409
; %bb.406:
	v_add_nc_u32_e32 v59, 0xd8, v54
	v_add3_u32 v60, 0, v54, 8
	v_mov_b32_e32 v61, v0
	s_mov_b32 s3, 0
.LBB89_407:                             ; =>This Inner Loop Header: Depth=1
	scratch_load_b64 v[62:63], v60, off
	ds_load_b64 v[64:65], v59
	s_wait_xcnt 0x0
	v_dual_add_nc_u32 v59, 8, v59 :: v_dual_add_nc_u32 v60, 8, v60
	s_wait_loadcnt_dscnt 0x0
	v_pk_mul_f32 v[66:67], v[64:65], v[62:63] op_sel:[1,1] op_sel_hi:[0,1]
	s_delay_alu instid0(VALU_DEP_1) | instskip(SKIP_2) | instid1(VALU_DEP_3)
	v_pk_fma_f32 v[68:69], v[64:65], v[62:63], v[66:67] op_sel_hi:[1,0,1]
	v_add_nc_u32_e32 v61, 1, v61
	v_pk_fma_f32 v[62:63], v[64:65], v[62:63], v[66:67] neg_lo:[0,0,1] neg_hi:[0,0,1]
	v_mov_b32_e32 v63, v69
	s_delay_alu instid0(VALU_DEP_3) | instskip(NEXT) | instid1(VALU_DEP_2)
	v_cmp_lt_u32_e32 vcc_lo, 14, v61
	v_pk_add_f32 v[56:57], v[56:57], v[62:63]
	s_or_b32 s3, vcc_lo, s3
	s_delay_alu instid0(SALU_CYCLE_1)
	s_and_not1_b32 exec_lo, exec_lo, s3
	s_cbranch_execnz .LBB89_407
; %bb.408:
	s_or_b32 exec_lo, exec_lo, s3
.LBB89_409:
	s_delay_alu instid0(SALU_CYCLE_1) | instskip(SKIP_4) | instid1(VALU_DEP_1)
	s_or_b32 exec_lo, exec_lo, s2
	v_mov_b32_e32 v59, 0
	ds_load_b64 v[60:61], v59 offset:128
	s_wait_dscnt 0x0
	v_pk_mul_f32 v[62:63], v[56:57], v[60:61] op_sel:[1,1] op_sel_hi:[0,1]
	v_pk_fma_f32 v[64:65], v[56:57], v[60:61], v[62:63] op_sel_hi:[1,0,1]
	v_pk_fma_f32 v[56:57], v[56:57], v[60:61], v[62:63] neg_lo:[0,0,1] neg_hi:[0,0,1]
	s_delay_alu instid0(VALU_DEP_2)
	v_mov_b32_e32 v57, v65
	scratch_store_b64 off, v[56:57], off offset:128
.LBB89_410:
	s_wait_xcnt 0x0
	s_or_b32 exec_lo, exec_lo, s0
	scratch_load_b64 v[56:57], off, off offset:136
	s_mov_b32 s0, exec_lo
	s_wait_loadcnt 0x0
	ds_store_b64 v1, v[56:57]
	s_wait_storecnt_dscnt 0x0
	s_barrier_signal -1
	s_barrier_wait -1
	s_wait_xcnt 0x0
	v_cmpx_gt_u32_e32 17, v0
	s_cbranch_execz .LBB89_420
; %bb.411:
	v_cmp_ne_u32_e32 vcc_lo, 1, v58
	s_cbranch_vccnz .LBB89_413
; %bb.412:
	scratch_load_b64 v[56:57], v55, off
	ds_load_b64 v[60:61], v1
	s_wait_loadcnt_dscnt 0x0
	v_pk_mul_f32 v[62:63], v[60:61], v[56:57] op_sel:[1,1] op_sel_hi:[0,1]
	s_delay_alu instid0(VALU_DEP_1) | instskip(SKIP_1) | instid1(VALU_DEP_2)
	v_pk_fma_f32 v[64:65], v[60:61], v[56:57], v[62:63] op_sel_hi:[1,0,1]
	v_pk_fma_f32 v[56:57], v[60:61], v[56:57], v[62:63] neg_lo:[0,0,1] neg_hi:[0,0,1]
	v_mov_b32_e32 v57, v65
	s_cbranch_execz .LBB89_414
	s_branch .LBB89_415
.LBB89_413:
                                        ; implicit-def: $vgpr56_vgpr57
.LBB89_414:
	ds_load_b64 v[56:57], v1
.LBB89_415:
	s_mov_b32 s2, exec_lo
	v_cmpx_ne_u32_e32 16, v0
	s_cbranch_execz .LBB89_419
; %bb.416:
	v_add_nc_u32_e32 v59, 0xd8, v54
	v_add3_u32 v60, 0, v54, 8
	v_mov_b32_e32 v61, v0
	s_mov_b32 s3, 0
.LBB89_417:                             ; =>This Inner Loop Header: Depth=1
	scratch_load_b64 v[62:63], v60, off
	ds_load_b64 v[64:65], v59
	s_wait_xcnt 0x0
	v_dual_add_nc_u32 v59, 8, v59 :: v_dual_add_nc_u32 v60, 8, v60
	s_wait_loadcnt_dscnt 0x0
	v_pk_mul_f32 v[66:67], v[64:65], v[62:63] op_sel:[1,1] op_sel_hi:[0,1]
	s_delay_alu instid0(VALU_DEP_1) | instskip(SKIP_2) | instid1(VALU_DEP_3)
	v_pk_fma_f32 v[68:69], v[64:65], v[62:63], v[66:67] op_sel_hi:[1,0,1]
	v_add_nc_u32_e32 v61, 1, v61
	v_pk_fma_f32 v[62:63], v[64:65], v[62:63], v[66:67] neg_lo:[0,0,1] neg_hi:[0,0,1]
	v_mov_b32_e32 v63, v69
	s_delay_alu instid0(VALU_DEP_3) | instskip(NEXT) | instid1(VALU_DEP_2)
	v_cmp_lt_u32_e32 vcc_lo, 15, v61
	v_pk_add_f32 v[56:57], v[56:57], v[62:63]
	s_or_b32 s3, vcc_lo, s3
	s_delay_alu instid0(SALU_CYCLE_1)
	s_and_not1_b32 exec_lo, exec_lo, s3
	s_cbranch_execnz .LBB89_417
; %bb.418:
	s_or_b32 exec_lo, exec_lo, s3
.LBB89_419:
	s_delay_alu instid0(SALU_CYCLE_1) | instskip(SKIP_4) | instid1(VALU_DEP_1)
	s_or_b32 exec_lo, exec_lo, s2
	v_mov_b32_e32 v59, 0
	ds_load_b64 v[60:61], v59 offset:136
	s_wait_dscnt 0x0
	v_pk_mul_f32 v[62:63], v[56:57], v[60:61] op_sel:[1,1] op_sel_hi:[0,1]
	v_pk_fma_f32 v[64:65], v[56:57], v[60:61], v[62:63] op_sel_hi:[1,0,1]
	v_pk_fma_f32 v[56:57], v[56:57], v[60:61], v[62:63] neg_lo:[0,0,1] neg_hi:[0,0,1]
	s_delay_alu instid0(VALU_DEP_2)
	v_mov_b32_e32 v57, v65
	scratch_store_b64 off, v[56:57], off offset:136
.LBB89_420:
	s_wait_xcnt 0x0
	s_or_b32 exec_lo, exec_lo, s0
	scratch_load_b64 v[56:57], off, off offset:144
	s_mov_b32 s0, exec_lo
	s_wait_loadcnt 0x0
	ds_store_b64 v1, v[56:57]
	s_wait_storecnt_dscnt 0x0
	s_barrier_signal -1
	s_barrier_wait -1
	s_wait_xcnt 0x0
	v_cmpx_gt_u32_e32 18, v0
	s_cbranch_execz .LBB89_430
; %bb.421:
	v_cmp_ne_u32_e32 vcc_lo, 1, v58
	s_cbranch_vccnz .LBB89_423
; %bb.422:
	scratch_load_b64 v[56:57], v55, off
	ds_load_b64 v[60:61], v1
	s_wait_loadcnt_dscnt 0x0
	v_pk_mul_f32 v[62:63], v[60:61], v[56:57] op_sel:[1,1] op_sel_hi:[0,1]
	s_delay_alu instid0(VALU_DEP_1) | instskip(SKIP_1) | instid1(VALU_DEP_2)
	v_pk_fma_f32 v[64:65], v[60:61], v[56:57], v[62:63] op_sel_hi:[1,0,1]
	v_pk_fma_f32 v[56:57], v[60:61], v[56:57], v[62:63] neg_lo:[0,0,1] neg_hi:[0,0,1]
	v_mov_b32_e32 v57, v65
	s_cbranch_execz .LBB89_424
	s_branch .LBB89_425
.LBB89_423:
                                        ; implicit-def: $vgpr56_vgpr57
.LBB89_424:
	ds_load_b64 v[56:57], v1
.LBB89_425:
	s_mov_b32 s2, exec_lo
	v_cmpx_ne_u32_e32 17, v0
	s_cbranch_execz .LBB89_429
; %bb.426:
	v_add_nc_u32_e32 v59, 0xd8, v54
	v_add3_u32 v60, 0, v54, 8
	v_mov_b32_e32 v61, v0
	s_mov_b32 s3, 0
.LBB89_427:                             ; =>This Inner Loop Header: Depth=1
	scratch_load_b64 v[62:63], v60, off
	ds_load_b64 v[64:65], v59
	s_wait_xcnt 0x0
	v_dual_add_nc_u32 v59, 8, v59 :: v_dual_add_nc_u32 v60, 8, v60
	s_wait_loadcnt_dscnt 0x0
	v_pk_mul_f32 v[66:67], v[64:65], v[62:63] op_sel:[1,1] op_sel_hi:[0,1]
	s_delay_alu instid0(VALU_DEP_1) | instskip(SKIP_2) | instid1(VALU_DEP_3)
	v_pk_fma_f32 v[68:69], v[64:65], v[62:63], v[66:67] op_sel_hi:[1,0,1]
	v_add_nc_u32_e32 v61, 1, v61
	v_pk_fma_f32 v[62:63], v[64:65], v[62:63], v[66:67] neg_lo:[0,0,1] neg_hi:[0,0,1]
	v_mov_b32_e32 v63, v69
	s_delay_alu instid0(VALU_DEP_3) | instskip(NEXT) | instid1(VALU_DEP_2)
	v_cmp_lt_u32_e32 vcc_lo, 16, v61
	v_pk_add_f32 v[56:57], v[56:57], v[62:63]
	s_or_b32 s3, vcc_lo, s3
	s_delay_alu instid0(SALU_CYCLE_1)
	s_and_not1_b32 exec_lo, exec_lo, s3
	s_cbranch_execnz .LBB89_427
; %bb.428:
	s_or_b32 exec_lo, exec_lo, s3
.LBB89_429:
	s_delay_alu instid0(SALU_CYCLE_1) | instskip(SKIP_4) | instid1(VALU_DEP_1)
	s_or_b32 exec_lo, exec_lo, s2
	v_mov_b32_e32 v59, 0
	ds_load_b64 v[60:61], v59 offset:144
	s_wait_dscnt 0x0
	v_pk_mul_f32 v[62:63], v[56:57], v[60:61] op_sel:[1,1] op_sel_hi:[0,1]
	v_pk_fma_f32 v[64:65], v[56:57], v[60:61], v[62:63] op_sel_hi:[1,0,1]
	v_pk_fma_f32 v[56:57], v[56:57], v[60:61], v[62:63] neg_lo:[0,0,1] neg_hi:[0,0,1]
	s_delay_alu instid0(VALU_DEP_2)
	v_mov_b32_e32 v57, v65
	scratch_store_b64 off, v[56:57], off offset:144
.LBB89_430:
	s_wait_xcnt 0x0
	s_or_b32 exec_lo, exec_lo, s0
	scratch_load_b64 v[56:57], off, off offset:152
	s_mov_b32 s0, exec_lo
	s_wait_loadcnt 0x0
	ds_store_b64 v1, v[56:57]
	s_wait_storecnt_dscnt 0x0
	s_barrier_signal -1
	s_barrier_wait -1
	s_wait_xcnt 0x0
	v_cmpx_gt_u32_e32 19, v0
	s_cbranch_execz .LBB89_440
; %bb.431:
	v_cmp_ne_u32_e32 vcc_lo, 1, v58
	s_cbranch_vccnz .LBB89_433
; %bb.432:
	scratch_load_b64 v[56:57], v55, off
	ds_load_b64 v[60:61], v1
	s_wait_loadcnt_dscnt 0x0
	v_pk_mul_f32 v[62:63], v[60:61], v[56:57] op_sel:[1,1] op_sel_hi:[0,1]
	s_delay_alu instid0(VALU_DEP_1) | instskip(SKIP_1) | instid1(VALU_DEP_2)
	v_pk_fma_f32 v[64:65], v[60:61], v[56:57], v[62:63] op_sel_hi:[1,0,1]
	v_pk_fma_f32 v[56:57], v[60:61], v[56:57], v[62:63] neg_lo:[0,0,1] neg_hi:[0,0,1]
	v_mov_b32_e32 v57, v65
	s_cbranch_execz .LBB89_434
	s_branch .LBB89_435
.LBB89_433:
                                        ; implicit-def: $vgpr56_vgpr57
.LBB89_434:
	ds_load_b64 v[56:57], v1
.LBB89_435:
	s_mov_b32 s2, exec_lo
	v_cmpx_ne_u32_e32 18, v0
	s_cbranch_execz .LBB89_439
; %bb.436:
	v_add_nc_u32_e32 v59, 0xd8, v54
	v_add3_u32 v60, 0, v54, 8
	v_mov_b32_e32 v61, v0
	s_mov_b32 s3, 0
.LBB89_437:                             ; =>This Inner Loop Header: Depth=1
	scratch_load_b64 v[62:63], v60, off
	ds_load_b64 v[64:65], v59
	s_wait_xcnt 0x0
	v_dual_add_nc_u32 v59, 8, v59 :: v_dual_add_nc_u32 v60, 8, v60
	s_wait_loadcnt_dscnt 0x0
	v_pk_mul_f32 v[66:67], v[64:65], v[62:63] op_sel:[1,1] op_sel_hi:[0,1]
	s_delay_alu instid0(VALU_DEP_1) | instskip(SKIP_2) | instid1(VALU_DEP_3)
	v_pk_fma_f32 v[68:69], v[64:65], v[62:63], v[66:67] op_sel_hi:[1,0,1]
	v_add_nc_u32_e32 v61, 1, v61
	v_pk_fma_f32 v[62:63], v[64:65], v[62:63], v[66:67] neg_lo:[0,0,1] neg_hi:[0,0,1]
	v_mov_b32_e32 v63, v69
	s_delay_alu instid0(VALU_DEP_3) | instskip(NEXT) | instid1(VALU_DEP_2)
	v_cmp_lt_u32_e32 vcc_lo, 17, v61
	v_pk_add_f32 v[56:57], v[56:57], v[62:63]
	s_or_b32 s3, vcc_lo, s3
	s_delay_alu instid0(SALU_CYCLE_1)
	s_and_not1_b32 exec_lo, exec_lo, s3
	s_cbranch_execnz .LBB89_437
; %bb.438:
	s_or_b32 exec_lo, exec_lo, s3
.LBB89_439:
	s_delay_alu instid0(SALU_CYCLE_1) | instskip(SKIP_4) | instid1(VALU_DEP_1)
	s_or_b32 exec_lo, exec_lo, s2
	v_mov_b32_e32 v59, 0
	ds_load_b64 v[60:61], v59 offset:152
	s_wait_dscnt 0x0
	v_pk_mul_f32 v[62:63], v[56:57], v[60:61] op_sel:[1,1] op_sel_hi:[0,1]
	v_pk_fma_f32 v[64:65], v[56:57], v[60:61], v[62:63] op_sel_hi:[1,0,1]
	v_pk_fma_f32 v[56:57], v[56:57], v[60:61], v[62:63] neg_lo:[0,0,1] neg_hi:[0,0,1]
	s_delay_alu instid0(VALU_DEP_2)
	v_mov_b32_e32 v57, v65
	scratch_store_b64 off, v[56:57], off offset:152
.LBB89_440:
	s_wait_xcnt 0x0
	s_or_b32 exec_lo, exec_lo, s0
	scratch_load_b64 v[56:57], off, off offset:160
	s_mov_b32 s0, exec_lo
	s_wait_loadcnt 0x0
	ds_store_b64 v1, v[56:57]
	s_wait_storecnt_dscnt 0x0
	s_barrier_signal -1
	s_barrier_wait -1
	s_wait_xcnt 0x0
	v_cmpx_gt_u32_e32 20, v0
	s_cbranch_execz .LBB89_450
; %bb.441:
	v_cmp_ne_u32_e32 vcc_lo, 1, v58
	s_cbranch_vccnz .LBB89_443
; %bb.442:
	scratch_load_b64 v[56:57], v55, off
	ds_load_b64 v[60:61], v1
	s_wait_loadcnt_dscnt 0x0
	v_pk_mul_f32 v[62:63], v[60:61], v[56:57] op_sel:[1,1] op_sel_hi:[0,1]
	s_delay_alu instid0(VALU_DEP_1) | instskip(SKIP_1) | instid1(VALU_DEP_2)
	v_pk_fma_f32 v[64:65], v[60:61], v[56:57], v[62:63] op_sel_hi:[1,0,1]
	v_pk_fma_f32 v[56:57], v[60:61], v[56:57], v[62:63] neg_lo:[0,0,1] neg_hi:[0,0,1]
	v_mov_b32_e32 v57, v65
	s_cbranch_execz .LBB89_444
	s_branch .LBB89_445
.LBB89_443:
                                        ; implicit-def: $vgpr56_vgpr57
.LBB89_444:
	ds_load_b64 v[56:57], v1
.LBB89_445:
	s_mov_b32 s2, exec_lo
	v_cmpx_ne_u32_e32 19, v0
	s_cbranch_execz .LBB89_449
; %bb.446:
	v_add_nc_u32_e32 v59, 0xd8, v54
	v_add3_u32 v60, 0, v54, 8
	v_mov_b32_e32 v61, v0
	s_mov_b32 s3, 0
.LBB89_447:                             ; =>This Inner Loop Header: Depth=1
	scratch_load_b64 v[62:63], v60, off
	ds_load_b64 v[64:65], v59
	s_wait_xcnt 0x0
	v_dual_add_nc_u32 v59, 8, v59 :: v_dual_add_nc_u32 v60, 8, v60
	s_wait_loadcnt_dscnt 0x0
	v_pk_mul_f32 v[66:67], v[64:65], v[62:63] op_sel:[1,1] op_sel_hi:[0,1]
	s_delay_alu instid0(VALU_DEP_1) | instskip(SKIP_2) | instid1(VALU_DEP_3)
	v_pk_fma_f32 v[68:69], v[64:65], v[62:63], v[66:67] op_sel_hi:[1,0,1]
	v_add_nc_u32_e32 v61, 1, v61
	v_pk_fma_f32 v[62:63], v[64:65], v[62:63], v[66:67] neg_lo:[0,0,1] neg_hi:[0,0,1]
	v_mov_b32_e32 v63, v69
	s_delay_alu instid0(VALU_DEP_3) | instskip(NEXT) | instid1(VALU_DEP_2)
	v_cmp_lt_u32_e32 vcc_lo, 18, v61
	v_pk_add_f32 v[56:57], v[56:57], v[62:63]
	s_or_b32 s3, vcc_lo, s3
	s_delay_alu instid0(SALU_CYCLE_1)
	s_and_not1_b32 exec_lo, exec_lo, s3
	s_cbranch_execnz .LBB89_447
; %bb.448:
	s_or_b32 exec_lo, exec_lo, s3
.LBB89_449:
	s_delay_alu instid0(SALU_CYCLE_1) | instskip(SKIP_4) | instid1(VALU_DEP_1)
	s_or_b32 exec_lo, exec_lo, s2
	v_mov_b32_e32 v59, 0
	ds_load_b64 v[60:61], v59 offset:160
	s_wait_dscnt 0x0
	v_pk_mul_f32 v[62:63], v[56:57], v[60:61] op_sel:[1,1] op_sel_hi:[0,1]
	v_pk_fma_f32 v[64:65], v[56:57], v[60:61], v[62:63] op_sel_hi:[1,0,1]
	v_pk_fma_f32 v[56:57], v[56:57], v[60:61], v[62:63] neg_lo:[0,0,1] neg_hi:[0,0,1]
	s_delay_alu instid0(VALU_DEP_2)
	v_mov_b32_e32 v57, v65
	scratch_store_b64 off, v[56:57], off offset:160
.LBB89_450:
	s_wait_xcnt 0x0
	s_or_b32 exec_lo, exec_lo, s0
	scratch_load_b64 v[56:57], off, off offset:168
	s_mov_b32 s0, exec_lo
	s_wait_loadcnt 0x0
	ds_store_b64 v1, v[56:57]
	s_wait_storecnt_dscnt 0x0
	s_barrier_signal -1
	s_barrier_wait -1
	s_wait_xcnt 0x0
	v_cmpx_gt_u32_e32 21, v0
	s_cbranch_execz .LBB89_460
; %bb.451:
	v_cmp_ne_u32_e32 vcc_lo, 1, v58
	s_cbranch_vccnz .LBB89_453
; %bb.452:
	scratch_load_b64 v[56:57], v55, off
	ds_load_b64 v[60:61], v1
	s_wait_loadcnt_dscnt 0x0
	v_pk_mul_f32 v[62:63], v[60:61], v[56:57] op_sel:[1,1] op_sel_hi:[0,1]
	s_delay_alu instid0(VALU_DEP_1) | instskip(SKIP_1) | instid1(VALU_DEP_2)
	v_pk_fma_f32 v[64:65], v[60:61], v[56:57], v[62:63] op_sel_hi:[1,0,1]
	v_pk_fma_f32 v[56:57], v[60:61], v[56:57], v[62:63] neg_lo:[0,0,1] neg_hi:[0,0,1]
	v_mov_b32_e32 v57, v65
	s_cbranch_execz .LBB89_454
	s_branch .LBB89_455
.LBB89_453:
                                        ; implicit-def: $vgpr56_vgpr57
.LBB89_454:
	ds_load_b64 v[56:57], v1
.LBB89_455:
	s_mov_b32 s2, exec_lo
	v_cmpx_ne_u32_e32 20, v0
	s_cbranch_execz .LBB89_459
; %bb.456:
	v_add_nc_u32_e32 v59, 0xd8, v54
	v_add3_u32 v60, 0, v54, 8
	v_mov_b32_e32 v61, v0
	s_mov_b32 s3, 0
.LBB89_457:                             ; =>This Inner Loop Header: Depth=1
	scratch_load_b64 v[62:63], v60, off
	ds_load_b64 v[64:65], v59
	s_wait_xcnt 0x0
	v_dual_add_nc_u32 v59, 8, v59 :: v_dual_add_nc_u32 v60, 8, v60
	s_wait_loadcnt_dscnt 0x0
	v_pk_mul_f32 v[66:67], v[64:65], v[62:63] op_sel:[1,1] op_sel_hi:[0,1]
	s_delay_alu instid0(VALU_DEP_1) | instskip(SKIP_2) | instid1(VALU_DEP_3)
	v_pk_fma_f32 v[68:69], v[64:65], v[62:63], v[66:67] op_sel_hi:[1,0,1]
	v_add_nc_u32_e32 v61, 1, v61
	v_pk_fma_f32 v[62:63], v[64:65], v[62:63], v[66:67] neg_lo:[0,0,1] neg_hi:[0,0,1]
	v_mov_b32_e32 v63, v69
	s_delay_alu instid0(VALU_DEP_3) | instskip(NEXT) | instid1(VALU_DEP_2)
	v_cmp_lt_u32_e32 vcc_lo, 19, v61
	v_pk_add_f32 v[56:57], v[56:57], v[62:63]
	s_or_b32 s3, vcc_lo, s3
	s_delay_alu instid0(SALU_CYCLE_1)
	s_and_not1_b32 exec_lo, exec_lo, s3
	s_cbranch_execnz .LBB89_457
; %bb.458:
	s_or_b32 exec_lo, exec_lo, s3
.LBB89_459:
	s_delay_alu instid0(SALU_CYCLE_1) | instskip(SKIP_4) | instid1(VALU_DEP_1)
	s_or_b32 exec_lo, exec_lo, s2
	v_mov_b32_e32 v59, 0
	ds_load_b64 v[60:61], v59 offset:168
	s_wait_dscnt 0x0
	v_pk_mul_f32 v[62:63], v[56:57], v[60:61] op_sel:[1,1] op_sel_hi:[0,1]
	v_pk_fma_f32 v[64:65], v[56:57], v[60:61], v[62:63] op_sel_hi:[1,0,1]
	v_pk_fma_f32 v[56:57], v[56:57], v[60:61], v[62:63] neg_lo:[0,0,1] neg_hi:[0,0,1]
	s_delay_alu instid0(VALU_DEP_2)
	v_mov_b32_e32 v57, v65
	scratch_store_b64 off, v[56:57], off offset:168
.LBB89_460:
	s_wait_xcnt 0x0
	s_or_b32 exec_lo, exec_lo, s0
	scratch_load_b64 v[56:57], off, off offset:176
	s_mov_b32 s0, exec_lo
	s_wait_loadcnt 0x0
	ds_store_b64 v1, v[56:57]
	s_wait_storecnt_dscnt 0x0
	s_barrier_signal -1
	s_barrier_wait -1
	s_wait_xcnt 0x0
	v_cmpx_gt_u32_e32 22, v0
	s_cbranch_execz .LBB89_470
; %bb.461:
	v_cmp_ne_u32_e32 vcc_lo, 1, v58
	s_cbranch_vccnz .LBB89_463
; %bb.462:
	scratch_load_b64 v[56:57], v55, off
	ds_load_b64 v[60:61], v1
	s_wait_loadcnt_dscnt 0x0
	v_pk_mul_f32 v[62:63], v[60:61], v[56:57] op_sel:[1,1] op_sel_hi:[0,1]
	s_delay_alu instid0(VALU_DEP_1) | instskip(SKIP_1) | instid1(VALU_DEP_2)
	v_pk_fma_f32 v[64:65], v[60:61], v[56:57], v[62:63] op_sel_hi:[1,0,1]
	v_pk_fma_f32 v[56:57], v[60:61], v[56:57], v[62:63] neg_lo:[0,0,1] neg_hi:[0,0,1]
	v_mov_b32_e32 v57, v65
	s_cbranch_execz .LBB89_464
	s_branch .LBB89_465
.LBB89_463:
                                        ; implicit-def: $vgpr56_vgpr57
.LBB89_464:
	ds_load_b64 v[56:57], v1
.LBB89_465:
	s_mov_b32 s2, exec_lo
	v_cmpx_ne_u32_e32 21, v0
	s_cbranch_execz .LBB89_469
; %bb.466:
	v_add_nc_u32_e32 v59, 0xd8, v54
	v_add3_u32 v60, 0, v54, 8
	v_mov_b32_e32 v61, v0
	s_mov_b32 s3, 0
.LBB89_467:                             ; =>This Inner Loop Header: Depth=1
	scratch_load_b64 v[62:63], v60, off
	ds_load_b64 v[64:65], v59
	s_wait_xcnt 0x0
	v_dual_add_nc_u32 v59, 8, v59 :: v_dual_add_nc_u32 v60, 8, v60
	s_wait_loadcnt_dscnt 0x0
	v_pk_mul_f32 v[66:67], v[64:65], v[62:63] op_sel:[1,1] op_sel_hi:[0,1]
	s_delay_alu instid0(VALU_DEP_1) | instskip(SKIP_2) | instid1(VALU_DEP_3)
	v_pk_fma_f32 v[68:69], v[64:65], v[62:63], v[66:67] op_sel_hi:[1,0,1]
	v_add_nc_u32_e32 v61, 1, v61
	v_pk_fma_f32 v[62:63], v[64:65], v[62:63], v[66:67] neg_lo:[0,0,1] neg_hi:[0,0,1]
	v_mov_b32_e32 v63, v69
	s_delay_alu instid0(VALU_DEP_3) | instskip(NEXT) | instid1(VALU_DEP_2)
	v_cmp_lt_u32_e32 vcc_lo, 20, v61
	v_pk_add_f32 v[56:57], v[56:57], v[62:63]
	s_or_b32 s3, vcc_lo, s3
	s_delay_alu instid0(SALU_CYCLE_1)
	s_and_not1_b32 exec_lo, exec_lo, s3
	s_cbranch_execnz .LBB89_467
; %bb.468:
	s_or_b32 exec_lo, exec_lo, s3
.LBB89_469:
	s_delay_alu instid0(SALU_CYCLE_1) | instskip(SKIP_4) | instid1(VALU_DEP_1)
	s_or_b32 exec_lo, exec_lo, s2
	v_mov_b32_e32 v59, 0
	ds_load_b64 v[60:61], v59 offset:176
	s_wait_dscnt 0x0
	v_pk_mul_f32 v[62:63], v[56:57], v[60:61] op_sel:[1,1] op_sel_hi:[0,1]
	v_pk_fma_f32 v[64:65], v[56:57], v[60:61], v[62:63] op_sel_hi:[1,0,1]
	v_pk_fma_f32 v[56:57], v[56:57], v[60:61], v[62:63] neg_lo:[0,0,1] neg_hi:[0,0,1]
	s_delay_alu instid0(VALU_DEP_2)
	v_mov_b32_e32 v57, v65
	scratch_store_b64 off, v[56:57], off offset:176
.LBB89_470:
	s_wait_xcnt 0x0
	s_or_b32 exec_lo, exec_lo, s0
	scratch_load_b64 v[56:57], off, off offset:184
	s_mov_b32 s0, exec_lo
	s_wait_loadcnt 0x0
	ds_store_b64 v1, v[56:57]
	s_wait_storecnt_dscnt 0x0
	s_barrier_signal -1
	s_barrier_wait -1
	s_wait_xcnt 0x0
	v_cmpx_gt_u32_e32 23, v0
	s_cbranch_execz .LBB89_480
; %bb.471:
	v_cmp_ne_u32_e32 vcc_lo, 1, v58
	s_cbranch_vccnz .LBB89_473
; %bb.472:
	scratch_load_b64 v[56:57], v55, off
	ds_load_b64 v[60:61], v1
	s_wait_loadcnt_dscnt 0x0
	v_pk_mul_f32 v[62:63], v[60:61], v[56:57] op_sel:[1,1] op_sel_hi:[0,1]
	s_delay_alu instid0(VALU_DEP_1) | instskip(SKIP_1) | instid1(VALU_DEP_2)
	v_pk_fma_f32 v[64:65], v[60:61], v[56:57], v[62:63] op_sel_hi:[1,0,1]
	v_pk_fma_f32 v[56:57], v[60:61], v[56:57], v[62:63] neg_lo:[0,0,1] neg_hi:[0,0,1]
	v_mov_b32_e32 v57, v65
	s_cbranch_execz .LBB89_474
	s_branch .LBB89_475
.LBB89_473:
                                        ; implicit-def: $vgpr56_vgpr57
.LBB89_474:
	ds_load_b64 v[56:57], v1
.LBB89_475:
	s_mov_b32 s2, exec_lo
	v_cmpx_ne_u32_e32 22, v0
	s_cbranch_execz .LBB89_479
; %bb.476:
	v_add_nc_u32_e32 v59, 0xd8, v54
	v_add3_u32 v60, 0, v54, 8
	v_mov_b32_e32 v61, v0
	s_mov_b32 s3, 0
.LBB89_477:                             ; =>This Inner Loop Header: Depth=1
	scratch_load_b64 v[62:63], v60, off
	ds_load_b64 v[64:65], v59
	s_wait_xcnt 0x0
	v_dual_add_nc_u32 v59, 8, v59 :: v_dual_add_nc_u32 v60, 8, v60
	s_wait_loadcnt_dscnt 0x0
	v_pk_mul_f32 v[66:67], v[64:65], v[62:63] op_sel:[1,1] op_sel_hi:[0,1]
	s_delay_alu instid0(VALU_DEP_1) | instskip(SKIP_2) | instid1(VALU_DEP_3)
	v_pk_fma_f32 v[68:69], v[64:65], v[62:63], v[66:67] op_sel_hi:[1,0,1]
	v_add_nc_u32_e32 v61, 1, v61
	v_pk_fma_f32 v[62:63], v[64:65], v[62:63], v[66:67] neg_lo:[0,0,1] neg_hi:[0,0,1]
	v_mov_b32_e32 v63, v69
	s_delay_alu instid0(VALU_DEP_3) | instskip(NEXT) | instid1(VALU_DEP_2)
	v_cmp_lt_u32_e32 vcc_lo, 21, v61
	v_pk_add_f32 v[56:57], v[56:57], v[62:63]
	s_or_b32 s3, vcc_lo, s3
	s_delay_alu instid0(SALU_CYCLE_1)
	s_and_not1_b32 exec_lo, exec_lo, s3
	s_cbranch_execnz .LBB89_477
; %bb.478:
	s_or_b32 exec_lo, exec_lo, s3
.LBB89_479:
	s_delay_alu instid0(SALU_CYCLE_1) | instskip(SKIP_4) | instid1(VALU_DEP_1)
	s_or_b32 exec_lo, exec_lo, s2
	v_mov_b32_e32 v59, 0
	ds_load_b64 v[60:61], v59 offset:184
	s_wait_dscnt 0x0
	v_pk_mul_f32 v[62:63], v[56:57], v[60:61] op_sel:[1,1] op_sel_hi:[0,1]
	v_pk_fma_f32 v[64:65], v[56:57], v[60:61], v[62:63] op_sel_hi:[1,0,1]
	v_pk_fma_f32 v[56:57], v[56:57], v[60:61], v[62:63] neg_lo:[0,0,1] neg_hi:[0,0,1]
	s_delay_alu instid0(VALU_DEP_2)
	v_mov_b32_e32 v57, v65
	scratch_store_b64 off, v[56:57], off offset:184
.LBB89_480:
	s_wait_xcnt 0x0
	s_or_b32 exec_lo, exec_lo, s0
	scratch_load_b64 v[56:57], off, off offset:192
	v_cmp_gt_u32_e64 s0, 24, v0
	s_wait_loadcnt 0x0
	ds_store_b64 v1, v[56:57]
	s_wait_storecnt_dscnt 0x0
	s_barrier_signal -1
	s_barrier_wait -1
	s_wait_xcnt 0x0
	s_and_saveexec_b32 s2, s0
	s_cbranch_execz .LBB89_490
; %bb.481:
	v_cmp_ne_u32_e32 vcc_lo, 1, v58
	s_cbranch_vccnz .LBB89_483
; %bb.482:
	scratch_load_b64 v[56:57], v55, off
	ds_load_b64 v[60:61], v1
	s_wait_loadcnt_dscnt 0x0
	v_pk_mul_f32 v[62:63], v[60:61], v[56:57] op_sel:[1,1] op_sel_hi:[0,1]
	s_delay_alu instid0(VALU_DEP_1) | instskip(SKIP_1) | instid1(VALU_DEP_2)
	v_pk_fma_f32 v[64:65], v[60:61], v[56:57], v[62:63] op_sel_hi:[1,0,1]
	v_pk_fma_f32 v[56:57], v[60:61], v[56:57], v[62:63] neg_lo:[0,0,1] neg_hi:[0,0,1]
	v_mov_b32_e32 v57, v65
	s_cbranch_execz .LBB89_484
	s_branch .LBB89_485
.LBB89_483:
                                        ; implicit-def: $vgpr56_vgpr57
.LBB89_484:
	ds_load_b64 v[56:57], v1
.LBB89_485:
	s_mov_b32 s3, exec_lo
	v_cmpx_ne_u32_e32 23, v0
	s_cbranch_execz .LBB89_489
; %bb.486:
	v_add_nc_u32_e32 v59, 0xd8, v54
	v_add3_u32 v60, 0, v54, 8
	v_mov_b32_e32 v61, v0
	s_mov_b32 s4, 0
.LBB89_487:                             ; =>This Inner Loop Header: Depth=1
	scratch_load_b64 v[62:63], v60, off
	ds_load_b64 v[64:65], v59
	s_wait_xcnt 0x0
	v_dual_add_nc_u32 v59, 8, v59 :: v_dual_add_nc_u32 v60, 8, v60
	s_wait_loadcnt_dscnt 0x0
	v_pk_mul_f32 v[66:67], v[64:65], v[62:63] op_sel:[1,1] op_sel_hi:[0,1]
	s_delay_alu instid0(VALU_DEP_1) | instskip(SKIP_2) | instid1(VALU_DEP_3)
	v_pk_fma_f32 v[68:69], v[64:65], v[62:63], v[66:67] op_sel_hi:[1,0,1]
	v_add_nc_u32_e32 v61, 1, v61
	v_pk_fma_f32 v[62:63], v[64:65], v[62:63], v[66:67] neg_lo:[0,0,1] neg_hi:[0,0,1]
	v_mov_b32_e32 v63, v69
	s_delay_alu instid0(VALU_DEP_3) | instskip(NEXT) | instid1(VALU_DEP_2)
	v_cmp_lt_u32_e32 vcc_lo, 22, v61
	v_pk_add_f32 v[56:57], v[56:57], v[62:63]
	s_or_b32 s4, vcc_lo, s4
	s_delay_alu instid0(SALU_CYCLE_1)
	s_and_not1_b32 exec_lo, exec_lo, s4
	s_cbranch_execnz .LBB89_487
; %bb.488:
	s_or_b32 exec_lo, exec_lo, s4
.LBB89_489:
	s_delay_alu instid0(SALU_CYCLE_1) | instskip(SKIP_4) | instid1(VALU_DEP_1)
	s_or_b32 exec_lo, exec_lo, s3
	v_mov_b32_e32 v59, 0
	ds_load_b64 v[60:61], v59 offset:192
	s_wait_dscnt 0x0
	v_pk_mul_f32 v[62:63], v[56:57], v[60:61] op_sel:[1,1] op_sel_hi:[0,1]
	v_pk_fma_f32 v[64:65], v[56:57], v[60:61], v[62:63] op_sel_hi:[1,0,1]
	v_pk_fma_f32 v[56:57], v[56:57], v[60:61], v[62:63] neg_lo:[0,0,1] neg_hi:[0,0,1]
	s_delay_alu instid0(VALU_DEP_2)
	v_mov_b32_e32 v57, v65
	scratch_store_b64 off, v[56:57], off offset:192
.LBB89_490:
	s_wait_xcnt 0x0
	s_or_b32 exec_lo, exec_lo, s2
	scratch_load_b64 v[56:57], off, off offset:200
	s_mov_b32 s2, exec_lo
                                        ; implicit-def: $vgpr76
                                        ; implicit-def: $sgpr5
	s_wait_loadcnt 0x0
	ds_store_b64 v1, v[56:57]
	s_wait_storecnt_dscnt 0x0
	s_barrier_signal -1
	s_barrier_wait -1
	s_wait_xcnt 0x0
	v_cmpx_ne_u32_e32 25, v0
	s_cbranch_execz .LBB89_500
; %bb.491:
	v_cmp_ne_u32_e32 vcc_lo, 1, v58
	s_cbranch_vccnz .LBB89_493
; %bb.492:
	scratch_load_b64 v[58:59], v55, off
	ds_load_b64 v[60:61], v1
	s_wait_loadcnt_dscnt 0x0
	v_dual_mul_f32 v55, v61, v59 :: v_dual_mul_f32 v57, v60, v59
	s_delay_alu instid0(VALU_DEP_1)
	v_dual_fma_f32 v56, v60, v58, -v55 :: v_dual_fmac_f32 v57, v61, v58
	s_cbranch_execz .LBB89_494
	s_branch .LBB89_495
.LBB89_493:
                                        ; implicit-def: $vgpr57
.LBB89_494:
	ds_load_b64 v[56:57], v1
.LBB89_495:
	s_and_saveexec_b32 s3, s0
	s_cbranch_execz .LBB89_499
; %bb.496:
	v_add_nc_u32_e32 v1, 0xd8, v54
	v_add3_u32 v54, 0, v54, 8
	s_mov_b32 s0, 0
.LBB89_497:                             ; =>This Inner Loop Header: Depth=1
	scratch_load_b64 v[58:59], v54, off
	ds_load_b64 v[60:61], v1
	s_wait_loadcnt_dscnt 0x0
	v_dual_add_nc_u32 v1, 8, v1 :: v_dual_mul_f32 v55, v61, v59
	v_dual_mul_f32 v59, v60, v59 :: v_dual_add_nc_u32 v0, 1, v0
	s_delay_alu instid0(VALU_DEP_2) | instskip(NEXT) | instid1(VALU_DEP_2)
	v_fma_f32 v55, v60, v58, -v55
	v_fmac_f32_e32 v59, v61, v58
	s_delay_alu instid0(VALU_DEP_3) | instskip(NEXT) | instid1(VALU_DEP_3)
	v_cmp_lt_u32_e32 vcc_lo, 23, v0
	v_dual_add_nc_u32 v54, 8, v54 :: v_dual_add_f32 v56, v56, v55
	s_delay_alu instid0(VALU_DEP_3) | instskip(SKIP_1) | instid1(SALU_CYCLE_1)
	v_add_f32_e32 v57, v57, v59
	s_or_b32 s0, vcc_lo, s0
	s_and_not1_b32 exec_lo, exec_lo, s0
	s_cbranch_execnz .LBB89_497
; %bb.498:
	s_or_b32 exec_lo, exec_lo, s0
.LBB89_499:
	s_delay_alu instid0(SALU_CYCLE_1)
	s_or_b32 exec_lo, exec_lo, s3
	v_mov_b32_e32 v0, 0
	s_movk_i32 s5, 0xcc
	s_or_b32 s1, s1, exec_lo
	ds_load_b64 v[0:1], v0 offset:200
	s_wait_dscnt 0x0
	v_dual_mul_f32 v54, v57, v1 :: v_dual_mul_f32 v76, v56, v1
	s_delay_alu instid0(VALU_DEP_1)
	v_dual_fma_f32 v1, v56, v0, -v54 :: v_dual_fmac_f32 v76, v57, v0
	scratch_store_b32 off, v1, off offset:200
.LBB89_500:
	s_wait_xcnt 0x0
	s_or_b32 exec_lo, exec_lo, s2
.LBB89_501:
	v_lshl_add_u64 v[74:75], v[6:7], 3, s[6:7]
	v_lshl_add_u64 v[72:73], v[8:9], 3, s[6:7]
	;; [unrolled: 1-line block ×24, first 2 shown]
	s_and_saveexec_b32 s0, s1
	s_cbranch_execz .LBB89_503
; %bb.502:
	scratch_store_b32 off, v76, s5
.LBB89_503:
	s_wait_xcnt 0x0
	s_or_b32 exec_lo, exec_lo, s0
	scratch_load_b64 v[30:31], off, off
	s_wait_loadcnt 0x0
	flat_store_b64 v[2:3], v[30:31]
	scratch_load_b64 v[2:3], off, off offset:8
	s_wait_loadcnt 0x0
	flat_store_b64 v[4:5], v[2:3]
	scratch_load_b64 v[2:3], off, off offset:16
	;; [unrolled: 3-line block ×25, first 2 shown]
	s_wait_loadcnt 0x0
	flat_store_b64 v[0:1], v[2:3]
.LBB89_504:
	s_sendmsg sendmsg(MSG_DEALLOC_VGPRS)
	s_endpgm
	.section	.rodata,"a",@progbits
	.p2align	6, 0x0
	.amdhsa_kernel _ZN9rocsolver6v33100L18trti2_kernel_smallILi26E19rocblas_complex_numIfEPKPS3_EEv13rocblas_fill_17rocblas_diagonal_T1_iil
		.amdhsa_group_segment_fixed_size 416
		.amdhsa_private_segment_fixed_size 224
		.amdhsa_kernarg_size 32
		.amdhsa_user_sgpr_count 2
		.amdhsa_user_sgpr_dispatch_ptr 0
		.amdhsa_user_sgpr_queue_ptr 0
		.amdhsa_user_sgpr_kernarg_segment_ptr 1
		.amdhsa_user_sgpr_dispatch_id 0
		.amdhsa_user_sgpr_kernarg_preload_length 0
		.amdhsa_user_sgpr_kernarg_preload_offset 0
		.amdhsa_user_sgpr_private_segment_size 0
		.amdhsa_wavefront_size32 1
		.amdhsa_uses_dynamic_stack 0
		.amdhsa_enable_private_segment 1
		.amdhsa_system_sgpr_workgroup_id_x 1
		.amdhsa_system_sgpr_workgroup_id_y 0
		.amdhsa_system_sgpr_workgroup_id_z 0
		.amdhsa_system_sgpr_workgroup_info 0
		.amdhsa_system_vgpr_workitem_id 0
		.amdhsa_next_free_vgpr 77
		.amdhsa_next_free_sgpr 31
		.amdhsa_named_barrier_count 0
		.amdhsa_reserve_vcc 1
		.amdhsa_float_round_mode_32 0
		.amdhsa_float_round_mode_16_64 0
		.amdhsa_float_denorm_mode_32 3
		.amdhsa_float_denorm_mode_16_64 3
		.amdhsa_fp16_overflow 0
		.amdhsa_memory_ordered 1
		.amdhsa_forward_progress 1
		.amdhsa_inst_pref_size 156
		.amdhsa_round_robin_scheduling 0
		.amdhsa_exception_fp_ieee_invalid_op 0
		.amdhsa_exception_fp_denorm_src 0
		.amdhsa_exception_fp_ieee_div_zero 0
		.amdhsa_exception_fp_ieee_overflow 0
		.amdhsa_exception_fp_ieee_underflow 0
		.amdhsa_exception_fp_ieee_inexact 0
		.amdhsa_exception_int_div_zero 0
	.end_amdhsa_kernel
	.section	.text._ZN9rocsolver6v33100L18trti2_kernel_smallILi26E19rocblas_complex_numIfEPKPS3_EEv13rocblas_fill_17rocblas_diagonal_T1_iil,"axG",@progbits,_ZN9rocsolver6v33100L18trti2_kernel_smallILi26E19rocblas_complex_numIfEPKPS3_EEv13rocblas_fill_17rocblas_diagonal_T1_iil,comdat
.Lfunc_end89:
	.size	_ZN9rocsolver6v33100L18trti2_kernel_smallILi26E19rocblas_complex_numIfEPKPS3_EEv13rocblas_fill_17rocblas_diagonal_T1_iil, .Lfunc_end89-_ZN9rocsolver6v33100L18trti2_kernel_smallILi26E19rocblas_complex_numIfEPKPS3_EEv13rocblas_fill_17rocblas_diagonal_T1_iil
                                        ; -- End function
	.set _ZN9rocsolver6v33100L18trti2_kernel_smallILi26E19rocblas_complex_numIfEPKPS3_EEv13rocblas_fill_17rocblas_diagonal_T1_iil.num_vgpr, 77
	.set _ZN9rocsolver6v33100L18trti2_kernel_smallILi26E19rocblas_complex_numIfEPKPS3_EEv13rocblas_fill_17rocblas_diagonal_T1_iil.num_agpr, 0
	.set _ZN9rocsolver6v33100L18trti2_kernel_smallILi26E19rocblas_complex_numIfEPKPS3_EEv13rocblas_fill_17rocblas_diagonal_T1_iil.numbered_sgpr, 31
	.set _ZN9rocsolver6v33100L18trti2_kernel_smallILi26E19rocblas_complex_numIfEPKPS3_EEv13rocblas_fill_17rocblas_diagonal_T1_iil.num_named_barrier, 0
	.set _ZN9rocsolver6v33100L18trti2_kernel_smallILi26E19rocblas_complex_numIfEPKPS3_EEv13rocblas_fill_17rocblas_diagonal_T1_iil.private_seg_size, 224
	.set _ZN9rocsolver6v33100L18trti2_kernel_smallILi26E19rocblas_complex_numIfEPKPS3_EEv13rocblas_fill_17rocblas_diagonal_T1_iil.uses_vcc, 1
	.set _ZN9rocsolver6v33100L18trti2_kernel_smallILi26E19rocblas_complex_numIfEPKPS3_EEv13rocblas_fill_17rocblas_diagonal_T1_iil.uses_flat_scratch, 0
	.set _ZN9rocsolver6v33100L18trti2_kernel_smallILi26E19rocblas_complex_numIfEPKPS3_EEv13rocblas_fill_17rocblas_diagonal_T1_iil.has_dyn_sized_stack, 0
	.set _ZN9rocsolver6v33100L18trti2_kernel_smallILi26E19rocblas_complex_numIfEPKPS3_EEv13rocblas_fill_17rocblas_diagonal_T1_iil.has_recursion, 0
	.set _ZN9rocsolver6v33100L18trti2_kernel_smallILi26E19rocblas_complex_numIfEPKPS3_EEv13rocblas_fill_17rocblas_diagonal_T1_iil.has_indirect_call, 0
	.section	.AMDGPU.csdata,"",@progbits
; Kernel info:
; codeLenInByte = 19944
; TotalNumSgprs: 33
; NumVgprs: 77
; ScratchSize: 224
; MemoryBound: 0
; FloatMode: 240
; IeeeMode: 1
; LDSByteSize: 416 bytes/workgroup (compile time only)
; SGPRBlocks: 0
; VGPRBlocks: 4
; NumSGPRsForWavesPerEU: 33
; NumVGPRsForWavesPerEU: 77
; NamedBarCnt: 0
; Occupancy: 12
; WaveLimiterHint : 1
; COMPUTE_PGM_RSRC2:SCRATCH_EN: 1
; COMPUTE_PGM_RSRC2:USER_SGPR: 2
; COMPUTE_PGM_RSRC2:TRAP_HANDLER: 0
; COMPUTE_PGM_RSRC2:TGID_X_EN: 1
; COMPUTE_PGM_RSRC2:TGID_Y_EN: 0
; COMPUTE_PGM_RSRC2:TGID_Z_EN: 0
; COMPUTE_PGM_RSRC2:TIDIG_COMP_CNT: 0
	.section	.text._ZN9rocsolver6v33100L18trti2_kernel_smallILi27E19rocblas_complex_numIfEPKPS3_EEv13rocblas_fill_17rocblas_diagonal_T1_iil,"axG",@progbits,_ZN9rocsolver6v33100L18trti2_kernel_smallILi27E19rocblas_complex_numIfEPKPS3_EEv13rocblas_fill_17rocblas_diagonal_T1_iil,comdat
	.globl	_ZN9rocsolver6v33100L18trti2_kernel_smallILi27E19rocblas_complex_numIfEPKPS3_EEv13rocblas_fill_17rocblas_diagonal_T1_iil ; -- Begin function _ZN9rocsolver6v33100L18trti2_kernel_smallILi27E19rocblas_complex_numIfEPKPS3_EEv13rocblas_fill_17rocblas_diagonal_T1_iil
	.p2align	8
	.type	_ZN9rocsolver6v33100L18trti2_kernel_smallILi27E19rocblas_complex_numIfEPKPS3_EEv13rocblas_fill_17rocblas_diagonal_T1_iil,@function
_ZN9rocsolver6v33100L18trti2_kernel_smallILi27E19rocblas_complex_numIfEPKPS3_EEv13rocblas_fill_17rocblas_diagonal_T1_iil: ; @_ZN9rocsolver6v33100L18trti2_kernel_smallILi27E19rocblas_complex_numIfEPKPS3_EEv13rocblas_fill_17rocblas_diagonal_T1_iil
; %bb.0:
	s_mov_b32 s2, exec_lo
	v_cmpx_gt_u32_e32 27, v0
	s_cbranch_execz .LBB90_524
; %bb.1:
	s_clause 0x1
	s_load_b64 s[8:9], s[0:1], 0x10
	s_load_b128 s[4:7], s[0:1], 0x0
	s_wait_xcnt 0x0
	s_bfe_u32 s0, ttmp6, 0x4000c
	s_and_b32 s1, ttmp6, 15
	s_add_co_i32 s0, s0, 1
	s_getreg_b32 s2, hwreg(HW_REG_IB_STS2, 6, 4)
	s_mul_i32 s0, ttmp9, s0
	v_dual_mov_b32 v57, 0 :: v_dual_lshlrev_b32 v56, 3, v0
	s_add_co_i32 s0, s1, s0
	s_wait_kmcnt 0x0
	s_ashr_i32 s1, s8, 31
	s_cmp_eq_u32 s2, 0
	s_cselect_b32 s2, ttmp9, s0
	s_mov_b32 s0, s8
	s_ashr_i32 s3, s2, 31
	s_lshl_b64 s[0:1], s[0:1], 3
	s_lshl_b64 s[2:3], s[2:3], 3
	s_delay_alu instid0(SALU_CYCLE_1)
	s_add_nc_u64 s[2:3], s[6:7], s[2:3]
	s_load_b64 s[2:3], s[2:3], 0x0
	s_wait_kmcnt 0x0
	s_add_nc_u64 s[2:3], s[2:3], s[0:1]
	s_mov_b32 s0, s9
	flat_load_b64 v[6:7], v0, s[2:3] scale_offset
	v_add_nc_u64_e32 v[2:3], s[2:3], v[56:57]
	s_ashr_i32 s1, s9, 31
	s_cmp_lg_u32 s5, 0x84
	s_cselect_b32 s5, -1, 0
	s_delay_alu instid0(SALU_CYCLE_1) | instskip(NEXT) | instid1(VALU_DEP_1)
	s_and_b32 vcc_lo, exec_lo, s5
	v_lshl_add_u64 v[4:5], s[0:1], 3, v[2:3]
	s_mov_b32 s0, -1
	s_wait_loadcnt_dscnt 0x0
	scratch_store_b64 off, v[6:7], off
	flat_load_b64 v[8:9], v[4:5]
	s_wait_xcnt 0x1
	v_add3_u32 v6, s9, s9, v0
	s_wait_loadcnt_dscnt 0x0
	scratch_store_b64 off, v[8:9], off offset:8
	flat_load_b64 v[10:11], v6, s[2:3] scale_offset
	s_wait_xcnt 0x1
	v_add_nc_u32_e32 v8, s9, v6
	s_wait_loadcnt_dscnt 0x0
	scratch_store_b64 off, v[10:11], off offset:16
	flat_load_b64 v[12:13], v8, s[2:3] scale_offset
	s_wait_xcnt 0x1
	v_add_nc_u32_e32 v10, s9, v8
	;; [unrolled: 5-line block ×24, first 2 shown]
	s_wait_loadcnt_dscnt 0x0
	scratch_store_b64 off, v[58:59], off offset:200
	flat_load_b64 v[58:59], v54, s[2:3] scale_offset
	s_wait_loadcnt_dscnt 0x0
	scratch_store_b64 off, v[58:59], off offset:208
	s_cbranch_vccz .LBB90_7
; %bb.2:
	scratch_load_b64 v[58:59], v0, off scale_offset
                                        ; implicit-def: $vgpr63
                                        ; implicit-def: $vgpr60
	s_wait_loadcnt 0x0
	v_cmp_ngt_f32_e64 s0, |v58|, |v59|
	s_wait_xcnt 0x0
	s_and_saveexec_b32 s1, s0
	s_delay_alu instid0(SALU_CYCLE_1)
	s_xor_b32 s0, exec_lo, s1
	s_cbranch_execz .LBB90_4
; %bb.3:
	v_div_scale_f32 v1, null, v59, v59, v58
	v_div_scale_f32 v11, vcc_lo, v58, v59, v58
	s_delay_alu instid0(VALU_DEP_2) | instskip(SKIP_1) | instid1(TRANS32_DEP_1)
	v_rcp_f32_e32 v7, v1
	v_nop
	v_fma_f32 v9, -v1, v7, 1.0
	s_delay_alu instid0(VALU_DEP_1) | instskip(NEXT) | instid1(VALU_DEP_1)
	v_fmac_f32_e32 v7, v9, v7
	v_mul_f32_e32 v9, v11, v7
	s_delay_alu instid0(VALU_DEP_1) | instskip(NEXT) | instid1(VALU_DEP_1)
	v_fma_f32 v13, -v1, v9, v11
	v_fmac_f32_e32 v9, v13, v7
	s_delay_alu instid0(VALU_DEP_1) | instskip(NEXT) | instid1(VALU_DEP_1)
	v_fma_f32 v1, -v1, v9, v11
	v_div_fmas_f32 v1, v1, v7, v9
	s_delay_alu instid0(VALU_DEP_1) | instskip(NEXT) | instid1(VALU_DEP_1)
	v_div_fixup_f32 v1, v1, v59, v58
	v_fmac_f32_e32 v59, v58, v1
	s_delay_alu instid0(VALU_DEP_1) | instskip(NEXT) | instid1(VALU_DEP_1)
	v_div_scale_f32 v7, null, v59, v59, -1.0
	v_rcp_f32_e32 v9, v7
	v_nop
	s_delay_alu instid0(TRANS32_DEP_1) | instskip(NEXT) | instid1(VALU_DEP_1)
	v_fma_f32 v11, -v7, v9, 1.0
	v_fmac_f32_e32 v9, v11, v9
	v_div_scale_f32 v11, vcc_lo, -1.0, v59, -1.0
	s_delay_alu instid0(VALU_DEP_1) | instskip(NEXT) | instid1(VALU_DEP_1)
	v_mul_f32_e32 v13, v11, v9
	v_fma_f32 v15, -v7, v13, v11
	s_delay_alu instid0(VALU_DEP_1) | instskip(NEXT) | instid1(VALU_DEP_1)
	v_fmac_f32_e32 v13, v15, v9
	v_fma_f32 v7, -v7, v13, v11
	s_delay_alu instid0(VALU_DEP_1) | instskip(NEXT) | instid1(VALU_DEP_1)
	v_div_fmas_f32 v7, v7, v9, v13
	v_div_fixup_f32 v63, v7, v59, -1.0
                                        ; implicit-def: $vgpr58_vgpr59
	s_delay_alu instid0(VALU_DEP_1) | instskip(NEXT) | instid1(VALU_DEP_1)
	v_mul_f32_e32 v60, v1, v63
	v_xor_b32_e32 v62, 0x80000000, v60
.LBB90_4:
	s_or_saveexec_b32 s0, s0
	v_lshl_add_u32 v1, v0, 3, 0
	s_xor_b32 exec_lo, exec_lo, s0
	s_cbranch_execz .LBB90_6
; %bb.5:
	v_div_scale_f32 v7, null, v58, v58, v59
	v_div_scale_f32 v13, vcc_lo, v59, v58, v59
	s_delay_alu instid0(VALU_DEP_2) | instskip(SKIP_1) | instid1(TRANS32_DEP_1)
	v_rcp_f32_e32 v9, v7
	v_nop
	v_fma_f32 v11, -v7, v9, 1.0
	s_delay_alu instid0(VALU_DEP_1) | instskip(NEXT) | instid1(VALU_DEP_1)
	v_fmac_f32_e32 v9, v11, v9
	v_mul_f32_e32 v11, v13, v9
	s_delay_alu instid0(VALU_DEP_1) | instskip(NEXT) | instid1(VALU_DEP_1)
	v_fma_f32 v15, -v7, v11, v13
	v_fmac_f32_e32 v11, v15, v9
	s_delay_alu instid0(VALU_DEP_1) | instskip(NEXT) | instid1(VALU_DEP_1)
	v_fma_f32 v7, -v7, v11, v13
	v_div_fmas_f32 v7, v7, v9, v11
	s_delay_alu instid0(VALU_DEP_1) | instskip(NEXT) | instid1(VALU_DEP_1)
	v_div_fixup_f32 v7, v7, v58, v59
	v_fmac_f32_e32 v58, v59, v7
	s_delay_alu instid0(VALU_DEP_1) | instskip(SKIP_1) | instid1(VALU_DEP_2)
	v_div_scale_f32 v9, null, v58, v58, 1.0
	v_div_scale_f32 v15, vcc_lo, 1.0, v58, 1.0
	v_rcp_f32_e32 v11, v9
	v_nop
	s_delay_alu instid0(TRANS32_DEP_1) | instskip(NEXT) | instid1(VALU_DEP_1)
	v_fma_f32 v13, -v9, v11, 1.0
	v_fmac_f32_e32 v11, v13, v11
	s_delay_alu instid0(VALU_DEP_1) | instskip(NEXT) | instid1(VALU_DEP_1)
	v_mul_f32_e32 v13, v15, v11
	v_fma_f32 v17, -v9, v13, v15
	s_delay_alu instid0(VALU_DEP_1) | instskip(NEXT) | instid1(VALU_DEP_1)
	v_fmac_f32_e32 v13, v17, v11
	v_fma_f32 v9, -v9, v13, v15
	s_delay_alu instid0(VALU_DEP_1) | instskip(NEXT) | instid1(VALU_DEP_1)
	v_div_fmas_f32 v9, v9, v11, v13
	v_div_fixup_f32 v62, v9, v58, 1.0
	s_delay_alu instid0(VALU_DEP_1)
	v_xor_b32_e32 v60, 0x80000000, v62
	v_mul_f32_e64 v63, v7, -v62
.LBB90_6:
	s_or_b32 exec_lo, exec_lo, s0
	s_delay_alu instid0(VALU_DEP_1)
	v_xor_b32_e32 v61, 0x80000000, v63
	s_mov_b32 s0, 0
	scratch_store_b64 v1, v[62:63], off
	ds_store_b64 v56, v[60:61]
.LBB90_7:
	s_and_b32 vcc_lo, exec_lo, s0
	s_cbranch_vccz .LBB90_9
; %bb.8:
	s_mov_b64 s[0:1], 0xbf800000
	s_wait_xcnt 0x0
	v_mov_b64_e32 v[58:59], s[0:1]
	ds_store_b64 v56, v[58:59]
.LBB90_9:
	v_dual_ashrrev_i32 v7, 31, v6 :: v_dual_ashrrev_i32 v9, 31, v8
	v_dual_ashrrev_i32 v11, 31, v10 :: v_dual_ashrrev_i32 v13, 31, v12
	;; [unrolled: 1-line block ×12, first 2 shown]
	v_dual_ashrrev_i32 v55, 31, v54 :: v_dual_mov_b32 v57, v56
	s_wait_xcnt 0x0
	v_add_nc_u32_e32 v1, 0xe0, v56
	s_cmp_eq_u32 s4, 0x79
	s_cbranch_scc1 .LBB90_13
; %bb.10:
	scratch_load_b64 v[58:59], off, off offset:200
	v_cmp_eq_u32_e64 s0, 26, v0
	s_movk_i32 s1, 0x48
	s_movk_i32 s14, 0x50
	;; [unrolled: 1-line block ×16, first 2 shown]
	s_wait_loadcnt 0x0
	ds_store_b64 v1, v[58:59]
	s_wait_storecnt_dscnt 0x0
	s_barrier_signal -1
	s_barrier_wait -1
	s_wait_xcnt 0x0
	s_and_saveexec_b32 s4, s0
	s_cbranch_execz .LBB90_17
; %bb.11:
	s_and_b32 vcc_lo, exec_lo, s5
	s_cbranch_vccz .LBB90_14
; %bb.12:
	scratch_load_b64 v[58:59], v57, off
	ds_load_b64 v[60:61], v1
	s_wait_loadcnt_dscnt 0x0
	v_pk_mul_f32 v[62:63], v[60:61], v[58:59] op_sel:[1,1] op_sel_hi:[0,1]
	v_pk_mul_f32 v[64:65], v[60:61], v[58:59] op_sel_hi:[1,0]
	s_delay_alu instid0(VALU_DEP_2) | instskip(NEXT) | instid1(VALU_DEP_2)
	v_pk_fma_f32 v[58:59], v[60:61], v[58:59], v[62:63] op_sel_hi:[1,0,1]
	v_sub_f32_e32 v58, v64, v62
	s_cbranch_execz .LBB90_15
	s_branch .LBB90_16
.LBB90_13:
	s_mov_b32 s1, 0
                                        ; implicit-def: $vgpr80
                                        ; implicit-def: $sgpr7
	s_cbranch_execnz .LBB90_266
	s_branch .LBB90_521
.LBB90_14:
                                        ; implicit-def: $vgpr59
.LBB90_15:
	ds_load_b64 v[58:59], v1
.LBB90_16:
	s_wait_dscnt 0x0
	v_dual_mov_b32 v60, 0 :: v_dual_mov_b32 v62, v59
	v_mov_b32_e32 v63, v58
	ds_load_b64 v[60:61], v60 offset:200
	s_wait_dscnt 0x0
	v_pk_mul_f32 v[62:63], v[62:63], v[60:61] op_sel:[0,1]
	s_delay_alu instid0(VALU_DEP_1) | instskip(SKIP_1) | instid1(VALU_DEP_2)
	v_pk_fma_f32 v[64:65], v[58:59], v[60:61], v[62:63] op_sel_hi:[1,0,1]
	v_pk_fma_f32 v[58:59], v[58:59], v[60:61], v[62:63] neg_lo:[0,0,1] neg_hi:[0,0,1]
	v_mov_b32_e32 v59, v65
	scratch_store_b64 off, v[58:59], off offset:200
.LBB90_17:
	s_wait_xcnt 0x0
	s_or_b32 exec_lo, exec_lo, s4
	scratch_load_b64 v[58:59], off, off offset:192
	s_mov_b32 s13, s1
	v_cmp_lt_u32_e64 s1, 24, v0
	s_or_b32 s4, 0, 8
	s_mov_b32 s6, 16
	s_mov_b32 s7, 24
	;; [unrolled: 1-line block ×7, first 2 shown]
	s_wait_loadcnt 0x0
	ds_store_b64 v1, v[58:59]
	s_wait_storecnt_dscnt 0x0
	s_barrier_signal -1
	s_barrier_wait -1
	s_wait_xcnt 0x0
	s_and_saveexec_b32 s29, s1
	s_cbranch_execz .LBB90_25
; %bb.18:
	s_and_not1_b32 vcc_lo, exec_lo, s5
	s_cbranch_vccnz .LBB90_20
; %bb.19:
	scratch_load_b64 v[58:59], v57, off
	ds_load_b64 v[60:61], v1
	s_wait_loadcnt_dscnt 0x0
	v_pk_mul_f32 v[62:63], v[60:61], v[58:59] op_sel:[1,1] op_sel_hi:[0,1]
	s_delay_alu instid0(VALU_DEP_1) | instskip(SKIP_1) | instid1(VALU_DEP_2)
	v_pk_fma_f32 v[64:65], v[60:61], v[58:59], v[62:63] op_sel_hi:[1,0,1]
	v_pk_fma_f32 v[58:59], v[60:61], v[58:59], v[62:63] neg_lo:[0,0,1] neg_hi:[0,0,1]
	v_mov_b32_e32 v59, v65
	s_cbranch_execz .LBB90_21
	s_branch .LBB90_22
.LBB90_20:
                                        ; implicit-def: $vgpr58_vgpr59
.LBB90_21:
	ds_load_b64 v[58:59], v1
.LBB90_22:
	s_and_saveexec_b32 s30, s0
	s_cbranch_execz .LBB90_24
; %bb.23:
	scratch_load_b64 v[60:61], off, off offset:200
	v_mov_b32_e32 v62, 0
	ds_load_b64 v[62:63], v62 offset:424
	s_wait_loadcnt_dscnt 0x0
	v_pk_mul_f32 v[64:65], v[62:63], v[60:61] op_sel:[1,1] op_sel_hi:[0,1]
	s_delay_alu instid0(VALU_DEP_1) | instskip(SKIP_1) | instid1(VALU_DEP_2)
	v_pk_fma_f32 v[66:67], v[62:63], v[60:61], v[64:65] op_sel_hi:[1,0,1]
	v_pk_fma_f32 v[60:61], v[62:63], v[60:61], v[64:65] neg_lo:[0,0,1] neg_hi:[0,0,1]
	v_mov_b32_e32 v61, v67
	s_delay_alu instid0(VALU_DEP_1)
	v_pk_add_f32 v[58:59], v[58:59], v[60:61]
.LBB90_24:
	s_or_b32 exec_lo, exec_lo, s30
	v_mov_b32_e32 v60, 0
	ds_load_b64 v[60:61], v60 offset:192
	s_wait_dscnt 0x0
	v_pk_mul_f32 v[62:63], v[58:59], v[60:61] op_sel:[1,1] op_sel_hi:[0,1]
	s_delay_alu instid0(VALU_DEP_1) | instskip(SKIP_1) | instid1(VALU_DEP_2)
	v_pk_fma_f32 v[64:65], v[58:59], v[60:61], v[62:63] op_sel_hi:[1,0,1]
	v_pk_fma_f32 v[58:59], v[58:59], v[60:61], v[62:63] neg_lo:[0,0,1] neg_hi:[0,0,1]
	v_mov_b32_e32 v59, v65
	scratch_store_b64 off, v[58:59], off offset:192
.LBB90_25:
	s_wait_xcnt 0x0
	s_or_b32 exec_lo, exec_lo, s29
	scratch_load_b64 v[58:59], off, off offset:184
	v_cmp_lt_u32_e64 s0, 23, v0
	s_wait_loadcnt 0x0
	ds_store_b64 v1, v[58:59]
	s_wait_storecnt_dscnt 0x0
	s_barrier_signal -1
	s_barrier_wait -1
	s_wait_xcnt 0x0
	s_and_saveexec_b32 s29, s0
	s_cbranch_execz .LBB90_35
; %bb.26:
	s_and_not1_b32 vcc_lo, exec_lo, s5
	s_cbranch_vccnz .LBB90_28
; %bb.27:
	scratch_load_b64 v[58:59], v57, off
	ds_load_b64 v[60:61], v1
	s_wait_loadcnt_dscnt 0x0
	v_pk_mul_f32 v[62:63], v[60:61], v[58:59] op_sel:[1,1] op_sel_hi:[0,1]
	s_delay_alu instid0(VALU_DEP_1) | instskip(SKIP_1) | instid1(VALU_DEP_2)
	v_pk_fma_f32 v[64:65], v[60:61], v[58:59], v[62:63] op_sel_hi:[1,0,1]
	v_pk_fma_f32 v[58:59], v[60:61], v[58:59], v[62:63] neg_lo:[0,0,1] neg_hi:[0,0,1]
	v_mov_b32_e32 v59, v65
	s_cbranch_execz .LBB90_29
	s_branch .LBB90_30
.LBB90_28:
                                        ; implicit-def: $vgpr58_vgpr59
.LBB90_29:
	ds_load_b64 v[58:59], v1
.LBB90_30:
	s_and_saveexec_b32 s30, s1
	s_cbranch_execz .LBB90_34
; %bb.31:
	v_subrev_nc_u32_e32 v60, 24, v0
	s_movk_i32 s31, 0x1a0
	s_mov_b32 s1, 0
.LBB90_32:                              ; =>This Inner Loop Header: Depth=1
	scratch_load_b64 v[62:63], off, s28
	v_dual_mov_b32 v61, s31 :: v_dual_add_nc_u32 v60, -1, v60
	s_add_co_i32 s31, s31, 8
	s_wait_xcnt 0x0
	s_add_co_i32 s28, s28, 8
	ds_load_b64 v[64:65], v61
	v_cmp_eq_u32_e32 vcc_lo, 0, v60
	s_or_b32 s1, vcc_lo, s1
	s_wait_loadcnt_dscnt 0x0
	v_pk_mul_f32 v[66:67], v[64:65], v[62:63] op_sel:[1,1] op_sel_hi:[0,1]
	s_delay_alu instid0(VALU_DEP_1) | instskip(SKIP_1) | instid1(VALU_DEP_2)
	v_pk_fma_f32 v[68:69], v[64:65], v[62:63], v[66:67] op_sel_hi:[1,0,1]
	v_pk_fma_f32 v[62:63], v[64:65], v[62:63], v[66:67] neg_lo:[0,0,1] neg_hi:[0,0,1]
	v_mov_b32_e32 v63, v69
	s_delay_alu instid0(VALU_DEP_1)
	v_pk_add_f32 v[58:59], v[58:59], v[62:63]
	s_and_not1_b32 exec_lo, exec_lo, s1
	s_cbranch_execnz .LBB90_32
; %bb.33:
	s_or_b32 exec_lo, exec_lo, s1
.LBB90_34:
	s_delay_alu instid0(SALU_CYCLE_1) | instskip(SKIP_4) | instid1(VALU_DEP_1)
	s_or_b32 exec_lo, exec_lo, s30
	v_mov_b32_e32 v60, 0
	ds_load_b64 v[60:61], v60 offset:184
	s_wait_dscnt 0x0
	v_pk_mul_f32 v[62:63], v[58:59], v[60:61] op_sel:[1,1] op_sel_hi:[0,1]
	v_pk_fma_f32 v[64:65], v[58:59], v[60:61], v[62:63] op_sel_hi:[1,0,1]
	v_pk_fma_f32 v[58:59], v[58:59], v[60:61], v[62:63] neg_lo:[0,0,1] neg_hi:[0,0,1]
	s_delay_alu instid0(VALU_DEP_2)
	v_mov_b32_e32 v59, v65
	scratch_store_b64 off, v[58:59], off offset:184
.LBB90_35:
	s_wait_xcnt 0x0
	s_or_b32 exec_lo, exec_lo, s29
	scratch_load_b64 v[58:59], off, off offset:176
	v_cmp_lt_u32_e64 s1, 22, v0
	s_wait_loadcnt 0x0
	ds_store_b64 v1, v[58:59]
	s_wait_storecnt_dscnt 0x0
	s_barrier_signal -1
	s_barrier_wait -1
	s_wait_xcnt 0x0
	s_and_saveexec_b32 s28, s1
	s_cbranch_execz .LBB90_45
; %bb.36:
	s_and_not1_b32 vcc_lo, exec_lo, s5
	s_cbranch_vccnz .LBB90_38
; %bb.37:
	scratch_load_b64 v[58:59], v57, off
	ds_load_b64 v[60:61], v1
	s_wait_loadcnt_dscnt 0x0
	v_pk_mul_f32 v[62:63], v[60:61], v[58:59] op_sel:[1,1] op_sel_hi:[0,1]
	s_delay_alu instid0(VALU_DEP_1) | instskip(SKIP_1) | instid1(VALU_DEP_2)
	v_pk_fma_f32 v[64:65], v[60:61], v[58:59], v[62:63] op_sel_hi:[1,0,1]
	v_pk_fma_f32 v[58:59], v[60:61], v[58:59], v[62:63] neg_lo:[0,0,1] neg_hi:[0,0,1]
	v_mov_b32_e32 v59, v65
	s_cbranch_execz .LBB90_39
	s_branch .LBB90_40
.LBB90_38:
                                        ; implicit-def: $vgpr58_vgpr59
.LBB90_39:
	ds_load_b64 v[58:59], v1
.LBB90_40:
	s_and_saveexec_b32 s29, s0
	s_cbranch_execz .LBB90_44
; %bb.41:
	v_subrev_nc_u32_e32 v60, 23, v0
	s_movk_i32 s30, 0x198
	s_mov_b32 s0, 0
.LBB90_42:                              ; =>This Inner Loop Header: Depth=1
	scratch_load_b64 v[62:63], off, s27
	v_dual_mov_b32 v61, s30 :: v_dual_add_nc_u32 v60, -1, v60
	s_add_co_i32 s30, s30, 8
	s_wait_xcnt 0x0
	s_add_co_i32 s27, s27, 8
	ds_load_b64 v[64:65], v61
	v_cmp_eq_u32_e32 vcc_lo, 0, v60
	s_or_b32 s0, vcc_lo, s0
	s_wait_loadcnt_dscnt 0x0
	v_pk_mul_f32 v[66:67], v[64:65], v[62:63] op_sel:[1,1] op_sel_hi:[0,1]
	s_delay_alu instid0(VALU_DEP_1) | instskip(SKIP_1) | instid1(VALU_DEP_2)
	v_pk_fma_f32 v[68:69], v[64:65], v[62:63], v[66:67] op_sel_hi:[1,0,1]
	v_pk_fma_f32 v[62:63], v[64:65], v[62:63], v[66:67] neg_lo:[0,0,1] neg_hi:[0,0,1]
	v_mov_b32_e32 v63, v69
	s_delay_alu instid0(VALU_DEP_1)
	v_pk_add_f32 v[58:59], v[58:59], v[62:63]
	s_and_not1_b32 exec_lo, exec_lo, s0
	s_cbranch_execnz .LBB90_42
; %bb.43:
	s_or_b32 exec_lo, exec_lo, s0
.LBB90_44:
	s_delay_alu instid0(SALU_CYCLE_1) | instskip(SKIP_4) | instid1(VALU_DEP_1)
	s_or_b32 exec_lo, exec_lo, s29
	v_mov_b32_e32 v60, 0
	ds_load_b64 v[60:61], v60 offset:176
	s_wait_dscnt 0x0
	v_pk_mul_f32 v[62:63], v[58:59], v[60:61] op_sel:[1,1] op_sel_hi:[0,1]
	v_pk_fma_f32 v[64:65], v[58:59], v[60:61], v[62:63] op_sel_hi:[1,0,1]
	v_pk_fma_f32 v[58:59], v[58:59], v[60:61], v[62:63] neg_lo:[0,0,1] neg_hi:[0,0,1]
	s_delay_alu instid0(VALU_DEP_2)
	v_mov_b32_e32 v59, v65
	scratch_store_b64 off, v[58:59], off offset:176
.LBB90_45:
	s_wait_xcnt 0x0
	s_or_b32 exec_lo, exec_lo, s28
	scratch_load_b64 v[58:59], off, off offset:168
	v_cmp_lt_u32_e64 s0, 21, v0
	s_wait_loadcnt 0x0
	ds_store_b64 v1, v[58:59]
	s_wait_storecnt_dscnt 0x0
	s_barrier_signal -1
	s_barrier_wait -1
	s_wait_xcnt 0x0
	s_and_saveexec_b32 s27, s0
	s_cbranch_execz .LBB90_55
; %bb.46:
	s_and_not1_b32 vcc_lo, exec_lo, s5
	s_cbranch_vccnz .LBB90_48
; %bb.47:
	scratch_load_b64 v[58:59], v57, off
	ds_load_b64 v[60:61], v1
	s_wait_loadcnt_dscnt 0x0
	v_pk_mul_f32 v[62:63], v[60:61], v[58:59] op_sel:[1,1] op_sel_hi:[0,1]
	s_delay_alu instid0(VALU_DEP_1) | instskip(SKIP_1) | instid1(VALU_DEP_2)
	v_pk_fma_f32 v[64:65], v[60:61], v[58:59], v[62:63] op_sel_hi:[1,0,1]
	v_pk_fma_f32 v[58:59], v[60:61], v[58:59], v[62:63] neg_lo:[0,0,1] neg_hi:[0,0,1]
	v_mov_b32_e32 v59, v65
	s_cbranch_execz .LBB90_49
	s_branch .LBB90_50
.LBB90_48:
                                        ; implicit-def: $vgpr58_vgpr59
.LBB90_49:
	ds_load_b64 v[58:59], v1
.LBB90_50:
	s_and_saveexec_b32 s28, s1
	s_cbranch_execz .LBB90_54
; %bb.51:
	v_subrev_nc_u32_e32 v60, 22, v0
	s_movk_i32 s29, 0x190
	s_mov_b32 s1, 0
.LBB90_52:                              ; =>This Inner Loop Header: Depth=1
	scratch_load_b64 v[62:63], off, s26
	v_dual_mov_b32 v61, s29 :: v_dual_add_nc_u32 v60, -1, v60
	s_add_co_i32 s29, s29, 8
	s_wait_xcnt 0x0
	s_add_co_i32 s26, s26, 8
	ds_load_b64 v[64:65], v61
	v_cmp_eq_u32_e32 vcc_lo, 0, v60
	s_or_b32 s1, vcc_lo, s1
	s_wait_loadcnt_dscnt 0x0
	v_pk_mul_f32 v[66:67], v[64:65], v[62:63] op_sel:[1,1] op_sel_hi:[0,1]
	s_delay_alu instid0(VALU_DEP_1) | instskip(SKIP_1) | instid1(VALU_DEP_2)
	v_pk_fma_f32 v[68:69], v[64:65], v[62:63], v[66:67] op_sel_hi:[1,0,1]
	v_pk_fma_f32 v[62:63], v[64:65], v[62:63], v[66:67] neg_lo:[0,0,1] neg_hi:[0,0,1]
	v_mov_b32_e32 v63, v69
	s_delay_alu instid0(VALU_DEP_1)
	v_pk_add_f32 v[58:59], v[58:59], v[62:63]
	s_and_not1_b32 exec_lo, exec_lo, s1
	s_cbranch_execnz .LBB90_52
; %bb.53:
	s_or_b32 exec_lo, exec_lo, s1
.LBB90_54:
	s_delay_alu instid0(SALU_CYCLE_1) | instskip(SKIP_4) | instid1(VALU_DEP_1)
	s_or_b32 exec_lo, exec_lo, s28
	v_mov_b32_e32 v60, 0
	ds_load_b64 v[60:61], v60 offset:168
	s_wait_dscnt 0x0
	v_pk_mul_f32 v[62:63], v[58:59], v[60:61] op_sel:[1,1] op_sel_hi:[0,1]
	v_pk_fma_f32 v[64:65], v[58:59], v[60:61], v[62:63] op_sel_hi:[1,0,1]
	v_pk_fma_f32 v[58:59], v[58:59], v[60:61], v[62:63] neg_lo:[0,0,1] neg_hi:[0,0,1]
	s_delay_alu instid0(VALU_DEP_2)
	v_mov_b32_e32 v59, v65
	scratch_store_b64 off, v[58:59], off offset:168
.LBB90_55:
	s_wait_xcnt 0x0
	s_or_b32 exec_lo, exec_lo, s27
	scratch_load_b64 v[58:59], off, off offset:160
	v_cmp_lt_u32_e64 s1, 20, v0
	s_wait_loadcnt 0x0
	ds_store_b64 v1, v[58:59]
	s_wait_storecnt_dscnt 0x0
	s_barrier_signal -1
	s_barrier_wait -1
	s_wait_xcnt 0x0
	s_and_saveexec_b32 s26, s1
	s_cbranch_execz .LBB90_65
; %bb.56:
	s_and_not1_b32 vcc_lo, exec_lo, s5
	s_cbranch_vccnz .LBB90_58
; %bb.57:
	scratch_load_b64 v[58:59], v57, off
	ds_load_b64 v[60:61], v1
	s_wait_loadcnt_dscnt 0x0
	v_pk_mul_f32 v[62:63], v[60:61], v[58:59] op_sel:[1,1] op_sel_hi:[0,1]
	s_delay_alu instid0(VALU_DEP_1) | instskip(SKIP_1) | instid1(VALU_DEP_2)
	v_pk_fma_f32 v[64:65], v[60:61], v[58:59], v[62:63] op_sel_hi:[1,0,1]
	v_pk_fma_f32 v[58:59], v[60:61], v[58:59], v[62:63] neg_lo:[0,0,1] neg_hi:[0,0,1]
	v_mov_b32_e32 v59, v65
	s_cbranch_execz .LBB90_59
	s_branch .LBB90_60
.LBB90_58:
                                        ; implicit-def: $vgpr58_vgpr59
.LBB90_59:
	ds_load_b64 v[58:59], v1
.LBB90_60:
	s_and_saveexec_b32 s27, s0
	s_cbranch_execz .LBB90_64
; %bb.61:
	v_subrev_nc_u32_e32 v60, 21, v0
	s_movk_i32 s28, 0x188
	s_mov_b32 s0, 0
.LBB90_62:                              ; =>This Inner Loop Header: Depth=1
	scratch_load_b64 v[62:63], off, s25
	v_dual_mov_b32 v61, s28 :: v_dual_add_nc_u32 v60, -1, v60
	s_add_co_i32 s28, s28, 8
	s_wait_xcnt 0x0
	s_add_co_i32 s25, s25, 8
	ds_load_b64 v[64:65], v61
	v_cmp_eq_u32_e32 vcc_lo, 0, v60
	s_or_b32 s0, vcc_lo, s0
	s_wait_loadcnt_dscnt 0x0
	v_pk_mul_f32 v[66:67], v[64:65], v[62:63] op_sel:[1,1] op_sel_hi:[0,1]
	s_delay_alu instid0(VALU_DEP_1) | instskip(SKIP_1) | instid1(VALU_DEP_2)
	v_pk_fma_f32 v[68:69], v[64:65], v[62:63], v[66:67] op_sel_hi:[1,0,1]
	v_pk_fma_f32 v[62:63], v[64:65], v[62:63], v[66:67] neg_lo:[0,0,1] neg_hi:[0,0,1]
	v_mov_b32_e32 v63, v69
	s_delay_alu instid0(VALU_DEP_1)
	v_pk_add_f32 v[58:59], v[58:59], v[62:63]
	s_and_not1_b32 exec_lo, exec_lo, s0
	s_cbranch_execnz .LBB90_62
; %bb.63:
	s_or_b32 exec_lo, exec_lo, s0
.LBB90_64:
	s_delay_alu instid0(SALU_CYCLE_1) | instskip(SKIP_4) | instid1(VALU_DEP_1)
	s_or_b32 exec_lo, exec_lo, s27
	v_mov_b32_e32 v60, 0
	ds_load_b64 v[60:61], v60 offset:160
	s_wait_dscnt 0x0
	v_pk_mul_f32 v[62:63], v[58:59], v[60:61] op_sel:[1,1] op_sel_hi:[0,1]
	v_pk_fma_f32 v[64:65], v[58:59], v[60:61], v[62:63] op_sel_hi:[1,0,1]
	v_pk_fma_f32 v[58:59], v[58:59], v[60:61], v[62:63] neg_lo:[0,0,1] neg_hi:[0,0,1]
	s_delay_alu instid0(VALU_DEP_2)
	v_mov_b32_e32 v59, v65
	scratch_store_b64 off, v[58:59], off offset:160
.LBB90_65:
	s_wait_xcnt 0x0
	s_or_b32 exec_lo, exec_lo, s26
	scratch_load_b64 v[58:59], off, off offset:152
	v_cmp_lt_u32_e64 s0, 19, v0
	s_wait_loadcnt 0x0
	ds_store_b64 v1, v[58:59]
	s_wait_storecnt_dscnt 0x0
	s_barrier_signal -1
	s_barrier_wait -1
	s_wait_xcnt 0x0
	s_and_saveexec_b32 s25, s0
	s_cbranch_execz .LBB90_75
; %bb.66:
	s_and_not1_b32 vcc_lo, exec_lo, s5
	s_cbranch_vccnz .LBB90_68
; %bb.67:
	scratch_load_b64 v[58:59], v57, off
	ds_load_b64 v[60:61], v1
	s_wait_loadcnt_dscnt 0x0
	v_pk_mul_f32 v[62:63], v[60:61], v[58:59] op_sel:[1,1] op_sel_hi:[0,1]
	s_delay_alu instid0(VALU_DEP_1) | instskip(SKIP_1) | instid1(VALU_DEP_2)
	v_pk_fma_f32 v[64:65], v[60:61], v[58:59], v[62:63] op_sel_hi:[1,0,1]
	v_pk_fma_f32 v[58:59], v[60:61], v[58:59], v[62:63] neg_lo:[0,0,1] neg_hi:[0,0,1]
	v_mov_b32_e32 v59, v65
	s_cbranch_execz .LBB90_69
	s_branch .LBB90_70
.LBB90_68:
                                        ; implicit-def: $vgpr58_vgpr59
.LBB90_69:
	ds_load_b64 v[58:59], v1
.LBB90_70:
	s_and_saveexec_b32 s26, s1
	s_cbranch_execz .LBB90_74
; %bb.71:
	v_subrev_nc_u32_e32 v60, 20, v0
	s_movk_i32 s27, 0x180
	s_mov_b32 s1, 0
.LBB90_72:                              ; =>This Inner Loop Header: Depth=1
	scratch_load_b64 v[62:63], off, s24
	v_dual_mov_b32 v61, s27 :: v_dual_add_nc_u32 v60, -1, v60
	s_add_co_i32 s27, s27, 8
	s_wait_xcnt 0x0
	s_add_co_i32 s24, s24, 8
	ds_load_b64 v[64:65], v61
	v_cmp_eq_u32_e32 vcc_lo, 0, v60
	s_or_b32 s1, vcc_lo, s1
	s_wait_loadcnt_dscnt 0x0
	v_pk_mul_f32 v[66:67], v[64:65], v[62:63] op_sel:[1,1] op_sel_hi:[0,1]
	s_delay_alu instid0(VALU_DEP_1) | instskip(SKIP_1) | instid1(VALU_DEP_2)
	v_pk_fma_f32 v[68:69], v[64:65], v[62:63], v[66:67] op_sel_hi:[1,0,1]
	v_pk_fma_f32 v[62:63], v[64:65], v[62:63], v[66:67] neg_lo:[0,0,1] neg_hi:[0,0,1]
	v_mov_b32_e32 v63, v69
	s_delay_alu instid0(VALU_DEP_1)
	v_pk_add_f32 v[58:59], v[58:59], v[62:63]
	s_and_not1_b32 exec_lo, exec_lo, s1
	s_cbranch_execnz .LBB90_72
; %bb.73:
	s_or_b32 exec_lo, exec_lo, s1
.LBB90_74:
	s_delay_alu instid0(SALU_CYCLE_1) | instskip(SKIP_4) | instid1(VALU_DEP_1)
	s_or_b32 exec_lo, exec_lo, s26
	v_mov_b32_e32 v60, 0
	ds_load_b64 v[60:61], v60 offset:152
	s_wait_dscnt 0x0
	v_pk_mul_f32 v[62:63], v[58:59], v[60:61] op_sel:[1,1] op_sel_hi:[0,1]
	v_pk_fma_f32 v[64:65], v[58:59], v[60:61], v[62:63] op_sel_hi:[1,0,1]
	v_pk_fma_f32 v[58:59], v[58:59], v[60:61], v[62:63] neg_lo:[0,0,1] neg_hi:[0,0,1]
	s_delay_alu instid0(VALU_DEP_2)
	v_mov_b32_e32 v59, v65
	scratch_store_b64 off, v[58:59], off offset:152
.LBB90_75:
	s_wait_xcnt 0x0
	s_or_b32 exec_lo, exec_lo, s25
	scratch_load_b64 v[58:59], off, off offset:144
	v_cmp_lt_u32_e64 s1, 18, v0
	s_wait_loadcnt 0x0
	ds_store_b64 v1, v[58:59]
	s_wait_storecnt_dscnt 0x0
	s_barrier_signal -1
	s_barrier_wait -1
	s_wait_xcnt 0x0
	s_and_saveexec_b32 s24, s1
	s_cbranch_execz .LBB90_85
; %bb.76:
	s_and_not1_b32 vcc_lo, exec_lo, s5
	s_cbranch_vccnz .LBB90_78
; %bb.77:
	scratch_load_b64 v[58:59], v57, off
	ds_load_b64 v[60:61], v1
	s_wait_loadcnt_dscnt 0x0
	v_pk_mul_f32 v[62:63], v[60:61], v[58:59] op_sel:[1,1] op_sel_hi:[0,1]
	s_delay_alu instid0(VALU_DEP_1) | instskip(SKIP_1) | instid1(VALU_DEP_2)
	v_pk_fma_f32 v[64:65], v[60:61], v[58:59], v[62:63] op_sel_hi:[1,0,1]
	v_pk_fma_f32 v[58:59], v[60:61], v[58:59], v[62:63] neg_lo:[0,0,1] neg_hi:[0,0,1]
	v_mov_b32_e32 v59, v65
	s_cbranch_execz .LBB90_79
	s_branch .LBB90_80
.LBB90_78:
                                        ; implicit-def: $vgpr58_vgpr59
.LBB90_79:
	ds_load_b64 v[58:59], v1
.LBB90_80:
	s_and_saveexec_b32 s25, s0
	s_cbranch_execz .LBB90_84
; %bb.81:
	v_subrev_nc_u32_e32 v60, 19, v0
	s_movk_i32 s26, 0x178
	s_mov_b32 s0, 0
.LBB90_82:                              ; =>This Inner Loop Header: Depth=1
	scratch_load_b64 v[62:63], off, s23
	v_dual_mov_b32 v61, s26 :: v_dual_add_nc_u32 v60, -1, v60
	s_add_co_i32 s26, s26, 8
	s_wait_xcnt 0x0
	s_add_co_i32 s23, s23, 8
	ds_load_b64 v[64:65], v61
	v_cmp_eq_u32_e32 vcc_lo, 0, v60
	s_or_b32 s0, vcc_lo, s0
	s_wait_loadcnt_dscnt 0x0
	v_pk_mul_f32 v[66:67], v[64:65], v[62:63] op_sel:[1,1] op_sel_hi:[0,1]
	s_delay_alu instid0(VALU_DEP_1) | instskip(SKIP_1) | instid1(VALU_DEP_2)
	v_pk_fma_f32 v[68:69], v[64:65], v[62:63], v[66:67] op_sel_hi:[1,0,1]
	v_pk_fma_f32 v[62:63], v[64:65], v[62:63], v[66:67] neg_lo:[0,0,1] neg_hi:[0,0,1]
	v_mov_b32_e32 v63, v69
	s_delay_alu instid0(VALU_DEP_1)
	v_pk_add_f32 v[58:59], v[58:59], v[62:63]
	s_and_not1_b32 exec_lo, exec_lo, s0
	s_cbranch_execnz .LBB90_82
; %bb.83:
	s_or_b32 exec_lo, exec_lo, s0
.LBB90_84:
	s_delay_alu instid0(SALU_CYCLE_1) | instskip(SKIP_4) | instid1(VALU_DEP_1)
	s_or_b32 exec_lo, exec_lo, s25
	v_mov_b32_e32 v60, 0
	ds_load_b64 v[60:61], v60 offset:144
	s_wait_dscnt 0x0
	v_pk_mul_f32 v[62:63], v[58:59], v[60:61] op_sel:[1,1] op_sel_hi:[0,1]
	v_pk_fma_f32 v[64:65], v[58:59], v[60:61], v[62:63] op_sel_hi:[1,0,1]
	v_pk_fma_f32 v[58:59], v[58:59], v[60:61], v[62:63] neg_lo:[0,0,1] neg_hi:[0,0,1]
	s_delay_alu instid0(VALU_DEP_2)
	v_mov_b32_e32 v59, v65
	scratch_store_b64 off, v[58:59], off offset:144
.LBB90_85:
	s_wait_xcnt 0x0
	s_or_b32 exec_lo, exec_lo, s24
	scratch_load_b64 v[58:59], off, off offset:136
	v_cmp_lt_u32_e64 s0, 17, v0
	s_wait_loadcnt 0x0
	ds_store_b64 v1, v[58:59]
	s_wait_storecnt_dscnt 0x0
	s_barrier_signal -1
	s_barrier_wait -1
	s_wait_xcnt 0x0
	s_and_saveexec_b32 s23, s0
	s_cbranch_execz .LBB90_95
; %bb.86:
	s_and_not1_b32 vcc_lo, exec_lo, s5
	s_cbranch_vccnz .LBB90_88
; %bb.87:
	scratch_load_b64 v[58:59], v57, off
	ds_load_b64 v[60:61], v1
	s_wait_loadcnt_dscnt 0x0
	v_pk_mul_f32 v[62:63], v[60:61], v[58:59] op_sel:[1,1] op_sel_hi:[0,1]
	s_delay_alu instid0(VALU_DEP_1) | instskip(SKIP_1) | instid1(VALU_DEP_2)
	v_pk_fma_f32 v[64:65], v[60:61], v[58:59], v[62:63] op_sel_hi:[1,0,1]
	v_pk_fma_f32 v[58:59], v[60:61], v[58:59], v[62:63] neg_lo:[0,0,1] neg_hi:[0,0,1]
	v_mov_b32_e32 v59, v65
	s_cbranch_execz .LBB90_89
	s_branch .LBB90_90
.LBB90_88:
                                        ; implicit-def: $vgpr58_vgpr59
.LBB90_89:
	ds_load_b64 v[58:59], v1
.LBB90_90:
	s_and_saveexec_b32 s24, s1
	s_cbranch_execz .LBB90_94
; %bb.91:
	v_subrev_nc_u32_e32 v60, 18, v0
	s_movk_i32 s25, 0x170
	s_mov_b32 s1, 0
.LBB90_92:                              ; =>This Inner Loop Header: Depth=1
	scratch_load_b64 v[62:63], off, s22
	v_dual_mov_b32 v61, s25 :: v_dual_add_nc_u32 v60, -1, v60
	s_add_co_i32 s25, s25, 8
	s_wait_xcnt 0x0
	s_add_co_i32 s22, s22, 8
	ds_load_b64 v[64:65], v61
	v_cmp_eq_u32_e32 vcc_lo, 0, v60
	s_or_b32 s1, vcc_lo, s1
	s_wait_loadcnt_dscnt 0x0
	v_pk_mul_f32 v[66:67], v[64:65], v[62:63] op_sel:[1,1] op_sel_hi:[0,1]
	s_delay_alu instid0(VALU_DEP_1) | instskip(SKIP_1) | instid1(VALU_DEP_2)
	v_pk_fma_f32 v[68:69], v[64:65], v[62:63], v[66:67] op_sel_hi:[1,0,1]
	v_pk_fma_f32 v[62:63], v[64:65], v[62:63], v[66:67] neg_lo:[0,0,1] neg_hi:[0,0,1]
	v_mov_b32_e32 v63, v69
	s_delay_alu instid0(VALU_DEP_1)
	v_pk_add_f32 v[58:59], v[58:59], v[62:63]
	s_and_not1_b32 exec_lo, exec_lo, s1
	s_cbranch_execnz .LBB90_92
; %bb.93:
	s_or_b32 exec_lo, exec_lo, s1
.LBB90_94:
	s_delay_alu instid0(SALU_CYCLE_1) | instskip(SKIP_4) | instid1(VALU_DEP_1)
	s_or_b32 exec_lo, exec_lo, s24
	v_mov_b32_e32 v60, 0
	ds_load_b64 v[60:61], v60 offset:136
	s_wait_dscnt 0x0
	v_pk_mul_f32 v[62:63], v[58:59], v[60:61] op_sel:[1,1] op_sel_hi:[0,1]
	v_pk_fma_f32 v[64:65], v[58:59], v[60:61], v[62:63] op_sel_hi:[1,0,1]
	v_pk_fma_f32 v[58:59], v[58:59], v[60:61], v[62:63] neg_lo:[0,0,1] neg_hi:[0,0,1]
	s_delay_alu instid0(VALU_DEP_2)
	v_mov_b32_e32 v59, v65
	scratch_store_b64 off, v[58:59], off offset:136
.LBB90_95:
	s_wait_xcnt 0x0
	s_or_b32 exec_lo, exec_lo, s23
	scratch_load_b64 v[58:59], off, off offset:128
	v_cmp_lt_u32_e64 s1, 16, v0
	s_wait_loadcnt 0x0
	ds_store_b64 v1, v[58:59]
	s_wait_storecnt_dscnt 0x0
	s_barrier_signal -1
	s_barrier_wait -1
	s_wait_xcnt 0x0
	s_and_saveexec_b32 s22, s1
	s_cbranch_execz .LBB90_105
; %bb.96:
	s_and_not1_b32 vcc_lo, exec_lo, s5
	s_cbranch_vccnz .LBB90_98
; %bb.97:
	scratch_load_b64 v[58:59], v57, off
	ds_load_b64 v[60:61], v1
	s_wait_loadcnt_dscnt 0x0
	v_pk_mul_f32 v[62:63], v[60:61], v[58:59] op_sel:[1,1] op_sel_hi:[0,1]
	s_delay_alu instid0(VALU_DEP_1) | instskip(SKIP_1) | instid1(VALU_DEP_2)
	v_pk_fma_f32 v[64:65], v[60:61], v[58:59], v[62:63] op_sel_hi:[1,0,1]
	v_pk_fma_f32 v[58:59], v[60:61], v[58:59], v[62:63] neg_lo:[0,0,1] neg_hi:[0,0,1]
	v_mov_b32_e32 v59, v65
	s_cbranch_execz .LBB90_99
	s_branch .LBB90_100
.LBB90_98:
                                        ; implicit-def: $vgpr58_vgpr59
.LBB90_99:
	ds_load_b64 v[58:59], v1
.LBB90_100:
	s_and_saveexec_b32 s23, s0
	s_cbranch_execz .LBB90_104
; %bb.101:
	v_subrev_nc_u32_e32 v60, 17, v0
	s_movk_i32 s24, 0x168
	s_mov_b32 s0, 0
.LBB90_102:                             ; =>This Inner Loop Header: Depth=1
	scratch_load_b64 v[62:63], off, s21
	v_dual_mov_b32 v61, s24 :: v_dual_add_nc_u32 v60, -1, v60
	s_add_co_i32 s24, s24, 8
	s_wait_xcnt 0x0
	s_add_co_i32 s21, s21, 8
	ds_load_b64 v[64:65], v61
	v_cmp_eq_u32_e32 vcc_lo, 0, v60
	s_or_b32 s0, vcc_lo, s0
	s_wait_loadcnt_dscnt 0x0
	v_pk_mul_f32 v[66:67], v[64:65], v[62:63] op_sel:[1,1] op_sel_hi:[0,1]
	s_delay_alu instid0(VALU_DEP_1) | instskip(SKIP_1) | instid1(VALU_DEP_2)
	v_pk_fma_f32 v[68:69], v[64:65], v[62:63], v[66:67] op_sel_hi:[1,0,1]
	v_pk_fma_f32 v[62:63], v[64:65], v[62:63], v[66:67] neg_lo:[0,0,1] neg_hi:[0,0,1]
	v_mov_b32_e32 v63, v69
	s_delay_alu instid0(VALU_DEP_1)
	v_pk_add_f32 v[58:59], v[58:59], v[62:63]
	s_and_not1_b32 exec_lo, exec_lo, s0
	s_cbranch_execnz .LBB90_102
; %bb.103:
	s_or_b32 exec_lo, exec_lo, s0
.LBB90_104:
	s_delay_alu instid0(SALU_CYCLE_1) | instskip(SKIP_4) | instid1(VALU_DEP_1)
	s_or_b32 exec_lo, exec_lo, s23
	v_mov_b32_e32 v60, 0
	ds_load_b64 v[60:61], v60 offset:128
	s_wait_dscnt 0x0
	v_pk_mul_f32 v[62:63], v[58:59], v[60:61] op_sel:[1,1] op_sel_hi:[0,1]
	v_pk_fma_f32 v[64:65], v[58:59], v[60:61], v[62:63] op_sel_hi:[1,0,1]
	v_pk_fma_f32 v[58:59], v[58:59], v[60:61], v[62:63] neg_lo:[0,0,1] neg_hi:[0,0,1]
	s_delay_alu instid0(VALU_DEP_2)
	v_mov_b32_e32 v59, v65
	scratch_store_b64 off, v[58:59], off offset:128
.LBB90_105:
	s_wait_xcnt 0x0
	s_or_b32 exec_lo, exec_lo, s22
	scratch_load_b64 v[58:59], off, off offset:120
	v_cmp_lt_u32_e64 s0, 15, v0
	s_wait_loadcnt 0x0
	ds_store_b64 v1, v[58:59]
	s_wait_storecnt_dscnt 0x0
	s_barrier_signal -1
	s_barrier_wait -1
	s_wait_xcnt 0x0
	s_and_saveexec_b32 s21, s0
	s_cbranch_execz .LBB90_115
; %bb.106:
	s_and_not1_b32 vcc_lo, exec_lo, s5
	s_cbranch_vccnz .LBB90_108
; %bb.107:
	scratch_load_b64 v[58:59], v57, off
	ds_load_b64 v[60:61], v1
	s_wait_loadcnt_dscnt 0x0
	v_pk_mul_f32 v[62:63], v[60:61], v[58:59] op_sel:[1,1] op_sel_hi:[0,1]
	s_delay_alu instid0(VALU_DEP_1) | instskip(SKIP_1) | instid1(VALU_DEP_2)
	v_pk_fma_f32 v[64:65], v[60:61], v[58:59], v[62:63] op_sel_hi:[1,0,1]
	v_pk_fma_f32 v[58:59], v[60:61], v[58:59], v[62:63] neg_lo:[0,0,1] neg_hi:[0,0,1]
	v_mov_b32_e32 v59, v65
	s_cbranch_execz .LBB90_109
	s_branch .LBB90_110
.LBB90_108:
                                        ; implicit-def: $vgpr58_vgpr59
.LBB90_109:
	ds_load_b64 v[58:59], v1
.LBB90_110:
	s_and_saveexec_b32 s22, s1
	s_cbranch_execz .LBB90_114
; %bb.111:
	v_add_nc_u32_e32 v60, -16, v0
	s_movk_i32 s23, 0x160
	s_mov_b32 s1, 0
.LBB90_112:                             ; =>This Inner Loop Header: Depth=1
	scratch_load_b64 v[62:63], off, s20
	v_dual_mov_b32 v61, s23 :: v_dual_add_nc_u32 v60, -1, v60
	s_add_co_i32 s23, s23, 8
	s_wait_xcnt 0x0
	s_add_co_i32 s20, s20, 8
	ds_load_b64 v[64:65], v61
	v_cmp_eq_u32_e32 vcc_lo, 0, v60
	s_or_b32 s1, vcc_lo, s1
	s_wait_loadcnt_dscnt 0x0
	v_pk_mul_f32 v[66:67], v[64:65], v[62:63] op_sel:[1,1] op_sel_hi:[0,1]
	s_delay_alu instid0(VALU_DEP_1) | instskip(SKIP_1) | instid1(VALU_DEP_2)
	v_pk_fma_f32 v[68:69], v[64:65], v[62:63], v[66:67] op_sel_hi:[1,0,1]
	v_pk_fma_f32 v[62:63], v[64:65], v[62:63], v[66:67] neg_lo:[0,0,1] neg_hi:[0,0,1]
	v_mov_b32_e32 v63, v69
	s_delay_alu instid0(VALU_DEP_1)
	v_pk_add_f32 v[58:59], v[58:59], v[62:63]
	s_and_not1_b32 exec_lo, exec_lo, s1
	s_cbranch_execnz .LBB90_112
; %bb.113:
	s_or_b32 exec_lo, exec_lo, s1
.LBB90_114:
	s_delay_alu instid0(SALU_CYCLE_1) | instskip(SKIP_4) | instid1(VALU_DEP_1)
	s_or_b32 exec_lo, exec_lo, s22
	v_mov_b32_e32 v60, 0
	ds_load_b64 v[60:61], v60 offset:120
	s_wait_dscnt 0x0
	v_pk_mul_f32 v[62:63], v[58:59], v[60:61] op_sel:[1,1] op_sel_hi:[0,1]
	v_pk_fma_f32 v[64:65], v[58:59], v[60:61], v[62:63] op_sel_hi:[1,0,1]
	v_pk_fma_f32 v[58:59], v[58:59], v[60:61], v[62:63] neg_lo:[0,0,1] neg_hi:[0,0,1]
	s_delay_alu instid0(VALU_DEP_2)
	v_mov_b32_e32 v59, v65
	scratch_store_b64 off, v[58:59], off offset:120
.LBB90_115:
	s_wait_xcnt 0x0
	s_or_b32 exec_lo, exec_lo, s21
	scratch_load_b64 v[58:59], off, off offset:112
	v_cmp_lt_u32_e64 s1, 14, v0
	s_wait_loadcnt 0x0
	ds_store_b64 v1, v[58:59]
	s_wait_storecnt_dscnt 0x0
	s_barrier_signal -1
	s_barrier_wait -1
	s_wait_xcnt 0x0
	s_and_saveexec_b32 s20, s1
	s_cbranch_execz .LBB90_125
; %bb.116:
	s_and_not1_b32 vcc_lo, exec_lo, s5
	s_cbranch_vccnz .LBB90_118
; %bb.117:
	scratch_load_b64 v[58:59], v57, off
	ds_load_b64 v[60:61], v1
	s_wait_loadcnt_dscnt 0x0
	v_pk_mul_f32 v[62:63], v[60:61], v[58:59] op_sel:[1,1] op_sel_hi:[0,1]
	s_delay_alu instid0(VALU_DEP_1) | instskip(SKIP_1) | instid1(VALU_DEP_2)
	v_pk_fma_f32 v[64:65], v[60:61], v[58:59], v[62:63] op_sel_hi:[1,0,1]
	v_pk_fma_f32 v[58:59], v[60:61], v[58:59], v[62:63] neg_lo:[0,0,1] neg_hi:[0,0,1]
	v_mov_b32_e32 v59, v65
	s_cbranch_execz .LBB90_119
	s_branch .LBB90_120
.LBB90_118:
                                        ; implicit-def: $vgpr58_vgpr59
.LBB90_119:
	ds_load_b64 v[58:59], v1
.LBB90_120:
	s_and_saveexec_b32 s21, s0
	s_cbranch_execz .LBB90_124
; %bb.121:
	v_add_nc_u32_e32 v60, -15, v0
	s_movk_i32 s22, 0x158
	s_mov_b32 s0, 0
.LBB90_122:                             ; =>This Inner Loop Header: Depth=1
	scratch_load_b64 v[62:63], off, s19
	v_dual_mov_b32 v61, s22 :: v_dual_add_nc_u32 v60, -1, v60
	s_add_co_i32 s22, s22, 8
	s_wait_xcnt 0x0
	s_add_co_i32 s19, s19, 8
	ds_load_b64 v[64:65], v61
	v_cmp_eq_u32_e32 vcc_lo, 0, v60
	s_or_b32 s0, vcc_lo, s0
	s_wait_loadcnt_dscnt 0x0
	v_pk_mul_f32 v[66:67], v[64:65], v[62:63] op_sel:[1,1] op_sel_hi:[0,1]
	s_delay_alu instid0(VALU_DEP_1) | instskip(SKIP_1) | instid1(VALU_DEP_2)
	v_pk_fma_f32 v[68:69], v[64:65], v[62:63], v[66:67] op_sel_hi:[1,0,1]
	v_pk_fma_f32 v[62:63], v[64:65], v[62:63], v[66:67] neg_lo:[0,0,1] neg_hi:[0,0,1]
	v_mov_b32_e32 v63, v69
	s_delay_alu instid0(VALU_DEP_1)
	v_pk_add_f32 v[58:59], v[58:59], v[62:63]
	s_and_not1_b32 exec_lo, exec_lo, s0
	s_cbranch_execnz .LBB90_122
; %bb.123:
	s_or_b32 exec_lo, exec_lo, s0
.LBB90_124:
	s_delay_alu instid0(SALU_CYCLE_1) | instskip(SKIP_4) | instid1(VALU_DEP_1)
	s_or_b32 exec_lo, exec_lo, s21
	v_mov_b32_e32 v60, 0
	ds_load_b64 v[60:61], v60 offset:112
	s_wait_dscnt 0x0
	v_pk_mul_f32 v[62:63], v[58:59], v[60:61] op_sel:[1,1] op_sel_hi:[0,1]
	v_pk_fma_f32 v[64:65], v[58:59], v[60:61], v[62:63] op_sel_hi:[1,0,1]
	v_pk_fma_f32 v[58:59], v[58:59], v[60:61], v[62:63] neg_lo:[0,0,1] neg_hi:[0,0,1]
	s_delay_alu instid0(VALU_DEP_2)
	v_mov_b32_e32 v59, v65
	scratch_store_b64 off, v[58:59], off offset:112
.LBB90_125:
	s_wait_xcnt 0x0
	s_or_b32 exec_lo, exec_lo, s20
	scratch_load_b64 v[58:59], off, off offset:104
	v_cmp_lt_u32_e64 s0, 13, v0
	s_wait_loadcnt 0x0
	ds_store_b64 v1, v[58:59]
	s_wait_storecnt_dscnt 0x0
	s_barrier_signal -1
	s_barrier_wait -1
	s_wait_xcnt 0x0
	s_and_saveexec_b32 s19, s0
	s_cbranch_execz .LBB90_135
; %bb.126:
	s_and_not1_b32 vcc_lo, exec_lo, s5
	s_cbranch_vccnz .LBB90_128
; %bb.127:
	scratch_load_b64 v[58:59], v57, off
	ds_load_b64 v[60:61], v1
	s_wait_loadcnt_dscnt 0x0
	v_pk_mul_f32 v[62:63], v[60:61], v[58:59] op_sel:[1,1] op_sel_hi:[0,1]
	s_delay_alu instid0(VALU_DEP_1) | instskip(SKIP_1) | instid1(VALU_DEP_2)
	v_pk_fma_f32 v[64:65], v[60:61], v[58:59], v[62:63] op_sel_hi:[1,0,1]
	v_pk_fma_f32 v[58:59], v[60:61], v[58:59], v[62:63] neg_lo:[0,0,1] neg_hi:[0,0,1]
	v_mov_b32_e32 v59, v65
	s_cbranch_execz .LBB90_129
	s_branch .LBB90_130
.LBB90_128:
                                        ; implicit-def: $vgpr58_vgpr59
.LBB90_129:
	ds_load_b64 v[58:59], v1
.LBB90_130:
	s_and_saveexec_b32 s20, s1
	s_cbranch_execz .LBB90_134
; %bb.131:
	v_add_nc_u32_e32 v60, -14, v0
	s_movk_i32 s21, 0x150
	s_mov_b32 s1, 0
.LBB90_132:                             ; =>This Inner Loop Header: Depth=1
	scratch_load_b64 v[62:63], off, s18
	v_dual_mov_b32 v61, s21 :: v_dual_add_nc_u32 v60, -1, v60
	s_add_co_i32 s21, s21, 8
	s_wait_xcnt 0x0
	s_add_co_i32 s18, s18, 8
	ds_load_b64 v[64:65], v61
	v_cmp_eq_u32_e32 vcc_lo, 0, v60
	s_or_b32 s1, vcc_lo, s1
	s_wait_loadcnt_dscnt 0x0
	v_pk_mul_f32 v[66:67], v[64:65], v[62:63] op_sel:[1,1] op_sel_hi:[0,1]
	s_delay_alu instid0(VALU_DEP_1) | instskip(SKIP_1) | instid1(VALU_DEP_2)
	v_pk_fma_f32 v[68:69], v[64:65], v[62:63], v[66:67] op_sel_hi:[1,0,1]
	v_pk_fma_f32 v[62:63], v[64:65], v[62:63], v[66:67] neg_lo:[0,0,1] neg_hi:[0,0,1]
	v_mov_b32_e32 v63, v69
	s_delay_alu instid0(VALU_DEP_1)
	v_pk_add_f32 v[58:59], v[58:59], v[62:63]
	s_and_not1_b32 exec_lo, exec_lo, s1
	s_cbranch_execnz .LBB90_132
; %bb.133:
	s_or_b32 exec_lo, exec_lo, s1
.LBB90_134:
	s_delay_alu instid0(SALU_CYCLE_1) | instskip(SKIP_4) | instid1(VALU_DEP_1)
	s_or_b32 exec_lo, exec_lo, s20
	v_mov_b32_e32 v60, 0
	ds_load_b64 v[60:61], v60 offset:104
	s_wait_dscnt 0x0
	v_pk_mul_f32 v[62:63], v[58:59], v[60:61] op_sel:[1,1] op_sel_hi:[0,1]
	v_pk_fma_f32 v[64:65], v[58:59], v[60:61], v[62:63] op_sel_hi:[1,0,1]
	v_pk_fma_f32 v[58:59], v[58:59], v[60:61], v[62:63] neg_lo:[0,0,1] neg_hi:[0,0,1]
	s_delay_alu instid0(VALU_DEP_2)
	v_mov_b32_e32 v59, v65
	scratch_store_b64 off, v[58:59], off offset:104
.LBB90_135:
	s_wait_xcnt 0x0
	s_or_b32 exec_lo, exec_lo, s19
	scratch_load_b64 v[58:59], off, off offset:96
	v_cmp_lt_u32_e64 s1, 12, v0
	s_wait_loadcnt 0x0
	ds_store_b64 v1, v[58:59]
	s_wait_storecnt_dscnt 0x0
	s_barrier_signal -1
	s_barrier_wait -1
	s_wait_xcnt 0x0
	s_and_saveexec_b32 s18, s1
	s_cbranch_execz .LBB90_145
; %bb.136:
	s_and_not1_b32 vcc_lo, exec_lo, s5
	s_cbranch_vccnz .LBB90_138
; %bb.137:
	scratch_load_b64 v[58:59], v57, off
	ds_load_b64 v[60:61], v1
	s_wait_loadcnt_dscnt 0x0
	v_pk_mul_f32 v[62:63], v[60:61], v[58:59] op_sel:[1,1] op_sel_hi:[0,1]
	s_delay_alu instid0(VALU_DEP_1) | instskip(SKIP_1) | instid1(VALU_DEP_2)
	v_pk_fma_f32 v[64:65], v[60:61], v[58:59], v[62:63] op_sel_hi:[1,0,1]
	v_pk_fma_f32 v[58:59], v[60:61], v[58:59], v[62:63] neg_lo:[0,0,1] neg_hi:[0,0,1]
	v_mov_b32_e32 v59, v65
	s_cbranch_execz .LBB90_139
	s_branch .LBB90_140
.LBB90_138:
                                        ; implicit-def: $vgpr58_vgpr59
.LBB90_139:
	ds_load_b64 v[58:59], v1
.LBB90_140:
	s_and_saveexec_b32 s19, s0
	s_cbranch_execz .LBB90_144
; %bb.141:
	v_add_nc_u32_e32 v60, -13, v0
	s_movk_i32 s20, 0x148
	s_mov_b32 s0, 0
.LBB90_142:                             ; =>This Inner Loop Header: Depth=1
	scratch_load_b64 v[62:63], off, s17
	v_dual_mov_b32 v61, s20 :: v_dual_add_nc_u32 v60, -1, v60
	s_add_co_i32 s20, s20, 8
	s_wait_xcnt 0x0
	s_add_co_i32 s17, s17, 8
	ds_load_b64 v[64:65], v61
	v_cmp_eq_u32_e32 vcc_lo, 0, v60
	s_or_b32 s0, vcc_lo, s0
	s_wait_loadcnt_dscnt 0x0
	v_pk_mul_f32 v[66:67], v[64:65], v[62:63] op_sel:[1,1] op_sel_hi:[0,1]
	s_delay_alu instid0(VALU_DEP_1) | instskip(SKIP_1) | instid1(VALU_DEP_2)
	v_pk_fma_f32 v[68:69], v[64:65], v[62:63], v[66:67] op_sel_hi:[1,0,1]
	v_pk_fma_f32 v[62:63], v[64:65], v[62:63], v[66:67] neg_lo:[0,0,1] neg_hi:[0,0,1]
	v_mov_b32_e32 v63, v69
	s_delay_alu instid0(VALU_DEP_1)
	v_pk_add_f32 v[58:59], v[58:59], v[62:63]
	s_and_not1_b32 exec_lo, exec_lo, s0
	s_cbranch_execnz .LBB90_142
; %bb.143:
	s_or_b32 exec_lo, exec_lo, s0
.LBB90_144:
	s_delay_alu instid0(SALU_CYCLE_1) | instskip(SKIP_4) | instid1(VALU_DEP_1)
	s_or_b32 exec_lo, exec_lo, s19
	v_mov_b32_e32 v60, 0
	ds_load_b64 v[60:61], v60 offset:96
	s_wait_dscnt 0x0
	v_pk_mul_f32 v[62:63], v[58:59], v[60:61] op_sel:[1,1] op_sel_hi:[0,1]
	v_pk_fma_f32 v[64:65], v[58:59], v[60:61], v[62:63] op_sel_hi:[1,0,1]
	v_pk_fma_f32 v[58:59], v[58:59], v[60:61], v[62:63] neg_lo:[0,0,1] neg_hi:[0,0,1]
	s_delay_alu instid0(VALU_DEP_2)
	v_mov_b32_e32 v59, v65
	scratch_store_b64 off, v[58:59], off offset:96
.LBB90_145:
	s_wait_xcnt 0x0
	s_or_b32 exec_lo, exec_lo, s18
	scratch_load_b64 v[58:59], off, off offset:88
	v_cmp_lt_u32_e64 s0, 11, v0
	s_wait_loadcnt 0x0
	ds_store_b64 v1, v[58:59]
	s_wait_storecnt_dscnt 0x0
	s_barrier_signal -1
	s_barrier_wait -1
	s_wait_xcnt 0x0
	s_and_saveexec_b32 s17, s0
	s_cbranch_execz .LBB90_155
; %bb.146:
	s_and_not1_b32 vcc_lo, exec_lo, s5
	s_cbranch_vccnz .LBB90_148
; %bb.147:
	scratch_load_b64 v[58:59], v57, off
	ds_load_b64 v[60:61], v1
	s_wait_loadcnt_dscnt 0x0
	v_pk_mul_f32 v[62:63], v[60:61], v[58:59] op_sel:[1,1] op_sel_hi:[0,1]
	s_delay_alu instid0(VALU_DEP_1) | instskip(SKIP_1) | instid1(VALU_DEP_2)
	v_pk_fma_f32 v[64:65], v[60:61], v[58:59], v[62:63] op_sel_hi:[1,0,1]
	v_pk_fma_f32 v[58:59], v[60:61], v[58:59], v[62:63] neg_lo:[0,0,1] neg_hi:[0,0,1]
	v_mov_b32_e32 v59, v65
	s_cbranch_execz .LBB90_149
	s_branch .LBB90_150
.LBB90_148:
                                        ; implicit-def: $vgpr58_vgpr59
.LBB90_149:
	ds_load_b64 v[58:59], v1
.LBB90_150:
	s_and_saveexec_b32 s18, s1
	s_cbranch_execz .LBB90_154
; %bb.151:
	v_add_nc_u32_e32 v60, -12, v0
	s_movk_i32 s19, 0x140
	s_mov_b32 s1, 0
.LBB90_152:                             ; =>This Inner Loop Header: Depth=1
	scratch_load_b64 v[62:63], off, s16
	v_dual_mov_b32 v61, s19 :: v_dual_add_nc_u32 v60, -1, v60
	s_add_co_i32 s19, s19, 8
	s_wait_xcnt 0x0
	s_add_co_i32 s16, s16, 8
	ds_load_b64 v[64:65], v61
	v_cmp_eq_u32_e32 vcc_lo, 0, v60
	s_or_b32 s1, vcc_lo, s1
	s_wait_loadcnt_dscnt 0x0
	v_pk_mul_f32 v[66:67], v[64:65], v[62:63] op_sel:[1,1] op_sel_hi:[0,1]
	s_delay_alu instid0(VALU_DEP_1) | instskip(SKIP_1) | instid1(VALU_DEP_2)
	v_pk_fma_f32 v[68:69], v[64:65], v[62:63], v[66:67] op_sel_hi:[1,0,1]
	v_pk_fma_f32 v[62:63], v[64:65], v[62:63], v[66:67] neg_lo:[0,0,1] neg_hi:[0,0,1]
	v_mov_b32_e32 v63, v69
	s_delay_alu instid0(VALU_DEP_1)
	v_pk_add_f32 v[58:59], v[58:59], v[62:63]
	s_and_not1_b32 exec_lo, exec_lo, s1
	s_cbranch_execnz .LBB90_152
; %bb.153:
	s_or_b32 exec_lo, exec_lo, s1
.LBB90_154:
	s_delay_alu instid0(SALU_CYCLE_1) | instskip(SKIP_4) | instid1(VALU_DEP_1)
	s_or_b32 exec_lo, exec_lo, s18
	v_mov_b32_e32 v60, 0
	ds_load_b64 v[60:61], v60 offset:88
	s_wait_dscnt 0x0
	v_pk_mul_f32 v[62:63], v[58:59], v[60:61] op_sel:[1,1] op_sel_hi:[0,1]
	v_pk_fma_f32 v[64:65], v[58:59], v[60:61], v[62:63] op_sel_hi:[1,0,1]
	v_pk_fma_f32 v[58:59], v[58:59], v[60:61], v[62:63] neg_lo:[0,0,1] neg_hi:[0,0,1]
	s_delay_alu instid0(VALU_DEP_2)
	v_mov_b32_e32 v59, v65
	scratch_store_b64 off, v[58:59], off offset:88
.LBB90_155:
	s_wait_xcnt 0x0
	s_or_b32 exec_lo, exec_lo, s17
	scratch_load_b64 v[58:59], off, off offset:80
	v_cmp_lt_u32_e64 s1, 10, v0
	s_wait_loadcnt 0x0
	ds_store_b64 v1, v[58:59]
	s_wait_storecnt_dscnt 0x0
	s_barrier_signal -1
	s_barrier_wait -1
	s_wait_xcnt 0x0
	s_and_saveexec_b32 s16, s1
	s_cbranch_execz .LBB90_165
; %bb.156:
	s_and_not1_b32 vcc_lo, exec_lo, s5
	s_cbranch_vccnz .LBB90_158
; %bb.157:
	scratch_load_b64 v[58:59], v57, off
	ds_load_b64 v[60:61], v1
	s_wait_loadcnt_dscnt 0x0
	v_pk_mul_f32 v[62:63], v[60:61], v[58:59] op_sel:[1,1] op_sel_hi:[0,1]
	s_delay_alu instid0(VALU_DEP_1) | instskip(SKIP_1) | instid1(VALU_DEP_2)
	v_pk_fma_f32 v[64:65], v[60:61], v[58:59], v[62:63] op_sel_hi:[1,0,1]
	v_pk_fma_f32 v[58:59], v[60:61], v[58:59], v[62:63] neg_lo:[0,0,1] neg_hi:[0,0,1]
	v_mov_b32_e32 v59, v65
	s_cbranch_execz .LBB90_159
	s_branch .LBB90_160
.LBB90_158:
                                        ; implicit-def: $vgpr58_vgpr59
.LBB90_159:
	ds_load_b64 v[58:59], v1
.LBB90_160:
	s_and_saveexec_b32 s17, s0
	s_cbranch_execz .LBB90_164
; %bb.161:
	v_add_nc_u32_e32 v60, -11, v0
	s_movk_i32 s18, 0x138
	s_mov_b32 s0, 0
.LBB90_162:                             ; =>This Inner Loop Header: Depth=1
	scratch_load_b64 v[62:63], off, s15
	v_dual_mov_b32 v61, s18 :: v_dual_add_nc_u32 v60, -1, v60
	s_add_co_i32 s18, s18, 8
	s_wait_xcnt 0x0
	s_add_co_i32 s15, s15, 8
	ds_load_b64 v[64:65], v61
	v_cmp_eq_u32_e32 vcc_lo, 0, v60
	s_or_b32 s0, vcc_lo, s0
	s_wait_loadcnt_dscnt 0x0
	v_pk_mul_f32 v[66:67], v[64:65], v[62:63] op_sel:[1,1] op_sel_hi:[0,1]
	s_delay_alu instid0(VALU_DEP_1) | instskip(SKIP_1) | instid1(VALU_DEP_2)
	v_pk_fma_f32 v[68:69], v[64:65], v[62:63], v[66:67] op_sel_hi:[1,0,1]
	v_pk_fma_f32 v[62:63], v[64:65], v[62:63], v[66:67] neg_lo:[0,0,1] neg_hi:[0,0,1]
	v_mov_b32_e32 v63, v69
	s_delay_alu instid0(VALU_DEP_1)
	v_pk_add_f32 v[58:59], v[58:59], v[62:63]
	s_and_not1_b32 exec_lo, exec_lo, s0
	s_cbranch_execnz .LBB90_162
; %bb.163:
	s_or_b32 exec_lo, exec_lo, s0
.LBB90_164:
	s_delay_alu instid0(SALU_CYCLE_1) | instskip(SKIP_4) | instid1(VALU_DEP_1)
	s_or_b32 exec_lo, exec_lo, s17
	v_mov_b32_e32 v60, 0
	ds_load_b64 v[60:61], v60 offset:80
	s_wait_dscnt 0x0
	v_pk_mul_f32 v[62:63], v[58:59], v[60:61] op_sel:[1,1] op_sel_hi:[0,1]
	v_pk_fma_f32 v[64:65], v[58:59], v[60:61], v[62:63] op_sel_hi:[1,0,1]
	v_pk_fma_f32 v[58:59], v[58:59], v[60:61], v[62:63] neg_lo:[0,0,1] neg_hi:[0,0,1]
	s_delay_alu instid0(VALU_DEP_2)
	v_mov_b32_e32 v59, v65
	scratch_store_b64 off, v[58:59], off offset:80
.LBB90_165:
	s_wait_xcnt 0x0
	s_or_b32 exec_lo, exec_lo, s16
	scratch_load_b64 v[58:59], off, off offset:72
	v_cmp_lt_u32_e64 s0, 9, v0
	s_wait_loadcnt 0x0
	ds_store_b64 v1, v[58:59]
	s_wait_storecnt_dscnt 0x0
	s_barrier_signal -1
	s_barrier_wait -1
	s_wait_xcnt 0x0
	s_and_saveexec_b32 s15, s0
	s_cbranch_execz .LBB90_175
; %bb.166:
	s_and_not1_b32 vcc_lo, exec_lo, s5
	s_cbranch_vccnz .LBB90_168
; %bb.167:
	scratch_load_b64 v[58:59], v57, off
	ds_load_b64 v[60:61], v1
	s_wait_loadcnt_dscnt 0x0
	v_pk_mul_f32 v[62:63], v[60:61], v[58:59] op_sel:[1,1] op_sel_hi:[0,1]
	s_delay_alu instid0(VALU_DEP_1) | instskip(SKIP_1) | instid1(VALU_DEP_2)
	v_pk_fma_f32 v[64:65], v[60:61], v[58:59], v[62:63] op_sel_hi:[1,0,1]
	v_pk_fma_f32 v[58:59], v[60:61], v[58:59], v[62:63] neg_lo:[0,0,1] neg_hi:[0,0,1]
	v_mov_b32_e32 v59, v65
	s_cbranch_execz .LBB90_169
	s_branch .LBB90_170
.LBB90_168:
                                        ; implicit-def: $vgpr58_vgpr59
.LBB90_169:
	ds_load_b64 v[58:59], v1
.LBB90_170:
	s_and_saveexec_b32 s16, s1
	s_cbranch_execz .LBB90_174
; %bb.171:
	v_add_nc_u32_e32 v60, -10, v0
	s_movk_i32 s17, 0x130
	s_mov_b32 s1, 0
.LBB90_172:                             ; =>This Inner Loop Header: Depth=1
	scratch_load_b64 v[62:63], off, s14
	v_dual_mov_b32 v61, s17 :: v_dual_add_nc_u32 v60, -1, v60
	s_add_co_i32 s17, s17, 8
	s_wait_xcnt 0x0
	s_add_co_i32 s14, s14, 8
	ds_load_b64 v[64:65], v61
	v_cmp_eq_u32_e32 vcc_lo, 0, v60
	s_or_b32 s1, vcc_lo, s1
	s_wait_loadcnt_dscnt 0x0
	v_pk_mul_f32 v[66:67], v[64:65], v[62:63] op_sel:[1,1] op_sel_hi:[0,1]
	s_delay_alu instid0(VALU_DEP_1) | instskip(SKIP_1) | instid1(VALU_DEP_2)
	v_pk_fma_f32 v[68:69], v[64:65], v[62:63], v[66:67] op_sel_hi:[1,0,1]
	v_pk_fma_f32 v[62:63], v[64:65], v[62:63], v[66:67] neg_lo:[0,0,1] neg_hi:[0,0,1]
	v_mov_b32_e32 v63, v69
	s_delay_alu instid0(VALU_DEP_1)
	v_pk_add_f32 v[58:59], v[58:59], v[62:63]
	s_and_not1_b32 exec_lo, exec_lo, s1
	s_cbranch_execnz .LBB90_172
; %bb.173:
	s_or_b32 exec_lo, exec_lo, s1
.LBB90_174:
	s_delay_alu instid0(SALU_CYCLE_1) | instskip(SKIP_4) | instid1(VALU_DEP_1)
	s_or_b32 exec_lo, exec_lo, s16
	v_mov_b32_e32 v60, 0
	ds_load_b64 v[60:61], v60 offset:72
	s_wait_dscnt 0x0
	v_pk_mul_f32 v[62:63], v[58:59], v[60:61] op_sel:[1,1] op_sel_hi:[0,1]
	v_pk_fma_f32 v[64:65], v[58:59], v[60:61], v[62:63] op_sel_hi:[1,0,1]
	v_pk_fma_f32 v[58:59], v[58:59], v[60:61], v[62:63] neg_lo:[0,0,1] neg_hi:[0,0,1]
	s_delay_alu instid0(VALU_DEP_2)
	v_mov_b32_e32 v59, v65
	scratch_store_b64 off, v[58:59], off offset:72
.LBB90_175:
	s_wait_xcnt 0x0
	s_or_b32 exec_lo, exec_lo, s15
	scratch_load_b64 v[58:59], off, off offset:64
	v_cmp_lt_u32_e64 s1, 8, v0
	s_wait_loadcnt 0x0
	ds_store_b64 v1, v[58:59]
	s_wait_storecnt_dscnt 0x0
	s_barrier_signal -1
	s_barrier_wait -1
	s_wait_xcnt 0x0
	s_and_saveexec_b32 s14, s1
	s_cbranch_execz .LBB90_185
; %bb.176:
	s_and_not1_b32 vcc_lo, exec_lo, s5
	s_cbranch_vccnz .LBB90_178
; %bb.177:
	scratch_load_b64 v[58:59], v57, off
	ds_load_b64 v[60:61], v1
	s_wait_loadcnt_dscnt 0x0
	v_pk_mul_f32 v[62:63], v[60:61], v[58:59] op_sel:[1,1] op_sel_hi:[0,1]
	s_delay_alu instid0(VALU_DEP_1) | instskip(SKIP_1) | instid1(VALU_DEP_2)
	v_pk_fma_f32 v[64:65], v[60:61], v[58:59], v[62:63] op_sel_hi:[1,0,1]
	v_pk_fma_f32 v[58:59], v[60:61], v[58:59], v[62:63] neg_lo:[0,0,1] neg_hi:[0,0,1]
	v_mov_b32_e32 v59, v65
	s_cbranch_execz .LBB90_179
	s_branch .LBB90_180
.LBB90_178:
                                        ; implicit-def: $vgpr58_vgpr59
.LBB90_179:
	ds_load_b64 v[58:59], v1
.LBB90_180:
	s_and_saveexec_b32 s15, s0
	s_cbranch_execz .LBB90_184
; %bb.181:
	v_add_nc_u32_e32 v60, -9, v0
	s_movk_i32 s16, 0x128
	s_mov_b32 s0, 0
.LBB90_182:                             ; =>This Inner Loop Header: Depth=1
	scratch_load_b64 v[62:63], off, s13
	v_dual_mov_b32 v61, s16 :: v_dual_add_nc_u32 v60, -1, v60
	s_add_co_i32 s16, s16, 8
	s_wait_xcnt 0x0
	s_add_co_i32 s13, s13, 8
	ds_load_b64 v[64:65], v61
	v_cmp_eq_u32_e32 vcc_lo, 0, v60
	s_or_b32 s0, vcc_lo, s0
	s_wait_loadcnt_dscnt 0x0
	v_pk_mul_f32 v[66:67], v[64:65], v[62:63] op_sel:[1,1] op_sel_hi:[0,1]
	s_delay_alu instid0(VALU_DEP_1) | instskip(SKIP_1) | instid1(VALU_DEP_2)
	v_pk_fma_f32 v[68:69], v[64:65], v[62:63], v[66:67] op_sel_hi:[1,0,1]
	v_pk_fma_f32 v[62:63], v[64:65], v[62:63], v[66:67] neg_lo:[0,0,1] neg_hi:[0,0,1]
	v_mov_b32_e32 v63, v69
	s_delay_alu instid0(VALU_DEP_1)
	v_pk_add_f32 v[58:59], v[58:59], v[62:63]
	s_and_not1_b32 exec_lo, exec_lo, s0
	s_cbranch_execnz .LBB90_182
; %bb.183:
	s_or_b32 exec_lo, exec_lo, s0
.LBB90_184:
	s_delay_alu instid0(SALU_CYCLE_1) | instskip(SKIP_4) | instid1(VALU_DEP_1)
	s_or_b32 exec_lo, exec_lo, s15
	v_mov_b32_e32 v60, 0
	ds_load_b64 v[60:61], v60 offset:64
	s_wait_dscnt 0x0
	v_pk_mul_f32 v[62:63], v[58:59], v[60:61] op_sel:[1,1] op_sel_hi:[0,1]
	v_pk_fma_f32 v[64:65], v[58:59], v[60:61], v[62:63] op_sel_hi:[1,0,1]
	v_pk_fma_f32 v[58:59], v[58:59], v[60:61], v[62:63] neg_lo:[0,0,1] neg_hi:[0,0,1]
	s_delay_alu instid0(VALU_DEP_2)
	v_mov_b32_e32 v59, v65
	scratch_store_b64 off, v[58:59], off offset:64
.LBB90_185:
	s_wait_xcnt 0x0
	s_or_b32 exec_lo, exec_lo, s14
	scratch_load_b64 v[58:59], off, off offset:56
	v_cmp_lt_u32_e64 s0, 7, v0
	s_wait_loadcnt 0x0
	ds_store_b64 v1, v[58:59]
	s_wait_storecnt_dscnt 0x0
	s_barrier_signal -1
	s_barrier_wait -1
	s_wait_xcnt 0x0
	s_and_saveexec_b32 s13, s0
	s_cbranch_execz .LBB90_195
; %bb.186:
	s_and_not1_b32 vcc_lo, exec_lo, s5
	s_cbranch_vccnz .LBB90_188
; %bb.187:
	scratch_load_b64 v[58:59], v57, off
	ds_load_b64 v[60:61], v1
	s_wait_loadcnt_dscnt 0x0
	v_pk_mul_f32 v[62:63], v[60:61], v[58:59] op_sel:[1,1] op_sel_hi:[0,1]
	s_delay_alu instid0(VALU_DEP_1) | instskip(SKIP_1) | instid1(VALU_DEP_2)
	v_pk_fma_f32 v[64:65], v[60:61], v[58:59], v[62:63] op_sel_hi:[1,0,1]
	v_pk_fma_f32 v[58:59], v[60:61], v[58:59], v[62:63] neg_lo:[0,0,1] neg_hi:[0,0,1]
	v_mov_b32_e32 v59, v65
	s_cbranch_execz .LBB90_189
	s_branch .LBB90_190
.LBB90_188:
                                        ; implicit-def: $vgpr58_vgpr59
.LBB90_189:
	ds_load_b64 v[58:59], v1
.LBB90_190:
	s_and_saveexec_b32 s14, s1
	s_cbranch_execz .LBB90_194
; %bb.191:
	v_add_nc_u32_e32 v60, -8, v0
	s_movk_i32 s15, 0x120
	s_mov_b32 s1, 0
.LBB90_192:                             ; =>This Inner Loop Header: Depth=1
	scratch_load_b64 v[62:63], off, s12
	v_dual_mov_b32 v61, s15 :: v_dual_add_nc_u32 v60, -1, v60
	s_add_co_i32 s15, s15, 8
	s_wait_xcnt 0x0
	s_add_co_i32 s12, s12, 8
	ds_load_b64 v[64:65], v61
	v_cmp_eq_u32_e32 vcc_lo, 0, v60
	s_or_b32 s1, vcc_lo, s1
	s_wait_loadcnt_dscnt 0x0
	v_pk_mul_f32 v[66:67], v[64:65], v[62:63] op_sel:[1,1] op_sel_hi:[0,1]
	s_delay_alu instid0(VALU_DEP_1) | instskip(SKIP_1) | instid1(VALU_DEP_2)
	v_pk_fma_f32 v[68:69], v[64:65], v[62:63], v[66:67] op_sel_hi:[1,0,1]
	v_pk_fma_f32 v[62:63], v[64:65], v[62:63], v[66:67] neg_lo:[0,0,1] neg_hi:[0,0,1]
	v_mov_b32_e32 v63, v69
	s_delay_alu instid0(VALU_DEP_1)
	v_pk_add_f32 v[58:59], v[58:59], v[62:63]
	s_and_not1_b32 exec_lo, exec_lo, s1
	s_cbranch_execnz .LBB90_192
; %bb.193:
	s_or_b32 exec_lo, exec_lo, s1
.LBB90_194:
	s_delay_alu instid0(SALU_CYCLE_1) | instskip(SKIP_4) | instid1(VALU_DEP_1)
	s_or_b32 exec_lo, exec_lo, s14
	v_mov_b32_e32 v60, 0
	ds_load_b64 v[60:61], v60 offset:56
	s_wait_dscnt 0x0
	v_pk_mul_f32 v[62:63], v[58:59], v[60:61] op_sel:[1,1] op_sel_hi:[0,1]
	v_pk_fma_f32 v[64:65], v[58:59], v[60:61], v[62:63] op_sel_hi:[1,0,1]
	v_pk_fma_f32 v[58:59], v[58:59], v[60:61], v[62:63] neg_lo:[0,0,1] neg_hi:[0,0,1]
	s_delay_alu instid0(VALU_DEP_2)
	v_mov_b32_e32 v59, v65
	scratch_store_b64 off, v[58:59], off offset:56
.LBB90_195:
	s_wait_xcnt 0x0
	s_or_b32 exec_lo, exec_lo, s13
	scratch_load_b64 v[58:59], off, off offset:48
	v_cmp_lt_u32_e64 s1, 6, v0
	s_wait_loadcnt 0x0
	ds_store_b64 v1, v[58:59]
	s_wait_storecnt_dscnt 0x0
	s_barrier_signal -1
	s_barrier_wait -1
	s_wait_xcnt 0x0
	s_and_saveexec_b32 s12, s1
	s_cbranch_execz .LBB90_205
; %bb.196:
	s_and_not1_b32 vcc_lo, exec_lo, s5
	s_cbranch_vccnz .LBB90_198
; %bb.197:
	scratch_load_b64 v[58:59], v57, off
	ds_load_b64 v[60:61], v1
	s_wait_loadcnt_dscnt 0x0
	v_pk_mul_f32 v[62:63], v[60:61], v[58:59] op_sel:[1,1] op_sel_hi:[0,1]
	s_delay_alu instid0(VALU_DEP_1) | instskip(SKIP_1) | instid1(VALU_DEP_2)
	v_pk_fma_f32 v[64:65], v[60:61], v[58:59], v[62:63] op_sel_hi:[1,0,1]
	v_pk_fma_f32 v[58:59], v[60:61], v[58:59], v[62:63] neg_lo:[0,0,1] neg_hi:[0,0,1]
	v_mov_b32_e32 v59, v65
	s_cbranch_execz .LBB90_199
	s_branch .LBB90_200
.LBB90_198:
                                        ; implicit-def: $vgpr58_vgpr59
.LBB90_199:
	ds_load_b64 v[58:59], v1
.LBB90_200:
	s_and_saveexec_b32 s13, s0
	s_cbranch_execz .LBB90_204
; %bb.201:
	v_add_nc_u32_e32 v60, -7, v0
	s_movk_i32 s14, 0x118
	s_mov_b32 s0, 0
.LBB90_202:                             ; =>This Inner Loop Header: Depth=1
	scratch_load_b64 v[62:63], off, s11
	v_dual_mov_b32 v61, s14 :: v_dual_add_nc_u32 v60, -1, v60
	s_add_co_i32 s14, s14, 8
	s_wait_xcnt 0x0
	s_add_co_i32 s11, s11, 8
	ds_load_b64 v[64:65], v61
	v_cmp_eq_u32_e32 vcc_lo, 0, v60
	s_or_b32 s0, vcc_lo, s0
	s_wait_loadcnt_dscnt 0x0
	v_pk_mul_f32 v[66:67], v[64:65], v[62:63] op_sel:[1,1] op_sel_hi:[0,1]
	s_delay_alu instid0(VALU_DEP_1) | instskip(SKIP_1) | instid1(VALU_DEP_2)
	v_pk_fma_f32 v[68:69], v[64:65], v[62:63], v[66:67] op_sel_hi:[1,0,1]
	v_pk_fma_f32 v[62:63], v[64:65], v[62:63], v[66:67] neg_lo:[0,0,1] neg_hi:[0,0,1]
	v_mov_b32_e32 v63, v69
	s_delay_alu instid0(VALU_DEP_1)
	v_pk_add_f32 v[58:59], v[58:59], v[62:63]
	s_and_not1_b32 exec_lo, exec_lo, s0
	s_cbranch_execnz .LBB90_202
; %bb.203:
	s_or_b32 exec_lo, exec_lo, s0
.LBB90_204:
	s_delay_alu instid0(SALU_CYCLE_1) | instskip(SKIP_4) | instid1(VALU_DEP_1)
	s_or_b32 exec_lo, exec_lo, s13
	v_mov_b32_e32 v60, 0
	ds_load_b64 v[60:61], v60 offset:48
	s_wait_dscnt 0x0
	v_pk_mul_f32 v[62:63], v[58:59], v[60:61] op_sel:[1,1] op_sel_hi:[0,1]
	v_pk_fma_f32 v[64:65], v[58:59], v[60:61], v[62:63] op_sel_hi:[1,0,1]
	v_pk_fma_f32 v[58:59], v[58:59], v[60:61], v[62:63] neg_lo:[0,0,1] neg_hi:[0,0,1]
	s_delay_alu instid0(VALU_DEP_2)
	v_mov_b32_e32 v59, v65
	scratch_store_b64 off, v[58:59], off offset:48
.LBB90_205:
	s_wait_xcnt 0x0
	s_or_b32 exec_lo, exec_lo, s12
	scratch_load_b64 v[58:59], off, off offset:40
	v_cmp_lt_u32_e64 s0, 5, v0
	s_wait_loadcnt 0x0
	ds_store_b64 v1, v[58:59]
	s_wait_storecnt_dscnt 0x0
	s_barrier_signal -1
	s_barrier_wait -1
	s_wait_xcnt 0x0
	s_and_saveexec_b32 s11, s0
	s_cbranch_execz .LBB90_215
; %bb.206:
	s_and_not1_b32 vcc_lo, exec_lo, s5
	s_cbranch_vccnz .LBB90_208
; %bb.207:
	scratch_load_b64 v[58:59], v57, off
	ds_load_b64 v[60:61], v1
	s_wait_loadcnt_dscnt 0x0
	v_pk_mul_f32 v[62:63], v[60:61], v[58:59] op_sel:[1,1] op_sel_hi:[0,1]
	s_delay_alu instid0(VALU_DEP_1) | instskip(SKIP_1) | instid1(VALU_DEP_2)
	v_pk_fma_f32 v[64:65], v[60:61], v[58:59], v[62:63] op_sel_hi:[1,0,1]
	v_pk_fma_f32 v[58:59], v[60:61], v[58:59], v[62:63] neg_lo:[0,0,1] neg_hi:[0,0,1]
	v_mov_b32_e32 v59, v65
	s_cbranch_execz .LBB90_209
	s_branch .LBB90_210
.LBB90_208:
                                        ; implicit-def: $vgpr58_vgpr59
.LBB90_209:
	ds_load_b64 v[58:59], v1
.LBB90_210:
	s_and_saveexec_b32 s12, s1
	s_cbranch_execz .LBB90_214
; %bb.211:
	v_add_nc_u32_e32 v60, -6, v0
	s_movk_i32 s13, 0x110
	s_mov_b32 s1, 0
.LBB90_212:                             ; =>This Inner Loop Header: Depth=1
	scratch_load_b64 v[62:63], off, s10
	v_dual_mov_b32 v61, s13 :: v_dual_add_nc_u32 v60, -1, v60
	s_add_co_i32 s13, s13, 8
	s_wait_xcnt 0x0
	s_add_co_i32 s10, s10, 8
	ds_load_b64 v[64:65], v61
	v_cmp_eq_u32_e32 vcc_lo, 0, v60
	s_or_b32 s1, vcc_lo, s1
	s_wait_loadcnt_dscnt 0x0
	v_pk_mul_f32 v[66:67], v[64:65], v[62:63] op_sel:[1,1] op_sel_hi:[0,1]
	s_delay_alu instid0(VALU_DEP_1) | instskip(SKIP_1) | instid1(VALU_DEP_2)
	v_pk_fma_f32 v[68:69], v[64:65], v[62:63], v[66:67] op_sel_hi:[1,0,1]
	v_pk_fma_f32 v[62:63], v[64:65], v[62:63], v[66:67] neg_lo:[0,0,1] neg_hi:[0,0,1]
	v_mov_b32_e32 v63, v69
	s_delay_alu instid0(VALU_DEP_1)
	v_pk_add_f32 v[58:59], v[58:59], v[62:63]
	s_and_not1_b32 exec_lo, exec_lo, s1
	s_cbranch_execnz .LBB90_212
; %bb.213:
	s_or_b32 exec_lo, exec_lo, s1
.LBB90_214:
	s_delay_alu instid0(SALU_CYCLE_1) | instskip(SKIP_4) | instid1(VALU_DEP_1)
	s_or_b32 exec_lo, exec_lo, s12
	v_mov_b32_e32 v60, 0
	ds_load_b64 v[60:61], v60 offset:40
	s_wait_dscnt 0x0
	v_pk_mul_f32 v[62:63], v[58:59], v[60:61] op_sel:[1,1] op_sel_hi:[0,1]
	v_pk_fma_f32 v[64:65], v[58:59], v[60:61], v[62:63] op_sel_hi:[1,0,1]
	v_pk_fma_f32 v[58:59], v[58:59], v[60:61], v[62:63] neg_lo:[0,0,1] neg_hi:[0,0,1]
	s_delay_alu instid0(VALU_DEP_2)
	v_mov_b32_e32 v59, v65
	scratch_store_b64 off, v[58:59], off offset:40
.LBB90_215:
	s_wait_xcnt 0x0
	s_or_b32 exec_lo, exec_lo, s11
	scratch_load_b64 v[58:59], off, off offset:32
	v_cmp_lt_u32_e64 s1, 4, v0
	s_wait_loadcnt 0x0
	ds_store_b64 v1, v[58:59]
	s_wait_storecnt_dscnt 0x0
	s_barrier_signal -1
	s_barrier_wait -1
	s_wait_xcnt 0x0
	s_and_saveexec_b32 s10, s1
	s_cbranch_execz .LBB90_225
; %bb.216:
	s_and_not1_b32 vcc_lo, exec_lo, s5
	s_cbranch_vccnz .LBB90_218
; %bb.217:
	scratch_load_b64 v[58:59], v57, off
	ds_load_b64 v[60:61], v1
	s_wait_loadcnt_dscnt 0x0
	v_pk_mul_f32 v[62:63], v[60:61], v[58:59] op_sel:[1,1] op_sel_hi:[0,1]
	s_delay_alu instid0(VALU_DEP_1) | instskip(SKIP_1) | instid1(VALU_DEP_2)
	v_pk_fma_f32 v[64:65], v[60:61], v[58:59], v[62:63] op_sel_hi:[1,0,1]
	v_pk_fma_f32 v[58:59], v[60:61], v[58:59], v[62:63] neg_lo:[0,0,1] neg_hi:[0,0,1]
	v_mov_b32_e32 v59, v65
	s_cbranch_execz .LBB90_219
	s_branch .LBB90_220
.LBB90_218:
                                        ; implicit-def: $vgpr58_vgpr59
.LBB90_219:
	ds_load_b64 v[58:59], v1
.LBB90_220:
	s_and_saveexec_b32 s11, s0
	s_cbranch_execz .LBB90_224
; %bb.221:
	v_add_nc_u32_e32 v60, -5, v0
	s_movk_i32 s12, 0x108
	s_mov_b32 s0, 0
.LBB90_222:                             ; =>This Inner Loop Header: Depth=1
	scratch_load_b64 v[62:63], off, s9
	v_dual_mov_b32 v61, s12 :: v_dual_add_nc_u32 v60, -1, v60
	s_add_co_i32 s12, s12, 8
	s_wait_xcnt 0x0
	s_add_co_i32 s9, s9, 8
	ds_load_b64 v[64:65], v61
	v_cmp_eq_u32_e32 vcc_lo, 0, v60
	s_or_b32 s0, vcc_lo, s0
	s_wait_loadcnt_dscnt 0x0
	v_pk_mul_f32 v[66:67], v[64:65], v[62:63] op_sel:[1,1] op_sel_hi:[0,1]
	s_delay_alu instid0(VALU_DEP_1) | instskip(SKIP_1) | instid1(VALU_DEP_2)
	v_pk_fma_f32 v[68:69], v[64:65], v[62:63], v[66:67] op_sel_hi:[1,0,1]
	v_pk_fma_f32 v[62:63], v[64:65], v[62:63], v[66:67] neg_lo:[0,0,1] neg_hi:[0,0,1]
	v_mov_b32_e32 v63, v69
	s_delay_alu instid0(VALU_DEP_1)
	v_pk_add_f32 v[58:59], v[58:59], v[62:63]
	s_and_not1_b32 exec_lo, exec_lo, s0
	s_cbranch_execnz .LBB90_222
; %bb.223:
	s_or_b32 exec_lo, exec_lo, s0
.LBB90_224:
	s_delay_alu instid0(SALU_CYCLE_1) | instskip(SKIP_4) | instid1(VALU_DEP_1)
	s_or_b32 exec_lo, exec_lo, s11
	v_mov_b32_e32 v60, 0
	ds_load_b64 v[60:61], v60 offset:32
	s_wait_dscnt 0x0
	v_pk_mul_f32 v[62:63], v[58:59], v[60:61] op_sel:[1,1] op_sel_hi:[0,1]
	v_pk_fma_f32 v[64:65], v[58:59], v[60:61], v[62:63] op_sel_hi:[1,0,1]
	v_pk_fma_f32 v[58:59], v[58:59], v[60:61], v[62:63] neg_lo:[0,0,1] neg_hi:[0,0,1]
	s_delay_alu instid0(VALU_DEP_2)
	v_mov_b32_e32 v59, v65
	scratch_store_b64 off, v[58:59], off offset:32
.LBB90_225:
	s_wait_xcnt 0x0
	s_or_b32 exec_lo, exec_lo, s10
	scratch_load_b64 v[58:59], off, off offset:24
	v_cmp_lt_u32_e64 s0, 3, v0
	s_wait_loadcnt 0x0
	ds_store_b64 v1, v[58:59]
	s_wait_storecnt_dscnt 0x0
	s_barrier_signal -1
	s_barrier_wait -1
	s_wait_xcnt 0x0
	s_and_saveexec_b32 s9, s0
	s_cbranch_execz .LBB90_235
; %bb.226:
	s_and_not1_b32 vcc_lo, exec_lo, s5
	s_cbranch_vccnz .LBB90_228
; %bb.227:
	scratch_load_b64 v[58:59], v57, off
	ds_load_b64 v[60:61], v1
	s_wait_loadcnt_dscnt 0x0
	v_pk_mul_f32 v[62:63], v[60:61], v[58:59] op_sel:[1,1] op_sel_hi:[0,1]
	s_delay_alu instid0(VALU_DEP_1) | instskip(SKIP_1) | instid1(VALU_DEP_2)
	v_pk_fma_f32 v[64:65], v[60:61], v[58:59], v[62:63] op_sel_hi:[1,0,1]
	v_pk_fma_f32 v[58:59], v[60:61], v[58:59], v[62:63] neg_lo:[0,0,1] neg_hi:[0,0,1]
	v_mov_b32_e32 v59, v65
	s_cbranch_execz .LBB90_229
	s_branch .LBB90_230
.LBB90_228:
                                        ; implicit-def: $vgpr58_vgpr59
.LBB90_229:
	ds_load_b64 v[58:59], v1
.LBB90_230:
	s_and_saveexec_b32 s10, s1
	s_cbranch_execz .LBB90_234
; %bb.231:
	v_add_nc_u32_e32 v60, -4, v0
	s_movk_i32 s11, 0x100
	s_mov_b32 s1, 0
.LBB90_232:                             ; =>This Inner Loop Header: Depth=1
	scratch_load_b64 v[62:63], off, s8
	v_dual_mov_b32 v61, s11 :: v_dual_add_nc_u32 v60, -1, v60
	s_add_co_i32 s11, s11, 8
	s_wait_xcnt 0x0
	s_add_co_i32 s8, s8, 8
	ds_load_b64 v[64:65], v61
	v_cmp_eq_u32_e32 vcc_lo, 0, v60
	s_or_b32 s1, vcc_lo, s1
	s_wait_loadcnt_dscnt 0x0
	v_pk_mul_f32 v[66:67], v[64:65], v[62:63] op_sel:[1,1] op_sel_hi:[0,1]
	s_delay_alu instid0(VALU_DEP_1) | instskip(SKIP_1) | instid1(VALU_DEP_2)
	v_pk_fma_f32 v[68:69], v[64:65], v[62:63], v[66:67] op_sel_hi:[1,0,1]
	v_pk_fma_f32 v[62:63], v[64:65], v[62:63], v[66:67] neg_lo:[0,0,1] neg_hi:[0,0,1]
	v_mov_b32_e32 v63, v69
	s_delay_alu instid0(VALU_DEP_1)
	v_pk_add_f32 v[58:59], v[58:59], v[62:63]
	s_and_not1_b32 exec_lo, exec_lo, s1
	s_cbranch_execnz .LBB90_232
; %bb.233:
	s_or_b32 exec_lo, exec_lo, s1
.LBB90_234:
	s_delay_alu instid0(SALU_CYCLE_1) | instskip(SKIP_4) | instid1(VALU_DEP_1)
	s_or_b32 exec_lo, exec_lo, s10
	v_mov_b32_e32 v60, 0
	ds_load_b64 v[60:61], v60 offset:24
	s_wait_dscnt 0x0
	v_pk_mul_f32 v[62:63], v[58:59], v[60:61] op_sel:[1,1] op_sel_hi:[0,1]
	v_pk_fma_f32 v[64:65], v[58:59], v[60:61], v[62:63] op_sel_hi:[1,0,1]
	v_pk_fma_f32 v[58:59], v[58:59], v[60:61], v[62:63] neg_lo:[0,0,1] neg_hi:[0,0,1]
	s_delay_alu instid0(VALU_DEP_2)
	v_mov_b32_e32 v59, v65
	scratch_store_b64 off, v[58:59], off offset:24
.LBB90_235:
	s_wait_xcnt 0x0
	s_or_b32 exec_lo, exec_lo, s9
	scratch_load_b64 v[58:59], off, off offset:16
	v_cmp_lt_u32_e64 s1, 2, v0
	s_wait_loadcnt 0x0
	ds_store_b64 v1, v[58:59]
	s_wait_storecnt_dscnt 0x0
	s_barrier_signal -1
	s_barrier_wait -1
	s_wait_xcnt 0x0
	s_and_saveexec_b32 s8, s1
	s_cbranch_execz .LBB90_245
; %bb.236:
	s_and_not1_b32 vcc_lo, exec_lo, s5
	s_cbranch_vccnz .LBB90_238
; %bb.237:
	scratch_load_b64 v[58:59], v57, off
	ds_load_b64 v[60:61], v1
	s_wait_loadcnt_dscnt 0x0
	v_pk_mul_f32 v[62:63], v[60:61], v[58:59] op_sel:[1,1] op_sel_hi:[0,1]
	s_delay_alu instid0(VALU_DEP_1) | instskip(SKIP_1) | instid1(VALU_DEP_2)
	v_pk_fma_f32 v[64:65], v[60:61], v[58:59], v[62:63] op_sel_hi:[1,0,1]
	v_pk_fma_f32 v[58:59], v[60:61], v[58:59], v[62:63] neg_lo:[0,0,1] neg_hi:[0,0,1]
	v_mov_b32_e32 v59, v65
	s_cbranch_execz .LBB90_239
	s_branch .LBB90_240
.LBB90_238:
                                        ; implicit-def: $vgpr58_vgpr59
.LBB90_239:
	ds_load_b64 v[58:59], v1
.LBB90_240:
	s_and_saveexec_b32 s9, s0
	s_cbranch_execz .LBB90_244
; %bb.241:
	v_add_nc_u32_e32 v60, -3, v0
	s_movk_i32 s10, 0xf8
	s_mov_b32 s0, 0
.LBB90_242:                             ; =>This Inner Loop Header: Depth=1
	scratch_load_b64 v[62:63], off, s7
	v_dual_mov_b32 v61, s10 :: v_dual_add_nc_u32 v60, -1, v60
	s_add_co_i32 s10, s10, 8
	s_wait_xcnt 0x0
	s_add_co_i32 s7, s7, 8
	ds_load_b64 v[64:65], v61
	v_cmp_eq_u32_e32 vcc_lo, 0, v60
	s_or_b32 s0, vcc_lo, s0
	s_wait_loadcnt_dscnt 0x0
	v_pk_mul_f32 v[66:67], v[64:65], v[62:63] op_sel:[1,1] op_sel_hi:[0,1]
	s_delay_alu instid0(VALU_DEP_1) | instskip(SKIP_1) | instid1(VALU_DEP_2)
	v_pk_fma_f32 v[68:69], v[64:65], v[62:63], v[66:67] op_sel_hi:[1,0,1]
	v_pk_fma_f32 v[62:63], v[64:65], v[62:63], v[66:67] neg_lo:[0,0,1] neg_hi:[0,0,1]
	v_mov_b32_e32 v63, v69
	s_delay_alu instid0(VALU_DEP_1)
	v_pk_add_f32 v[58:59], v[58:59], v[62:63]
	s_and_not1_b32 exec_lo, exec_lo, s0
	s_cbranch_execnz .LBB90_242
; %bb.243:
	s_or_b32 exec_lo, exec_lo, s0
.LBB90_244:
	s_delay_alu instid0(SALU_CYCLE_1) | instskip(SKIP_4) | instid1(VALU_DEP_1)
	s_or_b32 exec_lo, exec_lo, s9
	v_mov_b32_e32 v60, 0
	ds_load_b64 v[60:61], v60 offset:16
	s_wait_dscnt 0x0
	v_pk_mul_f32 v[62:63], v[58:59], v[60:61] op_sel:[1,1] op_sel_hi:[0,1]
	v_pk_fma_f32 v[64:65], v[58:59], v[60:61], v[62:63] op_sel_hi:[1,0,1]
	v_pk_fma_f32 v[58:59], v[58:59], v[60:61], v[62:63] neg_lo:[0,0,1] neg_hi:[0,0,1]
	s_delay_alu instid0(VALU_DEP_2)
	v_mov_b32_e32 v59, v65
	scratch_store_b64 off, v[58:59], off offset:16
.LBB90_245:
	s_wait_xcnt 0x0
	s_or_b32 exec_lo, exec_lo, s8
	scratch_load_b64 v[58:59], off, off offset:8
	v_cmp_lt_u32_e64 s0, 1, v0
	s_wait_loadcnt 0x0
	ds_store_b64 v1, v[58:59]
	s_wait_storecnt_dscnt 0x0
	s_barrier_signal -1
	s_barrier_wait -1
	s_wait_xcnt 0x0
	s_and_saveexec_b32 s7, s0
	s_cbranch_execz .LBB90_255
; %bb.246:
	s_and_not1_b32 vcc_lo, exec_lo, s5
	s_cbranch_vccnz .LBB90_248
; %bb.247:
	scratch_load_b64 v[58:59], v57, off
	ds_load_b64 v[60:61], v1
	s_wait_loadcnt_dscnt 0x0
	v_pk_mul_f32 v[62:63], v[60:61], v[58:59] op_sel:[1,1] op_sel_hi:[0,1]
	s_delay_alu instid0(VALU_DEP_1) | instskip(SKIP_1) | instid1(VALU_DEP_2)
	v_pk_fma_f32 v[64:65], v[60:61], v[58:59], v[62:63] op_sel_hi:[1,0,1]
	v_pk_fma_f32 v[58:59], v[60:61], v[58:59], v[62:63] neg_lo:[0,0,1] neg_hi:[0,0,1]
	v_mov_b32_e32 v59, v65
	s_cbranch_execz .LBB90_249
	s_branch .LBB90_250
.LBB90_248:
                                        ; implicit-def: $vgpr58_vgpr59
.LBB90_249:
	ds_load_b64 v[58:59], v1
.LBB90_250:
	s_and_saveexec_b32 s8, s1
	s_cbranch_execz .LBB90_254
; %bb.251:
	v_add_nc_u32_e32 v60, -2, v0
	s_movk_i32 s9, 0xf0
	s_mov_b32 s1, 0
.LBB90_252:                             ; =>This Inner Loop Header: Depth=1
	scratch_load_b64 v[62:63], off, s6
	v_dual_mov_b32 v61, s9 :: v_dual_add_nc_u32 v60, -1, v60
	s_add_co_i32 s9, s9, 8
	s_wait_xcnt 0x0
	s_add_co_i32 s6, s6, 8
	ds_load_b64 v[64:65], v61
	v_cmp_eq_u32_e32 vcc_lo, 0, v60
	s_or_b32 s1, vcc_lo, s1
	s_wait_loadcnt_dscnt 0x0
	v_pk_mul_f32 v[66:67], v[64:65], v[62:63] op_sel:[1,1] op_sel_hi:[0,1]
	s_delay_alu instid0(VALU_DEP_1) | instskip(SKIP_1) | instid1(VALU_DEP_2)
	v_pk_fma_f32 v[68:69], v[64:65], v[62:63], v[66:67] op_sel_hi:[1,0,1]
	v_pk_fma_f32 v[62:63], v[64:65], v[62:63], v[66:67] neg_lo:[0,0,1] neg_hi:[0,0,1]
	v_mov_b32_e32 v63, v69
	s_delay_alu instid0(VALU_DEP_1)
	v_pk_add_f32 v[58:59], v[58:59], v[62:63]
	s_and_not1_b32 exec_lo, exec_lo, s1
	s_cbranch_execnz .LBB90_252
; %bb.253:
	s_or_b32 exec_lo, exec_lo, s1
.LBB90_254:
	s_delay_alu instid0(SALU_CYCLE_1) | instskip(SKIP_4) | instid1(VALU_DEP_1)
	s_or_b32 exec_lo, exec_lo, s8
	v_mov_b32_e32 v60, 0
	ds_load_b64 v[60:61], v60 offset:8
	s_wait_dscnt 0x0
	v_pk_mul_f32 v[62:63], v[58:59], v[60:61] op_sel:[1,1] op_sel_hi:[0,1]
	v_pk_fma_f32 v[64:65], v[58:59], v[60:61], v[62:63] op_sel_hi:[1,0,1]
	v_pk_fma_f32 v[58:59], v[58:59], v[60:61], v[62:63] neg_lo:[0,0,1] neg_hi:[0,0,1]
	s_delay_alu instid0(VALU_DEP_2)
	v_mov_b32_e32 v59, v65
	scratch_store_b64 off, v[58:59], off offset:8
.LBB90_255:
	s_wait_xcnt 0x0
	s_or_b32 exec_lo, exec_lo, s7
	scratch_load_b64 v[58:59], off, off
	s_mov_b32 s6, 0
	s_mov_b32 s1, 0
	s_mov_b32 s8, exec_lo
                                        ; implicit-def: $vgpr80
                                        ; implicit-def: $sgpr7
	s_wait_loadcnt 0x0
	ds_store_b64 v1, v[58:59]
	s_wait_storecnt_dscnt 0x0
	s_barrier_signal -1
	s_barrier_wait -1
	s_wait_xcnt 0x0
	v_cmpx_ne_u32_e32 0, v0
	s_cbranch_execz .LBB90_265
; %bb.256:
	s_and_not1_b32 vcc_lo, exec_lo, s5
	s_cbranch_vccnz .LBB90_258
; %bb.257:
	scratch_load_b64 v[60:61], v57, off
	ds_load_b64 v[62:63], v1
	s_wait_loadcnt_dscnt 0x0
	v_dual_mul_f32 v58, v63, v61 :: v_dual_mul_f32 v59, v62, v61
	s_delay_alu instid0(VALU_DEP_1)
	v_dual_fma_f32 v58, v62, v60, -v58 :: v_dual_fmac_f32 v59, v63, v60
	s_and_not1_b32 vcc_lo, exec_lo, s1
	s_cbranch_vccz .LBB90_259
	s_branch .LBB90_260
.LBB90_258:
                                        ; implicit-def: $vgpr58
.LBB90_259:
	ds_load_b64 v[58:59], v1
.LBB90_260:
	s_and_saveexec_b32 s1, s0
	s_cbranch_execz .LBB90_264
; %bb.261:
	v_add_nc_u32_e32 v60, -1, v0
	s_movk_i32 s7, 0xe8
	s_mov_b32 s0, 0
.LBB90_262:                             ; =>This Inner Loop Header: Depth=1
	scratch_load_b64 v[62:63], off, s4
	v_mov_b32_e32 v61, s7
	s_add_co_i32 s7, s7, 8
	s_wait_xcnt 0x0
	s_add_co_i32 s4, s4, 8
	v_add_nc_u32_e32 v60, -1, v60
	ds_load_b64 v[64:65], v61
	v_cmp_eq_u32_e32 vcc_lo, 0, v60
	s_or_b32 s0, vcc_lo, s0
	s_wait_loadcnt_dscnt 0x0
	v_dual_mul_f32 v61, v65, v63 :: v_dual_mul_f32 v63, v64, v63
	s_delay_alu instid0(VALU_DEP_1) | instskip(NEXT) | instid1(VALU_DEP_1)
	v_dual_fma_f32 v61, v64, v62, -v61 :: v_dual_fmac_f32 v63, v65, v62
	v_dual_add_f32 v58, v58, v61 :: v_dual_add_f32 v59, v59, v63
	s_and_not1_b32 exec_lo, exec_lo, s0
	s_cbranch_execnz .LBB90_262
; %bb.263:
	s_or_b32 exec_lo, exec_lo, s0
.LBB90_264:
	s_delay_alu instid0(SALU_CYCLE_1)
	s_or_b32 exec_lo, exec_lo, s1
	v_mov_b32_e32 v60, 0
	s_mov_b32 s1, exec_lo
	s_or_b32 s7, 0, 4
	ds_load_b64 v[60:61], v60
	s_wait_dscnt 0x0
	v_dual_mul_f32 v62, v59, v61 :: v_dual_mul_f32 v80, v58, v61
	s_delay_alu instid0(VALU_DEP_1)
	v_dual_fma_f32 v58, v58, v60, -v62 :: v_dual_fmac_f32 v80, v59, v60
	scratch_store_b32 off, v58, off
.LBB90_265:
	s_wait_xcnt 0x0
	s_or_b32 exec_lo, exec_lo, s8
	s_delay_alu instid0(SALU_CYCLE_1)
	s_and_b32 vcc_lo, exec_lo, s6
	s_cbranch_vccz .LBB90_521
.LBB90_266:
	scratch_load_b64 v[58:59], off, off offset:8
	v_cmp_eq_u32_e64 s0, 0, v0
	s_wait_loadcnt 0x0
	ds_store_b64 v1, v[58:59]
	s_wait_storecnt_dscnt 0x0
	s_barrier_signal -1
	s_barrier_wait -1
	s_wait_xcnt 0x0
	s_and_saveexec_b32 s4, s0
	s_cbranch_execz .LBB90_272
; %bb.267:
	s_and_b32 vcc_lo, exec_lo, s5
	s_cbranch_vccz .LBB90_269
; %bb.268:
	scratch_load_b64 v[58:59], v57, off
	ds_load_b64 v[60:61], v1
	s_wait_loadcnt_dscnt 0x0
	v_pk_mul_f32 v[62:63], v[60:61], v[58:59] op_sel:[1,1] op_sel_hi:[0,1]
	v_pk_mul_f32 v[64:65], v[60:61], v[58:59] op_sel_hi:[1,0]
	s_delay_alu instid0(VALU_DEP_2) | instskip(NEXT) | instid1(VALU_DEP_2)
	v_pk_fma_f32 v[58:59], v[60:61], v[58:59], v[62:63] op_sel_hi:[1,0,1]
	v_sub_f32_e32 v58, v64, v62
	s_cbranch_execz .LBB90_270
	s_branch .LBB90_271
.LBB90_269:
                                        ; implicit-def: $vgpr59
.LBB90_270:
	ds_load_b64 v[58:59], v1
.LBB90_271:
	s_wait_dscnt 0x0
	v_dual_mov_b32 v60, 0 :: v_dual_mov_b32 v62, v59
	v_mov_b32_e32 v63, v58
	ds_load_b64 v[60:61], v60 offset:8
	s_wait_dscnt 0x0
	v_pk_mul_f32 v[62:63], v[62:63], v[60:61] op_sel:[0,1]
	s_delay_alu instid0(VALU_DEP_1) | instskip(SKIP_1) | instid1(VALU_DEP_2)
	v_pk_fma_f32 v[64:65], v[58:59], v[60:61], v[62:63] op_sel_hi:[1,0,1]
	v_pk_fma_f32 v[58:59], v[58:59], v[60:61], v[62:63] neg_lo:[0,0,1] neg_hi:[0,0,1]
	v_mov_b32_e32 v59, v65
	scratch_store_b64 off, v[58:59], off offset:8
.LBB90_272:
	s_wait_xcnt 0x0
	s_or_b32 exec_lo, exec_lo, s4
	scratch_load_b64 v[58:59], off, off offset:16
	v_cndmask_b32_e64 v60, 0, 1, s5
	s_mov_b32 s4, exec_lo
	s_wait_loadcnt 0x0
	ds_store_b64 v1, v[58:59]
	s_wait_storecnt_dscnt 0x0
	s_barrier_signal -1
	s_barrier_wait -1
	s_wait_xcnt 0x0
	v_cmpx_gt_u32_e32 2, v0
	s_cbranch_execz .LBB90_280
; %bb.273:
	s_and_not1_b32 vcc_lo, exec_lo, s5
	s_cbranch_vccnz .LBB90_275
; %bb.274:
	scratch_load_b64 v[58:59], v57, off
	ds_load_b64 v[62:63], v1
	s_wait_loadcnt_dscnt 0x0
	v_pk_mul_f32 v[64:65], v[62:63], v[58:59] op_sel:[1,1] op_sel_hi:[0,1]
	s_delay_alu instid0(VALU_DEP_1) | instskip(SKIP_1) | instid1(VALU_DEP_2)
	v_pk_fma_f32 v[66:67], v[62:63], v[58:59], v[64:65] op_sel_hi:[1,0,1]
	v_pk_fma_f32 v[58:59], v[62:63], v[58:59], v[64:65] neg_lo:[0,0,1] neg_hi:[0,0,1]
	v_mov_b32_e32 v59, v67
	s_cbranch_execz .LBB90_276
	s_branch .LBB90_277
.LBB90_275:
                                        ; implicit-def: $vgpr58_vgpr59
.LBB90_276:
	ds_load_b64 v[58:59], v1
.LBB90_277:
	s_and_saveexec_b32 s5, s0
	s_cbranch_execz .LBB90_279
; %bb.278:
	scratch_load_b64 v[62:63], off, off offset:8
	v_mov_b32_e32 v61, 0
	ds_load_b64 v[64:65], v61 offset:232
	s_wait_loadcnt_dscnt 0x0
	v_pk_mul_f32 v[66:67], v[64:65], v[62:63] op_sel:[1,1] op_sel_hi:[0,1]
	s_delay_alu instid0(VALU_DEP_1) | instskip(SKIP_1) | instid1(VALU_DEP_2)
	v_pk_fma_f32 v[68:69], v[64:65], v[62:63], v[66:67] op_sel_hi:[1,0,1]
	v_pk_fma_f32 v[62:63], v[64:65], v[62:63], v[66:67] neg_lo:[0,0,1] neg_hi:[0,0,1]
	v_mov_b32_e32 v63, v69
	s_delay_alu instid0(VALU_DEP_1)
	v_pk_add_f32 v[58:59], v[58:59], v[62:63]
.LBB90_279:
	s_or_b32 exec_lo, exec_lo, s5
	v_mov_b32_e32 v61, 0
	ds_load_b64 v[62:63], v61 offset:16
	s_wait_dscnt 0x0
	v_pk_mul_f32 v[64:65], v[58:59], v[62:63] op_sel:[1,1] op_sel_hi:[0,1]
	s_delay_alu instid0(VALU_DEP_1) | instskip(SKIP_1) | instid1(VALU_DEP_2)
	v_pk_fma_f32 v[66:67], v[58:59], v[62:63], v[64:65] op_sel_hi:[1,0,1]
	v_pk_fma_f32 v[58:59], v[58:59], v[62:63], v[64:65] neg_lo:[0,0,1] neg_hi:[0,0,1]
	v_mov_b32_e32 v59, v67
	scratch_store_b64 off, v[58:59], off offset:16
.LBB90_280:
	s_wait_xcnt 0x0
	s_or_b32 exec_lo, exec_lo, s4
	scratch_load_b64 v[58:59], off, off offset:24
	s_mov_b32 s4, exec_lo
	s_wait_loadcnt 0x0
	ds_store_b64 v1, v[58:59]
	s_wait_storecnt_dscnt 0x0
	s_barrier_signal -1
	s_barrier_wait -1
	s_wait_xcnt 0x0
	v_cmpx_gt_u32_e32 3, v0
	s_cbranch_execz .LBB90_290
; %bb.281:
	v_cmp_ne_u32_e32 vcc_lo, 1, v60
	s_cbranch_vccnz .LBB90_283
; %bb.282:
	scratch_load_b64 v[58:59], v57, off
	ds_load_b64 v[62:63], v1
	s_wait_loadcnt_dscnt 0x0
	v_pk_mul_f32 v[64:65], v[62:63], v[58:59] op_sel:[1,1] op_sel_hi:[0,1]
	s_delay_alu instid0(VALU_DEP_1) | instskip(SKIP_1) | instid1(VALU_DEP_2)
	v_pk_fma_f32 v[66:67], v[62:63], v[58:59], v[64:65] op_sel_hi:[1,0,1]
	v_pk_fma_f32 v[58:59], v[62:63], v[58:59], v[64:65] neg_lo:[0,0,1] neg_hi:[0,0,1]
	v_mov_b32_e32 v59, v67
	s_cbranch_execz .LBB90_284
	s_branch .LBB90_285
.LBB90_283:
                                        ; implicit-def: $vgpr58_vgpr59
.LBB90_284:
	ds_load_b64 v[58:59], v1
.LBB90_285:
	s_mov_b32 s5, exec_lo
	v_cmpx_ne_u32_e32 2, v0
	s_cbranch_execz .LBB90_289
; %bb.286:
	scratch_load_b64 v[62:63], v57, off offset:8
	ds_load_b64 v[64:65], v1 offset:8
	s_wait_loadcnt_dscnt 0x0
	v_pk_mul_f32 v[66:67], v[64:65], v[62:63] op_sel:[1,1] op_sel_hi:[0,1]
	s_delay_alu instid0(VALU_DEP_1) | instskip(SKIP_1) | instid1(VALU_DEP_2)
	v_pk_fma_f32 v[68:69], v[64:65], v[62:63], v[66:67] op_sel_hi:[1,0,1]
	v_pk_fma_f32 v[62:63], v[64:65], v[62:63], v[66:67] neg_lo:[0,0,1] neg_hi:[0,0,1]
	v_mov_b32_e32 v63, v69
	s_delay_alu instid0(VALU_DEP_1)
	v_pk_add_f32 v[58:59], v[58:59], v[62:63]
	s_and_saveexec_b32 s6, s0
	s_cbranch_execz .LBB90_288
; %bb.287:
	scratch_load_b64 v[62:63], off, off offset:16
	v_mov_b32_e32 v61, 0
	ds_load_b64 v[64:65], v61 offset:240
	s_wait_loadcnt_dscnt 0x0
	v_pk_mul_f32 v[66:67], v[64:65], v[62:63] op_sel:[1,1] op_sel_hi:[0,1]
	s_delay_alu instid0(VALU_DEP_1) | instskip(SKIP_1) | instid1(VALU_DEP_2)
	v_pk_fma_f32 v[68:69], v[64:65], v[62:63], v[66:67] op_sel_hi:[1,0,1]
	v_pk_fma_f32 v[62:63], v[64:65], v[62:63], v[66:67] neg_lo:[0,0,1] neg_hi:[0,0,1]
	v_mov_b32_e32 v63, v69
	s_delay_alu instid0(VALU_DEP_1)
	v_pk_add_f32 v[58:59], v[58:59], v[62:63]
.LBB90_288:
	s_or_b32 exec_lo, exec_lo, s6
.LBB90_289:
	s_delay_alu instid0(SALU_CYCLE_1) | instskip(SKIP_4) | instid1(VALU_DEP_1)
	s_or_b32 exec_lo, exec_lo, s5
	v_mov_b32_e32 v61, 0
	ds_load_b64 v[62:63], v61 offset:24
	s_wait_dscnt 0x0
	v_pk_mul_f32 v[64:65], v[58:59], v[62:63] op_sel:[1,1] op_sel_hi:[0,1]
	v_pk_fma_f32 v[66:67], v[58:59], v[62:63], v[64:65] op_sel_hi:[1,0,1]
	v_pk_fma_f32 v[58:59], v[58:59], v[62:63], v[64:65] neg_lo:[0,0,1] neg_hi:[0,0,1]
	s_delay_alu instid0(VALU_DEP_2)
	v_mov_b32_e32 v59, v67
	scratch_store_b64 off, v[58:59], off offset:24
.LBB90_290:
	s_wait_xcnt 0x0
	s_or_b32 exec_lo, exec_lo, s4
	scratch_load_b64 v[58:59], off, off offset:32
	s_mov_b32 s0, exec_lo
	s_wait_loadcnt 0x0
	ds_store_b64 v1, v[58:59]
	s_wait_storecnt_dscnt 0x0
	s_barrier_signal -1
	s_barrier_wait -1
	s_wait_xcnt 0x0
	v_cmpx_gt_u32_e32 4, v0
	s_cbranch_execz .LBB90_300
; %bb.291:
	v_cmp_ne_u32_e32 vcc_lo, 1, v60
	s_cbranch_vccnz .LBB90_293
; %bb.292:
	scratch_load_b64 v[58:59], v57, off
	ds_load_b64 v[62:63], v1
	s_wait_loadcnt_dscnt 0x0
	v_pk_mul_f32 v[64:65], v[62:63], v[58:59] op_sel:[1,1] op_sel_hi:[0,1]
	s_delay_alu instid0(VALU_DEP_1) | instskip(SKIP_1) | instid1(VALU_DEP_2)
	v_pk_fma_f32 v[66:67], v[62:63], v[58:59], v[64:65] op_sel_hi:[1,0,1]
	v_pk_fma_f32 v[58:59], v[62:63], v[58:59], v[64:65] neg_lo:[0,0,1] neg_hi:[0,0,1]
	v_mov_b32_e32 v59, v67
	s_cbranch_execz .LBB90_294
	s_branch .LBB90_295
.LBB90_293:
                                        ; implicit-def: $vgpr58_vgpr59
.LBB90_294:
	ds_load_b64 v[58:59], v1
.LBB90_295:
	s_mov_b32 s4, exec_lo
	v_cmpx_ne_u32_e32 3, v0
	s_cbranch_execz .LBB90_299
; %bb.296:
	v_add_nc_u32_e32 v61, 0xe8, v56
	v_add3_u32 v62, 0, v56, 8
	v_mov_b32_e32 v63, v0
	s_mov_b32 s5, 0
.LBB90_297:                             ; =>This Inner Loop Header: Depth=1
	scratch_load_b64 v[64:65], v62, off
	ds_load_b64 v[66:67], v61
	s_wait_xcnt 0x0
	v_dual_add_nc_u32 v61, 8, v61 :: v_dual_add_nc_u32 v62, 8, v62
	s_wait_loadcnt_dscnt 0x0
	v_pk_mul_f32 v[68:69], v[66:67], v[64:65] op_sel:[1,1] op_sel_hi:[0,1]
	s_delay_alu instid0(VALU_DEP_1) | instskip(SKIP_2) | instid1(VALU_DEP_3)
	v_pk_fma_f32 v[70:71], v[66:67], v[64:65], v[68:69] op_sel_hi:[1,0,1]
	v_add_nc_u32_e32 v63, 1, v63
	v_pk_fma_f32 v[64:65], v[66:67], v[64:65], v[68:69] neg_lo:[0,0,1] neg_hi:[0,0,1]
	v_mov_b32_e32 v65, v71
	s_delay_alu instid0(VALU_DEP_3) | instskip(NEXT) | instid1(VALU_DEP_2)
	v_cmp_lt_u32_e32 vcc_lo, 2, v63
	v_pk_add_f32 v[58:59], v[58:59], v[64:65]
	s_or_b32 s5, vcc_lo, s5
	s_delay_alu instid0(SALU_CYCLE_1)
	s_and_not1_b32 exec_lo, exec_lo, s5
	s_cbranch_execnz .LBB90_297
; %bb.298:
	s_or_b32 exec_lo, exec_lo, s5
.LBB90_299:
	s_delay_alu instid0(SALU_CYCLE_1) | instskip(SKIP_4) | instid1(VALU_DEP_1)
	s_or_b32 exec_lo, exec_lo, s4
	v_mov_b32_e32 v61, 0
	ds_load_b64 v[62:63], v61 offset:32
	s_wait_dscnt 0x0
	v_pk_mul_f32 v[64:65], v[58:59], v[62:63] op_sel:[1,1] op_sel_hi:[0,1]
	v_pk_fma_f32 v[66:67], v[58:59], v[62:63], v[64:65] op_sel_hi:[1,0,1]
	v_pk_fma_f32 v[58:59], v[58:59], v[62:63], v[64:65] neg_lo:[0,0,1] neg_hi:[0,0,1]
	s_delay_alu instid0(VALU_DEP_2)
	v_mov_b32_e32 v59, v67
	scratch_store_b64 off, v[58:59], off offset:32
.LBB90_300:
	s_wait_xcnt 0x0
	s_or_b32 exec_lo, exec_lo, s0
	scratch_load_b64 v[58:59], off, off offset:40
	s_mov_b32 s0, exec_lo
	s_wait_loadcnt 0x0
	ds_store_b64 v1, v[58:59]
	s_wait_storecnt_dscnt 0x0
	s_barrier_signal -1
	s_barrier_wait -1
	s_wait_xcnt 0x0
	v_cmpx_gt_u32_e32 5, v0
	s_cbranch_execz .LBB90_310
; %bb.301:
	v_cmp_ne_u32_e32 vcc_lo, 1, v60
	s_cbranch_vccnz .LBB90_303
; %bb.302:
	scratch_load_b64 v[58:59], v57, off
	ds_load_b64 v[62:63], v1
	s_wait_loadcnt_dscnt 0x0
	v_pk_mul_f32 v[64:65], v[62:63], v[58:59] op_sel:[1,1] op_sel_hi:[0,1]
	s_delay_alu instid0(VALU_DEP_1) | instskip(SKIP_1) | instid1(VALU_DEP_2)
	v_pk_fma_f32 v[66:67], v[62:63], v[58:59], v[64:65] op_sel_hi:[1,0,1]
	v_pk_fma_f32 v[58:59], v[62:63], v[58:59], v[64:65] neg_lo:[0,0,1] neg_hi:[0,0,1]
	v_mov_b32_e32 v59, v67
	s_cbranch_execz .LBB90_304
	s_branch .LBB90_305
.LBB90_303:
                                        ; implicit-def: $vgpr58_vgpr59
.LBB90_304:
	ds_load_b64 v[58:59], v1
.LBB90_305:
	s_mov_b32 s4, exec_lo
	v_cmpx_ne_u32_e32 4, v0
	s_cbranch_execz .LBB90_309
; %bb.306:
	v_add_nc_u32_e32 v61, 0xe8, v56
	v_add3_u32 v62, 0, v56, 8
	v_mov_b32_e32 v63, v0
	s_mov_b32 s5, 0
.LBB90_307:                             ; =>This Inner Loop Header: Depth=1
	scratch_load_b64 v[64:65], v62, off
	ds_load_b64 v[66:67], v61
	s_wait_xcnt 0x0
	v_dual_add_nc_u32 v61, 8, v61 :: v_dual_add_nc_u32 v62, 8, v62
	s_wait_loadcnt_dscnt 0x0
	v_pk_mul_f32 v[68:69], v[66:67], v[64:65] op_sel:[1,1] op_sel_hi:[0,1]
	s_delay_alu instid0(VALU_DEP_1) | instskip(SKIP_2) | instid1(VALU_DEP_3)
	v_pk_fma_f32 v[70:71], v[66:67], v[64:65], v[68:69] op_sel_hi:[1,0,1]
	v_add_nc_u32_e32 v63, 1, v63
	v_pk_fma_f32 v[64:65], v[66:67], v[64:65], v[68:69] neg_lo:[0,0,1] neg_hi:[0,0,1]
	v_mov_b32_e32 v65, v71
	s_delay_alu instid0(VALU_DEP_3) | instskip(NEXT) | instid1(VALU_DEP_2)
	v_cmp_lt_u32_e32 vcc_lo, 3, v63
	v_pk_add_f32 v[58:59], v[58:59], v[64:65]
	s_or_b32 s5, vcc_lo, s5
	s_delay_alu instid0(SALU_CYCLE_1)
	s_and_not1_b32 exec_lo, exec_lo, s5
	s_cbranch_execnz .LBB90_307
; %bb.308:
	s_or_b32 exec_lo, exec_lo, s5
.LBB90_309:
	s_delay_alu instid0(SALU_CYCLE_1) | instskip(SKIP_4) | instid1(VALU_DEP_1)
	s_or_b32 exec_lo, exec_lo, s4
	v_mov_b32_e32 v61, 0
	ds_load_b64 v[62:63], v61 offset:40
	s_wait_dscnt 0x0
	v_pk_mul_f32 v[64:65], v[58:59], v[62:63] op_sel:[1,1] op_sel_hi:[0,1]
	v_pk_fma_f32 v[66:67], v[58:59], v[62:63], v[64:65] op_sel_hi:[1,0,1]
	v_pk_fma_f32 v[58:59], v[58:59], v[62:63], v[64:65] neg_lo:[0,0,1] neg_hi:[0,0,1]
	s_delay_alu instid0(VALU_DEP_2)
	v_mov_b32_e32 v59, v67
	scratch_store_b64 off, v[58:59], off offset:40
.LBB90_310:
	s_wait_xcnt 0x0
	s_or_b32 exec_lo, exec_lo, s0
	scratch_load_b64 v[58:59], off, off offset:48
	s_mov_b32 s0, exec_lo
	s_wait_loadcnt 0x0
	ds_store_b64 v1, v[58:59]
	s_wait_storecnt_dscnt 0x0
	s_barrier_signal -1
	s_barrier_wait -1
	s_wait_xcnt 0x0
	v_cmpx_gt_u32_e32 6, v0
	s_cbranch_execz .LBB90_320
; %bb.311:
	v_cmp_ne_u32_e32 vcc_lo, 1, v60
	s_cbranch_vccnz .LBB90_313
; %bb.312:
	scratch_load_b64 v[58:59], v57, off
	ds_load_b64 v[62:63], v1
	s_wait_loadcnt_dscnt 0x0
	v_pk_mul_f32 v[64:65], v[62:63], v[58:59] op_sel:[1,1] op_sel_hi:[0,1]
	s_delay_alu instid0(VALU_DEP_1) | instskip(SKIP_1) | instid1(VALU_DEP_2)
	v_pk_fma_f32 v[66:67], v[62:63], v[58:59], v[64:65] op_sel_hi:[1,0,1]
	v_pk_fma_f32 v[58:59], v[62:63], v[58:59], v[64:65] neg_lo:[0,0,1] neg_hi:[0,0,1]
	v_mov_b32_e32 v59, v67
	s_cbranch_execz .LBB90_314
	s_branch .LBB90_315
.LBB90_313:
                                        ; implicit-def: $vgpr58_vgpr59
.LBB90_314:
	ds_load_b64 v[58:59], v1
.LBB90_315:
	s_mov_b32 s4, exec_lo
	v_cmpx_ne_u32_e32 5, v0
	s_cbranch_execz .LBB90_319
; %bb.316:
	v_add_nc_u32_e32 v61, 0xe8, v56
	v_add3_u32 v62, 0, v56, 8
	v_mov_b32_e32 v63, v0
	s_mov_b32 s5, 0
.LBB90_317:                             ; =>This Inner Loop Header: Depth=1
	scratch_load_b64 v[64:65], v62, off
	ds_load_b64 v[66:67], v61
	s_wait_xcnt 0x0
	v_dual_add_nc_u32 v61, 8, v61 :: v_dual_add_nc_u32 v62, 8, v62
	s_wait_loadcnt_dscnt 0x0
	v_pk_mul_f32 v[68:69], v[66:67], v[64:65] op_sel:[1,1] op_sel_hi:[0,1]
	s_delay_alu instid0(VALU_DEP_1) | instskip(SKIP_2) | instid1(VALU_DEP_3)
	v_pk_fma_f32 v[70:71], v[66:67], v[64:65], v[68:69] op_sel_hi:[1,0,1]
	v_add_nc_u32_e32 v63, 1, v63
	v_pk_fma_f32 v[64:65], v[66:67], v[64:65], v[68:69] neg_lo:[0,0,1] neg_hi:[0,0,1]
	v_mov_b32_e32 v65, v71
	s_delay_alu instid0(VALU_DEP_3) | instskip(NEXT) | instid1(VALU_DEP_2)
	v_cmp_lt_u32_e32 vcc_lo, 4, v63
	v_pk_add_f32 v[58:59], v[58:59], v[64:65]
	s_or_b32 s5, vcc_lo, s5
	s_delay_alu instid0(SALU_CYCLE_1)
	s_and_not1_b32 exec_lo, exec_lo, s5
	s_cbranch_execnz .LBB90_317
; %bb.318:
	s_or_b32 exec_lo, exec_lo, s5
.LBB90_319:
	s_delay_alu instid0(SALU_CYCLE_1) | instskip(SKIP_4) | instid1(VALU_DEP_1)
	s_or_b32 exec_lo, exec_lo, s4
	v_mov_b32_e32 v61, 0
	ds_load_b64 v[62:63], v61 offset:48
	s_wait_dscnt 0x0
	v_pk_mul_f32 v[64:65], v[58:59], v[62:63] op_sel:[1,1] op_sel_hi:[0,1]
	v_pk_fma_f32 v[66:67], v[58:59], v[62:63], v[64:65] op_sel_hi:[1,0,1]
	v_pk_fma_f32 v[58:59], v[58:59], v[62:63], v[64:65] neg_lo:[0,0,1] neg_hi:[0,0,1]
	s_delay_alu instid0(VALU_DEP_2)
	v_mov_b32_e32 v59, v67
	scratch_store_b64 off, v[58:59], off offset:48
.LBB90_320:
	s_wait_xcnt 0x0
	s_or_b32 exec_lo, exec_lo, s0
	scratch_load_b64 v[58:59], off, off offset:56
	s_mov_b32 s0, exec_lo
	s_wait_loadcnt 0x0
	ds_store_b64 v1, v[58:59]
	s_wait_storecnt_dscnt 0x0
	s_barrier_signal -1
	s_barrier_wait -1
	s_wait_xcnt 0x0
	v_cmpx_gt_u32_e32 7, v0
	s_cbranch_execz .LBB90_330
; %bb.321:
	v_cmp_ne_u32_e32 vcc_lo, 1, v60
	s_cbranch_vccnz .LBB90_323
; %bb.322:
	scratch_load_b64 v[58:59], v57, off
	ds_load_b64 v[62:63], v1
	s_wait_loadcnt_dscnt 0x0
	v_pk_mul_f32 v[64:65], v[62:63], v[58:59] op_sel:[1,1] op_sel_hi:[0,1]
	s_delay_alu instid0(VALU_DEP_1) | instskip(SKIP_1) | instid1(VALU_DEP_2)
	v_pk_fma_f32 v[66:67], v[62:63], v[58:59], v[64:65] op_sel_hi:[1,0,1]
	v_pk_fma_f32 v[58:59], v[62:63], v[58:59], v[64:65] neg_lo:[0,0,1] neg_hi:[0,0,1]
	v_mov_b32_e32 v59, v67
	s_cbranch_execz .LBB90_324
	s_branch .LBB90_325
.LBB90_323:
                                        ; implicit-def: $vgpr58_vgpr59
.LBB90_324:
	ds_load_b64 v[58:59], v1
.LBB90_325:
	s_mov_b32 s4, exec_lo
	v_cmpx_ne_u32_e32 6, v0
	s_cbranch_execz .LBB90_329
; %bb.326:
	v_add_nc_u32_e32 v61, 0xe8, v56
	v_add3_u32 v62, 0, v56, 8
	v_mov_b32_e32 v63, v0
	s_mov_b32 s5, 0
.LBB90_327:                             ; =>This Inner Loop Header: Depth=1
	scratch_load_b64 v[64:65], v62, off
	ds_load_b64 v[66:67], v61
	s_wait_xcnt 0x0
	v_dual_add_nc_u32 v61, 8, v61 :: v_dual_add_nc_u32 v62, 8, v62
	s_wait_loadcnt_dscnt 0x0
	v_pk_mul_f32 v[68:69], v[66:67], v[64:65] op_sel:[1,1] op_sel_hi:[0,1]
	s_delay_alu instid0(VALU_DEP_1) | instskip(SKIP_2) | instid1(VALU_DEP_3)
	v_pk_fma_f32 v[70:71], v[66:67], v[64:65], v[68:69] op_sel_hi:[1,0,1]
	v_add_nc_u32_e32 v63, 1, v63
	v_pk_fma_f32 v[64:65], v[66:67], v[64:65], v[68:69] neg_lo:[0,0,1] neg_hi:[0,0,1]
	v_mov_b32_e32 v65, v71
	s_delay_alu instid0(VALU_DEP_3) | instskip(NEXT) | instid1(VALU_DEP_2)
	v_cmp_lt_u32_e32 vcc_lo, 5, v63
	v_pk_add_f32 v[58:59], v[58:59], v[64:65]
	s_or_b32 s5, vcc_lo, s5
	s_delay_alu instid0(SALU_CYCLE_1)
	s_and_not1_b32 exec_lo, exec_lo, s5
	s_cbranch_execnz .LBB90_327
; %bb.328:
	s_or_b32 exec_lo, exec_lo, s5
.LBB90_329:
	s_delay_alu instid0(SALU_CYCLE_1) | instskip(SKIP_4) | instid1(VALU_DEP_1)
	s_or_b32 exec_lo, exec_lo, s4
	v_mov_b32_e32 v61, 0
	ds_load_b64 v[62:63], v61 offset:56
	s_wait_dscnt 0x0
	v_pk_mul_f32 v[64:65], v[58:59], v[62:63] op_sel:[1,1] op_sel_hi:[0,1]
	v_pk_fma_f32 v[66:67], v[58:59], v[62:63], v[64:65] op_sel_hi:[1,0,1]
	v_pk_fma_f32 v[58:59], v[58:59], v[62:63], v[64:65] neg_lo:[0,0,1] neg_hi:[0,0,1]
	s_delay_alu instid0(VALU_DEP_2)
	v_mov_b32_e32 v59, v67
	scratch_store_b64 off, v[58:59], off offset:56
.LBB90_330:
	s_wait_xcnt 0x0
	s_or_b32 exec_lo, exec_lo, s0
	scratch_load_b64 v[58:59], off, off offset:64
	s_mov_b32 s0, exec_lo
	s_wait_loadcnt 0x0
	ds_store_b64 v1, v[58:59]
	s_wait_storecnt_dscnt 0x0
	s_barrier_signal -1
	s_barrier_wait -1
	s_wait_xcnt 0x0
	v_cmpx_gt_u32_e32 8, v0
	s_cbranch_execz .LBB90_340
; %bb.331:
	v_cmp_ne_u32_e32 vcc_lo, 1, v60
	s_cbranch_vccnz .LBB90_333
; %bb.332:
	scratch_load_b64 v[58:59], v57, off
	ds_load_b64 v[62:63], v1
	s_wait_loadcnt_dscnt 0x0
	v_pk_mul_f32 v[64:65], v[62:63], v[58:59] op_sel:[1,1] op_sel_hi:[0,1]
	s_delay_alu instid0(VALU_DEP_1) | instskip(SKIP_1) | instid1(VALU_DEP_2)
	v_pk_fma_f32 v[66:67], v[62:63], v[58:59], v[64:65] op_sel_hi:[1,0,1]
	v_pk_fma_f32 v[58:59], v[62:63], v[58:59], v[64:65] neg_lo:[0,0,1] neg_hi:[0,0,1]
	v_mov_b32_e32 v59, v67
	s_cbranch_execz .LBB90_334
	s_branch .LBB90_335
.LBB90_333:
                                        ; implicit-def: $vgpr58_vgpr59
.LBB90_334:
	ds_load_b64 v[58:59], v1
.LBB90_335:
	s_mov_b32 s4, exec_lo
	v_cmpx_ne_u32_e32 7, v0
	s_cbranch_execz .LBB90_339
; %bb.336:
	v_add_nc_u32_e32 v61, 0xe8, v56
	v_add3_u32 v62, 0, v56, 8
	v_mov_b32_e32 v63, v0
	s_mov_b32 s5, 0
.LBB90_337:                             ; =>This Inner Loop Header: Depth=1
	scratch_load_b64 v[64:65], v62, off
	ds_load_b64 v[66:67], v61
	s_wait_xcnt 0x0
	v_dual_add_nc_u32 v61, 8, v61 :: v_dual_add_nc_u32 v62, 8, v62
	s_wait_loadcnt_dscnt 0x0
	v_pk_mul_f32 v[68:69], v[66:67], v[64:65] op_sel:[1,1] op_sel_hi:[0,1]
	s_delay_alu instid0(VALU_DEP_1) | instskip(SKIP_2) | instid1(VALU_DEP_3)
	v_pk_fma_f32 v[70:71], v[66:67], v[64:65], v[68:69] op_sel_hi:[1,0,1]
	v_add_nc_u32_e32 v63, 1, v63
	v_pk_fma_f32 v[64:65], v[66:67], v[64:65], v[68:69] neg_lo:[0,0,1] neg_hi:[0,0,1]
	v_mov_b32_e32 v65, v71
	s_delay_alu instid0(VALU_DEP_3) | instskip(NEXT) | instid1(VALU_DEP_2)
	v_cmp_lt_u32_e32 vcc_lo, 6, v63
	v_pk_add_f32 v[58:59], v[58:59], v[64:65]
	s_or_b32 s5, vcc_lo, s5
	s_delay_alu instid0(SALU_CYCLE_1)
	s_and_not1_b32 exec_lo, exec_lo, s5
	s_cbranch_execnz .LBB90_337
; %bb.338:
	s_or_b32 exec_lo, exec_lo, s5
.LBB90_339:
	s_delay_alu instid0(SALU_CYCLE_1) | instskip(SKIP_4) | instid1(VALU_DEP_1)
	s_or_b32 exec_lo, exec_lo, s4
	v_mov_b32_e32 v61, 0
	ds_load_b64 v[62:63], v61 offset:64
	s_wait_dscnt 0x0
	v_pk_mul_f32 v[64:65], v[58:59], v[62:63] op_sel:[1,1] op_sel_hi:[0,1]
	v_pk_fma_f32 v[66:67], v[58:59], v[62:63], v[64:65] op_sel_hi:[1,0,1]
	v_pk_fma_f32 v[58:59], v[58:59], v[62:63], v[64:65] neg_lo:[0,0,1] neg_hi:[0,0,1]
	s_delay_alu instid0(VALU_DEP_2)
	v_mov_b32_e32 v59, v67
	scratch_store_b64 off, v[58:59], off offset:64
.LBB90_340:
	s_wait_xcnt 0x0
	s_or_b32 exec_lo, exec_lo, s0
	scratch_load_b64 v[58:59], off, off offset:72
	s_mov_b32 s0, exec_lo
	s_wait_loadcnt 0x0
	ds_store_b64 v1, v[58:59]
	s_wait_storecnt_dscnt 0x0
	s_barrier_signal -1
	s_barrier_wait -1
	s_wait_xcnt 0x0
	v_cmpx_gt_u32_e32 9, v0
	s_cbranch_execz .LBB90_350
; %bb.341:
	v_cmp_ne_u32_e32 vcc_lo, 1, v60
	s_cbranch_vccnz .LBB90_343
; %bb.342:
	scratch_load_b64 v[58:59], v57, off
	ds_load_b64 v[62:63], v1
	s_wait_loadcnt_dscnt 0x0
	v_pk_mul_f32 v[64:65], v[62:63], v[58:59] op_sel:[1,1] op_sel_hi:[0,1]
	s_delay_alu instid0(VALU_DEP_1) | instskip(SKIP_1) | instid1(VALU_DEP_2)
	v_pk_fma_f32 v[66:67], v[62:63], v[58:59], v[64:65] op_sel_hi:[1,0,1]
	v_pk_fma_f32 v[58:59], v[62:63], v[58:59], v[64:65] neg_lo:[0,0,1] neg_hi:[0,0,1]
	v_mov_b32_e32 v59, v67
	s_cbranch_execz .LBB90_344
	s_branch .LBB90_345
.LBB90_343:
                                        ; implicit-def: $vgpr58_vgpr59
.LBB90_344:
	ds_load_b64 v[58:59], v1
.LBB90_345:
	s_mov_b32 s4, exec_lo
	v_cmpx_ne_u32_e32 8, v0
	s_cbranch_execz .LBB90_349
; %bb.346:
	v_add_nc_u32_e32 v61, 0xe8, v56
	v_add3_u32 v62, 0, v56, 8
	v_mov_b32_e32 v63, v0
	s_mov_b32 s5, 0
.LBB90_347:                             ; =>This Inner Loop Header: Depth=1
	scratch_load_b64 v[64:65], v62, off
	ds_load_b64 v[66:67], v61
	s_wait_xcnt 0x0
	v_dual_add_nc_u32 v61, 8, v61 :: v_dual_add_nc_u32 v62, 8, v62
	s_wait_loadcnt_dscnt 0x0
	v_pk_mul_f32 v[68:69], v[66:67], v[64:65] op_sel:[1,1] op_sel_hi:[0,1]
	s_delay_alu instid0(VALU_DEP_1) | instskip(SKIP_2) | instid1(VALU_DEP_3)
	v_pk_fma_f32 v[70:71], v[66:67], v[64:65], v[68:69] op_sel_hi:[1,0,1]
	v_add_nc_u32_e32 v63, 1, v63
	v_pk_fma_f32 v[64:65], v[66:67], v[64:65], v[68:69] neg_lo:[0,0,1] neg_hi:[0,0,1]
	v_mov_b32_e32 v65, v71
	s_delay_alu instid0(VALU_DEP_3) | instskip(NEXT) | instid1(VALU_DEP_2)
	v_cmp_lt_u32_e32 vcc_lo, 7, v63
	v_pk_add_f32 v[58:59], v[58:59], v[64:65]
	s_or_b32 s5, vcc_lo, s5
	s_delay_alu instid0(SALU_CYCLE_1)
	s_and_not1_b32 exec_lo, exec_lo, s5
	s_cbranch_execnz .LBB90_347
; %bb.348:
	s_or_b32 exec_lo, exec_lo, s5
.LBB90_349:
	s_delay_alu instid0(SALU_CYCLE_1) | instskip(SKIP_4) | instid1(VALU_DEP_1)
	s_or_b32 exec_lo, exec_lo, s4
	v_mov_b32_e32 v61, 0
	ds_load_b64 v[62:63], v61 offset:72
	s_wait_dscnt 0x0
	v_pk_mul_f32 v[64:65], v[58:59], v[62:63] op_sel:[1,1] op_sel_hi:[0,1]
	v_pk_fma_f32 v[66:67], v[58:59], v[62:63], v[64:65] op_sel_hi:[1,0,1]
	v_pk_fma_f32 v[58:59], v[58:59], v[62:63], v[64:65] neg_lo:[0,0,1] neg_hi:[0,0,1]
	s_delay_alu instid0(VALU_DEP_2)
	v_mov_b32_e32 v59, v67
	scratch_store_b64 off, v[58:59], off offset:72
.LBB90_350:
	s_wait_xcnt 0x0
	s_or_b32 exec_lo, exec_lo, s0
	scratch_load_b64 v[58:59], off, off offset:80
	s_mov_b32 s0, exec_lo
	s_wait_loadcnt 0x0
	ds_store_b64 v1, v[58:59]
	s_wait_storecnt_dscnt 0x0
	s_barrier_signal -1
	s_barrier_wait -1
	s_wait_xcnt 0x0
	v_cmpx_gt_u32_e32 10, v0
	s_cbranch_execz .LBB90_360
; %bb.351:
	v_cmp_ne_u32_e32 vcc_lo, 1, v60
	s_cbranch_vccnz .LBB90_353
; %bb.352:
	scratch_load_b64 v[58:59], v57, off
	ds_load_b64 v[62:63], v1
	s_wait_loadcnt_dscnt 0x0
	v_pk_mul_f32 v[64:65], v[62:63], v[58:59] op_sel:[1,1] op_sel_hi:[0,1]
	s_delay_alu instid0(VALU_DEP_1) | instskip(SKIP_1) | instid1(VALU_DEP_2)
	v_pk_fma_f32 v[66:67], v[62:63], v[58:59], v[64:65] op_sel_hi:[1,0,1]
	v_pk_fma_f32 v[58:59], v[62:63], v[58:59], v[64:65] neg_lo:[0,0,1] neg_hi:[0,0,1]
	v_mov_b32_e32 v59, v67
	s_cbranch_execz .LBB90_354
	s_branch .LBB90_355
.LBB90_353:
                                        ; implicit-def: $vgpr58_vgpr59
.LBB90_354:
	ds_load_b64 v[58:59], v1
.LBB90_355:
	s_mov_b32 s4, exec_lo
	v_cmpx_ne_u32_e32 9, v0
	s_cbranch_execz .LBB90_359
; %bb.356:
	v_add_nc_u32_e32 v61, 0xe8, v56
	v_add3_u32 v62, 0, v56, 8
	v_mov_b32_e32 v63, v0
	s_mov_b32 s5, 0
.LBB90_357:                             ; =>This Inner Loop Header: Depth=1
	scratch_load_b64 v[64:65], v62, off
	ds_load_b64 v[66:67], v61
	s_wait_xcnt 0x0
	v_dual_add_nc_u32 v61, 8, v61 :: v_dual_add_nc_u32 v62, 8, v62
	s_wait_loadcnt_dscnt 0x0
	v_pk_mul_f32 v[68:69], v[66:67], v[64:65] op_sel:[1,1] op_sel_hi:[0,1]
	s_delay_alu instid0(VALU_DEP_1) | instskip(SKIP_2) | instid1(VALU_DEP_3)
	v_pk_fma_f32 v[70:71], v[66:67], v[64:65], v[68:69] op_sel_hi:[1,0,1]
	v_add_nc_u32_e32 v63, 1, v63
	v_pk_fma_f32 v[64:65], v[66:67], v[64:65], v[68:69] neg_lo:[0,0,1] neg_hi:[0,0,1]
	v_mov_b32_e32 v65, v71
	s_delay_alu instid0(VALU_DEP_3) | instskip(NEXT) | instid1(VALU_DEP_2)
	v_cmp_lt_u32_e32 vcc_lo, 8, v63
	v_pk_add_f32 v[58:59], v[58:59], v[64:65]
	s_or_b32 s5, vcc_lo, s5
	s_delay_alu instid0(SALU_CYCLE_1)
	s_and_not1_b32 exec_lo, exec_lo, s5
	s_cbranch_execnz .LBB90_357
; %bb.358:
	s_or_b32 exec_lo, exec_lo, s5
.LBB90_359:
	s_delay_alu instid0(SALU_CYCLE_1) | instskip(SKIP_4) | instid1(VALU_DEP_1)
	s_or_b32 exec_lo, exec_lo, s4
	v_mov_b32_e32 v61, 0
	ds_load_b64 v[62:63], v61 offset:80
	s_wait_dscnt 0x0
	v_pk_mul_f32 v[64:65], v[58:59], v[62:63] op_sel:[1,1] op_sel_hi:[0,1]
	v_pk_fma_f32 v[66:67], v[58:59], v[62:63], v[64:65] op_sel_hi:[1,0,1]
	v_pk_fma_f32 v[58:59], v[58:59], v[62:63], v[64:65] neg_lo:[0,0,1] neg_hi:[0,0,1]
	s_delay_alu instid0(VALU_DEP_2)
	v_mov_b32_e32 v59, v67
	scratch_store_b64 off, v[58:59], off offset:80
.LBB90_360:
	s_wait_xcnt 0x0
	s_or_b32 exec_lo, exec_lo, s0
	scratch_load_b64 v[58:59], off, off offset:88
	s_mov_b32 s0, exec_lo
	s_wait_loadcnt 0x0
	ds_store_b64 v1, v[58:59]
	s_wait_storecnt_dscnt 0x0
	s_barrier_signal -1
	s_barrier_wait -1
	s_wait_xcnt 0x0
	v_cmpx_gt_u32_e32 11, v0
	s_cbranch_execz .LBB90_370
; %bb.361:
	v_cmp_ne_u32_e32 vcc_lo, 1, v60
	s_cbranch_vccnz .LBB90_363
; %bb.362:
	scratch_load_b64 v[58:59], v57, off
	ds_load_b64 v[62:63], v1
	s_wait_loadcnt_dscnt 0x0
	v_pk_mul_f32 v[64:65], v[62:63], v[58:59] op_sel:[1,1] op_sel_hi:[0,1]
	s_delay_alu instid0(VALU_DEP_1) | instskip(SKIP_1) | instid1(VALU_DEP_2)
	v_pk_fma_f32 v[66:67], v[62:63], v[58:59], v[64:65] op_sel_hi:[1,0,1]
	v_pk_fma_f32 v[58:59], v[62:63], v[58:59], v[64:65] neg_lo:[0,0,1] neg_hi:[0,0,1]
	v_mov_b32_e32 v59, v67
	s_cbranch_execz .LBB90_364
	s_branch .LBB90_365
.LBB90_363:
                                        ; implicit-def: $vgpr58_vgpr59
.LBB90_364:
	ds_load_b64 v[58:59], v1
.LBB90_365:
	s_mov_b32 s4, exec_lo
	v_cmpx_ne_u32_e32 10, v0
	s_cbranch_execz .LBB90_369
; %bb.366:
	v_add_nc_u32_e32 v61, 0xe8, v56
	v_add3_u32 v62, 0, v56, 8
	v_mov_b32_e32 v63, v0
	s_mov_b32 s5, 0
.LBB90_367:                             ; =>This Inner Loop Header: Depth=1
	scratch_load_b64 v[64:65], v62, off
	ds_load_b64 v[66:67], v61
	s_wait_xcnt 0x0
	v_dual_add_nc_u32 v61, 8, v61 :: v_dual_add_nc_u32 v62, 8, v62
	s_wait_loadcnt_dscnt 0x0
	v_pk_mul_f32 v[68:69], v[66:67], v[64:65] op_sel:[1,1] op_sel_hi:[0,1]
	s_delay_alu instid0(VALU_DEP_1) | instskip(SKIP_2) | instid1(VALU_DEP_3)
	v_pk_fma_f32 v[70:71], v[66:67], v[64:65], v[68:69] op_sel_hi:[1,0,1]
	v_add_nc_u32_e32 v63, 1, v63
	v_pk_fma_f32 v[64:65], v[66:67], v[64:65], v[68:69] neg_lo:[0,0,1] neg_hi:[0,0,1]
	v_mov_b32_e32 v65, v71
	s_delay_alu instid0(VALU_DEP_3) | instskip(NEXT) | instid1(VALU_DEP_2)
	v_cmp_lt_u32_e32 vcc_lo, 9, v63
	v_pk_add_f32 v[58:59], v[58:59], v[64:65]
	s_or_b32 s5, vcc_lo, s5
	s_delay_alu instid0(SALU_CYCLE_1)
	s_and_not1_b32 exec_lo, exec_lo, s5
	s_cbranch_execnz .LBB90_367
; %bb.368:
	s_or_b32 exec_lo, exec_lo, s5
.LBB90_369:
	s_delay_alu instid0(SALU_CYCLE_1) | instskip(SKIP_4) | instid1(VALU_DEP_1)
	s_or_b32 exec_lo, exec_lo, s4
	v_mov_b32_e32 v61, 0
	ds_load_b64 v[62:63], v61 offset:88
	s_wait_dscnt 0x0
	v_pk_mul_f32 v[64:65], v[58:59], v[62:63] op_sel:[1,1] op_sel_hi:[0,1]
	v_pk_fma_f32 v[66:67], v[58:59], v[62:63], v[64:65] op_sel_hi:[1,0,1]
	v_pk_fma_f32 v[58:59], v[58:59], v[62:63], v[64:65] neg_lo:[0,0,1] neg_hi:[0,0,1]
	s_delay_alu instid0(VALU_DEP_2)
	v_mov_b32_e32 v59, v67
	scratch_store_b64 off, v[58:59], off offset:88
.LBB90_370:
	s_wait_xcnt 0x0
	s_or_b32 exec_lo, exec_lo, s0
	scratch_load_b64 v[58:59], off, off offset:96
	s_mov_b32 s0, exec_lo
	s_wait_loadcnt 0x0
	ds_store_b64 v1, v[58:59]
	s_wait_storecnt_dscnt 0x0
	s_barrier_signal -1
	s_barrier_wait -1
	s_wait_xcnt 0x0
	v_cmpx_gt_u32_e32 12, v0
	s_cbranch_execz .LBB90_380
; %bb.371:
	v_cmp_ne_u32_e32 vcc_lo, 1, v60
	s_cbranch_vccnz .LBB90_373
; %bb.372:
	scratch_load_b64 v[58:59], v57, off
	ds_load_b64 v[62:63], v1
	s_wait_loadcnt_dscnt 0x0
	v_pk_mul_f32 v[64:65], v[62:63], v[58:59] op_sel:[1,1] op_sel_hi:[0,1]
	s_delay_alu instid0(VALU_DEP_1) | instskip(SKIP_1) | instid1(VALU_DEP_2)
	v_pk_fma_f32 v[66:67], v[62:63], v[58:59], v[64:65] op_sel_hi:[1,0,1]
	v_pk_fma_f32 v[58:59], v[62:63], v[58:59], v[64:65] neg_lo:[0,0,1] neg_hi:[0,0,1]
	v_mov_b32_e32 v59, v67
	s_cbranch_execz .LBB90_374
	s_branch .LBB90_375
.LBB90_373:
                                        ; implicit-def: $vgpr58_vgpr59
.LBB90_374:
	ds_load_b64 v[58:59], v1
.LBB90_375:
	s_mov_b32 s4, exec_lo
	v_cmpx_ne_u32_e32 11, v0
	s_cbranch_execz .LBB90_379
; %bb.376:
	v_add_nc_u32_e32 v61, 0xe8, v56
	v_add3_u32 v62, 0, v56, 8
	v_mov_b32_e32 v63, v0
	s_mov_b32 s5, 0
.LBB90_377:                             ; =>This Inner Loop Header: Depth=1
	scratch_load_b64 v[64:65], v62, off
	ds_load_b64 v[66:67], v61
	s_wait_xcnt 0x0
	v_dual_add_nc_u32 v61, 8, v61 :: v_dual_add_nc_u32 v62, 8, v62
	s_wait_loadcnt_dscnt 0x0
	v_pk_mul_f32 v[68:69], v[66:67], v[64:65] op_sel:[1,1] op_sel_hi:[0,1]
	s_delay_alu instid0(VALU_DEP_1) | instskip(SKIP_2) | instid1(VALU_DEP_3)
	v_pk_fma_f32 v[70:71], v[66:67], v[64:65], v[68:69] op_sel_hi:[1,0,1]
	v_add_nc_u32_e32 v63, 1, v63
	v_pk_fma_f32 v[64:65], v[66:67], v[64:65], v[68:69] neg_lo:[0,0,1] neg_hi:[0,0,1]
	v_mov_b32_e32 v65, v71
	s_delay_alu instid0(VALU_DEP_3) | instskip(NEXT) | instid1(VALU_DEP_2)
	v_cmp_lt_u32_e32 vcc_lo, 10, v63
	v_pk_add_f32 v[58:59], v[58:59], v[64:65]
	s_or_b32 s5, vcc_lo, s5
	s_delay_alu instid0(SALU_CYCLE_1)
	s_and_not1_b32 exec_lo, exec_lo, s5
	s_cbranch_execnz .LBB90_377
; %bb.378:
	s_or_b32 exec_lo, exec_lo, s5
.LBB90_379:
	s_delay_alu instid0(SALU_CYCLE_1) | instskip(SKIP_4) | instid1(VALU_DEP_1)
	s_or_b32 exec_lo, exec_lo, s4
	v_mov_b32_e32 v61, 0
	ds_load_b64 v[62:63], v61 offset:96
	s_wait_dscnt 0x0
	v_pk_mul_f32 v[64:65], v[58:59], v[62:63] op_sel:[1,1] op_sel_hi:[0,1]
	v_pk_fma_f32 v[66:67], v[58:59], v[62:63], v[64:65] op_sel_hi:[1,0,1]
	v_pk_fma_f32 v[58:59], v[58:59], v[62:63], v[64:65] neg_lo:[0,0,1] neg_hi:[0,0,1]
	s_delay_alu instid0(VALU_DEP_2)
	v_mov_b32_e32 v59, v67
	scratch_store_b64 off, v[58:59], off offset:96
.LBB90_380:
	s_wait_xcnt 0x0
	s_or_b32 exec_lo, exec_lo, s0
	scratch_load_b64 v[58:59], off, off offset:104
	s_mov_b32 s0, exec_lo
	s_wait_loadcnt 0x0
	ds_store_b64 v1, v[58:59]
	s_wait_storecnt_dscnt 0x0
	s_barrier_signal -1
	s_barrier_wait -1
	s_wait_xcnt 0x0
	v_cmpx_gt_u32_e32 13, v0
	s_cbranch_execz .LBB90_390
; %bb.381:
	v_cmp_ne_u32_e32 vcc_lo, 1, v60
	s_cbranch_vccnz .LBB90_383
; %bb.382:
	scratch_load_b64 v[58:59], v57, off
	ds_load_b64 v[62:63], v1
	s_wait_loadcnt_dscnt 0x0
	v_pk_mul_f32 v[64:65], v[62:63], v[58:59] op_sel:[1,1] op_sel_hi:[0,1]
	s_delay_alu instid0(VALU_DEP_1) | instskip(SKIP_1) | instid1(VALU_DEP_2)
	v_pk_fma_f32 v[66:67], v[62:63], v[58:59], v[64:65] op_sel_hi:[1,0,1]
	v_pk_fma_f32 v[58:59], v[62:63], v[58:59], v[64:65] neg_lo:[0,0,1] neg_hi:[0,0,1]
	v_mov_b32_e32 v59, v67
	s_cbranch_execz .LBB90_384
	s_branch .LBB90_385
.LBB90_383:
                                        ; implicit-def: $vgpr58_vgpr59
.LBB90_384:
	ds_load_b64 v[58:59], v1
.LBB90_385:
	s_mov_b32 s4, exec_lo
	v_cmpx_ne_u32_e32 12, v0
	s_cbranch_execz .LBB90_389
; %bb.386:
	v_add_nc_u32_e32 v61, 0xe8, v56
	v_add3_u32 v62, 0, v56, 8
	v_mov_b32_e32 v63, v0
	s_mov_b32 s5, 0
.LBB90_387:                             ; =>This Inner Loop Header: Depth=1
	scratch_load_b64 v[64:65], v62, off
	ds_load_b64 v[66:67], v61
	s_wait_xcnt 0x0
	v_dual_add_nc_u32 v61, 8, v61 :: v_dual_add_nc_u32 v62, 8, v62
	s_wait_loadcnt_dscnt 0x0
	v_pk_mul_f32 v[68:69], v[66:67], v[64:65] op_sel:[1,1] op_sel_hi:[0,1]
	s_delay_alu instid0(VALU_DEP_1) | instskip(SKIP_2) | instid1(VALU_DEP_3)
	v_pk_fma_f32 v[70:71], v[66:67], v[64:65], v[68:69] op_sel_hi:[1,0,1]
	v_add_nc_u32_e32 v63, 1, v63
	v_pk_fma_f32 v[64:65], v[66:67], v[64:65], v[68:69] neg_lo:[0,0,1] neg_hi:[0,0,1]
	v_mov_b32_e32 v65, v71
	s_delay_alu instid0(VALU_DEP_3) | instskip(NEXT) | instid1(VALU_DEP_2)
	v_cmp_lt_u32_e32 vcc_lo, 11, v63
	v_pk_add_f32 v[58:59], v[58:59], v[64:65]
	s_or_b32 s5, vcc_lo, s5
	s_delay_alu instid0(SALU_CYCLE_1)
	s_and_not1_b32 exec_lo, exec_lo, s5
	s_cbranch_execnz .LBB90_387
; %bb.388:
	s_or_b32 exec_lo, exec_lo, s5
.LBB90_389:
	s_delay_alu instid0(SALU_CYCLE_1) | instskip(SKIP_4) | instid1(VALU_DEP_1)
	s_or_b32 exec_lo, exec_lo, s4
	v_mov_b32_e32 v61, 0
	ds_load_b64 v[62:63], v61 offset:104
	s_wait_dscnt 0x0
	v_pk_mul_f32 v[64:65], v[58:59], v[62:63] op_sel:[1,1] op_sel_hi:[0,1]
	v_pk_fma_f32 v[66:67], v[58:59], v[62:63], v[64:65] op_sel_hi:[1,0,1]
	v_pk_fma_f32 v[58:59], v[58:59], v[62:63], v[64:65] neg_lo:[0,0,1] neg_hi:[0,0,1]
	s_delay_alu instid0(VALU_DEP_2)
	v_mov_b32_e32 v59, v67
	scratch_store_b64 off, v[58:59], off offset:104
.LBB90_390:
	s_wait_xcnt 0x0
	s_or_b32 exec_lo, exec_lo, s0
	scratch_load_b64 v[58:59], off, off offset:112
	s_mov_b32 s0, exec_lo
	s_wait_loadcnt 0x0
	ds_store_b64 v1, v[58:59]
	s_wait_storecnt_dscnt 0x0
	s_barrier_signal -1
	s_barrier_wait -1
	s_wait_xcnt 0x0
	v_cmpx_gt_u32_e32 14, v0
	s_cbranch_execz .LBB90_400
; %bb.391:
	v_cmp_ne_u32_e32 vcc_lo, 1, v60
	s_cbranch_vccnz .LBB90_393
; %bb.392:
	scratch_load_b64 v[58:59], v57, off
	ds_load_b64 v[62:63], v1
	s_wait_loadcnt_dscnt 0x0
	v_pk_mul_f32 v[64:65], v[62:63], v[58:59] op_sel:[1,1] op_sel_hi:[0,1]
	s_delay_alu instid0(VALU_DEP_1) | instskip(SKIP_1) | instid1(VALU_DEP_2)
	v_pk_fma_f32 v[66:67], v[62:63], v[58:59], v[64:65] op_sel_hi:[1,0,1]
	v_pk_fma_f32 v[58:59], v[62:63], v[58:59], v[64:65] neg_lo:[0,0,1] neg_hi:[0,0,1]
	v_mov_b32_e32 v59, v67
	s_cbranch_execz .LBB90_394
	s_branch .LBB90_395
.LBB90_393:
                                        ; implicit-def: $vgpr58_vgpr59
.LBB90_394:
	ds_load_b64 v[58:59], v1
.LBB90_395:
	s_mov_b32 s4, exec_lo
	v_cmpx_ne_u32_e32 13, v0
	s_cbranch_execz .LBB90_399
; %bb.396:
	v_add_nc_u32_e32 v61, 0xe8, v56
	v_add3_u32 v62, 0, v56, 8
	v_mov_b32_e32 v63, v0
	s_mov_b32 s5, 0
.LBB90_397:                             ; =>This Inner Loop Header: Depth=1
	scratch_load_b64 v[64:65], v62, off
	ds_load_b64 v[66:67], v61
	s_wait_xcnt 0x0
	v_dual_add_nc_u32 v61, 8, v61 :: v_dual_add_nc_u32 v62, 8, v62
	s_wait_loadcnt_dscnt 0x0
	v_pk_mul_f32 v[68:69], v[66:67], v[64:65] op_sel:[1,1] op_sel_hi:[0,1]
	s_delay_alu instid0(VALU_DEP_1) | instskip(SKIP_2) | instid1(VALU_DEP_3)
	v_pk_fma_f32 v[70:71], v[66:67], v[64:65], v[68:69] op_sel_hi:[1,0,1]
	v_add_nc_u32_e32 v63, 1, v63
	v_pk_fma_f32 v[64:65], v[66:67], v[64:65], v[68:69] neg_lo:[0,0,1] neg_hi:[0,0,1]
	v_mov_b32_e32 v65, v71
	s_delay_alu instid0(VALU_DEP_3) | instskip(NEXT) | instid1(VALU_DEP_2)
	v_cmp_lt_u32_e32 vcc_lo, 12, v63
	v_pk_add_f32 v[58:59], v[58:59], v[64:65]
	s_or_b32 s5, vcc_lo, s5
	s_delay_alu instid0(SALU_CYCLE_1)
	s_and_not1_b32 exec_lo, exec_lo, s5
	s_cbranch_execnz .LBB90_397
; %bb.398:
	s_or_b32 exec_lo, exec_lo, s5
.LBB90_399:
	s_delay_alu instid0(SALU_CYCLE_1) | instskip(SKIP_4) | instid1(VALU_DEP_1)
	s_or_b32 exec_lo, exec_lo, s4
	v_mov_b32_e32 v61, 0
	ds_load_b64 v[62:63], v61 offset:112
	s_wait_dscnt 0x0
	v_pk_mul_f32 v[64:65], v[58:59], v[62:63] op_sel:[1,1] op_sel_hi:[0,1]
	v_pk_fma_f32 v[66:67], v[58:59], v[62:63], v[64:65] op_sel_hi:[1,0,1]
	v_pk_fma_f32 v[58:59], v[58:59], v[62:63], v[64:65] neg_lo:[0,0,1] neg_hi:[0,0,1]
	s_delay_alu instid0(VALU_DEP_2)
	v_mov_b32_e32 v59, v67
	scratch_store_b64 off, v[58:59], off offset:112
.LBB90_400:
	s_wait_xcnt 0x0
	s_or_b32 exec_lo, exec_lo, s0
	scratch_load_b64 v[58:59], off, off offset:120
	s_mov_b32 s0, exec_lo
	s_wait_loadcnt 0x0
	ds_store_b64 v1, v[58:59]
	s_wait_storecnt_dscnt 0x0
	s_barrier_signal -1
	s_barrier_wait -1
	s_wait_xcnt 0x0
	v_cmpx_gt_u32_e32 15, v0
	s_cbranch_execz .LBB90_410
; %bb.401:
	v_cmp_ne_u32_e32 vcc_lo, 1, v60
	s_cbranch_vccnz .LBB90_403
; %bb.402:
	scratch_load_b64 v[58:59], v57, off
	ds_load_b64 v[62:63], v1
	s_wait_loadcnt_dscnt 0x0
	v_pk_mul_f32 v[64:65], v[62:63], v[58:59] op_sel:[1,1] op_sel_hi:[0,1]
	s_delay_alu instid0(VALU_DEP_1) | instskip(SKIP_1) | instid1(VALU_DEP_2)
	v_pk_fma_f32 v[66:67], v[62:63], v[58:59], v[64:65] op_sel_hi:[1,0,1]
	v_pk_fma_f32 v[58:59], v[62:63], v[58:59], v[64:65] neg_lo:[0,0,1] neg_hi:[0,0,1]
	v_mov_b32_e32 v59, v67
	s_cbranch_execz .LBB90_404
	s_branch .LBB90_405
.LBB90_403:
                                        ; implicit-def: $vgpr58_vgpr59
.LBB90_404:
	ds_load_b64 v[58:59], v1
.LBB90_405:
	s_mov_b32 s4, exec_lo
	v_cmpx_ne_u32_e32 14, v0
	s_cbranch_execz .LBB90_409
; %bb.406:
	v_add_nc_u32_e32 v61, 0xe8, v56
	v_add3_u32 v62, 0, v56, 8
	v_mov_b32_e32 v63, v0
	s_mov_b32 s5, 0
.LBB90_407:                             ; =>This Inner Loop Header: Depth=1
	scratch_load_b64 v[64:65], v62, off
	ds_load_b64 v[66:67], v61
	s_wait_xcnt 0x0
	v_dual_add_nc_u32 v61, 8, v61 :: v_dual_add_nc_u32 v62, 8, v62
	s_wait_loadcnt_dscnt 0x0
	v_pk_mul_f32 v[68:69], v[66:67], v[64:65] op_sel:[1,1] op_sel_hi:[0,1]
	s_delay_alu instid0(VALU_DEP_1) | instskip(SKIP_2) | instid1(VALU_DEP_3)
	v_pk_fma_f32 v[70:71], v[66:67], v[64:65], v[68:69] op_sel_hi:[1,0,1]
	v_add_nc_u32_e32 v63, 1, v63
	v_pk_fma_f32 v[64:65], v[66:67], v[64:65], v[68:69] neg_lo:[0,0,1] neg_hi:[0,0,1]
	v_mov_b32_e32 v65, v71
	s_delay_alu instid0(VALU_DEP_3) | instskip(NEXT) | instid1(VALU_DEP_2)
	v_cmp_lt_u32_e32 vcc_lo, 13, v63
	v_pk_add_f32 v[58:59], v[58:59], v[64:65]
	s_or_b32 s5, vcc_lo, s5
	s_delay_alu instid0(SALU_CYCLE_1)
	s_and_not1_b32 exec_lo, exec_lo, s5
	s_cbranch_execnz .LBB90_407
; %bb.408:
	s_or_b32 exec_lo, exec_lo, s5
.LBB90_409:
	s_delay_alu instid0(SALU_CYCLE_1) | instskip(SKIP_4) | instid1(VALU_DEP_1)
	s_or_b32 exec_lo, exec_lo, s4
	v_mov_b32_e32 v61, 0
	ds_load_b64 v[62:63], v61 offset:120
	s_wait_dscnt 0x0
	v_pk_mul_f32 v[64:65], v[58:59], v[62:63] op_sel:[1,1] op_sel_hi:[0,1]
	v_pk_fma_f32 v[66:67], v[58:59], v[62:63], v[64:65] op_sel_hi:[1,0,1]
	v_pk_fma_f32 v[58:59], v[58:59], v[62:63], v[64:65] neg_lo:[0,0,1] neg_hi:[0,0,1]
	s_delay_alu instid0(VALU_DEP_2)
	v_mov_b32_e32 v59, v67
	scratch_store_b64 off, v[58:59], off offset:120
.LBB90_410:
	s_wait_xcnt 0x0
	s_or_b32 exec_lo, exec_lo, s0
	scratch_load_b64 v[58:59], off, off offset:128
	s_mov_b32 s0, exec_lo
	s_wait_loadcnt 0x0
	ds_store_b64 v1, v[58:59]
	s_wait_storecnt_dscnt 0x0
	s_barrier_signal -1
	s_barrier_wait -1
	s_wait_xcnt 0x0
	v_cmpx_gt_u32_e32 16, v0
	s_cbranch_execz .LBB90_420
; %bb.411:
	v_cmp_ne_u32_e32 vcc_lo, 1, v60
	s_cbranch_vccnz .LBB90_413
; %bb.412:
	scratch_load_b64 v[58:59], v57, off
	ds_load_b64 v[62:63], v1
	s_wait_loadcnt_dscnt 0x0
	v_pk_mul_f32 v[64:65], v[62:63], v[58:59] op_sel:[1,1] op_sel_hi:[0,1]
	s_delay_alu instid0(VALU_DEP_1) | instskip(SKIP_1) | instid1(VALU_DEP_2)
	v_pk_fma_f32 v[66:67], v[62:63], v[58:59], v[64:65] op_sel_hi:[1,0,1]
	v_pk_fma_f32 v[58:59], v[62:63], v[58:59], v[64:65] neg_lo:[0,0,1] neg_hi:[0,0,1]
	v_mov_b32_e32 v59, v67
	s_cbranch_execz .LBB90_414
	s_branch .LBB90_415
.LBB90_413:
                                        ; implicit-def: $vgpr58_vgpr59
.LBB90_414:
	ds_load_b64 v[58:59], v1
.LBB90_415:
	s_mov_b32 s4, exec_lo
	v_cmpx_ne_u32_e32 15, v0
	s_cbranch_execz .LBB90_419
; %bb.416:
	v_add_nc_u32_e32 v61, 0xe8, v56
	v_add3_u32 v62, 0, v56, 8
	v_mov_b32_e32 v63, v0
	s_mov_b32 s5, 0
.LBB90_417:                             ; =>This Inner Loop Header: Depth=1
	scratch_load_b64 v[64:65], v62, off
	ds_load_b64 v[66:67], v61
	s_wait_xcnt 0x0
	v_dual_add_nc_u32 v61, 8, v61 :: v_dual_add_nc_u32 v62, 8, v62
	s_wait_loadcnt_dscnt 0x0
	v_pk_mul_f32 v[68:69], v[66:67], v[64:65] op_sel:[1,1] op_sel_hi:[0,1]
	s_delay_alu instid0(VALU_DEP_1) | instskip(SKIP_2) | instid1(VALU_DEP_3)
	v_pk_fma_f32 v[70:71], v[66:67], v[64:65], v[68:69] op_sel_hi:[1,0,1]
	v_add_nc_u32_e32 v63, 1, v63
	v_pk_fma_f32 v[64:65], v[66:67], v[64:65], v[68:69] neg_lo:[0,0,1] neg_hi:[0,0,1]
	v_mov_b32_e32 v65, v71
	s_delay_alu instid0(VALU_DEP_3) | instskip(NEXT) | instid1(VALU_DEP_2)
	v_cmp_lt_u32_e32 vcc_lo, 14, v63
	v_pk_add_f32 v[58:59], v[58:59], v[64:65]
	s_or_b32 s5, vcc_lo, s5
	s_delay_alu instid0(SALU_CYCLE_1)
	s_and_not1_b32 exec_lo, exec_lo, s5
	s_cbranch_execnz .LBB90_417
; %bb.418:
	s_or_b32 exec_lo, exec_lo, s5
.LBB90_419:
	s_delay_alu instid0(SALU_CYCLE_1) | instskip(SKIP_4) | instid1(VALU_DEP_1)
	s_or_b32 exec_lo, exec_lo, s4
	v_mov_b32_e32 v61, 0
	ds_load_b64 v[62:63], v61 offset:128
	s_wait_dscnt 0x0
	v_pk_mul_f32 v[64:65], v[58:59], v[62:63] op_sel:[1,1] op_sel_hi:[0,1]
	v_pk_fma_f32 v[66:67], v[58:59], v[62:63], v[64:65] op_sel_hi:[1,0,1]
	v_pk_fma_f32 v[58:59], v[58:59], v[62:63], v[64:65] neg_lo:[0,0,1] neg_hi:[0,0,1]
	s_delay_alu instid0(VALU_DEP_2)
	v_mov_b32_e32 v59, v67
	scratch_store_b64 off, v[58:59], off offset:128
.LBB90_420:
	s_wait_xcnt 0x0
	s_or_b32 exec_lo, exec_lo, s0
	scratch_load_b64 v[58:59], off, off offset:136
	s_mov_b32 s0, exec_lo
	s_wait_loadcnt 0x0
	ds_store_b64 v1, v[58:59]
	s_wait_storecnt_dscnt 0x0
	s_barrier_signal -1
	s_barrier_wait -1
	s_wait_xcnt 0x0
	v_cmpx_gt_u32_e32 17, v0
	s_cbranch_execz .LBB90_430
; %bb.421:
	v_cmp_ne_u32_e32 vcc_lo, 1, v60
	s_cbranch_vccnz .LBB90_423
; %bb.422:
	scratch_load_b64 v[58:59], v57, off
	ds_load_b64 v[62:63], v1
	s_wait_loadcnt_dscnt 0x0
	v_pk_mul_f32 v[64:65], v[62:63], v[58:59] op_sel:[1,1] op_sel_hi:[0,1]
	s_delay_alu instid0(VALU_DEP_1) | instskip(SKIP_1) | instid1(VALU_DEP_2)
	v_pk_fma_f32 v[66:67], v[62:63], v[58:59], v[64:65] op_sel_hi:[1,0,1]
	v_pk_fma_f32 v[58:59], v[62:63], v[58:59], v[64:65] neg_lo:[0,0,1] neg_hi:[0,0,1]
	v_mov_b32_e32 v59, v67
	s_cbranch_execz .LBB90_424
	s_branch .LBB90_425
.LBB90_423:
                                        ; implicit-def: $vgpr58_vgpr59
.LBB90_424:
	ds_load_b64 v[58:59], v1
.LBB90_425:
	s_mov_b32 s4, exec_lo
	v_cmpx_ne_u32_e32 16, v0
	s_cbranch_execz .LBB90_429
; %bb.426:
	v_add_nc_u32_e32 v61, 0xe8, v56
	v_add3_u32 v62, 0, v56, 8
	v_mov_b32_e32 v63, v0
	s_mov_b32 s5, 0
.LBB90_427:                             ; =>This Inner Loop Header: Depth=1
	scratch_load_b64 v[64:65], v62, off
	ds_load_b64 v[66:67], v61
	s_wait_xcnt 0x0
	v_dual_add_nc_u32 v61, 8, v61 :: v_dual_add_nc_u32 v62, 8, v62
	s_wait_loadcnt_dscnt 0x0
	v_pk_mul_f32 v[68:69], v[66:67], v[64:65] op_sel:[1,1] op_sel_hi:[0,1]
	s_delay_alu instid0(VALU_DEP_1) | instskip(SKIP_2) | instid1(VALU_DEP_3)
	v_pk_fma_f32 v[70:71], v[66:67], v[64:65], v[68:69] op_sel_hi:[1,0,1]
	v_add_nc_u32_e32 v63, 1, v63
	v_pk_fma_f32 v[64:65], v[66:67], v[64:65], v[68:69] neg_lo:[0,0,1] neg_hi:[0,0,1]
	v_mov_b32_e32 v65, v71
	s_delay_alu instid0(VALU_DEP_3) | instskip(NEXT) | instid1(VALU_DEP_2)
	v_cmp_lt_u32_e32 vcc_lo, 15, v63
	v_pk_add_f32 v[58:59], v[58:59], v[64:65]
	s_or_b32 s5, vcc_lo, s5
	s_delay_alu instid0(SALU_CYCLE_1)
	s_and_not1_b32 exec_lo, exec_lo, s5
	s_cbranch_execnz .LBB90_427
; %bb.428:
	s_or_b32 exec_lo, exec_lo, s5
.LBB90_429:
	s_delay_alu instid0(SALU_CYCLE_1) | instskip(SKIP_4) | instid1(VALU_DEP_1)
	s_or_b32 exec_lo, exec_lo, s4
	v_mov_b32_e32 v61, 0
	ds_load_b64 v[62:63], v61 offset:136
	s_wait_dscnt 0x0
	v_pk_mul_f32 v[64:65], v[58:59], v[62:63] op_sel:[1,1] op_sel_hi:[0,1]
	v_pk_fma_f32 v[66:67], v[58:59], v[62:63], v[64:65] op_sel_hi:[1,0,1]
	v_pk_fma_f32 v[58:59], v[58:59], v[62:63], v[64:65] neg_lo:[0,0,1] neg_hi:[0,0,1]
	s_delay_alu instid0(VALU_DEP_2)
	v_mov_b32_e32 v59, v67
	scratch_store_b64 off, v[58:59], off offset:136
.LBB90_430:
	s_wait_xcnt 0x0
	s_or_b32 exec_lo, exec_lo, s0
	scratch_load_b64 v[58:59], off, off offset:144
	s_mov_b32 s0, exec_lo
	s_wait_loadcnt 0x0
	ds_store_b64 v1, v[58:59]
	s_wait_storecnt_dscnt 0x0
	s_barrier_signal -1
	s_barrier_wait -1
	s_wait_xcnt 0x0
	v_cmpx_gt_u32_e32 18, v0
	s_cbranch_execz .LBB90_440
; %bb.431:
	v_cmp_ne_u32_e32 vcc_lo, 1, v60
	s_cbranch_vccnz .LBB90_433
; %bb.432:
	scratch_load_b64 v[58:59], v57, off
	ds_load_b64 v[62:63], v1
	s_wait_loadcnt_dscnt 0x0
	v_pk_mul_f32 v[64:65], v[62:63], v[58:59] op_sel:[1,1] op_sel_hi:[0,1]
	s_delay_alu instid0(VALU_DEP_1) | instskip(SKIP_1) | instid1(VALU_DEP_2)
	v_pk_fma_f32 v[66:67], v[62:63], v[58:59], v[64:65] op_sel_hi:[1,0,1]
	v_pk_fma_f32 v[58:59], v[62:63], v[58:59], v[64:65] neg_lo:[0,0,1] neg_hi:[0,0,1]
	v_mov_b32_e32 v59, v67
	s_cbranch_execz .LBB90_434
	s_branch .LBB90_435
.LBB90_433:
                                        ; implicit-def: $vgpr58_vgpr59
.LBB90_434:
	ds_load_b64 v[58:59], v1
.LBB90_435:
	s_mov_b32 s4, exec_lo
	v_cmpx_ne_u32_e32 17, v0
	s_cbranch_execz .LBB90_439
; %bb.436:
	v_add_nc_u32_e32 v61, 0xe8, v56
	v_add3_u32 v62, 0, v56, 8
	v_mov_b32_e32 v63, v0
	s_mov_b32 s5, 0
.LBB90_437:                             ; =>This Inner Loop Header: Depth=1
	scratch_load_b64 v[64:65], v62, off
	ds_load_b64 v[66:67], v61
	s_wait_xcnt 0x0
	v_dual_add_nc_u32 v61, 8, v61 :: v_dual_add_nc_u32 v62, 8, v62
	s_wait_loadcnt_dscnt 0x0
	v_pk_mul_f32 v[68:69], v[66:67], v[64:65] op_sel:[1,1] op_sel_hi:[0,1]
	s_delay_alu instid0(VALU_DEP_1) | instskip(SKIP_2) | instid1(VALU_DEP_3)
	v_pk_fma_f32 v[70:71], v[66:67], v[64:65], v[68:69] op_sel_hi:[1,0,1]
	v_add_nc_u32_e32 v63, 1, v63
	v_pk_fma_f32 v[64:65], v[66:67], v[64:65], v[68:69] neg_lo:[0,0,1] neg_hi:[0,0,1]
	v_mov_b32_e32 v65, v71
	s_delay_alu instid0(VALU_DEP_3) | instskip(NEXT) | instid1(VALU_DEP_2)
	v_cmp_lt_u32_e32 vcc_lo, 16, v63
	v_pk_add_f32 v[58:59], v[58:59], v[64:65]
	s_or_b32 s5, vcc_lo, s5
	s_delay_alu instid0(SALU_CYCLE_1)
	s_and_not1_b32 exec_lo, exec_lo, s5
	s_cbranch_execnz .LBB90_437
; %bb.438:
	s_or_b32 exec_lo, exec_lo, s5
.LBB90_439:
	s_delay_alu instid0(SALU_CYCLE_1) | instskip(SKIP_4) | instid1(VALU_DEP_1)
	s_or_b32 exec_lo, exec_lo, s4
	v_mov_b32_e32 v61, 0
	ds_load_b64 v[62:63], v61 offset:144
	s_wait_dscnt 0x0
	v_pk_mul_f32 v[64:65], v[58:59], v[62:63] op_sel:[1,1] op_sel_hi:[0,1]
	v_pk_fma_f32 v[66:67], v[58:59], v[62:63], v[64:65] op_sel_hi:[1,0,1]
	v_pk_fma_f32 v[58:59], v[58:59], v[62:63], v[64:65] neg_lo:[0,0,1] neg_hi:[0,0,1]
	s_delay_alu instid0(VALU_DEP_2)
	v_mov_b32_e32 v59, v67
	scratch_store_b64 off, v[58:59], off offset:144
.LBB90_440:
	s_wait_xcnt 0x0
	s_or_b32 exec_lo, exec_lo, s0
	scratch_load_b64 v[58:59], off, off offset:152
	s_mov_b32 s0, exec_lo
	s_wait_loadcnt 0x0
	ds_store_b64 v1, v[58:59]
	s_wait_storecnt_dscnt 0x0
	s_barrier_signal -1
	s_barrier_wait -1
	s_wait_xcnt 0x0
	v_cmpx_gt_u32_e32 19, v0
	s_cbranch_execz .LBB90_450
; %bb.441:
	v_cmp_ne_u32_e32 vcc_lo, 1, v60
	s_cbranch_vccnz .LBB90_443
; %bb.442:
	scratch_load_b64 v[58:59], v57, off
	ds_load_b64 v[62:63], v1
	s_wait_loadcnt_dscnt 0x0
	v_pk_mul_f32 v[64:65], v[62:63], v[58:59] op_sel:[1,1] op_sel_hi:[0,1]
	s_delay_alu instid0(VALU_DEP_1) | instskip(SKIP_1) | instid1(VALU_DEP_2)
	v_pk_fma_f32 v[66:67], v[62:63], v[58:59], v[64:65] op_sel_hi:[1,0,1]
	v_pk_fma_f32 v[58:59], v[62:63], v[58:59], v[64:65] neg_lo:[0,0,1] neg_hi:[0,0,1]
	v_mov_b32_e32 v59, v67
	s_cbranch_execz .LBB90_444
	s_branch .LBB90_445
.LBB90_443:
                                        ; implicit-def: $vgpr58_vgpr59
.LBB90_444:
	ds_load_b64 v[58:59], v1
.LBB90_445:
	s_mov_b32 s4, exec_lo
	v_cmpx_ne_u32_e32 18, v0
	s_cbranch_execz .LBB90_449
; %bb.446:
	v_add_nc_u32_e32 v61, 0xe8, v56
	v_add3_u32 v62, 0, v56, 8
	v_mov_b32_e32 v63, v0
	s_mov_b32 s5, 0
.LBB90_447:                             ; =>This Inner Loop Header: Depth=1
	scratch_load_b64 v[64:65], v62, off
	ds_load_b64 v[66:67], v61
	s_wait_xcnt 0x0
	v_dual_add_nc_u32 v61, 8, v61 :: v_dual_add_nc_u32 v62, 8, v62
	s_wait_loadcnt_dscnt 0x0
	v_pk_mul_f32 v[68:69], v[66:67], v[64:65] op_sel:[1,1] op_sel_hi:[0,1]
	s_delay_alu instid0(VALU_DEP_1) | instskip(SKIP_2) | instid1(VALU_DEP_3)
	v_pk_fma_f32 v[70:71], v[66:67], v[64:65], v[68:69] op_sel_hi:[1,0,1]
	v_add_nc_u32_e32 v63, 1, v63
	v_pk_fma_f32 v[64:65], v[66:67], v[64:65], v[68:69] neg_lo:[0,0,1] neg_hi:[0,0,1]
	v_mov_b32_e32 v65, v71
	s_delay_alu instid0(VALU_DEP_3) | instskip(NEXT) | instid1(VALU_DEP_2)
	v_cmp_lt_u32_e32 vcc_lo, 17, v63
	v_pk_add_f32 v[58:59], v[58:59], v[64:65]
	s_or_b32 s5, vcc_lo, s5
	s_delay_alu instid0(SALU_CYCLE_1)
	s_and_not1_b32 exec_lo, exec_lo, s5
	s_cbranch_execnz .LBB90_447
; %bb.448:
	s_or_b32 exec_lo, exec_lo, s5
.LBB90_449:
	s_delay_alu instid0(SALU_CYCLE_1) | instskip(SKIP_4) | instid1(VALU_DEP_1)
	s_or_b32 exec_lo, exec_lo, s4
	v_mov_b32_e32 v61, 0
	ds_load_b64 v[62:63], v61 offset:152
	s_wait_dscnt 0x0
	v_pk_mul_f32 v[64:65], v[58:59], v[62:63] op_sel:[1,1] op_sel_hi:[0,1]
	v_pk_fma_f32 v[66:67], v[58:59], v[62:63], v[64:65] op_sel_hi:[1,0,1]
	v_pk_fma_f32 v[58:59], v[58:59], v[62:63], v[64:65] neg_lo:[0,0,1] neg_hi:[0,0,1]
	s_delay_alu instid0(VALU_DEP_2)
	v_mov_b32_e32 v59, v67
	scratch_store_b64 off, v[58:59], off offset:152
.LBB90_450:
	s_wait_xcnt 0x0
	s_or_b32 exec_lo, exec_lo, s0
	scratch_load_b64 v[58:59], off, off offset:160
	s_mov_b32 s0, exec_lo
	s_wait_loadcnt 0x0
	ds_store_b64 v1, v[58:59]
	s_wait_storecnt_dscnt 0x0
	s_barrier_signal -1
	s_barrier_wait -1
	s_wait_xcnt 0x0
	v_cmpx_gt_u32_e32 20, v0
	s_cbranch_execz .LBB90_460
; %bb.451:
	v_cmp_ne_u32_e32 vcc_lo, 1, v60
	s_cbranch_vccnz .LBB90_453
; %bb.452:
	scratch_load_b64 v[58:59], v57, off
	ds_load_b64 v[62:63], v1
	s_wait_loadcnt_dscnt 0x0
	v_pk_mul_f32 v[64:65], v[62:63], v[58:59] op_sel:[1,1] op_sel_hi:[0,1]
	s_delay_alu instid0(VALU_DEP_1) | instskip(SKIP_1) | instid1(VALU_DEP_2)
	v_pk_fma_f32 v[66:67], v[62:63], v[58:59], v[64:65] op_sel_hi:[1,0,1]
	v_pk_fma_f32 v[58:59], v[62:63], v[58:59], v[64:65] neg_lo:[0,0,1] neg_hi:[0,0,1]
	v_mov_b32_e32 v59, v67
	s_cbranch_execz .LBB90_454
	s_branch .LBB90_455
.LBB90_453:
                                        ; implicit-def: $vgpr58_vgpr59
.LBB90_454:
	ds_load_b64 v[58:59], v1
.LBB90_455:
	s_mov_b32 s4, exec_lo
	v_cmpx_ne_u32_e32 19, v0
	s_cbranch_execz .LBB90_459
; %bb.456:
	v_add_nc_u32_e32 v61, 0xe8, v56
	v_add3_u32 v62, 0, v56, 8
	v_mov_b32_e32 v63, v0
	s_mov_b32 s5, 0
.LBB90_457:                             ; =>This Inner Loop Header: Depth=1
	scratch_load_b64 v[64:65], v62, off
	ds_load_b64 v[66:67], v61
	s_wait_xcnt 0x0
	v_dual_add_nc_u32 v61, 8, v61 :: v_dual_add_nc_u32 v62, 8, v62
	s_wait_loadcnt_dscnt 0x0
	v_pk_mul_f32 v[68:69], v[66:67], v[64:65] op_sel:[1,1] op_sel_hi:[0,1]
	s_delay_alu instid0(VALU_DEP_1) | instskip(SKIP_2) | instid1(VALU_DEP_3)
	v_pk_fma_f32 v[70:71], v[66:67], v[64:65], v[68:69] op_sel_hi:[1,0,1]
	v_add_nc_u32_e32 v63, 1, v63
	v_pk_fma_f32 v[64:65], v[66:67], v[64:65], v[68:69] neg_lo:[0,0,1] neg_hi:[0,0,1]
	v_mov_b32_e32 v65, v71
	s_delay_alu instid0(VALU_DEP_3) | instskip(NEXT) | instid1(VALU_DEP_2)
	v_cmp_lt_u32_e32 vcc_lo, 18, v63
	v_pk_add_f32 v[58:59], v[58:59], v[64:65]
	s_or_b32 s5, vcc_lo, s5
	s_delay_alu instid0(SALU_CYCLE_1)
	s_and_not1_b32 exec_lo, exec_lo, s5
	s_cbranch_execnz .LBB90_457
; %bb.458:
	s_or_b32 exec_lo, exec_lo, s5
.LBB90_459:
	s_delay_alu instid0(SALU_CYCLE_1) | instskip(SKIP_4) | instid1(VALU_DEP_1)
	s_or_b32 exec_lo, exec_lo, s4
	v_mov_b32_e32 v61, 0
	ds_load_b64 v[62:63], v61 offset:160
	s_wait_dscnt 0x0
	v_pk_mul_f32 v[64:65], v[58:59], v[62:63] op_sel:[1,1] op_sel_hi:[0,1]
	v_pk_fma_f32 v[66:67], v[58:59], v[62:63], v[64:65] op_sel_hi:[1,0,1]
	v_pk_fma_f32 v[58:59], v[58:59], v[62:63], v[64:65] neg_lo:[0,0,1] neg_hi:[0,0,1]
	s_delay_alu instid0(VALU_DEP_2)
	v_mov_b32_e32 v59, v67
	scratch_store_b64 off, v[58:59], off offset:160
.LBB90_460:
	s_wait_xcnt 0x0
	s_or_b32 exec_lo, exec_lo, s0
	scratch_load_b64 v[58:59], off, off offset:168
	s_mov_b32 s0, exec_lo
	s_wait_loadcnt 0x0
	ds_store_b64 v1, v[58:59]
	s_wait_storecnt_dscnt 0x0
	s_barrier_signal -1
	s_barrier_wait -1
	s_wait_xcnt 0x0
	v_cmpx_gt_u32_e32 21, v0
	s_cbranch_execz .LBB90_470
; %bb.461:
	v_cmp_ne_u32_e32 vcc_lo, 1, v60
	s_cbranch_vccnz .LBB90_463
; %bb.462:
	scratch_load_b64 v[58:59], v57, off
	ds_load_b64 v[62:63], v1
	s_wait_loadcnt_dscnt 0x0
	v_pk_mul_f32 v[64:65], v[62:63], v[58:59] op_sel:[1,1] op_sel_hi:[0,1]
	s_delay_alu instid0(VALU_DEP_1) | instskip(SKIP_1) | instid1(VALU_DEP_2)
	v_pk_fma_f32 v[66:67], v[62:63], v[58:59], v[64:65] op_sel_hi:[1,0,1]
	v_pk_fma_f32 v[58:59], v[62:63], v[58:59], v[64:65] neg_lo:[0,0,1] neg_hi:[0,0,1]
	v_mov_b32_e32 v59, v67
	s_cbranch_execz .LBB90_464
	s_branch .LBB90_465
.LBB90_463:
                                        ; implicit-def: $vgpr58_vgpr59
.LBB90_464:
	ds_load_b64 v[58:59], v1
.LBB90_465:
	s_mov_b32 s4, exec_lo
	v_cmpx_ne_u32_e32 20, v0
	s_cbranch_execz .LBB90_469
; %bb.466:
	v_add_nc_u32_e32 v61, 0xe8, v56
	v_add3_u32 v62, 0, v56, 8
	v_mov_b32_e32 v63, v0
	s_mov_b32 s5, 0
.LBB90_467:                             ; =>This Inner Loop Header: Depth=1
	scratch_load_b64 v[64:65], v62, off
	ds_load_b64 v[66:67], v61
	s_wait_xcnt 0x0
	v_dual_add_nc_u32 v61, 8, v61 :: v_dual_add_nc_u32 v62, 8, v62
	s_wait_loadcnt_dscnt 0x0
	v_pk_mul_f32 v[68:69], v[66:67], v[64:65] op_sel:[1,1] op_sel_hi:[0,1]
	s_delay_alu instid0(VALU_DEP_1) | instskip(SKIP_2) | instid1(VALU_DEP_3)
	v_pk_fma_f32 v[70:71], v[66:67], v[64:65], v[68:69] op_sel_hi:[1,0,1]
	v_add_nc_u32_e32 v63, 1, v63
	v_pk_fma_f32 v[64:65], v[66:67], v[64:65], v[68:69] neg_lo:[0,0,1] neg_hi:[0,0,1]
	v_mov_b32_e32 v65, v71
	s_delay_alu instid0(VALU_DEP_3) | instskip(NEXT) | instid1(VALU_DEP_2)
	v_cmp_lt_u32_e32 vcc_lo, 19, v63
	v_pk_add_f32 v[58:59], v[58:59], v[64:65]
	s_or_b32 s5, vcc_lo, s5
	s_delay_alu instid0(SALU_CYCLE_1)
	s_and_not1_b32 exec_lo, exec_lo, s5
	s_cbranch_execnz .LBB90_467
; %bb.468:
	s_or_b32 exec_lo, exec_lo, s5
.LBB90_469:
	s_delay_alu instid0(SALU_CYCLE_1) | instskip(SKIP_4) | instid1(VALU_DEP_1)
	s_or_b32 exec_lo, exec_lo, s4
	v_mov_b32_e32 v61, 0
	ds_load_b64 v[62:63], v61 offset:168
	s_wait_dscnt 0x0
	v_pk_mul_f32 v[64:65], v[58:59], v[62:63] op_sel:[1,1] op_sel_hi:[0,1]
	v_pk_fma_f32 v[66:67], v[58:59], v[62:63], v[64:65] op_sel_hi:[1,0,1]
	v_pk_fma_f32 v[58:59], v[58:59], v[62:63], v[64:65] neg_lo:[0,0,1] neg_hi:[0,0,1]
	s_delay_alu instid0(VALU_DEP_2)
	v_mov_b32_e32 v59, v67
	scratch_store_b64 off, v[58:59], off offset:168
.LBB90_470:
	s_wait_xcnt 0x0
	s_or_b32 exec_lo, exec_lo, s0
	scratch_load_b64 v[58:59], off, off offset:176
	s_mov_b32 s0, exec_lo
	s_wait_loadcnt 0x0
	ds_store_b64 v1, v[58:59]
	s_wait_storecnt_dscnt 0x0
	s_barrier_signal -1
	s_barrier_wait -1
	s_wait_xcnt 0x0
	v_cmpx_gt_u32_e32 22, v0
	s_cbranch_execz .LBB90_480
; %bb.471:
	v_cmp_ne_u32_e32 vcc_lo, 1, v60
	s_cbranch_vccnz .LBB90_473
; %bb.472:
	scratch_load_b64 v[58:59], v57, off
	ds_load_b64 v[62:63], v1
	s_wait_loadcnt_dscnt 0x0
	v_pk_mul_f32 v[64:65], v[62:63], v[58:59] op_sel:[1,1] op_sel_hi:[0,1]
	s_delay_alu instid0(VALU_DEP_1) | instskip(SKIP_1) | instid1(VALU_DEP_2)
	v_pk_fma_f32 v[66:67], v[62:63], v[58:59], v[64:65] op_sel_hi:[1,0,1]
	v_pk_fma_f32 v[58:59], v[62:63], v[58:59], v[64:65] neg_lo:[0,0,1] neg_hi:[0,0,1]
	v_mov_b32_e32 v59, v67
	s_cbranch_execz .LBB90_474
	s_branch .LBB90_475
.LBB90_473:
                                        ; implicit-def: $vgpr58_vgpr59
.LBB90_474:
	ds_load_b64 v[58:59], v1
.LBB90_475:
	s_mov_b32 s4, exec_lo
	v_cmpx_ne_u32_e32 21, v0
	s_cbranch_execz .LBB90_479
; %bb.476:
	v_add_nc_u32_e32 v61, 0xe8, v56
	v_add3_u32 v62, 0, v56, 8
	v_mov_b32_e32 v63, v0
	s_mov_b32 s5, 0
.LBB90_477:                             ; =>This Inner Loop Header: Depth=1
	scratch_load_b64 v[64:65], v62, off
	ds_load_b64 v[66:67], v61
	s_wait_xcnt 0x0
	v_dual_add_nc_u32 v61, 8, v61 :: v_dual_add_nc_u32 v62, 8, v62
	s_wait_loadcnt_dscnt 0x0
	v_pk_mul_f32 v[68:69], v[66:67], v[64:65] op_sel:[1,1] op_sel_hi:[0,1]
	s_delay_alu instid0(VALU_DEP_1) | instskip(SKIP_2) | instid1(VALU_DEP_3)
	v_pk_fma_f32 v[70:71], v[66:67], v[64:65], v[68:69] op_sel_hi:[1,0,1]
	v_add_nc_u32_e32 v63, 1, v63
	v_pk_fma_f32 v[64:65], v[66:67], v[64:65], v[68:69] neg_lo:[0,0,1] neg_hi:[0,0,1]
	v_mov_b32_e32 v65, v71
	s_delay_alu instid0(VALU_DEP_3) | instskip(NEXT) | instid1(VALU_DEP_2)
	v_cmp_lt_u32_e32 vcc_lo, 20, v63
	v_pk_add_f32 v[58:59], v[58:59], v[64:65]
	s_or_b32 s5, vcc_lo, s5
	s_delay_alu instid0(SALU_CYCLE_1)
	s_and_not1_b32 exec_lo, exec_lo, s5
	s_cbranch_execnz .LBB90_477
; %bb.478:
	s_or_b32 exec_lo, exec_lo, s5
.LBB90_479:
	s_delay_alu instid0(SALU_CYCLE_1) | instskip(SKIP_4) | instid1(VALU_DEP_1)
	s_or_b32 exec_lo, exec_lo, s4
	v_mov_b32_e32 v61, 0
	ds_load_b64 v[62:63], v61 offset:176
	s_wait_dscnt 0x0
	v_pk_mul_f32 v[64:65], v[58:59], v[62:63] op_sel:[1,1] op_sel_hi:[0,1]
	v_pk_fma_f32 v[66:67], v[58:59], v[62:63], v[64:65] op_sel_hi:[1,0,1]
	v_pk_fma_f32 v[58:59], v[58:59], v[62:63], v[64:65] neg_lo:[0,0,1] neg_hi:[0,0,1]
	s_delay_alu instid0(VALU_DEP_2)
	v_mov_b32_e32 v59, v67
	scratch_store_b64 off, v[58:59], off offset:176
.LBB90_480:
	s_wait_xcnt 0x0
	s_or_b32 exec_lo, exec_lo, s0
	scratch_load_b64 v[58:59], off, off offset:184
	s_mov_b32 s0, exec_lo
	s_wait_loadcnt 0x0
	ds_store_b64 v1, v[58:59]
	s_wait_storecnt_dscnt 0x0
	s_barrier_signal -1
	s_barrier_wait -1
	s_wait_xcnt 0x0
	v_cmpx_gt_u32_e32 23, v0
	s_cbranch_execz .LBB90_490
; %bb.481:
	v_cmp_ne_u32_e32 vcc_lo, 1, v60
	s_cbranch_vccnz .LBB90_483
; %bb.482:
	scratch_load_b64 v[58:59], v57, off
	ds_load_b64 v[62:63], v1
	s_wait_loadcnt_dscnt 0x0
	v_pk_mul_f32 v[64:65], v[62:63], v[58:59] op_sel:[1,1] op_sel_hi:[0,1]
	s_delay_alu instid0(VALU_DEP_1) | instskip(SKIP_1) | instid1(VALU_DEP_2)
	v_pk_fma_f32 v[66:67], v[62:63], v[58:59], v[64:65] op_sel_hi:[1,0,1]
	v_pk_fma_f32 v[58:59], v[62:63], v[58:59], v[64:65] neg_lo:[0,0,1] neg_hi:[0,0,1]
	v_mov_b32_e32 v59, v67
	s_cbranch_execz .LBB90_484
	s_branch .LBB90_485
.LBB90_483:
                                        ; implicit-def: $vgpr58_vgpr59
.LBB90_484:
	ds_load_b64 v[58:59], v1
.LBB90_485:
	s_mov_b32 s4, exec_lo
	v_cmpx_ne_u32_e32 22, v0
	s_cbranch_execz .LBB90_489
; %bb.486:
	v_add_nc_u32_e32 v61, 0xe8, v56
	v_add3_u32 v62, 0, v56, 8
	v_mov_b32_e32 v63, v0
	s_mov_b32 s5, 0
.LBB90_487:                             ; =>This Inner Loop Header: Depth=1
	scratch_load_b64 v[64:65], v62, off
	ds_load_b64 v[66:67], v61
	s_wait_xcnt 0x0
	v_dual_add_nc_u32 v61, 8, v61 :: v_dual_add_nc_u32 v62, 8, v62
	s_wait_loadcnt_dscnt 0x0
	v_pk_mul_f32 v[68:69], v[66:67], v[64:65] op_sel:[1,1] op_sel_hi:[0,1]
	s_delay_alu instid0(VALU_DEP_1) | instskip(SKIP_2) | instid1(VALU_DEP_3)
	v_pk_fma_f32 v[70:71], v[66:67], v[64:65], v[68:69] op_sel_hi:[1,0,1]
	v_add_nc_u32_e32 v63, 1, v63
	v_pk_fma_f32 v[64:65], v[66:67], v[64:65], v[68:69] neg_lo:[0,0,1] neg_hi:[0,0,1]
	v_mov_b32_e32 v65, v71
	s_delay_alu instid0(VALU_DEP_3) | instskip(NEXT) | instid1(VALU_DEP_2)
	v_cmp_lt_u32_e32 vcc_lo, 21, v63
	v_pk_add_f32 v[58:59], v[58:59], v[64:65]
	s_or_b32 s5, vcc_lo, s5
	s_delay_alu instid0(SALU_CYCLE_1)
	s_and_not1_b32 exec_lo, exec_lo, s5
	s_cbranch_execnz .LBB90_487
; %bb.488:
	s_or_b32 exec_lo, exec_lo, s5
.LBB90_489:
	s_delay_alu instid0(SALU_CYCLE_1) | instskip(SKIP_4) | instid1(VALU_DEP_1)
	s_or_b32 exec_lo, exec_lo, s4
	v_mov_b32_e32 v61, 0
	ds_load_b64 v[62:63], v61 offset:184
	s_wait_dscnt 0x0
	v_pk_mul_f32 v[64:65], v[58:59], v[62:63] op_sel:[1,1] op_sel_hi:[0,1]
	v_pk_fma_f32 v[66:67], v[58:59], v[62:63], v[64:65] op_sel_hi:[1,0,1]
	v_pk_fma_f32 v[58:59], v[58:59], v[62:63], v[64:65] neg_lo:[0,0,1] neg_hi:[0,0,1]
	s_delay_alu instid0(VALU_DEP_2)
	v_mov_b32_e32 v59, v67
	scratch_store_b64 off, v[58:59], off offset:184
.LBB90_490:
	s_wait_xcnt 0x0
	s_or_b32 exec_lo, exec_lo, s0
	scratch_load_b64 v[58:59], off, off offset:192
	s_mov_b32 s0, exec_lo
	s_wait_loadcnt 0x0
	ds_store_b64 v1, v[58:59]
	s_wait_storecnt_dscnt 0x0
	s_barrier_signal -1
	s_barrier_wait -1
	s_wait_xcnt 0x0
	v_cmpx_gt_u32_e32 24, v0
	s_cbranch_execz .LBB90_500
; %bb.491:
	v_cmp_ne_u32_e32 vcc_lo, 1, v60
	s_cbranch_vccnz .LBB90_493
; %bb.492:
	scratch_load_b64 v[58:59], v57, off
	ds_load_b64 v[62:63], v1
	s_wait_loadcnt_dscnt 0x0
	v_pk_mul_f32 v[64:65], v[62:63], v[58:59] op_sel:[1,1] op_sel_hi:[0,1]
	s_delay_alu instid0(VALU_DEP_1) | instskip(SKIP_1) | instid1(VALU_DEP_2)
	v_pk_fma_f32 v[66:67], v[62:63], v[58:59], v[64:65] op_sel_hi:[1,0,1]
	v_pk_fma_f32 v[58:59], v[62:63], v[58:59], v[64:65] neg_lo:[0,0,1] neg_hi:[0,0,1]
	v_mov_b32_e32 v59, v67
	s_cbranch_execz .LBB90_494
	s_branch .LBB90_495
.LBB90_493:
                                        ; implicit-def: $vgpr58_vgpr59
.LBB90_494:
	ds_load_b64 v[58:59], v1
.LBB90_495:
	s_mov_b32 s4, exec_lo
	v_cmpx_ne_u32_e32 23, v0
	s_cbranch_execz .LBB90_499
; %bb.496:
	v_add_nc_u32_e32 v61, 0xe8, v56
	v_add3_u32 v62, 0, v56, 8
	v_mov_b32_e32 v63, v0
	s_mov_b32 s5, 0
.LBB90_497:                             ; =>This Inner Loop Header: Depth=1
	scratch_load_b64 v[64:65], v62, off
	ds_load_b64 v[66:67], v61
	s_wait_xcnt 0x0
	v_dual_add_nc_u32 v61, 8, v61 :: v_dual_add_nc_u32 v62, 8, v62
	s_wait_loadcnt_dscnt 0x0
	v_pk_mul_f32 v[68:69], v[66:67], v[64:65] op_sel:[1,1] op_sel_hi:[0,1]
	s_delay_alu instid0(VALU_DEP_1) | instskip(SKIP_2) | instid1(VALU_DEP_3)
	v_pk_fma_f32 v[70:71], v[66:67], v[64:65], v[68:69] op_sel_hi:[1,0,1]
	v_add_nc_u32_e32 v63, 1, v63
	v_pk_fma_f32 v[64:65], v[66:67], v[64:65], v[68:69] neg_lo:[0,0,1] neg_hi:[0,0,1]
	v_mov_b32_e32 v65, v71
	s_delay_alu instid0(VALU_DEP_3) | instskip(NEXT) | instid1(VALU_DEP_2)
	v_cmp_lt_u32_e32 vcc_lo, 22, v63
	v_pk_add_f32 v[58:59], v[58:59], v[64:65]
	s_or_b32 s5, vcc_lo, s5
	s_delay_alu instid0(SALU_CYCLE_1)
	s_and_not1_b32 exec_lo, exec_lo, s5
	s_cbranch_execnz .LBB90_497
; %bb.498:
	s_or_b32 exec_lo, exec_lo, s5
.LBB90_499:
	s_delay_alu instid0(SALU_CYCLE_1) | instskip(SKIP_4) | instid1(VALU_DEP_1)
	s_or_b32 exec_lo, exec_lo, s4
	v_mov_b32_e32 v61, 0
	ds_load_b64 v[62:63], v61 offset:192
	s_wait_dscnt 0x0
	v_pk_mul_f32 v[64:65], v[58:59], v[62:63] op_sel:[1,1] op_sel_hi:[0,1]
	v_pk_fma_f32 v[66:67], v[58:59], v[62:63], v[64:65] op_sel_hi:[1,0,1]
	v_pk_fma_f32 v[58:59], v[58:59], v[62:63], v[64:65] neg_lo:[0,0,1] neg_hi:[0,0,1]
	s_delay_alu instid0(VALU_DEP_2)
	v_mov_b32_e32 v59, v67
	scratch_store_b64 off, v[58:59], off offset:192
.LBB90_500:
	s_wait_xcnt 0x0
	s_or_b32 exec_lo, exec_lo, s0
	scratch_load_b64 v[58:59], off, off offset:200
	v_cmp_gt_u32_e64 s0, 25, v0
	s_wait_loadcnt 0x0
	ds_store_b64 v1, v[58:59]
	s_wait_storecnt_dscnt 0x0
	s_barrier_signal -1
	s_barrier_wait -1
	s_wait_xcnt 0x0
	s_and_saveexec_b32 s4, s0
	s_cbranch_execz .LBB90_510
; %bb.501:
	v_cmp_ne_u32_e32 vcc_lo, 1, v60
	s_cbranch_vccnz .LBB90_503
; %bb.502:
	scratch_load_b64 v[58:59], v57, off
	ds_load_b64 v[62:63], v1
	s_wait_loadcnt_dscnt 0x0
	v_pk_mul_f32 v[64:65], v[62:63], v[58:59] op_sel:[1,1] op_sel_hi:[0,1]
	s_delay_alu instid0(VALU_DEP_1) | instskip(SKIP_1) | instid1(VALU_DEP_2)
	v_pk_fma_f32 v[66:67], v[62:63], v[58:59], v[64:65] op_sel_hi:[1,0,1]
	v_pk_fma_f32 v[58:59], v[62:63], v[58:59], v[64:65] neg_lo:[0,0,1] neg_hi:[0,0,1]
	v_mov_b32_e32 v59, v67
	s_cbranch_execz .LBB90_504
	s_branch .LBB90_505
.LBB90_503:
                                        ; implicit-def: $vgpr58_vgpr59
.LBB90_504:
	ds_load_b64 v[58:59], v1
.LBB90_505:
	s_mov_b32 s5, exec_lo
	v_cmpx_ne_u32_e32 24, v0
	s_cbranch_execz .LBB90_509
; %bb.506:
	v_add_nc_u32_e32 v61, 0xe8, v56
	v_add3_u32 v62, 0, v56, 8
	v_mov_b32_e32 v63, v0
	s_mov_b32 s6, 0
.LBB90_507:                             ; =>This Inner Loop Header: Depth=1
	scratch_load_b64 v[64:65], v62, off
	ds_load_b64 v[66:67], v61
	s_wait_xcnt 0x0
	v_dual_add_nc_u32 v61, 8, v61 :: v_dual_add_nc_u32 v62, 8, v62
	s_wait_loadcnt_dscnt 0x0
	v_pk_mul_f32 v[68:69], v[66:67], v[64:65] op_sel:[1,1] op_sel_hi:[0,1]
	s_delay_alu instid0(VALU_DEP_1) | instskip(SKIP_2) | instid1(VALU_DEP_3)
	v_pk_fma_f32 v[70:71], v[66:67], v[64:65], v[68:69] op_sel_hi:[1,0,1]
	v_add_nc_u32_e32 v63, 1, v63
	v_pk_fma_f32 v[64:65], v[66:67], v[64:65], v[68:69] neg_lo:[0,0,1] neg_hi:[0,0,1]
	v_mov_b32_e32 v65, v71
	s_delay_alu instid0(VALU_DEP_3) | instskip(NEXT) | instid1(VALU_DEP_2)
	v_cmp_lt_u32_e32 vcc_lo, 23, v63
	v_pk_add_f32 v[58:59], v[58:59], v[64:65]
	s_or_b32 s6, vcc_lo, s6
	s_delay_alu instid0(SALU_CYCLE_1)
	s_and_not1_b32 exec_lo, exec_lo, s6
	s_cbranch_execnz .LBB90_507
; %bb.508:
	s_or_b32 exec_lo, exec_lo, s6
.LBB90_509:
	s_delay_alu instid0(SALU_CYCLE_1) | instskip(SKIP_4) | instid1(VALU_DEP_1)
	s_or_b32 exec_lo, exec_lo, s5
	v_mov_b32_e32 v61, 0
	ds_load_b64 v[62:63], v61 offset:200
	s_wait_dscnt 0x0
	v_pk_mul_f32 v[64:65], v[58:59], v[62:63] op_sel:[1,1] op_sel_hi:[0,1]
	v_pk_fma_f32 v[66:67], v[58:59], v[62:63], v[64:65] op_sel_hi:[1,0,1]
	v_pk_fma_f32 v[58:59], v[58:59], v[62:63], v[64:65] neg_lo:[0,0,1] neg_hi:[0,0,1]
	s_delay_alu instid0(VALU_DEP_2)
	v_mov_b32_e32 v59, v67
	scratch_store_b64 off, v[58:59], off offset:200
.LBB90_510:
	s_wait_xcnt 0x0
	s_or_b32 exec_lo, exec_lo, s4
	scratch_load_b64 v[58:59], off, off offset:208
	s_mov_b32 s4, exec_lo
                                        ; implicit-def: $vgpr80
                                        ; implicit-def: $sgpr7
	s_wait_loadcnt 0x0
	ds_store_b64 v1, v[58:59]
	s_wait_storecnt_dscnt 0x0
	s_barrier_signal -1
	s_barrier_wait -1
	s_wait_xcnt 0x0
	v_cmpx_ne_u32_e32 26, v0
	s_cbranch_execz .LBB90_520
; %bb.511:
	v_cmp_ne_u32_e32 vcc_lo, 1, v60
	s_cbranch_vccnz .LBB90_513
; %bb.512:
	scratch_load_b64 v[60:61], v57, off
	ds_load_b64 v[62:63], v1
	s_wait_loadcnt_dscnt 0x0
	v_dual_mul_f32 v57, v63, v61 :: v_dual_mul_f32 v59, v62, v61
	s_delay_alu instid0(VALU_DEP_1)
	v_dual_fma_f32 v58, v62, v60, -v57 :: v_dual_fmac_f32 v59, v63, v60
	s_cbranch_execz .LBB90_514
	s_branch .LBB90_515
.LBB90_513:
                                        ; implicit-def: $vgpr59
.LBB90_514:
	ds_load_b64 v[58:59], v1
.LBB90_515:
	s_and_saveexec_b32 s5, s0
	s_cbranch_execz .LBB90_519
; %bb.516:
	v_add_nc_u32_e32 v1, 0xe8, v56
	v_add3_u32 v56, 0, v56, 8
	s_mov_b32 s0, 0
.LBB90_517:                             ; =>This Inner Loop Header: Depth=1
	scratch_load_b64 v[60:61], v56, off
	ds_load_b64 v[62:63], v1
	v_dual_add_nc_u32 v0, 1, v0 :: v_dual_add_nc_u32 v1, 8, v1
	s_wait_xcnt 0x0
	v_add_nc_u32_e32 v56, 8, v56
	s_delay_alu instid0(VALU_DEP_2) | instskip(SKIP_3) | instid1(VALU_DEP_1)
	v_cmp_lt_u32_e32 vcc_lo, 24, v0
	s_or_b32 s0, vcc_lo, s0
	s_wait_loadcnt_dscnt 0x0
	v_dual_mul_f32 v57, v63, v61 :: v_dual_mul_f32 v61, v62, v61
	v_fmac_f32_e32 v61, v63, v60
	s_delay_alu instid0(VALU_DEP_1) | instskip(NEXT) | instid1(VALU_DEP_1)
	v_dual_fma_f32 v57, v62, v60, -v57 :: v_dual_add_f32 v59, v59, v61
	v_add_f32_e32 v58, v58, v57
	s_and_not1_b32 exec_lo, exec_lo, s0
	s_cbranch_execnz .LBB90_517
; %bb.518:
	s_or_b32 exec_lo, exec_lo, s0
.LBB90_519:
	s_delay_alu instid0(SALU_CYCLE_1)
	s_or_b32 exec_lo, exec_lo, s5
	v_mov_b32_e32 v0, 0
	s_movk_i32 s7, 0xd4
	s_or_b32 s1, s1, exec_lo
	ds_load_b64 v[0:1], v0 offset:208
	s_wait_dscnt 0x0
	v_dual_mul_f32 v56, v59, v1 :: v_dual_mul_f32 v80, v58, v1
	s_delay_alu instid0(VALU_DEP_1) | instskip(NEXT) | instid1(VALU_DEP_2)
	v_fma_f32 v1, v58, v0, -v56
	v_fmac_f32_e32 v80, v59, v0
	scratch_store_b32 off, v1, off offset:208
.LBB90_520:
	s_wait_xcnt 0x0
	s_or_b32 exec_lo, exec_lo, s4
.LBB90_521:
	v_lshl_add_u64 v[78:79], v[6:7], 3, s[2:3]
	v_lshl_add_u64 v[76:77], v[8:9], 3, s[2:3]
	;; [unrolled: 1-line block ×25, first 2 shown]
	s_and_saveexec_b32 s0, s1
	s_cbranch_execz .LBB90_523
; %bb.522:
	scratch_store_b32 off, v80, s7
.LBB90_523:
	s_wait_xcnt 0x0
	s_or_b32 exec_lo, exec_lo, s0
	scratch_load_b64 v[30:31], off, off
	s_wait_loadcnt 0x0
	flat_store_b64 v[2:3], v[30:31]
	scratch_load_b64 v[2:3], off, off offset:8
	s_wait_loadcnt 0x0
	flat_store_b64 v[4:5], v[2:3]
	scratch_load_b64 v[2:3], off, off offset:16
	;; [unrolled: 3-line block ×26, first 2 shown]
	s_wait_loadcnt 0x0
	flat_store_b64 v[0:1], v[2:3]
.LBB90_524:
	s_sendmsg sendmsg(MSG_DEALLOC_VGPRS)
	s_endpgm
	.section	.rodata,"a",@progbits
	.p2align	6, 0x0
	.amdhsa_kernel _ZN9rocsolver6v33100L18trti2_kernel_smallILi27E19rocblas_complex_numIfEPKPS3_EEv13rocblas_fill_17rocblas_diagonal_T1_iil
		.amdhsa_group_segment_fixed_size 440
		.amdhsa_private_segment_fixed_size 224
		.amdhsa_kernarg_size 32
		.amdhsa_user_sgpr_count 2
		.amdhsa_user_sgpr_dispatch_ptr 0
		.amdhsa_user_sgpr_queue_ptr 0
		.amdhsa_user_sgpr_kernarg_segment_ptr 1
		.amdhsa_user_sgpr_dispatch_id 0
		.amdhsa_user_sgpr_kernarg_preload_length 0
		.amdhsa_user_sgpr_kernarg_preload_offset 0
		.amdhsa_user_sgpr_private_segment_size 0
		.amdhsa_wavefront_size32 1
		.amdhsa_uses_dynamic_stack 0
		.amdhsa_enable_private_segment 1
		.amdhsa_system_sgpr_workgroup_id_x 1
		.amdhsa_system_sgpr_workgroup_id_y 0
		.amdhsa_system_sgpr_workgroup_id_z 0
		.amdhsa_system_sgpr_workgroup_info 0
		.amdhsa_system_vgpr_workitem_id 0
		.amdhsa_next_free_vgpr 81
		.amdhsa_next_free_sgpr 32
		.amdhsa_named_barrier_count 0
		.amdhsa_reserve_vcc 1
		.amdhsa_float_round_mode_32 0
		.amdhsa_float_round_mode_16_64 0
		.amdhsa_float_denorm_mode_32 3
		.amdhsa_float_denorm_mode_16_64 3
		.amdhsa_fp16_overflow 0
		.amdhsa_memory_ordered 1
		.amdhsa_forward_progress 1
		.amdhsa_inst_pref_size 162
		.amdhsa_round_robin_scheduling 0
		.amdhsa_exception_fp_ieee_invalid_op 0
		.amdhsa_exception_fp_denorm_src 0
		.amdhsa_exception_fp_ieee_div_zero 0
		.amdhsa_exception_fp_ieee_overflow 0
		.amdhsa_exception_fp_ieee_underflow 0
		.amdhsa_exception_fp_ieee_inexact 0
		.amdhsa_exception_int_div_zero 0
	.end_amdhsa_kernel
	.section	.text._ZN9rocsolver6v33100L18trti2_kernel_smallILi27E19rocblas_complex_numIfEPKPS3_EEv13rocblas_fill_17rocblas_diagonal_T1_iil,"axG",@progbits,_ZN9rocsolver6v33100L18trti2_kernel_smallILi27E19rocblas_complex_numIfEPKPS3_EEv13rocblas_fill_17rocblas_diagonal_T1_iil,comdat
.Lfunc_end90:
	.size	_ZN9rocsolver6v33100L18trti2_kernel_smallILi27E19rocblas_complex_numIfEPKPS3_EEv13rocblas_fill_17rocblas_diagonal_T1_iil, .Lfunc_end90-_ZN9rocsolver6v33100L18trti2_kernel_smallILi27E19rocblas_complex_numIfEPKPS3_EEv13rocblas_fill_17rocblas_diagonal_T1_iil
                                        ; -- End function
	.set _ZN9rocsolver6v33100L18trti2_kernel_smallILi27E19rocblas_complex_numIfEPKPS3_EEv13rocblas_fill_17rocblas_diagonal_T1_iil.num_vgpr, 81
	.set _ZN9rocsolver6v33100L18trti2_kernel_smallILi27E19rocblas_complex_numIfEPKPS3_EEv13rocblas_fill_17rocblas_diagonal_T1_iil.num_agpr, 0
	.set _ZN9rocsolver6v33100L18trti2_kernel_smallILi27E19rocblas_complex_numIfEPKPS3_EEv13rocblas_fill_17rocblas_diagonal_T1_iil.numbered_sgpr, 32
	.set _ZN9rocsolver6v33100L18trti2_kernel_smallILi27E19rocblas_complex_numIfEPKPS3_EEv13rocblas_fill_17rocblas_diagonal_T1_iil.num_named_barrier, 0
	.set _ZN9rocsolver6v33100L18trti2_kernel_smallILi27E19rocblas_complex_numIfEPKPS3_EEv13rocblas_fill_17rocblas_diagonal_T1_iil.private_seg_size, 224
	.set _ZN9rocsolver6v33100L18trti2_kernel_smallILi27E19rocblas_complex_numIfEPKPS3_EEv13rocblas_fill_17rocblas_diagonal_T1_iil.uses_vcc, 1
	.set _ZN9rocsolver6v33100L18trti2_kernel_smallILi27E19rocblas_complex_numIfEPKPS3_EEv13rocblas_fill_17rocblas_diagonal_T1_iil.uses_flat_scratch, 0
	.set _ZN9rocsolver6v33100L18trti2_kernel_smallILi27E19rocblas_complex_numIfEPKPS3_EEv13rocblas_fill_17rocblas_diagonal_T1_iil.has_dyn_sized_stack, 0
	.set _ZN9rocsolver6v33100L18trti2_kernel_smallILi27E19rocblas_complex_numIfEPKPS3_EEv13rocblas_fill_17rocblas_diagonal_T1_iil.has_recursion, 0
	.set _ZN9rocsolver6v33100L18trti2_kernel_smallILi27E19rocblas_complex_numIfEPKPS3_EEv13rocblas_fill_17rocblas_diagonal_T1_iil.has_indirect_call, 0
	.section	.AMDGPU.csdata,"",@progbits
; Kernel info:
; codeLenInByte = 20720
; TotalNumSgprs: 34
; NumVgprs: 81
; ScratchSize: 224
; MemoryBound: 0
; FloatMode: 240
; IeeeMode: 1
; LDSByteSize: 440 bytes/workgroup (compile time only)
; SGPRBlocks: 0
; VGPRBlocks: 5
; NumSGPRsForWavesPerEU: 34
; NumVGPRsForWavesPerEU: 81
; NamedBarCnt: 0
; Occupancy: 10
; WaveLimiterHint : 1
; COMPUTE_PGM_RSRC2:SCRATCH_EN: 1
; COMPUTE_PGM_RSRC2:USER_SGPR: 2
; COMPUTE_PGM_RSRC2:TRAP_HANDLER: 0
; COMPUTE_PGM_RSRC2:TGID_X_EN: 1
; COMPUTE_PGM_RSRC2:TGID_Y_EN: 0
; COMPUTE_PGM_RSRC2:TGID_Z_EN: 0
; COMPUTE_PGM_RSRC2:TIDIG_COMP_CNT: 0
	.section	.text._ZN9rocsolver6v33100L18trti2_kernel_smallILi28E19rocblas_complex_numIfEPKPS3_EEv13rocblas_fill_17rocblas_diagonal_T1_iil,"axG",@progbits,_ZN9rocsolver6v33100L18trti2_kernel_smallILi28E19rocblas_complex_numIfEPKPS3_EEv13rocblas_fill_17rocblas_diagonal_T1_iil,comdat
	.globl	_ZN9rocsolver6v33100L18trti2_kernel_smallILi28E19rocblas_complex_numIfEPKPS3_EEv13rocblas_fill_17rocblas_diagonal_T1_iil ; -- Begin function _ZN9rocsolver6v33100L18trti2_kernel_smallILi28E19rocblas_complex_numIfEPKPS3_EEv13rocblas_fill_17rocblas_diagonal_T1_iil
	.p2align	8
	.type	_ZN9rocsolver6v33100L18trti2_kernel_smallILi28E19rocblas_complex_numIfEPKPS3_EEv13rocblas_fill_17rocblas_diagonal_T1_iil,@function
_ZN9rocsolver6v33100L18trti2_kernel_smallILi28E19rocblas_complex_numIfEPKPS3_EEv13rocblas_fill_17rocblas_diagonal_T1_iil: ; @_ZN9rocsolver6v33100L18trti2_kernel_smallILi28E19rocblas_complex_numIfEPKPS3_EEv13rocblas_fill_17rocblas_diagonal_T1_iil
; %bb.0:
	s_mov_b32 s2, exec_lo
	v_cmpx_gt_u32_e32 28, v0
	s_cbranch_execz .LBB91_544
; %bb.1:
	s_clause 0x1
	s_load_b64 s[2:3], s[0:1], 0x10
	s_load_b128 s[4:7], s[0:1], 0x0
	s_wait_xcnt 0x0
	s_bfe_u32 s0, ttmp6, 0x4000c
	s_and_b32 s1, ttmp6, 15
	s_add_co_i32 s0, s0, 1
	s_getreg_b32 s8, hwreg(HW_REG_IB_STS2, 6, 4)
	s_mul_i32 s0, ttmp9, s0
	v_dual_mov_b32 v59, 0 :: v_dual_lshlrev_b32 v58, 3, v0
	s_add_co_i32 s0, s1, s0
	s_wait_kmcnt 0x0
	s_ashr_i32 s1, s2, 31
	s_cmp_eq_u32 s8, 0
	s_cselect_b32 s8, ttmp9, s0
	s_mov_b32 s0, s2
	s_ashr_i32 s9, s8, 31
	s_lshl_b64 s[0:1], s[0:1], 3
	s_lshl_b64 s[8:9], s[8:9], 3
	s_delay_alu instid0(SALU_CYCLE_1)
	s_add_nc_u64 s[6:7], s[6:7], s[8:9]
	s_load_b64 s[6:7], s[6:7], 0x0
	s_wait_kmcnt 0x0
	s_add_nc_u64 s[6:7], s[6:7], s[0:1]
	s_mov_b32 s0, s3
	flat_load_b64 v[6:7], v0, s[6:7] scale_offset
	v_add_nc_u64_e32 v[2:3], s[6:7], v[58:59]
	s_ashr_i32 s1, s3, 31
	s_cmp_lg_u32 s5, 0x84
	s_delay_alu instid0(VALU_DEP_1)
	v_lshl_add_u64 v[4:5], s[0:1], 3, v[2:3]
	s_mov_b32 s0, -1
	s_wait_loadcnt_dscnt 0x0
	scratch_store_b64 off, v[6:7], off
	flat_load_b64 v[8:9], v[4:5]
	s_wait_xcnt 0x1
	v_add3_u32 v6, s3, s3, v0
	s_wait_loadcnt_dscnt 0x0
	scratch_store_b64 off, v[8:9], off offset:8
	flat_load_b64 v[10:11], v6, s[6:7] scale_offset
	s_wait_xcnt 0x1
	v_add_nc_u32_e32 v8, s3, v6
	s_wait_loadcnt_dscnt 0x0
	scratch_store_b64 off, v[10:11], off offset:16
	flat_load_b64 v[12:13], v8, s[6:7] scale_offset
	s_wait_xcnt 0x1
	v_add_nc_u32_e32 v10, s3, v8
	;; [unrolled: 5-line block ×25, first 2 shown]
	s_cselect_b32 s3, -1, 0
	s_delay_alu instid0(SALU_CYCLE_1)
	s_and_b32 vcc_lo, exec_lo, s3
	s_wait_loadcnt_dscnt 0x0
	scratch_store_b64 off, v[60:61], off offset:208
	flat_load_b64 v[60:61], v56, s[6:7] scale_offset
	s_wait_loadcnt_dscnt 0x0
	scratch_store_b64 off, v[60:61], off offset:216
	s_cbranch_vccz .LBB91_7
; %bb.2:
	scratch_load_b64 v[60:61], v0, off scale_offset
                                        ; implicit-def: $vgpr65
                                        ; implicit-def: $vgpr62
	s_wait_loadcnt 0x0
	v_cmp_ngt_f32_e64 s0, |v60|, |v61|
	s_wait_xcnt 0x0
	s_and_saveexec_b32 s1, s0
	s_delay_alu instid0(SALU_CYCLE_1)
	s_xor_b32 s0, exec_lo, s1
	s_cbranch_execz .LBB91_4
; %bb.3:
	v_div_scale_f32 v1, null, v61, v61, v60
	v_div_scale_f32 v11, vcc_lo, v60, v61, v60
	s_delay_alu instid0(VALU_DEP_2) | instskip(SKIP_1) | instid1(TRANS32_DEP_1)
	v_rcp_f32_e32 v7, v1
	v_nop
	v_fma_f32 v9, -v1, v7, 1.0
	s_delay_alu instid0(VALU_DEP_1) | instskip(NEXT) | instid1(VALU_DEP_1)
	v_fmac_f32_e32 v7, v9, v7
	v_mul_f32_e32 v9, v11, v7
	s_delay_alu instid0(VALU_DEP_1) | instskip(NEXT) | instid1(VALU_DEP_1)
	v_fma_f32 v13, -v1, v9, v11
	v_fmac_f32_e32 v9, v13, v7
	s_delay_alu instid0(VALU_DEP_1) | instskip(NEXT) | instid1(VALU_DEP_1)
	v_fma_f32 v1, -v1, v9, v11
	v_div_fmas_f32 v1, v1, v7, v9
	s_delay_alu instid0(VALU_DEP_1) | instskip(NEXT) | instid1(VALU_DEP_1)
	v_div_fixup_f32 v1, v1, v61, v60
	v_fmac_f32_e32 v61, v60, v1
	s_delay_alu instid0(VALU_DEP_1) | instskip(NEXT) | instid1(VALU_DEP_1)
	v_div_scale_f32 v7, null, v61, v61, -1.0
	v_rcp_f32_e32 v9, v7
	v_nop
	s_delay_alu instid0(TRANS32_DEP_1) | instskip(NEXT) | instid1(VALU_DEP_1)
	v_fma_f32 v11, -v7, v9, 1.0
	v_fmac_f32_e32 v9, v11, v9
	v_div_scale_f32 v11, vcc_lo, -1.0, v61, -1.0
	s_delay_alu instid0(VALU_DEP_1) | instskip(NEXT) | instid1(VALU_DEP_1)
	v_mul_f32_e32 v13, v11, v9
	v_fma_f32 v15, -v7, v13, v11
	s_delay_alu instid0(VALU_DEP_1) | instskip(NEXT) | instid1(VALU_DEP_1)
	v_fmac_f32_e32 v13, v15, v9
	v_fma_f32 v7, -v7, v13, v11
	s_delay_alu instid0(VALU_DEP_1) | instskip(NEXT) | instid1(VALU_DEP_1)
	v_div_fmas_f32 v7, v7, v9, v13
	v_div_fixup_f32 v65, v7, v61, -1.0
                                        ; implicit-def: $vgpr60_vgpr61
	s_delay_alu instid0(VALU_DEP_1) | instskip(NEXT) | instid1(VALU_DEP_1)
	v_mul_f32_e32 v62, v1, v65
	v_xor_b32_e32 v64, 0x80000000, v62
.LBB91_4:
	s_or_saveexec_b32 s0, s0
	v_lshl_add_u32 v1, v0, 3, 0
	s_xor_b32 exec_lo, exec_lo, s0
	s_cbranch_execz .LBB91_6
; %bb.5:
	v_div_scale_f32 v7, null, v60, v60, v61
	v_div_scale_f32 v13, vcc_lo, v61, v60, v61
	s_delay_alu instid0(VALU_DEP_2) | instskip(SKIP_1) | instid1(TRANS32_DEP_1)
	v_rcp_f32_e32 v9, v7
	v_nop
	v_fma_f32 v11, -v7, v9, 1.0
	s_delay_alu instid0(VALU_DEP_1) | instskip(NEXT) | instid1(VALU_DEP_1)
	v_fmac_f32_e32 v9, v11, v9
	v_mul_f32_e32 v11, v13, v9
	s_delay_alu instid0(VALU_DEP_1) | instskip(NEXT) | instid1(VALU_DEP_1)
	v_fma_f32 v15, -v7, v11, v13
	v_fmac_f32_e32 v11, v15, v9
	s_delay_alu instid0(VALU_DEP_1) | instskip(NEXT) | instid1(VALU_DEP_1)
	v_fma_f32 v7, -v7, v11, v13
	v_div_fmas_f32 v7, v7, v9, v11
	s_delay_alu instid0(VALU_DEP_1) | instskip(NEXT) | instid1(VALU_DEP_1)
	v_div_fixup_f32 v7, v7, v60, v61
	v_fmac_f32_e32 v60, v61, v7
	s_delay_alu instid0(VALU_DEP_1) | instskip(SKIP_1) | instid1(VALU_DEP_2)
	v_div_scale_f32 v9, null, v60, v60, 1.0
	v_div_scale_f32 v15, vcc_lo, 1.0, v60, 1.0
	v_rcp_f32_e32 v11, v9
	v_nop
	s_delay_alu instid0(TRANS32_DEP_1) | instskip(NEXT) | instid1(VALU_DEP_1)
	v_fma_f32 v13, -v9, v11, 1.0
	v_fmac_f32_e32 v11, v13, v11
	s_delay_alu instid0(VALU_DEP_1) | instskip(NEXT) | instid1(VALU_DEP_1)
	v_mul_f32_e32 v13, v15, v11
	v_fma_f32 v17, -v9, v13, v15
	s_delay_alu instid0(VALU_DEP_1) | instskip(NEXT) | instid1(VALU_DEP_1)
	v_fmac_f32_e32 v13, v17, v11
	v_fma_f32 v9, -v9, v13, v15
	s_delay_alu instid0(VALU_DEP_1) | instskip(NEXT) | instid1(VALU_DEP_1)
	v_div_fmas_f32 v9, v9, v11, v13
	v_div_fixup_f32 v64, v9, v60, 1.0
	s_delay_alu instid0(VALU_DEP_1)
	v_xor_b32_e32 v62, 0x80000000, v64
	v_mul_f32_e64 v65, v7, -v64
.LBB91_6:
	s_or_b32 exec_lo, exec_lo, s0
	s_delay_alu instid0(VALU_DEP_1)
	v_xor_b32_e32 v63, 0x80000000, v65
	s_mov_b32 s0, 0
	scratch_store_b64 v1, v[64:65], off
	ds_store_b64 v58, v[62:63]
.LBB91_7:
	s_and_b32 vcc_lo, exec_lo, s0
	s_cbranch_vccz .LBB91_9
; %bb.8:
	s_mov_b64 s[0:1], 0xbf800000
	s_wait_xcnt 0x0
	v_mov_b64_e32 v[60:61], s[0:1]
	ds_store_b64 v58, v[60:61]
.LBB91_9:
	v_dual_ashrrev_i32 v7, 31, v6 :: v_dual_ashrrev_i32 v9, 31, v8
	v_dual_ashrrev_i32 v11, 31, v10 :: v_dual_ashrrev_i32 v13, 31, v12
	;; [unrolled: 1-line block ×13, first 2 shown]
	s_wait_xcnt 0x0
	v_add_nc_u32_e32 v1, 0xe0, v58
	v_mov_b32_e32 v59, v58
	s_cmp_eq_u32 s4, 0x79
	s_cbranch_scc1 .LBB91_13
; %bb.10:
	scratch_load_b64 v[60:61], off, off offset:208
	v_cmp_eq_u32_e64 s0, 27, v0
	s_movk_i32 s1, 0x48
	s_movk_i32 s14, 0x50
	;; [unrolled: 1-line block ×17, first 2 shown]
	s_wait_loadcnt 0x0
	ds_store_b64 v1, v[60:61]
	s_wait_storecnt_dscnt 0x0
	s_barrier_signal -1
	s_barrier_wait -1
	s_wait_xcnt 0x0
	s_and_saveexec_b32 s2, s0
	s_cbranch_execz .LBB91_17
; %bb.11:
	s_and_b32 vcc_lo, exec_lo, s3
	s_cbranch_vccz .LBB91_14
; %bb.12:
	scratch_load_b64 v[60:61], v59, off
	ds_load_b64 v[62:63], v1
	s_wait_loadcnt_dscnt 0x0
	v_pk_mul_f32 v[64:65], v[62:63], v[60:61] op_sel:[1,1] op_sel_hi:[0,1]
	v_pk_mul_f32 v[66:67], v[62:63], v[60:61] op_sel_hi:[1,0]
	s_delay_alu instid0(VALU_DEP_2) | instskip(NEXT) | instid1(VALU_DEP_2)
	v_pk_fma_f32 v[60:61], v[62:63], v[60:61], v[64:65] op_sel_hi:[1,0,1]
	v_sub_f32_e32 v60, v66, v64
	s_cbranch_execz .LBB91_15
	s_branch .LBB91_16
.LBB91_13:
	s_mov_b32 s1, 0
                                        ; implicit-def: $vgpr82
                                        ; implicit-def: $sgpr5
	s_cbranch_execnz .LBB91_276
	s_branch .LBB91_541
.LBB91_14:
                                        ; implicit-def: $vgpr61
.LBB91_15:
	ds_load_b64 v[60:61], v1
.LBB91_16:
	s_wait_dscnt 0x0
	v_dual_mov_b32 v62, 0 :: v_dual_mov_b32 v64, v61
	v_mov_b32_e32 v65, v60
	ds_load_b64 v[62:63], v62 offset:208
	s_wait_dscnt 0x0
	v_pk_mul_f32 v[64:65], v[64:65], v[62:63] op_sel:[0,1]
	s_delay_alu instid0(VALU_DEP_1) | instskip(SKIP_1) | instid1(VALU_DEP_2)
	v_pk_fma_f32 v[66:67], v[60:61], v[62:63], v[64:65] op_sel_hi:[1,0,1]
	v_pk_fma_f32 v[60:61], v[60:61], v[62:63], v[64:65] neg_lo:[0,0,1] neg_hi:[0,0,1]
	v_mov_b32_e32 v61, v67
	scratch_store_b64 off, v[60:61], off offset:208
.LBB91_17:
	s_wait_xcnt 0x0
	s_or_b32 exec_lo, exec_lo, s2
	scratch_load_b64 v[60:61], off, off offset:200
	s_mov_b32 s13, s1
	v_cmp_lt_u32_e64 s1, 25, v0
	s_or_b32 s4, 0, 8
	s_mov_b32 s5, 16
	s_mov_b32 s8, 24
	;; [unrolled: 1-line block ×7, first 2 shown]
	s_wait_loadcnt 0x0
	ds_store_b64 v1, v[60:61]
	s_wait_storecnt_dscnt 0x0
	s_barrier_signal -1
	s_barrier_wait -1
	s_wait_xcnt 0x0
	s_and_saveexec_b32 s30, s1
	s_cbranch_execz .LBB91_25
; %bb.18:
	s_and_not1_b32 vcc_lo, exec_lo, s3
	s_cbranch_vccnz .LBB91_20
; %bb.19:
	scratch_load_b64 v[60:61], v59, off
	ds_load_b64 v[62:63], v1
	s_wait_loadcnt_dscnt 0x0
	v_pk_mul_f32 v[64:65], v[62:63], v[60:61] op_sel:[1,1] op_sel_hi:[0,1]
	s_delay_alu instid0(VALU_DEP_1) | instskip(SKIP_1) | instid1(VALU_DEP_2)
	v_pk_fma_f32 v[66:67], v[62:63], v[60:61], v[64:65] op_sel_hi:[1,0,1]
	v_pk_fma_f32 v[60:61], v[62:63], v[60:61], v[64:65] neg_lo:[0,0,1] neg_hi:[0,0,1]
	v_mov_b32_e32 v61, v67
	s_cbranch_execz .LBB91_21
	s_branch .LBB91_22
.LBB91_20:
                                        ; implicit-def: $vgpr60_vgpr61
.LBB91_21:
	ds_load_b64 v[60:61], v1
.LBB91_22:
	s_and_saveexec_b32 s31, s0
	s_cbranch_execz .LBB91_24
; %bb.23:
	scratch_load_b64 v[62:63], off, off offset:208
	v_mov_b32_e32 v64, 0
	ds_load_b64 v[64:65], v64 offset:432
	s_wait_loadcnt_dscnt 0x0
	v_pk_mul_f32 v[66:67], v[64:65], v[62:63] op_sel:[1,1] op_sel_hi:[0,1]
	s_delay_alu instid0(VALU_DEP_1) | instskip(SKIP_1) | instid1(VALU_DEP_2)
	v_pk_fma_f32 v[68:69], v[64:65], v[62:63], v[66:67] op_sel_hi:[1,0,1]
	v_pk_fma_f32 v[62:63], v[64:65], v[62:63], v[66:67] neg_lo:[0,0,1] neg_hi:[0,0,1]
	v_mov_b32_e32 v63, v69
	s_delay_alu instid0(VALU_DEP_1)
	v_pk_add_f32 v[60:61], v[60:61], v[62:63]
.LBB91_24:
	s_or_b32 exec_lo, exec_lo, s31
	v_mov_b32_e32 v62, 0
	ds_load_b64 v[62:63], v62 offset:200
	s_wait_dscnt 0x0
	v_pk_mul_f32 v[64:65], v[60:61], v[62:63] op_sel:[1,1] op_sel_hi:[0,1]
	s_delay_alu instid0(VALU_DEP_1) | instskip(SKIP_1) | instid1(VALU_DEP_2)
	v_pk_fma_f32 v[66:67], v[60:61], v[62:63], v[64:65] op_sel_hi:[1,0,1]
	v_pk_fma_f32 v[60:61], v[60:61], v[62:63], v[64:65] neg_lo:[0,0,1] neg_hi:[0,0,1]
	v_mov_b32_e32 v61, v67
	scratch_store_b64 off, v[60:61], off offset:200
.LBB91_25:
	s_wait_xcnt 0x0
	s_or_b32 exec_lo, exec_lo, s30
	scratch_load_b64 v[60:61], off, off offset:192
	v_cmp_lt_u32_e64 s0, 24, v0
	s_wait_loadcnt 0x0
	ds_store_b64 v1, v[60:61]
	s_wait_storecnt_dscnt 0x0
	s_barrier_signal -1
	s_barrier_wait -1
	s_wait_xcnt 0x0
	s_and_saveexec_b32 s30, s0
	s_cbranch_execz .LBB91_35
; %bb.26:
	s_and_not1_b32 vcc_lo, exec_lo, s3
	s_cbranch_vccnz .LBB91_28
; %bb.27:
	scratch_load_b64 v[60:61], v59, off
	ds_load_b64 v[62:63], v1
	s_wait_loadcnt_dscnt 0x0
	v_pk_mul_f32 v[64:65], v[62:63], v[60:61] op_sel:[1,1] op_sel_hi:[0,1]
	s_delay_alu instid0(VALU_DEP_1) | instskip(SKIP_1) | instid1(VALU_DEP_2)
	v_pk_fma_f32 v[66:67], v[62:63], v[60:61], v[64:65] op_sel_hi:[1,0,1]
	v_pk_fma_f32 v[60:61], v[62:63], v[60:61], v[64:65] neg_lo:[0,0,1] neg_hi:[0,0,1]
	v_mov_b32_e32 v61, v67
	s_cbranch_execz .LBB91_29
	s_branch .LBB91_30
.LBB91_28:
                                        ; implicit-def: $vgpr60_vgpr61
.LBB91_29:
	ds_load_b64 v[60:61], v1
.LBB91_30:
	s_and_saveexec_b32 s31, s1
	s_cbranch_execz .LBB91_34
; %bb.31:
	v_subrev_nc_u32_e32 v62, 25, v0
	s_movk_i32 s33, 0x1a8
	s_mov_b32 s1, 0
.LBB91_32:                              ; =>This Inner Loop Header: Depth=1
	scratch_load_b64 v[64:65], off, s29
	v_dual_mov_b32 v63, s33 :: v_dual_add_nc_u32 v62, -1, v62
	s_add_co_i32 s33, s33, 8
	s_wait_xcnt 0x0
	s_add_co_i32 s29, s29, 8
	ds_load_b64 v[66:67], v63
	v_cmp_eq_u32_e32 vcc_lo, 0, v62
	s_or_b32 s1, vcc_lo, s1
	s_wait_loadcnt_dscnt 0x0
	v_pk_mul_f32 v[68:69], v[66:67], v[64:65] op_sel:[1,1] op_sel_hi:[0,1]
	s_delay_alu instid0(VALU_DEP_1) | instskip(SKIP_1) | instid1(VALU_DEP_2)
	v_pk_fma_f32 v[70:71], v[66:67], v[64:65], v[68:69] op_sel_hi:[1,0,1]
	v_pk_fma_f32 v[64:65], v[66:67], v[64:65], v[68:69] neg_lo:[0,0,1] neg_hi:[0,0,1]
	v_mov_b32_e32 v65, v71
	s_delay_alu instid0(VALU_DEP_1)
	v_pk_add_f32 v[60:61], v[60:61], v[64:65]
	s_and_not1_b32 exec_lo, exec_lo, s1
	s_cbranch_execnz .LBB91_32
; %bb.33:
	s_or_b32 exec_lo, exec_lo, s1
.LBB91_34:
	s_delay_alu instid0(SALU_CYCLE_1) | instskip(SKIP_4) | instid1(VALU_DEP_1)
	s_or_b32 exec_lo, exec_lo, s31
	v_mov_b32_e32 v62, 0
	ds_load_b64 v[62:63], v62 offset:192
	s_wait_dscnt 0x0
	v_pk_mul_f32 v[64:65], v[60:61], v[62:63] op_sel:[1,1] op_sel_hi:[0,1]
	v_pk_fma_f32 v[66:67], v[60:61], v[62:63], v[64:65] op_sel_hi:[1,0,1]
	v_pk_fma_f32 v[60:61], v[60:61], v[62:63], v[64:65] neg_lo:[0,0,1] neg_hi:[0,0,1]
	s_delay_alu instid0(VALU_DEP_2)
	v_mov_b32_e32 v61, v67
	scratch_store_b64 off, v[60:61], off offset:192
.LBB91_35:
	s_wait_xcnt 0x0
	s_or_b32 exec_lo, exec_lo, s30
	scratch_load_b64 v[60:61], off, off offset:184
	v_cmp_lt_u32_e64 s1, 23, v0
	s_wait_loadcnt 0x0
	ds_store_b64 v1, v[60:61]
	s_wait_storecnt_dscnt 0x0
	s_barrier_signal -1
	s_barrier_wait -1
	s_wait_xcnt 0x0
	s_and_saveexec_b32 s29, s1
	s_cbranch_execz .LBB91_45
; %bb.36:
	s_and_not1_b32 vcc_lo, exec_lo, s3
	s_cbranch_vccnz .LBB91_38
; %bb.37:
	scratch_load_b64 v[60:61], v59, off
	ds_load_b64 v[62:63], v1
	s_wait_loadcnt_dscnt 0x0
	v_pk_mul_f32 v[64:65], v[62:63], v[60:61] op_sel:[1,1] op_sel_hi:[0,1]
	s_delay_alu instid0(VALU_DEP_1) | instskip(SKIP_1) | instid1(VALU_DEP_2)
	v_pk_fma_f32 v[66:67], v[62:63], v[60:61], v[64:65] op_sel_hi:[1,0,1]
	v_pk_fma_f32 v[60:61], v[62:63], v[60:61], v[64:65] neg_lo:[0,0,1] neg_hi:[0,0,1]
	v_mov_b32_e32 v61, v67
	s_cbranch_execz .LBB91_39
	s_branch .LBB91_40
.LBB91_38:
                                        ; implicit-def: $vgpr60_vgpr61
.LBB91_39:
	ds_load_b64 v[60:61], v1
.LBB91_40:
	s_and_saveexec_b32 s30, s0
	s_cbranch_execz .LBB91_44
; %bb.41:
	v_subrev_nc_u32_e32 v62, 24, v0
	s_movk_i32 s31, 0x1a0
	s_mov_b32 s0, 0
.LBB91_42:                              ; =>This Inner Loop Header: Depth=1
	scratch_load_b64 v[64:65], off, s28
	v_dual_mov_b32 v63, s31 :: v_dual_add_nc_u32 v62, -1, v62
	s_add_co_i32 s31, s31, 8
	s_wait_xcnt 0x0
	s_add_co_i32 s28, s28, 8
	ds_load_b64 v[66:67], v63
	v_cmp_eq_u32_e32 vcc_lo, 0, v62
	s_or_b32 s0, vcc_lo, s0
	s_wait_loadcnt_dscnt 0x0
	v_pk_mul_f32 v[68:69], v[66:67], v[64:65] op_sel:[1,1] op_sel_hi:[0,1]
	s_delay_alu instid0(VALU_DEP_1) | instskip(SKIP_1) | instid1(VALU_DEP_2)
	v_pk_fma_f32 v[70:71], v[66:67], v[64:65], v[68:69] op_sel_hi:[1,0,1]
	v_pk_fma_f32 v[64:65], v[66:67], v[64:65], v[68:69] neg_lo:[0,0,1] neg_hi:[0,0,1]
	v_mov_b32_e32 v65, v71
	s_delay_alu instid0(VALU_DEP_1)
	v_pk_add_f32 v[60:61], v[60:61], v[64:65]
	s_and_not1_b32 exec_lo, exec_lo, s0
	s_cbranch_execnz .LBB91_42
; %bb.43:
	s_or_b32 exec_lo, exec_lo, s0
.LBB91_44:
	s_delay_alu instid0(SALU_CYCLE_1) | instskip(SKIP_4) | instid1(VALU_DEP_1)
	s_or_b32 exec_lo, exec_lo, s30
	v_mov_b32_e32 v62, 0
	ds_load_b64 v[62:63], v62 offset:184
	s_wait_dscnt 0x0
	v_pk_mul_f32 v[64:65], v[60:61], v[62:63] op_sel:[1,1] op_sel_hi:[0,1]
	v_pk_fma_f32 v[66:67], v[60:61], v[62:63], v[64:65] op_sel_hi:[1,0,1]
	v_pk_fma_f32 v[60:61], v[60:61], v[62:63], v[64:65] neg_lo:[0,0,1] neg_hi:[0,0,1]
	s_delay_alu instid0(VALU_DEP_2)
	v_mov_b32_e32 v61, v67
	scratch_store_b64 off, v[60:61], off offset:184
.LBB91_45:
	s_wait_xcnt 0x0
	s_or_b32 exec_lo, exec_lo, s29
	scratch_load_b64 v[60:61], off, off offset:176
	v_cmp_lt_u32_e64 s0, 22, v0
	s_wait_loadcnt 0x0
	ds_store_b64 v1, v[60:61]
	s_wait_storecnt_dscnt 0x0
	s_barrier_signal -1
	s_barrier_wait -1
	s_wait_xcnt 0x0
	s_and_saveexec_b32 s28, s0
	s_cbranch_execz .LBB91_55
; %bb.46:
	s_and_not1_b32 vcc_lo, exec_lo, s3
	s_cbranch_vccnz .LBB91_48
; %bb.47:
	scratch_load_b64 v[60:61], v59, off
	ds_load_b64 v[62:63], v1
	s_wait_loadcnt_dscnt 0x0
	v_pk_mul_f32 v[64:65], v[62:63], v[60:61] op_sel:[1,1] op_sel_hi:[0,1]
	s_delay_alu instid0(VALU_DEP_1) | instskip(SKIP_1) | instid1(VALU_DEP_2)
	v_pk_fma_f32 v[66:67], v[62:63], v[60:61], v[64:65] op_sel_hi:[1,0,1]
	v_pk_fma_f32 v[60:61], v[62:63], v[60:61], v[64:65] neg_lo:[0,0,1] neg_hi:[0,0,1]
	v_mov_b32_e32 v61, v67
	s_cbranch_execz .LBB91_49
	s_branch .LBB91_50
.LBB91_48:
                                        ; implicit-def: $vgpr60_vgpr61
.LBB91_49:
	ds_load_b64 v[60:61], v1
.LBB91_50:
	s_and_saveexec_b32 s29, s1
	s_cbranch_execz .LBB91_54
; %bb.51:
	v_subrev_nc_u32_e32 v62, 23, v0
	s_movk_i32 s30, 0x198
	s_mov_b32 s1, 0
.LBB91_52:                              ; =>This Inner Loop Header: Depth=1
	scratch_load_b64 v[64:65], off, s27
	v_dual_mov_b32 v63, s30 :: v_dual_add_nc_u32 v62, -1, v62
	s_add_co_i32 s30, s30, 8
	s_wait_xcnt 0x0
	s_add_co_i32 s27, s27, 8
	ds_load_b64 v[66:67], v63
	v_cmp_eq_u32_e32 vcc_lo, 0, v62
	s_or_b32 s1, vcc_lo, s1
	s_wait_loadcnt_dscnt 0x0
	v_pk_mul_f32 v[68:69], v[66:67], v[64:65] op_sel:[1,1] op_sel_hi:[0,1]
	s_delay_alu instid0(VALU_DEP_1) | instskip(SKIP_1) | instid1(VALU_DEP_2)
	v_pk_fma_f32 v[70:71], v[66:67], v[64:65], v[68:69] op_sel_hi:[1,0,1]
	v_pk_fma_f32 v[64:65], v[66:67], v[64:65], v[68:69] neg_lo:[0,0,1] neg_hi:[0,0,1]
	v_mov_b32_e32 v65, v71
	s_delay_alu instid0(VALU_DEP_1)
	v_pk_add_f32 v[60:61], v[60:61], v[64:65]
	s_and_not1_b32 exec_lo, exec_lo, s1
	s_cbranch_execnz .LBB91_52
; %bb.53:
	s_or_b32 exec_lo, exec_lo, s1
.LBB91_54:
	s_delay_alu instid0(SALU_CYCLE_1) | instskip(SKIP_4) | instid1(VALU_DEP_1)
	s_or_b32 exec_lo, exec_lo, s29
	v_mov_b32_e32 v62, 0
	ds_load_b64 v[62:63], v62 offset:176
	s_wait_dscnt 0x0
	v_pk_mul_f32 v[64:65], v[60:61], v[62:63] op_sel:[1,1] op_sel_hi:[0,1]
	v_pk_fma_f32 v[66:67], v[60:61], v[62:63], v[64:65] op_sel_hi:[1,0,1]
	v_pk_fma_f32 v[60:61], v[60:61], v[62:63], v[64:65] neg_lo:[0,0,1] neg_hi:[0,0,1]
	s_delay_alu instid0(VALU_DEP_2)
	v_mov_b32_e32 v61, v67
	scratch_store_b64 off, v[60:61], off offset:176
.LBB91_55:
	s_wait_xcnt 0x0
	s_or_b32 exec_lo, exec_lo, s28
	scratch_load_b64 v[60:61], off, off offset:168
	v_cmp_lt_u32_e64 s1, 21, v0
	s_wait_loadcnt 0x0
	ds_store_b64 v1, v[60:61]
	s_wait_storecnt_dscnt 0x0
	s_barrier_signal -1
	s_barrier_wait -1
	s_wait_xcnt 0x0
	s_and_saveexec_b32 s27, s1
	s_cbranch_execz .LBB91_65
; %bb.56:
	s_and_not1_b32 vcc_lo, exec_lo, s3
	s_cbranch_vccnz .LBB91_58
; %bb.57:
	scratch_load_b64 v[60:61], v59, off
	ds_load_b64 v[62:63], v1
	s_wait_loadcnt_dscnt 0x0
	v_pk_mul_f32 v[64:65], v[62:63], v[60:61] op_sel:[1,1] op_sel_hi:[0,1]
	s_delay_alu instid0(VALU_DEP_1) | instskip(SKIP_1) | instid1(VALU_DEP_2)
	v_pk_fma_f32 v[66:67], v[62:63], v[60:61], v[64:65] op_sel_hi:[1,0,1]
	v_pk_fma_f32 v[60:61], v[62:63], v[60:61], v[64:65] neg_lo:[0,0,1] neg_hi:[0,0,1]
	v_mov_b32_e32 v61, v67
	s_cbranch_execz .LBB91_59
	s_branch .LBB91_60
.LBB91_58:
                                        ; implicit-def: $vgpr60_vgpr61
.LBB91_59:
	ds_load_b64 v[60:61], v1
.LBB91_60:
	s_and_saveexec_b32 s28, s0
	s_cbranch_execz .LBB91_64
; %bb.61:
	v_subrev_nc_u32_e32 v62, 22, v0
	s_movk_i32 s29, 0x190
	s_mov_b32 s0, 0
.LBB91_62:                              ; =>This Inner Loop Header: Depth=1
	scratch_load_b64 v[64:65], off, s26
	v_dual_mov_b32 v63, s29 :: v_dual_add_nc_u32 v62, -1, v62
	s_add_co_i32 s29, s29, 8
	s_wait_xcnt 0x0
	s_add_co_i32 s26, s26, 8
	ds_load_b64 v[66:67], v63
	v_cmp_eq_u32_e32 vcc_lo, 0, v62
	s_or_b32 s0, vcc_lo, s0
	s_wait_loadcnt_dscnt 0x0
	v_pk_mul_f32 v[68:69], v[66:67], v[64:65] op_sel:[1,1] op_sel_hi:[0,1]
	s_delay_alu instid0(VALU_DEP_1) | instskip(SKIP_1) | instid1(VALU_DEP_2)
	v_pk_fma_f32 v[70:71], v[66:67], v[64:65], v[68:69] op_sel_hi:[1,0,1]
	v_pk_fma_f32 v[64:65], v[66:67], v[64:65], v[68:69] neg_lo:[0,0,1] neg_hi:[0,0,1]
	v_mov_b32_e32 v65, v71
	s_delay_alu instid0(VALU_DEP_1)
	v_pk_add_f32 v[60:61], v[60:61], v[64:65]
	s_and_not1_b32 exec_lo, exec_lo, s0
	s_cbranch_execnz .LBB91_62
; %bb.63:
	s_or_b32 exec_lo, exec_lo, s0
.LBB91_64:
	s_delay_alu instid0(SALU_CYCLE_1) | instskip(SKIP_4) | instid1(VALU_DEP_1)
	s_or_b32 exec_lo, exec_lo, s28
	v_mov_b32_e32 v62, 0
	ds_load_b64 v[62:63], v62 offset:168
	s_wait_dscnt 0x0
	v_pk_mul_f32 v[64:65], v[60:61], v[62:63] op_sel:[1,1] op_sel_hi:[0,1]
	v_pk_fma_f32 v[66:67], v[60:61], v[62:63], v[64:65] op_sel_hi:[1,0,1]
	v_pk_fma_f32 v[60:61], v[60:61], v[62:63], v[64:65] neg_lo:[0,0,1] neg_hi:[0,0,1]
	s_delay_alu instid0(VALU_DEP_2)
	v_mov_b32_e32 v61, v67
	scratch_store_b64 off, v[60:61], off offset:168
.LBB91_65:
	s_wait_xcnt 0x0
	s_or_b32 exec_lo, exec_lo, s27
	scratch_load_b64 v[60:61], off, off offset:160
	v_cmp_lt_u32_e64 s0, 20, v0
	s_wait_loadcnt 0x0
	ds_store_b64 v1, v[60:61]
	s_wait_storecnt_dscnt 0x0
	s_barrier_signal -1
	s_barrier_wait -1
	s_wait_xcnt 0x0
	s_and_saveexec_b32 s26, s0
	s_cbranch_execz .LBB91_75
; %bb.66:
	s_and_not1_b32 vcc_lo, exec_lo, s3
	s_cbranch_vccnz .LBB91_68
; %bb.67:
	scratch_load_b64 v[60:61], v59, off
	ds_load_b64 v[62:63], v1
	s_wait_loadcnt_dscnt 0x0
	v_pk_mul_f32 v[64:65], v[62:63], v[60:61] op_sel:[1,1] op_sel_hi:[0,1]
	s_delay_alu instid0(VALU_DEP_1) | instskip(SKIP_1) | instid1(VALU_DEP_2)
	v_pk_fma_f32 v[66:67], v[62:63], v[60:61], v[64:65] op_sel_hi:[1,0,1]
	v_pk_fma_f32 v[60:61], v[62:63], v[60:61], v[64:65] neg_lo:[0,0,1] neg_hi:[0,0,1]
	v_mov_b32_e32 v61, v67
	s_cbranch_execz .LBB91_69
	s_branch .LBB91_70
.LBB91_68:
                                        ; implicit-def: $vgpr60_vgpr61
.LBB91_69:
	ds_load_b64 v[60:61], v1
.LBB91_70:
	s_and_saveexec_b32 s27, s1
	s_cbranch_execz .LBB91_74
; %bb.71:
	v_subrev_nc_u32_e32 v62, 21, v0
	s_movk_i32 s28, 0x188
	s_mov_b32 s1, 0
.LBB91_72:                              ; =>This Inner Loop Header: Depth=1
	scratch_load_b64 v[64:65], off, s25
	v_dual_mov_b32 v63, s28 :: v_dual_add_nc_u32 v62, -1, v62
	s_add_co_i32 s28, s28, 8
	s_wait_xcnt 0x0
	s_add_co_i32 s25, s25, 8
	ds_load_b64 v[66:67], v63
	v_cmp_eq_u32_e32 vcc_lo, 0, v62
	s_or_b32 s1, vcc_lo, s1
	s_wait_loadcnt_dscnt 0x0
	v_pk_mul_f32 v[68:69], v[66:67], v[64:65] op_sel:[1,1] op_sel_hi:[0,1]
	s_delay_alu instid0(VALU_DEP_1) | instskip(SKIP_1) | instid1(VALU_DEP_2)
	v_pk_fma_f32 v[70:71], v[66:67], v[64:65], v[68:69] op_sel_hi:[1,0,1]
	v_pk_fma_f32 v[64:65], v[66:67], v[64:65], v[68:69] neg_lo:[0,0,1] neg_hi:[0,0,1]
	v_mov_b32_e32 v65, v71
	s_delay_alu instid0(VALU_DEP_1)
	v_pk_add_f32 v[60:61], v[60:61], v[64:65]
	s_and_not1_b32 exec_lo, exec_lo, s1
	s_cbranch_execnz .LBB91_72
; %bb.73:
	s_or_b32 exec_lo, exec_lo, s1
.LBB91_74:
	s_delay_alu instid0(SALU_CYCLE_1) | instskip(SKIP_4) | instid1(VALU_DEP_1)
	s_or_b32 exec_lo, exec_lo, s27
	v_mov_b32_e32 v62, 0
	ds_load_b64 v[62:63], v62 offset:160
	s_wait_dscnt 0x0
	v_pk_mul_f32 v[64:65], v[60:61], v[62:63] op_sel:[1,1] op_sel_hi:[0,1]
	v_pk_fma_f32 v[66:67], v[60:61], v[62:63], v[64:65] op_sel_hi:[1,0,1]
	v_pk_fma_f32 v[60:61], v[60:61], v[62:63], v[64:65] neg_lo:[0,0,1] neg_hi:[0,0,1]
	s_delay_alu instid0(VALU_DEP_2)
	v_mov_b32_e32 v61, v67
	scratch_store_b64 off, v[60:61], off offset:160
.LBB91_75:
	s_wait_xcnt 0x0
	s_or_b32 exec_lo, exec_lo, s26
	scratch_load_b64 v[60:61], off, off offset:152
	v_cmp_lt_u32_e64 s1, 19, v0
	s_wait_loadcnt 0x0
	ds_store_b64 v1, v[60:61]
	s_wait_storecnt_dscnt 0x0
	s_barrier_signal -1
	s_barrier_wait -1
	s_wait_xcnt 0x0
	s_and_saveexec_b32 s25, s1
	s_cbranch_execz .LBB91_85
; %bb.76:
	s_and_not1_b32 vcc_lo, exec_lo, s3
	s_cbranch_vccnz .LBB91_78
; %bb.77:
	scratch_load_b64 v[60:61], v59, off
	ds_load_b64 v[62:63], v1
	s_wait_loadcnt_dscnt 0x0
	v_pk_mul_f32 v[64:65], v[62:63], v[60:61] op_sel:[1,1] op_sel_hi:[0,1]
	s_delay_alu instid0(VALU_DEP_1) | instskip(SKIP_1) | instid1(VALU_DEP_2)
	v_pk_fma_f32 v[66:67], v[62:63], v[60:61], v[64:65] op_sel_hi:[1,0,1]
	v_pk_fma_f32 v[60:61], v[62:63], v[60:61], v[64:65] neg_lo:[0,0,1] neg_hi:[0,0,1]
	v_mov_b32_e32 v61, v67
	s_cbranch_execz .LBB91_79
	s_branch .LBB91_80
.LBB91_78:
                                        ; implicit-def: $vgpr60_vgpr61
.LBB91_79:
	ds_load_b64 v[60:61], v1
.LBB91_80:
	s_and_saveexec_b32 s26, s0
	s_cbranch_execz .LBB91_84
; %bb.81:
	v_subrev_nc_u32_e32 v62, 20, v0
	s_movk_i32 s27, 0x180
	s_mov_b32 s0, 0
.LBB91_82:                              ; =>This Inner Loop Header: Depth=1
	scratch_load_b64 v[64:65], off, s24
	v_dual_mov_b32 v63, s27 :: v_dual_add_nc_u32 v62, -1, v62
	s_add_co_i32 s27, s27, 8
	s_wait_xcnt 0x0
	s_add_co_i32 s24, s24, 8
	ds_load_b64 v[66:67], v63
	v_cmp_eq_u32_e32 vcc_lo, 0, v62
	s_or_b32 s0, vcc_lo, s0
	s_wait_loadcnt_dscnt 0x0
	v_pk_mul_f32 v[68:69], v[66:67], v[64:65] op_sel:[1,1] op_sel_hi:[0,1]
	s_delay_alu instid0(VALU_DEP_1) | instskip(SKIP_1) | instid1(VALU_DEP_2)
	v_pk_fma_f32 v[70:71], v[66:67], v[64:65], v[68:69] op_sel_hi:[1,0,1]
	v_pk_fma_f32 v[64:65], v[66:67], v[64:65], v[68:69] neg_lo:[0,0,1] neg_hi:[0,0,1]
	v_mov_b32_e32 v65, v71
	s_delay_alu instid0(VALU_DEP_1)
	v_pk_add_f32 v[60:61], v[60:61], v[64:65]
	s_and_not1_b32 exec_lo, exec_lo, s0
	s_cbranch_execnz .LBB91_82
; %bb.83:
	s_or_b32 exec_lo, exec_lo, s0
.LBB91_84:
	s_delay_alu instid0(SALU_CYCLE_1) | instskip(SKIP_4) | instid1(VALU_DEP_1)
	s_or_b32 exec_lo, exec_lo, s26
	v_mov_b32_e32 v62, 0
	ds_load_b64 v[62:63], v62 offset:152
	s_wait_dscnt 0x0
	v_pk_mul_f32 v[64:65], v[60:61], v[62:63] op_sel:[1,1] op_sel_hi:[0,1]
	v_pk_fma_f32 v[66:67], v[60:61], v[62:63], v[64:65] op_sel_hi:[1,0,1]
	v_pk_fma_f32 v[60:61], v[60:61], v[62:63], v[64:65] neg_lo:[0,0,1] neg_hi:[0,0,1]
	s_delay_alu instid0(VALU_DEP_2)
	v_mov_b32_e32 v61, v67
	scratch_store_b64 off, v[60:61], off offset:152
.LBB91_85:
	s_wait_xcnt 0x0
	s_or_b32 exec_lo, exec_lo, s25
	scratch_load_b64 v[60:61], off, off offset:144
	v_cmp_lt_u32_e64 s0, 18, v0
	s_wait_loadcnt 0x0
	ds_store_b64 v1, v[60:61]
	s_wait_storecnt_dscnt 0x0
	s_barrier_signal -1
	s_barrier_wait -1
	s_wait_xcnt 0x0
	s_and_saveexec_b32 s24, s0
	s_cbranch_execz .LBB91_95
; %bb.86:
	s_and_not1_b32 vcc_lo, exec_lo, s3
	s_cbranch_vccnz .LBB91_88
; %bb.87:
	scratch_load_b64 v[60:61], v59, off
	ds_load_b64 v[62:63], v1
	s_wait_loadcnt_dscnt 0x0
	v_pk_mul_f32 v[64:65], v[62:63], v[60:61] op_sel:[1,1] op_sel_hi:[0,1]
	s_delay_alu instid0(VALU_DEP_1) | instskip(SKIP_1) | instid1(VALU_DEP_2)
	v_pk_fma_f32 v[66:67], v[62:63], v[60:61], v[64:65] op_sel_hi:[1,0,1]
	v_pk_fma_f32 v[60:61], v[62:63], v[60:61], v[64:65] neg_lo:[0,0,1] neg_hi:[0,0,1]
	v_mov_b32_e32 v61, v67
	s_cbranch_execz .LBB91_89
	s_branch .LBB91_90
.LBB91_88:
                                        ; implicit-def: $vgpr60_vgpr61
.LBB91_89:
	ds_load_b64 v[60:61], v1
.LBB91_90:
	s_and_saveexec_b32 s25, s1
	s_cbranch_execz .LBB91_94
; %bb.91:
	v_subrev_nc_u32_e32 v62, 19, v0
	s_movk_i32 s26, 0x178
	s_mov_b32 s1, 0
.LBB91_92:                              ; =>This Inner Loop Header: Depth=1
	scratch_load_b64 v[64:65], off, s23
	v_dual_mov_b32 v63, s26 :: v_dual_add_nc_u32 v62, -1, v62
	s_add_co_i32 s26, s26, 8
	s_wait_xcnt 0x0
	s_add_co_i32 s23, s23, 8
	ds_load_b64 v[66:67], v63
	v_cmp_eq_u32_e32 vcc_lo, 0, v62
	s_or_b32 s1, vcc_lo, s1
	s_wait_loadcnt_dscnt 0x0
	v_pk_mul_f32 v[68:69], v[66:67], v[64:65] op_sel:[1,1] op_sel_hi:[0,1]
	s_delay_alu instid0(VALU_DEP_1) | instskip(SKIP_1) | instid1(VALU_DEP_2)
	v_pk_fma_f32 v[70:71], v[66:67], v[64:65], v[68:69] op_sel_hi:[1,0,1]
	v_pk_fma_f32 v[64:65], v[66:67], v[64:65], v[68:69] neg_lo:[0,0,1] neg_hi:[0,0,1]
	v_mov_b32_e32 v65, v71
	s_delay_alu instid0(VALU_DEP_1)
	v_pk_add_f32 v[60:61], v[60:61], v[64:65]
	s_and_not1_b32 exec_lo, exec_lo, s1
	s_cbranch_execnz .LBB91_92
; %bb.93:
	s_or_b32 exec_lo, exec_lo, s1
.LBB91_94:
	s_delay_alu instid0(SALU_CYCLE_1) | instskip(SKIP_4) | instid1(VALU_DEP_1)
	s_or_b32 exec_lo, exec_lo, s25
	v_mov_b32_e32 v62, 0
	ds_load_b64 v[62:63], v62 offset:144
	s_wait_dscnt 0x0
	v_pk_mul_f32 v[64:65], v[60:61], v[62:63] op_sel:[1,1] op_sel_hi:[0,1]
	v_pk_fma_f32 v[66:67], v[60:61], v[62:63], v[64:65] op_sel_hi:[1,0,1]
	v_pk_fma_f32 v[60:61], v[60:61], v[62:63], v[64:65] neg_lo:[0,0,1] neg_hi:[0,0,1]
	s_delay_alu instid0(VALU_DEP_2)
	v_mov_b32_e32 v61, v67
	scratch_store_b64 off, v[60:61], off offset:144
.LBB91_95:
	s_wait_xcnt 0x0
	s_or_b32 exec_lo, exec_lo, s24
	scratch_load_b64 v[60:61], off, off offset:136
	v_cmp_lt_u32_e64 s1, 17, v0
	s_wait_loadcnt 0x0
	ds_store_b64 v1, v[60:61]
	s_wait_storecnt_dscnt 0x0
	s_barrier_signal -1
	s_barrier_wait -1
	s_wait_xcnt 0x0
	s_and_saveexec_b32 s23, s1
	s_cbranch_execz .LBB91_105
; %bb.96:
	s_and_not1_b32 vcc_lo, exec_lo, s3
	s_cbranch_vccnz .LBB91_98
; %bb.97:
	scratch_load_b64 v[60:61], v59, off
	ds_load_b64 v[62:63], v1
	s_wait_loadcnt_dscnt 0x0
	v_pk_mul_f32 v[64:65], v[62:63], v[60:61] op_sel:[1,1] op_sel_hi:[0,1]
	s_delay_alu instid0(VALU_DEP_1) | instskip(SKIP_1) | instid1(VALU_DEP_2)
	v_pk_fma_f32 v[66:67], v[62:63], v[60:61], v[64:65] op_sel_hi:[1,0,1]
	v_pk_fma_f32 v[60:61], v[62:63], v[60:61], v[64:65] neg_lo:[0,0,1] neg_hi:[0,0,1]
	v_mov_b32_e32 v61, v67
	s_cbranch_execz .LBB91_99
	s_branch .LBB91_100
.LBB91_98:
                                        ; implicit-def: $vgpr60_vgpr61
.LBB91_99:
	ds_load_b64 v[60:61], v1
.LBB91_100:
	s_and_saveexec_b32 s24, s0
	s_cbranch_execz .LBB91_104
; %bb.101:
	v_subrev_nc_u32_e32 v62, 18, v0
	s_movk_i32 s25, 0x170
	s_mov_b32 s0, 0
.LBB91_102:                             ; =>This Inner Loop Header: Depth=1
	scratch_load_b64 v[64:65], off, s22
	v_dual_mov_b32 v63, s25 :: v_dual_add_nc_u32 v62, -1, v62
	s_add_co_i32 s25, s25, 8
	s_wait_xcnt 0x0
	s_add_co_i32 s22, s22, 8
	ds_load_b64 v[66:67], v63
	v_cmp_eq_u32_e32 vcc_lo, 0, v62
	s_or_b32 s0, vcc_lo, s0
	s_wait_loadcnt_dscnt 0x0
	v_pk_mul_f32 v[68:69], v[66:67], v[64:65] op_sel:[1,1] op_sel_hi:[0,1]
	s_delay_alu instid0(VALU_DEP_1) | instskip(SKIP_1) | instid1(VALU_DEP_2)
	v_pk_fma_f32 v[70:71], v[66:67], v[64:65], v[68:69] op_sel_hi:[1,0,1]
	v_pk_fma_f32 v[64:65], v[66:67], v[64:65], v[68:69] neg_lo:[0,0,1] neg_hi:[0,0,1]
	v_mov_b32_e32 v65, v71
	s_delay_alu instid0(VALU_DEP_1)
	v_pk_add_f32 v[60:61], v[60:61], v[64:65]
	s_and_not1_b32 exec_lo, exec_lo, s0
	s_cbranch_execnz .LBB91_102
; %bb.103:
	s_or_b32 exec_lo, exec_lo, s0
.LBB91_104:
	s_delay_alu instid0(SALU_CYCLE_1) | instskip(SKIP_4) | instid1(VALU_DEP_1)
	s_or_b32 exec_lo, exec_lo, s24
	v_mov_b32_e32 v62, 0
	ds_load_b64 v[62:63], v62 offset:136
	s_wait_dscnt 0x0
	v_pk_mul_f32 v[64:65], v[60:61], v[62:63] op_sel:[1,1] op_sel_hi:[0,1]
	v_pk_fma_f32 v[66:67], v[60:61], v[62:63], v[64:65] op_sel_hi:[1,0,1]
	v_pk_fma_f32 v[60:61], v[60:61], v[62:63], v[64:65] neg_lo:[0,0,1] neg_hi:[0,0,1]
	s_delay_alu instid0(VALU_DEP_2)
	v_mov_b32_e32 v61, v67
	scratch_store_b64 off, v[60:61], off offset:136
.LBB91_105:
	s_wait_xcnt 0x0
	s_or_b32 exec_lo, exec_lo, s23
	scratch_load_b64 v[60:61], off, off offset:128
	v_cmp_lt_u32_e64 s0, 16, v0
	s_wait_loadcnt 0x0
	ds_store_b64 v1, v[60:61]
	s_wait_storecnt_dscnt 0x0
	s_barrier_signal -1
	s_barrier_wait -1
	s_wait_xcnt 0x0
	s_and_saveexec_b32 s22, s0
	s_cbranch_execz .LBB91_115
; %bb.106:
	s_and_not1_b32 vcc_lo, exec_lo, s3
	s_cbranch_vccnz .LBB91_108
; %bb.107:
	scratch_load_b64 v[60:61], v59, off
	ds_load_b64 v[62:63], v1
	s_wait_loadcnt_dscnt 0x0
	v_pk_mul_f32 v[64:65], v[62:63], v[60:61] op_sel:[1,1] op_sel_hi:[0,1]
	s_delay_alu instid0(VALU_DEP_1) | instskip(SKIP_1) | instid1(VALU_DEP_2)
	v_pk_fma_f32 v[66:67], v[62:63], v[60:61], v[64:65] op_sel_hi:[1,0,1]
	v_pk_fma_f32 v[60:61], v[62:63], v[60:61], v[64:65] neg_lo:[0,0,1] neg_hi:[0,0,1]
	v_mov_b32_e32 v61, v67
	s_cbranch_execz .LBB91_109
	s_branch .LBB91_110
.LBB91_108:
                                        ; implicit-def: $vgpr60_vgpr61
.LBB91_109:
	ds_load_b64 v[60:61], v1
.LBB91_110:
	s_and_saveexec_b32 s23, s1
	s_cbranch_execz .LBB91_114
; %bb.111:
	v_subrev_nc_u32_e32 v62, 17, v0
	s_movk_i32 s24, 0x168
	s_mov_b32 s1, 0
.LBB91_112:                             ; =>This Inner Loop Header: Depth=1
	scratch_load_b64 v[64:65], off, s21
	v_dual_mov_b32 v63, s24 :: v_dual_add_nc_u32 v62, -1, v62
	s_add_co_i32 s24, s24, 8
	s_wait_xcnt 0x0
	s_add_co_i32 s21, s21, 8
	ds_load_b64 v[66:67], v63
	v_cmp_eq_u32_e32 vcc_lo, 0, v62
	s_or_b32 s1, vcc_lo, s1
	s_wait_loadcnt_dscnt 0x0
	v_pk_mul_f32 v[68:69], v[66:67], v[64:65] op_sel:[1,1] op_sel_hi:[0,1]
	s_delay_alu instid0(VALU_DEP_1) | instskip(SKIP_1) | instid1(VALU_DEP_2)
	v_pk_fma_f32 v[70:71], v[66:67], v[64:65], v[68:69] op_sel_hi:[1,0,1]
	v_pk_fma_f32 v[64:65], v[66:67], v[64:65], v[68:69] neg_lo:[0,0,1] neg_hi:[0,0,1]
	v_mov_b32_e32 v65, v71
	s_delay_alu instid0(VALU_DEP_1)
	v_pk_add_f32 v[60:61], v[60:61], v[64:65]
	s_and_not1_b32 exec_lo, exec_lo, s1
	s_cbranch_execnz .LBB91_112
; %bb.113:
	s_or_b32 exec_lo, exec_lo, s1
.LBB91_114:
	s_delay_alu instid0(SALU_CYCLE_1) | instskip(SKIP_4) | instid1(VALU_DEP_1)
	s_or_b32 exec_lo, exec_lo, s23
	v_mov_b32_e32 v62, 0
	ds_load_b64 v[62:63], v62 offset:128
	s_wait_dscnt 0x0
	v_pk_mul_f32 v[64:65], v[60:61], v[62:63] op_sel:[1,1] op_sel_hi:[0,1]
	v_pk_fma_f32 v[66:67], v[60:61], v[62:63], v[64:65] op_sel_hi:[1,0,1]
	v_pk_fma_f32 v[60:61], v[60:61], v[62:63], v[64:65] neg_lo:[0,0,1] neg_hi:[0,0,1]
	s_delay_alu instid0(VALU_DEP_2)
	v_mov_b32_e32 v61, v67
	scratch_store_b64 off, v[60:61], off offset:128
.LBB91_115:
	s_wait_xcnt 0x0
	s_or_b32 exec_lo, exec_lo, s22
	scratch_load_b64 v[60:61], off, off offset:120
	v_cmp_lt_u32_e64 s1, 15, v0
	s_wait_loadcnt 0x0
	ds_store_b64 v1, v[60:61]
	s_wait_storecnt_dscnt 0x0
	s_barrier_signal -1
	s_barrier_wait -1
	s_wait_xcnt 0x0
	s_and_saveexec_b32 s21, s1
	s_cbranch_execz .LBB91_125
; %bb.116:
	s_and_not1_b32 vcc_lo, exec_lo, s3
	s_cbranch_vccnz .LBB91_118
; %bb.117:
	scratch_load_b64 v[60:61], v59, off
	ds_load_b64 v[62:63], v1
	s_wait_loadcnt_dscnt 0x0
	v_pk_mul_f32 v[64:65], v[62:63], v[60:61] op_sel:[1,1] op_sel_hi:[0,1]
	s_delay_alu instid0(VALU_DEP_1) | instskip(SKIP_1) | instid1(VALU_DEP_2)
	v_pk_fma_f32 v[66:67], v[62:63], v[60:61], v[64:65] op_sel_hi:[1,0,1]
	v_pk_fma_f32 v[60:61], v[62:63], v[60:61], v[64:65] neg_lo:[0,0,1] neg_hi:[0,0,1]
	v_mov_b32_e32 v61, v67
	s_cbranch_execz .LBB91_119
	s_branch .LBB91_120
.LBB91_118:
                                        ; implicit-def: $vgpr60_vgpr61
.LBB91_119:
	ds_load_b64 v[60:61], v1
.LBB91_120:
	s_and_saveexec_b32 s22, s0
	s_cbranch_execz .LBB91_124
; %bb.121:
	v_add_nc_u32_e32 v62, -16, v0
	s_movk_i32 s23, 0x160
	s_mov_b32 s0, 0
.LBB91_122:                             ; =>This Inner Loop Header: Depth=1
	scratch_load_b64 v[64:65], off, s20
	v_dual_mov_b32 v63, s23 :: v_dual_add_nc_u32 v62, -1, v62
	s_add_co_i32 s23, s23, 8
	s_wait_xcnt 0x0
	s_add_co_i32 s20, s20, 8
	ds_load_b64 v[66:67], v63
	v_cmp_eq_u32_e32 vcc_lo, 0, v62
	s_or_b32 s0, vcc_lo, s0
	s_wait_loadcnt_dscnt 0x0
	v_pk_mul_f32 v[68:69], v[66:67], v[64:65] op_sel:[1,1] op_sel_hi:[0,1]
	s_delay_alu instid0(VALU_DEP_1) | instskip(SKIP_1) | instid1(VALU_DEP_2)
	v_pk_fma_f32 v[70:71], v[66:67], v[64:65], v[68:69] op_sel_hi:[1,0,1]
	v_pk_fma_f32 v[64:65], v[66:67], v[64:65], v[68:69] neg_lo:[0,0,1] neg_hi:[0,0,1]
	v_mov_b32_e32 v65, v71
	s_delay_alu instid0(VALU_DEP_1)
	v_pk_add_f32 v[60:61], v[60:61], v[64:65]
	s_and_not1_b32 exec_lo, exec_lo, s0
	s_cbranch_execnz .LBB91_122
; %bb.123:
	s_or_b32 exec_lo, exec_lo, s0
.LBB91_124:
	s_delay_alu instid0(SALU_CYCLE_1) | instskip(SKIP_4) | instid1(VALU_DEP_1)
	s_or_b32 exec_lo, exec_lo, s22
	v_mov_b32_e32 v62, 0
	ds_load_b64 v[62:63], v62 offset:120
	s_wait_dscnt 0x0
	v_pk_mul_f32 v[64:65], v[60:61], v[62:63] op_sel:[1,1] op_sel_hi:[0,1]
	v_pk_fma_f32 v[66:67], v[60:61], v[62:63], v[64:65] op_sel_hi:[1,0,1]
	v_pk_fma_f32 v[60:61], v[60:61], v[62:63], v[64:65] neg_lo:[0,0,1] neg_hi:[0,0,1]
	s_delay_alu instid0(VALU_DEP_2)
	v_mov_b32_e32 v61, v67
	scratch_store_b64 off, v[60:61], off offset:120
.LBB91_125:
	s_wait_xcnt 0x0
	s_or_b32 exec_lo, exec_lo, s21
	scratch_load_b64 v[60:61], off, off offset:112
	v_cmp_lt_u32_e64 s0, 14, v0
	s_wait_loadcnt 0x0
	ds_store_b64 v1, v[60:61]
	s_wait_storecnt_dscnt 0x0
	s_barrier_signal -1
	s_barrier_wait -1
	s_wait_xcnt 0x0
	s_and_saveexec_b32 s20, s0
	s_cbranch_execz .LBB91_135
; %bb.126:
	s_and_not1_b32 vcc_lo, exec_lo, s3
	s_cbranch_vccnz .LBB91_128
; %bb.127:
	scratch_load_b64 v[60:61], v59, off
	ds_load_b64 v[62:63], v1
	s_wait_loadcnt_dscnt 0x0
	v_pk_mul_f32 v[64:65], v[62:63], v[60:61] op_sel:[1,1] op_sel_hi:[0,1]
	s_delay_alu instid0(VALU_DEP_1) | instskip(SKIP_1) | instid1(VALU_DEP_2)
	v_pk_fma_f32 v[66:67], v[62:63], v[60:61], v[64:65] op_sel_hi:[1,0,1]
	v_pk_fma_f32 v[60:61], v[62:63], v[60:61], v[64:65] neg_lo:[0,0,1] neg_hi:[0,0,1]
	v_mov_b32_e32 v61, v67
	s_cbranch_execz .LBB91_129
	s_branch .LBB91_130
.LBB91_128:
                                        ; implicit-def: $vgpr60_vgpr61
.LBB91_129:
	ds_load_b64 v[60:61], v1
.LBB91_130:
	s_and_saveexec_b32 s21, s1
	s_cbranch_execz .LBB91_134
; %bb.131:
	v_add_nc_u32_e32 v62, -15, v0
	s_movk_i32 s22, 0x158
	s_mov_b32 s1, 0
.LBB91_132:                             ; =>This Inner Loop Header: Depth=1
	scratch_load_b64 v[64:65], off, s19
	v_dual_mov_b32 v63, s22 :: v_dual_add_nc_u32 v62, -1, v62
	s_add_co_i32 s22, s22, 8
	s_wait_xcnt 0x0
	s_add_co_i32 s19, s19, 8
	ds_load_b64 v[66:67], v63
	v_cmp_eq_u32_e32 vcc_lo, 0, v62
	s_or_b32 s1, vcc_lo, s1
	s_wait_loadcnt_dscnt 0x0
	v_pk_mul_f32 v[68:69], v[66:67], v[64:65] op_sel:[1,1] op_sel_hi:[0,1]
	s_delay_alu instid0(VALU_DEP_1) | instskip(SKIP_1) | instid1(VALU_DEP_2)
	v_pk_fma_f32 v[70:71], v[66:67], v[64:65], v[68:69] op_sel_hi:[1,0,1]
	v_pk_fma_f32 v[64:65], v[66:67], v[64:65], v[68:69] neg_lo:[0,0,1] neg_hi:[0,0,1]
	v_mov_b32_e32 v65, v71
	s_delay_alu instid0(VALU_DEP_1)
	v_pk_add_f32 v[60:61], v[60:61], v[64:65]
	s_and_not1_b32 exec_lo, exec_lo, s1
	s_cbranch_execnz .LBB91_132
; %bb.133:
	s_or_b32 exec_lo, exec_lo, s1
.LBB91_134:
	s_delay_alu instid0(SALU_CYCLE_1) | instskip(SKIP_4) | instid1(VALU_DEP_1)
	s_or_b32 exec_lo, exec_lo, s21
	v_mov_b32_e32 v62, 0
	ds_load_b64 v[62:63], v62 offset:112
	s_wait_dscnt 0x0
	v_pk_mul_f32 v[64:65], v[60:61], v[62:63] op_sel:[1,1] op_sel_hi:[0,1]
	v_pk_fma_f32 v[66:67], v[60:61], v[62:63], v[64:65] op_sel_hi:[1,0,1]
	v_pk_fma_f32 v[60:61], v[60:61], v[62:63], v[64:65] neg_lo:[0,0,1] neg_hi:[0,0,1]
	s_delay_alu instid0(VALU_DEP_2)
	v_mov_b32_e32 v61, v67
	scratch_store_b64 off, v[60:61], off offset:112
.LBB91_135:
	s_wait_xcnt 0x0
	s_or_b32 exec_lo, exec_lo, s20
	scratch_load_b64 v[60:61], off, off offset:104
	v_cmp_lt_u32_e64 s1, 13, v0
	s_wait_loadcnt 0x0
	ds_store_b64 v1, v[60:61]
	s_wait_storecnt_dscnt 0x0
	s_barrier_signal -1
	s_barrier_wait -1
	s_wait_xcnt 0x0
	s_and_saveexec_b32 s19, s1
	s_cbranch_execz .LBB91_145
; %bb.136:
	s_and_not1_b32 vcc_lo, exec_lo, s3
	s_cbranch_vccnz .LBB91_138
; %bb.137:
	scratch_load_b64 v[60:61], v59, off
	ds_load_b64 v[62:63], v1
	s_wait_loadcnt_dscnt 0x0
	v_pk_mul_f32 v[64:65], v[62:63], v[60:61] op_sel:[1,1] op_sel_hi:[0,1]
	s_delay_alu instid0(VALU_DEP_1) | instskip(SKIP_1) | instid1(VALU_DEP_2)
	v_pk_fma_f32 v[66:67], v[62:63], v[60:61], v[64:65] op_sel_hi:[1,0,1]
	v_pk_fma_f32 v[60:61], v[62:63], v[60:61], v[64:65] neg_lo:[0,0,1] neg_hi:[0,0,1]
	v_mov_b32_e32 v61, v67
	s_cbranch_execz .LBB91_139
	s_branch .LBB91_140
.LBB91_138:
                                        ; implicit-def: $vgpr60_vgpr61
.LBB91_139:
	ds_load_b64 v[60:61], v1
.LBB91_140:
	s_and_saveexec_b32 s20, s0
	s_cbranch_execz .LBB91_144
; %bb.141:
	v_add_nc_u32_e32 v62, -14, v0
	s_movk_i32 s21, 0x150
	s_mov_b32 s0, 0
.LBB91_142:                             ; =>This Inner Loop Header: Depth=1
	scratch_load_b64 v[64:65], off, s18
	v_dual_mov_b32 v63, s21 :: v_dual_add_nc_u32 v62, -1, v62
	s_add_co_i32 s21, s21, 8
	s_wait_xcnt 0x0
	s_add_co_i32 s18, s18, 8
	ds_load_b64 v[66:67], v63
	v_cmp_eq_u32_e32 vcc_lo, 0, v62
	s_or_b32 s0, vcc_lo, s0
	s_wait_loadcnt_dscnt 0x0
	v_pk_mul_f32 v[68:69], v[66:67], v[64:65] op_sel:[1,1] op_sel_hi:[0,1]
	s_delay_alu instid0(VALU_DEP_1) | instskip(SKIP_1) | instid1(VALU_DEP_2)
	v_pk_fma_f32 v[70:71], v[66:67], v[64:65], v[68:69] op_sel_hi:[1,0,1]
	v_pk_fma_f32 v[64:65], v[66:67], v[64:65], v[68:69] neg_lo:[0,0,1] neg_hi:[0,0,1]
	v_mov_b32_e32 v65, v71
	s_delay_alu instid0(VALU_DEP_1)
	v_pk_add_f32 v[60:61], v[60:61], v[64:65]
	s_and_not1_b32 exec_lo, exec_lo, s0
	s_cbranch_execnz .LBB91_142
; %bb.143:
	s_or_b32 exec_lo, exec_lo, s0
.LBB91_144:
	s_delay_alu instid0(SALU_CYCLE_1) | instskip(SKIP_4) | instid1(VALU_DEP_1)
	s_or_b32 exec_lo, exec_lo, s20
	v_mov_b32_e32 v62, 0
	ds_load_b64 v[62:63], v62 offset:104
	s_wait_dscnt 0x0
	v_pk_mul_f32 v[64:65], v[60:61], v[62:63] op_sel:[1,1] op_sel_hi:[0,1]
	v_pk_fma_f32 v[66:67], v[60:61], v[62:63], v[64:65] op_sel_hi:[1,0,1]
	v_pk_fma_f32 v[60:61], v[60:61], v[62:63], v[64:65] neg_lo:[0,0,1] neg_hi:[0,0,1]
	s_delay_alu instid0(VALU_DEP_2)
	v_mov_b32_e32 v61, v67
	scratch_store_b64 off, v[60:61], off offset:104
.LBB91_145:
	s_wait_xcnt 0x0
	s_or_b32 exec_lo, exec_lo, s19
	scratch_load_b64 v[60:61], off, off offset:96
	v_cmp_lt_u32_e64 s0, 12, v0
	s_wait_loadcnt 0x0
	ds_store_b64 v1, v[60:61]
	s_wait_storecnt_dscnt 0x0
	s_barrier_signal -1
	s_barrier_wait -1
	s_wait_xcnt 0x0
	s_and_saveexec_b32 s18, s0
	s_cbranch_execz .LBB91_155
; %bb.146:
	s_and_not1_b32 vcc_lo, exec_lo, s3
	s_cbranch_vccnz .LBB91_148
; %bb.147:
	scratch_load_b64 v[60:61], v59, off
	ds_load_b64 v[62:63], v1
	s_wait_loadcnt_dscnt 0x0
	v_pk_mul_f32 v[64:65], v[62:63], v[60:61] op_sel:[1,1] op_sel_hi:[0,1]
	s_delay_alu instid0(VALU_DEP_1) | instskip(SKIP_1) | instid1(VALU_DEP_2)
	v_pk_fma_f32 v[66:67], v[62:63], v[60:61], v[64:65] op_sel_hi:[1,0,1]
	v_pk_fma_f32 v[60:61], v[62:63], v[60:61], v[64:65] neg_lo:[0,0,1] neg_hi:[0,0,1]
	v_mov_b32_e32 v61, v67
	s_cbranch_execz .LBB91_149
	s_branch .LBB91_150
.LBB91_148:
                                        ; implicit-def: $vgpr60_vgpr61
.LBB91_149:
	ds_load_b64 v[60:61], v1
.LBB91_150:
	s_and_saveexec_b32 s19, s1
	s_cbranch_execz .LBB91_154
; %bb.151:
	v_add_nc_u32_e32 v62, -13, v0
	s_movk_i32 s20, 0x148
	s_mov_b32 s1, 0
.LBB91_152:                             ; =>This Inner Loop Header: Depth=1
	scratch_load_b64 v[64:65], off, s17
	v_dual_mov_b32 v63, s20 :: v_dual_add_nc_u32 v62, -1, v62
	s_add_co_i32 s20, s20, 8
	s_wait_xcnt 0x0
	s_add_co_i32 s17, s17, 8
	ds_load_b64 v[66:67], v63
	v_cmp_eq_u32_e32 vcc_lo, 0, v62
	s_or_b32 s1, vcc_lo, s1
	s_wait_loadcnt_dscnt 0x0
	v_pk_mul_f32 v[68:69], v[66:67], v[64:65] op_sel:[1,1] op_sel_hi:[0,1]
	s_delay_alu instid0(VALU_DEP_1) | instskip(SKIP_1) | instid1(VALU_DEP_2)
	v_pk_fma_f32 v[70:71], v[66:67], v[64:65], v[68:69] op_sel_hi:[1,0,1]
	v_pk_fma_f32 v[64:65], v[66:67], v[64:65], v[68:69] neg_lo:[0,0,1] neg_hi:[0,0,1]
	v_mov_b32_e32 v65, v71
	s_delay_alu instid0(VALU_DEP_1)
	v_pk_add_f32 v[60:61], v[60:61], v[64:65]
	s_and_not1_b32 exec_lo, exec_lo, s1
	s_cbranch_execnz .LBB91_152
; %bb.153:
	s_or_b32 exec_lo, exec_lo, s1
.LBB91_154:
	s_delay_alu instid0(SALU_CYCLE_1) | instskip(SKIP_4) | instid1(VALU_DEP_1)
	s_or_b32 exec_lo, exec_lo, s19
	v_mov_b32_e32 v62, 0
	ds_load_b64 v[62:63], v62 offset:96
	s_wait_dscnt 0x0
	v_pk_mul_f32 v[64:65], v[60:61], v[62:63] op_sel:[1,1] op_sel_hi:[0,1]
	v_pk_fma_f32 v[66:67], v[60:61], v[62:63], v[64:65] op_sel_hi:[1,0,1]
	v_pk_fma_f32 v[60:61], v[60:61], v[62:63], v[64:65] neg_lo:[0,0,1] neg_hi:[0,0,1]
	s_delay_alu instid0(VALU_DEP_2)
	v_mov_b32_e32 v61, v67
	scratch_store_b64 off, v[60:61], off offset:96
.LBB91_155:
	s_wait_xcnt 0x0
	s_or_b32 exec_lo, exec_lo, s18
	scratch_load_b64 v[60:61], off, off offset:88
	v_cmp_lt_u32_e64 s1, 11, v0
	s_wait_loadcnt 0x0
	ds_store_b64 v1, v[60:61]
	s_wait_storecnt_dscnt 0x0
	s_barrier_signal -1
	s_barrier_wait -1
	s_wait_xcnt 0x0
	s_and_saveexec_b32 s17, s1
	s_cbranch_execz .LBB91_165
; %bb.156:
	s_and_not1_b32 vcc_lo, exec_lo, s3
	s_cbranch_vccnz .LBB91_158
; %bb.157:
	scratch_load_b64 v[60:61], v59, off
	ds_load_b64 v[62:63], v1
	s_wait_loadcnt_dscnt 0x0
	v_pk_mul_f32 v[64:65], v[62:63], v[60:61] op_sel:[1,1] op_sel_hi:[0,1]
	s_delay_alu instid0(VALU_DEP_1) | instskip(SKIP_1) | instid1(VALU_DEP_2)
	v_pk_fma_f32 v[66:67], v[62:63], v[60:61], v[64:65] op_sel_hi:[1,0,1]
	v_pk_fma_f32 v[60:61], v[62:63], v[60:61], v[64:65] neg_lo:[0,0,1] neg_hi:[0,0,1]
	v_mov_b32_e32 v61, v67
	s_cbranch_execz .LBB91_159
	s_branch .LBB91_160
.LBB91_158:
                                        ; implicit-def: $vgpr60_vgpr61
.LBB91_159:
	ds_load_b64 v[60:61], v1
.LBB91_160:
	s_and_saveexec_b32 s18, s0
	s_cbranch_execz .LBB91_164
; %bb.161:
	v_add_nc_u32_e32 v62, -12, v0
	s_movk_i32 s19, 0x140
	s_mov_b32 s0, 0
.LBB91_162:                             ; =>This Inner Loop Header: Depth=1
	scratch_load_b64 v[64:65], off, s16
	v_dual_mov_b32 v63, s19 :: v_dual_add_nc_u32 v62, -1, v62
	s_add_co_i32 s19, s19, 8
	s_wait_xcnt 0x0
	s_add_co_i32 s16, s16, 8
	ds_load_b64 v[66:67], v63
	v_cmp_eq_u32_e32 vcc_lo, 0, v62
	s_or_b32 s0, vcc_lo, s0
	s_wait_loadcnt_dscnt 0x0
	v_pk_mul_f32 v[68:69], v[66:67], v[64:65] op_sel:[1,1] op_sel_hi:[0,1]
	s_delay_alu instid0(VALU_DEP_1) | instskip(SKIP_1) | instid1(VALU_DEP_2)
	v_pk_fma_f32 v[70:71], v[66:67], v[64:65], v[68:69] op_sel_hi:[1,0,1]
	v_pk_fma_f32 v[64:65], v[66:67], v[64:65], v[68:69] neg_lo:[0,0,1] neg_hi:[0,0,1]
	v_mov_b32_e32 v65, v71
	s_delay_alu instid0(VALU_DEP_1)
	v_pk_add_f32 v[60:61], v[60:61], v[64:65]
	s_and_not1_b32 exec_lo, exec_lo, s0
	s_cbranch_execnz .LBB91_162
; %bb.163:
	s_or_b32 exec_lo, exec_lo, s0
.LBB91_164:
	s_delay_alu instid0(SALU_CYCLE_1) | instskip(SKIP_4) | instid1(VALU_DEP_1)
	s_or_b32 exec_lo, exec_lo, s18
	v_mov_b32_e32 v62, 0
	ds_load_b64 v[62:63], v62 offset:88
	s_wait_dscnt 0x0
	v_pk_mul_f32 v[64:65], v[60:61], v[62:63] op_sel:[1,1] op_sel_hi:[0,1]
	v_pk_fma_f32 v[66:67], v[60:61], v[62:63], v[64:65] op_sel_hi:[1,0,1]
	v_pk_fma_f32 v[60:61], v[60:61], v[62:63], v[64:65] neg_lo:[0,0,1] neg_hi:[0,0,1]
	s_delay_alu instid0(VALU_DEP_2)
	v_mov_b32_e32 v61, v67
	scratch_store_b64 off, v[60:61], off offset:88
.LBB91_165:
	s_wait_xcnt 0x0
	s_or_b32 exec_lo, exec_lo, s17
	scratch_load_b64 v[60:61], off, off offset:80
	v_cmp_lt_u32_e64 s0, 10, v0
	s_wait_loadcnt 0x0
	ds_store_b64 v1, v[60:61]
	s_wait_storecnt_dscnt 0x0
	s_barrier_signal -1
	s_barrier_wait -1
	s_wait_xcnt 0x0
	s_and_saveexec_b32 s16, s0
	s_cbranch_execz .LBB91_175
; %bb.166:
	s_and_not1_b32 vcc_lo, exec_lo, s3
	s_cbranch_vccnz .LBB91_168
; %bb.167:
	scratch_load_b64 v[60:61], v59, off
	ds_load_b64 v[62:63], v1
	s_wait_loadcnt_dscnt 0x0
	v_pk_mul_f32 v[64:65], v[62:63], v[60:61] op_sel:[1,1] op_sel_hi:[0,1]
	s_delay_alu instid0(VALU_DEP_1) | instskip(SKIP_1) | instid1(VALU_DEP_2)
	v_pk_fma_f32 v[66:67], v[62:63], v[60:61], v[64:65] op_sel_hi:[1,0,1]
	v_pk_fma_f32 v[60:61], v[62:63], v[60:61], v[64:65] neg_lo:[0,0,1] neg_hi:[0,0,1]
	v_mov_b32_e32 v61, v67
	s_cbranch_execz .LBB91_169
	s_branch .LBB91_170
.LBB91_168:
                                        ; implicit-def: $vgpr60_vgpr61
.LBB91_169:
	ds_load_b64 v[60:61], v1
.LBB91_170:
	s_and_saveexec_b32 s17, s1
	s_cbranch_execz .LBB91_174
; %bb.171:
	v_add_nc_u32_e32 v62, -11, v0
	s_movk_i32 s18, 0x138
	s_mov_b32 s1, 0
.LBB91_172:                             ; =>This Inner Loop Header: Depth=1
	scratch_load_b64 v[64:65], off, s15
	v_dual_mov_b32 v63, s18 :: v_dual_add_nc_u32 v62, -1, v62
	s_add_co_i32 s18, s18, 8
	s_wait_xcnt 0x0
	s_add_co_i32 s15, s15, 8
	ds_load_b64 v[66:67], v63
	v_cmp_eq_u32_e32 vcc_lo, 0, v62
	s_or_b32 s1, vcc_lo, s1
	s_wait_loadcnt_dscnt 0x0
	v_pk_mul_f32 v[68:69], v[66:67], v[64:65] op_sel:[1,1] op_sel_hi:[0,1]
	s_delay_alu instid0(VALU_DEP_1) | instskip(SKIP_1) | instid1(VALU_DEP_2)
	v_pk_fma_f32 v[70:71], v[66:67], v[64:65], v[68:69] op_sel_hi:[1,0,1]
	v_pk_fma_f32 v[64:65], v[66:67], v[64:65], v[68:69] neg_lo:[0,0,1] neg_hi:[0,0,1]
	v_mov_b32_e32 v65, v71
	s_delay_alu instid0(VALU_DEP_1)
	v_pk_add_f32 v[60:61], v[60:61], v[64:65]
	s_and_not1_b32 exec_lo, exec_lo, s1
	s_cbranch_execnz .LBB91_172
; %bb.173:
	s_or_b32 exec_lo, exec_lo, s1
.LBB91_174:
	s_delay_alu instid0(SALU_CYCLE_1) | instskip(SKIP_4) | instid1(VALU_DEP_1)
	s_or_b32 exec_lo, exec_lo, s17
	v_mov_b32_e32 v62, 0
	ds_load_b64 v[62:63], v62 offset:80
	s_wait_dscnt 0x0
	v_pk_mul_f32 v[64:65], v[60:61], v[62:63] op_sel:[1,1] op_sel_hi:[0,1]
	v_pk_fma_f32 v[66:67], v[60:61], v[62:63], v[64:65] op_sel_hi:[1,0,1]
	v_pk_fma_f32 v[60:61], v[60:61], v[62:63], v[64:65] neg_lo:[0,0,1] neg_hi:[0,0,1]
	s_delay_alu instid0(VALU_DEP_2)
	v_mov_b32_e32 v61, v67
	scratch_store_b64 off, v[60:61], off offset:80
.LBB91_175:
	s_wait_xcnt 0x0
	s_or_b32 exec_lo, exec_lo, s16
	scratch_load_b64 v[60:61], off, off offset:72
	v_cmp_lt_u32_e64 s1, 9, v0
	s_wait_loadcnt 0x0
	ds_store_b64 v1, v[60:61]
	s_wait_storecnt_dscnt 0x0
	s_barrier_signal -1
	s_barrier_wait -1
	s_wait_xcnt 0x0
	s_and_saveexec_b32 s15, s1
	s_cbranch_execz .LBB91_185
; %bb.176:
	s_and_not1_b32 vcc_lo, exec_lo, s3
	s_cbranch_vccnz .LBB91_178
; %bb.177:
	scratch_load_b64 v[60:61], v59, off
	ds_load_b64 v[62:63], v1
	s_wait_loadcnt_dscnt 0x0
	v_pk_mul_f32 v[64:65], v[62:63], v[60:61] op_sel:[1,1] op_sel_hi:[0,1]
	s_delay_alu instid0(VALU_DEP_1) | instskip(SKIP_1) | instid1(VALU_DEP_2)
	v_pk_fma_f32 v[66:67], v[62:63], v[60:61], v[64:65] op_sel_hi:[1,0,1]
	v_pk_fma_f32 v[60:61], v[62:63], v[60:61], v[64:65] neg_lo:[0,0,1] neg_hi:[0,0,1]
	v_mov_b32_e32 v61, v67
	s_cbranch_execz .LBB91_179
	s_branch .LBB91_180
.LBB91_178:
                                        ; implicit-def: $vgpr60_vgpr61
.LBB91_179:
	ds_load_b64 v[60:61], v1
.LBB91_180:
	s_and_saveexec_b32 s16, s0
	s_cbranch_execz .LBB91_184
; %bb.181:
	v_add_nc_u32_e32 v62, -10, v0
	s_movk_i32 s17, 0x130
	s_mov_b32 s0, 0
.LBB91_182:                             ; =>This Inner Loop Header: Depth=1
	scratch_load_b64 v[64:65], off, s14
	v_dual_mov_b32 v63, s17 :: v_dual_add_nc_u32 v62, -1, v62
	s_add_co_i32 s17, s17, 8
	s_wait_xcnt 0x0
	s_add_co_i32 s14, s14, 8
	ds_load_b64 v[66:67], v63
	v_cmp_eq_u32_e32 vcc_lo, 0, v62
	s_or_b32 s0, vcc_lo, s0
	s_wait_loadcnt_dscnt 0x0
	v_pk_mul_f32 v[68:69], v[66:67], v[64:65] op_sel:[1,1] op_sel_hi:[0,1]
	s_delay_alu instid0(VALU_DEP_1) | instskip(SKIP_1) | instid1(VALU_DEP_2)
	v_pk_fma_f32 v[70:71], v[66:67], v[64:65], v[68:69] op_sel_hi:[1,0,1]
	v_pk_fma_f32 v[64:65], v[66:67], v[64:65], v[68:69] neg_lo:[0,0,1] neg_hi:[0,0,1]
	v_mov_b32_e32 v65, v71
	s_delay_alu instid0(VALU_DEP_1)
	v_pk_add_f32 v[60:61], v[60:61], v[64:65]
	s_and_not1_b32 exec_lo, exec_lo, s0
	s_cbranch_execnz .LBB91_182
; %bb.183:
	s_or_b32 exec_lo, exec_lo, s0
.LBB91_184:
	s_delay_alu instid0(SALU_CYCLE_1) | instskip(SKIP_4) | instid1(VALU_DEP_1)
	s_or_b32 exec_lo, exec_lo, s16
	v_mov_b32_e32 v62, 0
	ds_load_b64 v[62:63], v62 offset:72
	s_wait_dscnt 0x0
	v_pk_mul_f32 v[64:65], v[60:61], v[62:63] op_sel:[1,1] op_sel_hi:[0,1]
	v_pk_fma_f32 v[66:67], v[60:61], v[62:63], v[64:65] op_sel_hi:[1,0,1]
	v_pk_fma_f32 v[60:61], v[60:61], v[62:63], v[64:65] neg_lo:[0,0,1] neg_hi:[0,0,1]
	s_delay_alu instid0(VALU_DEP_2)
	v_mov_b32_e32 v61, v67
	scratch_store_b64 off, v[60:61], off offset:72
.LBB91_185:
	s_wait_xcnt 0x0
	s_or_b32 exec_lo, exec_lo, s15
	scratch_load_b64 v[60:61], off, off offset:64
	v_cmp_lt_u32_e64 s0, 8, v0
	s_wait_loadcnt 0x0
	ds_store_b64 v1, v[60:61]
	s_wait_storecnt_dscnt 0x0
	s_barrier_signal -1
	s_barrier_wait -1
	s_wait_xcnt 0x0
	s_and_saveexec_b32 s14, s0
	s_cbranch_execz .LBB91_195
; %bb.186:
	s_and_not1_b32 vcc_lo, exec_lo, s3
	s_cbranch_vccnz .LBB91_188
; %bb.187:
	scratch_load_b64 v[60:61], v59, off
	ds_load_b64 v[62:63], v1
	s_wait_loadcnt_dscnt 0x0
	v_pk_mul_f32 v[64:65], v[62:63], v[60:61] op_sel:[1,1] op_sel_hi:[0,1]
	s_delay_alu instid0(VALU_DEP_1) | instskip(SKIP_1) | instid1(VALU_DEP_2)
	v_pk_fma_f32 v[66:67], v[62:63], v[60:61], v[64:65] op_sel_hi:[1,0,1]
	v_pk_fma_f32 v[60:61], v[62:63], v[60:61], v[64:65] neg_lo:[0,0,1] neg_hi:[0,0,1]
	v_mov_b32_e32 v61, v67
	s_cbranch_execz .LBB91_189
	s_branch .LBB91_190
.LBB91_188:
                                        ; implicit-def: $vgpr60_vgpr61
.LBB91_189:
	ds_load_b64 v[60:61], v1
.LBB91_190:
	s_and_saveexec_b32 s15, s1
	s_cbranch_execz .LBB91_194
; %bb.191:
	v_add_nc_u32_e32 v62, -9, v0
	s_movk_i32 s16, 0x128
	s_mov_b32 s1, 0
.LBB91_192:                             ; =>This Inner Loop Header: Depth=1
	scratch_load_b64 v[64:65], off, s13
	v_dual_mov_b32 v63, s16 :: v_dual_add_nc_u32 v62, -1, v62
	s_add_co_i32 s16, s16, 8
	s_wait_xcnt 0x0
	s_add_co_i32 s13, s13, 8
	ds_load_b64 v[66:67], v63
	v_cmp_eq_u32_e32 vcc_lo, 0, v62
	s_or_b32 s1, vcc_lo, s1
	s_wait_loadcnt_dscnt 0x0
	v_pk_mul_f32 v[68:69], v[66:67], v[64:65] op_sel:[1,1] op_sel_hi:[0,1]
	s_delay_alu instid0(VALU_DEP_1) | instskip(SKIP_1) | instid1(VALU_DEP_2)
	v_pk_fma_f32 v[70:71], v[66:67], v[64:65], v[68:69] op_sel_hi:[1,0,1]
	v_pk_fma_f32 v[64:65], v[66:67], v[64:65], v[68:69] neg_lo:[0,0,1] neg_hi:[0,0,1]
	v_mov_b32_e32 v65, v71
	s_delay_alu instid0(VALU_DEP_1)
	v_pk_add_f32 v[60:61], v[60:61], v[64:65]
	s_and_not1_b32 exec_lo, exec_lo, s1
	s_cbranch_execnz .LBB91_192
; %bb.193:
	s_or_b32 exec_lo, exec_lo, s1
.LBB91_194:
	s_delay_alu instid0(SALU_CYCLE_1) | instskip(SKIP_4) | instid1(VALU_DEP_1)
	s_or_b32 exec_lo, exec_lo, s15
	v_mov_b32_e32 v62, 0
	ds_load_b64 v[62:63], v62 offset:64
	s_wait_dscnt 0x0
	v_pk_mul_f32 v[64:65], v[60:61], v[62:63] op_sel:[1,1] op_sel_hi:[0,1]
	v_pk_fma_f32 v[66:67], v[60:61], v[62:63], v[64:65] op_sel_hi:[1,0,1]
	v_pk_fma_f32 v[60:61], v[60:61], v[62:63], v[64:65] neg_lo:[0,0,1] neg_hi:[0,0,1]
	s_delay_alu instid0(VALU_DEP_2)
	v_mov_b32_e32 v61, v67
	scratch_store_b64 off, v[60:61], off offset:64
.LBB91_195:
	s_wait_xcnt 0x0
	s_or_b32 exec_lo, exec_lo, s14
	scratch_load_b64 v[60:61], off, off offset:56
	v_cmp_lt_u32_e64 s1, 7, v0
	s_wait_loadcnt 0x0
	ds_store_b64 v1, v[60:61]
	s_wait_storecnt_dscnt 0x0
	s_barrier_signal -1
	s_barrier_wait -1
	s_wait_xcnt 0x0
	s_and_saveexec_b32 s13, s1
	s_cbranch_execz .LBB91_205
; %bb.196:
	s_and_not1_b32 vcc_lo, exec_lo, s3
	s_cbranch_vccnz .LBB91_198
; %bb.197:
	scratch_load_b64 v[60:61], v59, off
	ds_load_b64 v[62:63], v1
	s_wait_loadcnt_dscnt 0x0
	v_pk_mul_f32 v[64:65], v[62:63], v[60:61] op_sel:[1,1] op_sel_hi:[0,1]
	s_delay_alu instid0(VALU_DEP_1) | instskip(SKIP_1) | instid1(VALU_DEP_2)
	v_pk_fma_f32 v[66:67], v[62:63], v[60:61], v[64:65] op_sel_hi:[1,0,1]
	v_pk_fma_f32 v[60:61], v[62:63], v[60:61], v[64:65] neg_lo:[0,0,1] neg_hi:[0,0,1]
	v_mov_b32_e32 v61, v67
	s_cbranch_execz .LBB91_199
	s_branch .LBB91_200
.LBB91_198:
                                        ; implicit-def: $vgpr60_vgpr61
.LBB91_199:
	ds_load_b64 v[60:61], v1
.LBB91_200:
	s_and_saveexec_b32 s14, s0
	s_cbranch_execz .LBB91_204
; %bb.201:
	v_add_nc_u32_e32 v62, -8, v0
	s_movk_i32 s15, 0x120
	s_mov_b32 s0, 0
.LBB91_202:                             ; =>This Inner Loop Header: Depth=1
	scratch_load_b64 v[64:65], off, s12
	v_dual_mov_b32 v63, s15 :: v_dual_add_nc_u32 v62, -1, v62
	s_add_co_i32 s15, s15, 8
	s_wait_xcnt 0x0
	s_add_co_i32 s12, s12, 8
	ds_load_b64 v[66:67], v63
	v_cmp_eq_u32_e32 vcc_lo, 0, v62
	s_or_b32 s0, vcc_lo, s0
	s_wait_loadcnt_dscnt 0x0
	v_pk_mul_f32 v[68:69], v[66:67], v[64:65] op_sel:[1,1] op_sel_hi:[0,1]
	s_delay_alu instid0(VALU_DEP_1) | instskip(SKIP_1) | instid1(VALU_DEP_2)
	v_pk_fma_f32 v[70:71], v[66:67], v[64:65], v[68:69] op_sel_hi:[1,0,1]
	v_pk_fma_f32 v[64:65], v[66:67], v[64:65], v[68:69] neg_lo:[0,0,1] neg_hi:[0,0,1]
	v_mov_b32_e32 v65, v71
	s_delay_alu instid0(VALU_DEP_1)
	v_pk_add_f32 v[60:61], v[60:61], v[64:65]
	s_and_not1_b32 exec_lo, exec_lo, s0
	s_cbranch_execnz .LBB91_202
; %bb.203:
	s_or_b32 exec_lo, exec_lo, s0
.LBB91_204:
	s_delay_alu instid0(SALU_CYCLE_1) | instskip(SKIP_4) | instid1(VALU_DEP_1)
	s_or_b32 exec_lo, exec_lo, s14
	v_mov_b32_e32 v62, 0
	ds_load_b64 v[62:63], v62 offset:56
	s_wait_dscnt 0x0
	v_pk_mul_f32 v[64:65], v[60:61], v[62:63] op_sel:[1,1] op_sel_hi:[0,1]
	v_pk_fma_f32 v[66:67], v[60:61], v[62:63], v[64:65] op_sel_hi:[1,0,1]
	v_pk_fma_f32 v[60:61], v[60:61], v[62:63], v[64:65] neg_lo:[0,0,1] neg_hi:[0,0,1]
	s_delay_alu instid0(VALU_DEP_2)
	v_mov_b32_e32 v61, v67
	scratch_store_b64 off, v[60:61], off offset:56
.LBB91_205:
	s_wait_xcnt 0x0
	s_or_b32 exec_lo, exec_lo, s13
	scratch_load_b64 v[60:61], off, off offset:48
	v_cmp_lt_u32_e64 s0, 6, v0
	s_wait_loadcnt 0x0
	ds_store_b64 v1, v[60:61]
	s_wait_storecnt_dscnt 0x0
	s_barrier_signal -1
	s_barrier_wait -1
	s_wait_xcnt 0x0
	s_and_saveexec_b32 s12, s0
	s_cbranch_execz .LBB91_215
; %bb.206:
	s_and_not1_b32 vcc_lo, exec_lo, s3
	s_cbranch_vccnz .LBB91_208
; %bb.207:
	scratch_load_b64 v[60:61], v59, off
	ds_load_b64 v[62:63], v1
	s_wait_loadcnt_dscnt 0x0
	v_pk_mul_f32 v[64:65], v[62:63], v[60:61] op_sel:[1,1] op_sel_hi:[0,1]
	s_delay_alu instid0(VALU_DEP_1) | instskip(SKIP_1) | instid1(VALU_DEP_2)
	v_pk_fma_f32 v[66:67], v[62:63], v[60:61], v[64:65] op_sel_hi:[1,0,1]
	v_pk_fma_f32 v[60:61], v[62:63], v[60:61], v[64:65] neg_lo:[0,0,1] neg_hi:[0,0,1]
	v_mov_b32_e32 v61, v67
	s_cbranch_execz .LBB91_209
	s_branch .LBB91_210
.LBB91_208:
                                        ; implicit-def: $vgpr60_vgpr61
.LBB91_209:
	ds_load_b64 v[60:61], v1
.LBB91_210:
	s_and_saveexec_b32 s13, s1
	s_cbranch_execz .LBB91_214
; %bb.211:
	v_add_nc_u32_e32 v62, -7, v0
	s_movk_i32 s14, 0x118
	s_mov_b32 s1, 0
.LBB91_212:                             ; =>This Inner Loop Header: Depth=1
	scratch_load_b64 v[64:65], off, s11
	v_dual_mov_b32 v63, s14 :: v_dual_add_nc_u32 v62, -1, v62
	s_add_co_i32 s14, s14, 8
	s_wait_xcnt 0x0
	s_add_co_i32 s11, s11, 8
	ds_load_b64 v[66:67], v63
	v_cmp_eq_u32_e32 vcc_lo, 0, v62
	s_or_b32 s1, vcc_lo, s1
	s_wait_loadcnt_dscnt 0x0
	v_pk_mul_f32 v[68:69], v[66:67], v[64:65] op_sel:[1,1] op_sel_hi:[0,1]
	s_delay_alu instid0(VALU_DEP_1) | instskip(SKIP_1) | instid1(VALU_DEP_2)
	v_pk_fma_f32 v[70:71], v[66:67], v[64:65], v[68:69] op_sel_hi:[1,0,1]
	v_pk_fma_f32 v[64:65], v[66:67], v[64:65], v[68:69] neg_lo:[0,0,1] neg_hi:[0,0,1]
	v_mov_b32_e32 v65, v71
	s_delay_alu instid0(VALU_DEP_1)
	v_pk_add_f32 v[60:61], v[60:61], v[64:65]
	s_and_not1_b32 exec_lo, exec_lo, s1
	s_cbranch_execnz .LBB91_212
; %bb.213:
	s_or_b32 exec_lo, exec_lo, s1
.LBB91_214:
	s_delay_alu instid0(SALU_CYCLE_1) | instskip(SKIP_4) | instid1(VALU_DEP_1)
	s_or_b32 exec_lo, exec_lo, s13
	v_mov_b32_e32 v62, 0
	ds_load_b64 v[62:63], v62 offset:48
	s_wait_dscnt 0x0
	v_pk_mul_f32 v[64:65], v[60:61], v[62:63] op_sel:[1,1] op_sel_hi:[0,1]
	v_pk_fma_f32 v[66:67], v[60:61], v[62:63], v[64:65] op_sel_hi:[1,0,1]
	v_pk_fma_f32 v[60:61], v[60:61], v[62:63], v[64:65] neg_lo:[0,0,1] neg_hi:[0,0,1]
	s_delay_alu instid0(VALU_DEP_2)
	v_mov_b32_e32 v61, v67
	scratch_store_b64 off, v[60:61], off offset:48
.LBB91_215:
	s_wait_xcnt 0x0
	s_or_b32 exec_lo, exec_lo, s12
	scratch_load_b64 v[60:61], off, off offset:40
	v_cmp_lt_u32_e64 s1, 5, v0
	s_wait_loadcnt 0x0
	ds_store_b64 v1, v[60:61]
	s_wait_storecnt_dscnt 0x0
	s_barrier_signal -1
	s_barrier_wait -1
	s_wait_xcnt 0x0
	s_and_saveexec_b32 s11, s1
	s_cbranch_execz .LBB91_225
; %bb.216:
	s_and_not1_b32 vcc_lo, exec_lo, s3
	s_cbranch_vccnz .LBB91_218
; %bb.217:
	scratch_load_b64 v[60:61], v59, off
	ds_load_b64 v[62:63], v1
	s_wait_loadcnt_dscnt 0x0
	v_pk_mul_f32 v[64:65], v[62:63], v[60:61] op_sel:[1,1] op_sel_hi:[0,1]
	s_delay_alu instid0(VALU_DEP_1) | instskip(SKIP_1) | instid1(VALU_DEP_2)
	v_pk_fma_f32 v[66:67], v[62:63], v[60:61], v[64:65] op_sel_hi:[1,0,1]
	v_pk_fma_f32 v[60:61], v[62:63], v[60:61], v[64:65] neg_lo:[0,0,1] neg_hi:[0,0,1]
	v_mov_b32_e32 v61, v67
	s_cbranch_execz .LBB91_219
	s_branch .LBB91_220
.LBB91_218:
                                        ; implicit-def: $vgpr60_vgpr61
.LBB91_219:
	ds_load_b64 v[60:61], v1
.LBB91_220:
	s_and_saveexec_b32 s12, s0
	s_cbranch_execz .LBB91_224
; %bb.221:
	v_add_nc_u32_e32 v62, -6, v0
	s_movk_i32 s13, 0x110
	s_mov_b32 s0, 0
.LBB91_222:                             ; =>This Inner Loop Header: Depth=1
	scratch_load_b64 v[64:65], off, s10
	v_dual_mov_b32 v63, s13 :: v_dual_add_nc_u32 v62, -1, v62
	s_add_co_i32 s13, s13, 8
	s_wait_xcnt 0x0
	s_add_co_i32 s10, s10, 8
	ds_load_b64 v[66:67], v63
	v_cmp_eq_u32_e32 vcc_lo, 0, v62
	s_or_b32 s0, vcc_lo, s0
	s_wait_loadcnt_dscnt 0x0
	v_pk_mul_f32 v[68:69], v[66:67], v[64:65] op_sel:[1,1] op_sel_hi:[0,1]
	s_delay_alu instid0(VALU_DEP_1) | instskip(SKIP_1) | instid1(VALU_DEP_2)
	v_pk_fma_f32 v[70:71], v[66:67], v[64:65], v[68:69] op_sel_hi:[1,0,1]
	v_pk_fma_f32 v[64:65], v[66:67], v[64:65], v[68:69] neg_lo:[0,0,1] neg_hi:[0,0,1]
	v_mov_b32_e32 v65, v71
	s_delay_alu instid0(VALU_DEP_1)
	v_pk_add_f32 v[60:61], v[60:61], v[64:65]
	s_and_not1_b32 exec_lo, exec_lo, s0
	s_cbranch_execnz .LBB91_222
; %bb.223:
	s_or_b32 exec_lo, exec_lo, s0
.LBB91_224:
	s_delay_alu instid0(SALU_CYCLE_1) | instskip(SKIP_4) | instid1(VALU_DEP_1)
	s_or_b32 exec_lo, exec_lo, s12
	v_mov_b32_e32 v62, 0
	ds_load_b64 v[62:63], v62 offset:40
	s_wait_dscnt 0x0
	v_pk_mul_f32 v[64:65], v[60:61], v[62:63] op_sel:[1,1] op_sel_hi:[0,1]
	v_pk_fma_f32 v[66:67], v[60:61], v[62:63], v[64:65] op_sel_hi:[1,0,1]
	v_pk_fma_f32 v[60:61], v[60:61], v[62:63], v[64:65] neg_lo:[0,0,1] neg_hi:[0,0,1]
	s_delay_alu instid0(VALU_DEP_2)
	v_mov_b32_e32 v61, v67
	scratch_store_b64 off, v[60:61], off offset:40
.LBB91_225:
	s_wait_xcnt 0x0
	s_or_b32 exec_lo, exec_lo, s11
	scratch_load_b64 v[60:61], off, off offset:32
	v_cmp_lt_u32_e64 s0, 4, v0
	s_wait_loadcnt 0x0
	ds_store_b64 v1, v[60:61]
	s_wait_storecnt_dscnt 0x0
	s_barrier_signal -1
	s_barrier_wait -1
	s_wait_xcnt 0x0
	s_and_saveexec_b32 s10, s0
	s_cbranch_execz .LBB91_235
; %bb.226:
	s_and_not1_b32 vcc_lo, exec_lo, s3
	s_cbranch_vccnz .LBB91_228
; %bb.227:
	scratch_load_b64 v[60:61], v59, off
	ds_load_b64 v[62:63], v1
	s_wait_loadcnt_dscnt 0x0
	v_pk_mul_f32 v[64:65], v[62:63], v[60:61] op_sel:[1,1] op_sel_hi:[0,1]
	s_delay_alu instid0(VALU_DEP_1) | instskip(SKIP_1) | instid1(VALU_DEP_2)
	v_pk_fma_f32 v[66:67], v[62:63], v[60:61], v[64:65] op_sel_hi:[1,0,1]
	v_pk_fma_f32 v[60:61], v[62:63], v[60:61], v[64:65] neg_lo:[0,0,1] neg_hi:[0,0,1]
	v_mov_b32_e32 v61, v67
	s_cbranch_execz .LBB91_229
	s_branch .LBB91_230
.LBB91_228:
                                        ; implicit-def: $vgpr60_vgpr61
.LBB91_229:
	ds_load_b64 v[60:61], v1
.LBB91_230:
	s_and_saveexec_b32 s11, s1
	s_cbranch_execz .LBB91_234
; %bb.231:
	v_add_nc_u32_e32 v62, -5, v0
	s_movk_i32 s12, 0x108
	s_mov_b32 s1, 0
.LBB91_232:                             ; =>This Inner Loop Header: Depth=1
	scratch_load_b64 v[64:65], off, s9
	v_dual_mov_b32 v63, s12 :: v_dual_add_nc_u32 v62, -1, v62
	s_add_co_i32 s12, s12, 8
	s_wait_xcnt 0x0
	s_add_co_i32 s9, s9, 8
	ds_load_b64 v[66:67], v63
	v_cmp_eq_u32_e32 vcc_lo, 0, v62
	s_or_b32 s1, vcc_lo, s1
	s_wait_loadcnt_dscnt 0x0
	v_pk_mul_f32 v[68:69], v[66:67], v[64:65] op_sel:[1,1] op_sel_hi:[0,1]
	s_delay_alu instid0(VALU_DEP_1) | instskip(SKIP_1) | instid1(VALU_DEP_2)
	v_pk_fma_f32 v[70:71], v[66:67], v[64:65], v[68:69] op_sel_hi:[1,0,1]
	v_pk_fma_f32 v[64:65], v[66:67], v[64:65], v[68:69] neg_lo:[0,0,1] neg_hi:[0,0,1]
	v_mov_b32_e32 v65, v71
	s_delay_alu instid0(VALU_DEP_1)
	v_pk_add_f32 v[60:61], v[60:61], v[64:65]
	s_and_not1_b32 exec_lo, exec_lo, s1
	s_cbranch_execnz .LBB91_232
; %bb.233:
	s_or_b32 exec_lo, exec_lo, s1
.LBB91_234:
	s_delay_alu instid0(SALU_CYCLE_1) | instskip(SKIP_4) | instid1(VALU_DEP_1)
	s_or_b32 exec_lo, exec_lo, s11
	v_mov_b32_e32 v62, 0
	ds_load_b64 v[62:63], v62 offset:32
	s_wait_dscnt 0x0
	v_pk_mul_f32 v[64:65], v[60:61], v[62:63] op_sel:[1,1] op_sel_hi:[0,1]
	v_pk_fma_f32 v[66:67], v[60:61], v[62:63], v[64:65] op_sel_hi:[1,0,1]
	v_pk_fma_f32 v[60:61], v[60:61], v[62:63], v[64:65] neg_lo:[0,0,1] neg_hi:[0,0,1]
	s_delay_alu instid0(VALU_DEP_2)
	v_mov_b32_e32 v61, v67
	scratch_store_b64 off, v[60:61], off offset:32
.LBB91_235:
	s_wait_xcnt 0x0
	s_or_b32 exec_lo, exec_lo, s10
	scratch_load_b64 v[60:61], off, off offset:24
	v_cmp_lt_u32_e64 s1, 3, v0
	s_wait_loadcnt 0x0
	ds_store_b64 v1, v[60:61]
	s_wait_storecnt_dscnt 0x0
	s_barrier_signal -1
	s_barrier_wait -1
	s_wait_xcnt 0x0
	s_and_saveexec_b32 s9, s1
	s_cbranch_execz .LBB91_245
; %bb.236:
	s_and_not1_b32 vcc_lo, exec_lo, s3
	s_cbranch_vccnz .LBB91_238
; %bb.237:
	scratch_load_b64 v[60:61], v59, off
	ds_load_b64 v[62:63], v1
	s_wait_loadcnt_dscnt 0x0
	v_pk_mul_f32 v[64:65], v[62:63], v[60:61] op_sel:[1,1] op_sel_hi:[0,1]
	s_delay_alu instid0(VALU_DEP_1) | instskip(SKIP_1) | instid1(VALU_DEP_2)
	v_pk_fma_f32 v[66:67], v[62:63], v[60:61], v[64:65] op_sel_hi:[1,0,1]
	v_pk_fma_f32 v[60:61], v[62:63], v[60:61], v[64:65] neg_lo:[0,0,1] neg_hi:[0,0,1]
	v_mov_b32_e32 v61, v67
	s_cbranch_execz .LBB91_239
	s_branch .LBB91_240
.LBB91_238:
                                        ; implicit-def: $vgpr60_vgpr61
.LBB91_239:
	ds_load_b64 v[60:61], v1
.LBB91_240:
	s_and_saveexec_b32 s10, s0
	s_cbranch_execz .LBB91_244
; %bb.241:
	v_add_nc_u32_e32 v62, -4, v0
	s_movk_i32 s11, 0x100
	s_mov_b32 s0, 0
.LBB91_242:                             ; =>This Inner Loop Header: Depth=1
	scratch_load_b64 v[64:65], off, s2
	v_dual_mov_b32 v63, s11 :: v_dual_add_nc_u32 v62, -1, v62
	s_add_co_i32 s11, s11, 8
	s_wait_xcnt 0x0
	s_add_co_i32 s2, s2, 8
	ds_load_b64 v[66:67], v63
	v_cmp_eq_u32_e32 vcc_lo, 0, v62
	s_or_b32 s0, vcc_lo, s0
	s_wait_loadcnt_dscnt 0x0
	v_pk_mul_f32 v[68:69], v[66:67], v[64:65] op_sel:[1,1] op_sel_hi:[0,1]
	s_delay_alu instid0(VALU_DEP_1) | instskip(SKIP_1) | instid1(VALU_DEP_2)
	v_pk_fma_f32 v[70:71], v[66:67], v[64:65], v[68:69] op_sel_hi:[1,0,1]
	v_pk_fma_f32 v[64:65], v[66:67], v[64:65], v[68:69] neg_lo:[0,0,1] neg_hi:[0,0,1]
	v_mov_b32_e32 v65, v71
	s_delay_alu instid0(VALU_DEP_1)
	v_pk_add_f32 v[60:61], v[60:61], v[64:65]
	s_and_not1_b32 exec_lo, exec_lo, s0
	s_cbranch_execnz .LBB91_242
; %bb.243:
	s_or_b32 exec_lo, exec_lo, s0
.LBB91_244:
	s_delay_alu instid0(SALU_CYCLE_1) | instskip(SKIP_4) | instid1(VALU_DEP_1)
	s_or_b32 exec_lo, exec_lo, s10
	v_mov_b32_e32 v62, 0
	ds_load_b64 v[62:63], v62 offset:24
	s_wait_dscnt 0x0
	v_pk_mul_f32 v[64:65], v[60:61], v[62:63] op_sel:[1,1] op_sel_hi:[0,1]
	v_pk_fma_f32 v[66:67], v[60:61], v[62:63], v[64:65] op_sel_hi:[1,0,1]
	v_pk_fma_f32 v[60:61], v[60:61], v[62:63], v[64:65] neg_lo:[0,0,1] neg_hi:[0,0,1]
	s_delay_alu instid0(VALU_DEP_2)
	v_mov_b32_e32 v61, v67
	scratch_store_b64 off, v[60:61], off offset:24
.LBB91_245:
	s_wait_xcnt 0x0
	s_or_b32 exec_lo, exec_lo, s9
	scratch_load_b64 v[60:61], off, off offset:16
	v_cmp_lt_u32_e64 s2, 2, v0
	s_wait_loadcnt 0x0
	ds_store_b64 v1, v[60:61]
	s_wait_storecnt_dscnt 0x0
	s_barrier_signal -1
	s_barrier_wait -1
	s_wait_xcnt 0x0
	s_and_saveexec_b32 s0, s2
	s_cbranch_execz .LBB91_255
; %bb.246:
	s_and_not1_b32 vcc_lo, exec_lo, s3
	s_cbranch_vccnz .LBB91_248
; %bb.247:
	scratch_load_b64 v[60:61], v59, off
	ds_load_b64 v[62:63], v1
	s_wait_loadcnt_dscnt 0x0
	v_pk_mul_f32 v[64:65], v[62:63], v[60:61] op_sel:[1,1] op_sel_hi:[0,1]
	s_delay_alu instid0(VALU_DEP_1) | instskip(SKIP_1) | instid1(VALU_DEP_2)
	v_pk_fma_f32 v[66:67], v[62:63], v[60:61], v[64:65] op_sel_hi:[1,0,1]
	v_pk_fma_f32 v[60:61], v[62:63], v[60:61], v[64:65] neg_lo:[0,0,1] neg_hi:[0,0,1]
	v_mov_b32_e32 v61, v67
	s_cbranch_execz .LBB91_249
	s_branch .LBB91_250
.LBB91_248:
                                        ; implicit-def: $vgpr60_vgpr61
.LBB91_249:
	ds_load_b64 v[60:61], v1
.LBB91_250:
	s_and_saveexec_b32 s9, s1
	s_cbranch_execz .LBB91_254
; %bb.251:
	v_add_nc_u32_e32 v62, -3, v0
	s_movk_i32 s10, 0xf8
	s_mov_b32 s1, 0
.LBB91_252:                             ; =>This Inner Loop Header: Depth=1
	scratch_load_b64 v[64:65], off, s8
	v_dual_mov_b32 v63, s10 :: v_dual_add_nc_u32 v62, -1, v62
	s_add_co_i32 s10, s10, 8
	s_wait_xcnt 0x0
	s_add_co_i32 s8, s8, 8
	ds_load_b64 v[66:67], v63
	v_cmp_eq_u32_e32 vcc_lo, 0, v62
	s_or_b32 s1, vcc_lo, s1
	s_wait_loadcnt_dscnt 0x0
	v_pk_mul_f32 v[68:69], v[66:67], v[64:65] op_sel:[1,1] op_sel_hi:[0,1]
	s_delay_alu instid0(VALU_DEP_1) | instskip(SKIP_1) | instid1(VALU_DEP_2)
	v_pk_fma_f32 v[70:71], v[66:67], v[64:65], v[68:69] op_sel_hi:[1,0,1]
	v_pk_fma_f32 v[64:65], v[66:67], v[64:65], v[68:69] neg_lo:[0,0,1] neg_hi:[0,0,1]
	v_mov_b32_e32 v65, v71
	s_delay_alu instid0(VALU_DEP_1)
	v_pk_add_f32 v[60:61], v[60:61], v[64:65]
	s_and_not1_b32 exec_lo, exec_lo, s1
	s_cbranch_execnz .LBB91_252
; %bb.253:
	s_or_b32 exec_lo, exec_lo, s1
.LBB91_254:
	s_delay_alu instid0(SALU_CYCLE_1) | instskip(SKIP_4) | instid1(VALU_DEP_1)
	s_or_b32 exec_lo, exec_lo, s9
	v_mov_b32_e32 v62, 0
	ds_load_b64 v[62:63], v62 offset:16
	s_wait_dscnt 0x0
	v_pk_mul_f32 v[64:65], v[60:61], v[62:63] op_sel:[1,1] op_sel_hi:[0,1]
	v_pk_fma_f32 v[66:67], v[60:61], v[62:63], v[64:65] op_sel_hi:[1,0,1]
	v_pk_fma_f32 v[60:61], v[60:61], v[62:63], v[64:65] neg_lo:[0,0,1] neg_hi:[0,0,1]
	s_delay_alu instid0(VALU_DEP_2)
	v_mov_b32_e32 v61, v67
	scratch_store_b64 off, v[60:61], off offset:16
.LBB91_255:
	s_wait_xcnt 0x0
	s_or_b32 exec_lo, exec_lo, s0
	scratch_load_b64 v[60:61], off, off offset:8
	v_cmp_lt_u32_e64 s0, 1, v0
	s_wait_loadcnt 0x0
	ds_store_b64 v1, v[60:61]
	s_wait_storecnt_dscnt 0x0
	s_barrier_signal -1
	s_barrier_wait -1
	s_wait_xcnt 0x0
	s_and_saveexec_b32 s1, s0
	s_cbranch_execz .LBB91_265
; %bb.256:
	s_and_not1_b32 vcc_lo, exec_lo, s3
	s_cbranch_vccnz .LBB91_258
; %bb.257:
	scratch_load_b64 v[60:61], v59, off
	ds_load_b64 v[62:63], v1
	s_wait_loadcnt_dscnt 0x0
	v_pk_mul_f32 v[64:65], v[62:63], v[60:61] op_sel:[1,1] op_sel_hi:[0,1]
	s_delay_alu instid0(VALU_DEP_1) | instskip(SKIP_1) | instid1(VALU_DEP_2)
	v_pk_fma_f32 v[66:67], v[62:63], v[60:61], v[64:65] op_sel_hi:[1,0,1]
	v_pk_fma_f32 v[60:61], v[62:63], v[60:61], v[64:65] neg_lo:[0,0,1] neg_hi:[0,0,1]
	v_mov_b32_e32 v61, v67
	s_cbranch_execz .LBB91_259
	s_branch .LBB91_260
.LBB91_258:
                                        ; implicit-def: $vgpr60_vgpr61
.LBB91_259:
	ds_load_b64 v[60:61], v1
.LBB91_260:
	s_and_saveexec_b32 s8, s2
	s_cbranch_execz .LBB91_264
; %bb.261:
	v_add_nc_u32_e32 v62, -2, v0
	s_movk_i32 s9, 0xf0
	s_mov_b32 s2, 0
.LBB91_262:                             ; =>This Inner Loop Header: Depth=1
	scratch_load_b64 v[64:65], off, s5
	v_dual_mov_b32 v63, s9 :: v_dual_add_nc_u32 v62, -1, v62
	s_add_co_i32 s9, s9, 8
	s_wait_xcnt 0x0
	s_add_co_i32 s5, s5, 8
	ds_load_b64 v[66:67], v63
	v_cmp_eq_u32_e32 vcc_lo, 0, v62
	s_or_b32 s2, vcc_lo, s2
	s_wait_loadcnt_dscnt 0x0
	v_pk_mul_f32 v[68:69], v[66:67], v[64:65] op_sel:[1,1] op_sel_hi:[0,1]
	s_delay_alu instid0(VALU_DEP_1) | instskip(SKIP_1) | instid1(VALU_DEP_2)
	v_pk_fma_f32 v[70:71], v[66:67], v[64:65], v[68:69] op_sel_hi:[1,0,1]
	v_pk_fma_f32 v[64:65], v[66:67], v[64:65], v[68:69] neg_lo:[0,0,1] neg_hi:[0,0,1]
	v_mov_b32_e32 v65, v71
	s_delay_alu instid0(VALU_DEP_1)
	v_pk_add_f32 v[60:61], v[60:61], v[64:65]
	s_and_not1_b32 exec_lo, exec_lo, s2
	s_cbranch_execnz .LBB91_262
; %bb.263:
	s_or_b32 exec_lo, exec_lo, s2
.LBB91_264:
	s_delay_alu instid0(SALU_CYCLE_1) | instskip(SKIP_4) | instid1(VALU_DEP_1)
	s_or_b32 exec_lo, exec_lo, s8
	v_mov_b32_e32 v62, 0
	ds_load_b64 v[62:63], v62 offset:8
	s_wait_dscnt 0x0
	v_pk_mul_f32 v[64:65], v[60:61], v[62:63] op_sel:[1,1] op_sel_hi:[0,1]
	v_pk_fma_f32 v[66:67], v[60:61], v[62:63], v[64:65] op_sel_hi:[1,0,1]
	v_pk_fma_f32 v[60:61], v[60:61], v[62:63], v[64:65] neg_lo:[0,0,1] neg_hi:[0,0,1]
	s_delay_alu instid0(VALU_DEP_2)
	v_mov_b32_e32 v61, v67
	scratch_store_b64 off, v[60:61], off offset:8
.LBB91_265:
	s_wait_xcnt 0x0
	s_or_b32 exec_lo, exec_lo, s1
	scratch_load_b64 v[60:61], off, off
	s_mov_b32 s2, 0
	s_mov_b32 s1, 0
	s_mov_b32 s8, exec_lo
                                        ; implicit-def: $vgpr82
                                        ; implicit-def: $sgpr5
	s_wait_loadcnt 0x0
	ds_store_b64 v1, v[60:61]
	s_wait_storecnt_dscnt 0x0
	s_barrier_signal -1
	s_barrier_wait -1
	s_wait_xcnt 0x0
	v_cmpx_ne_u32_e32 0, v0
	s_cbranch_execz .LBB91_275
; %bb.266:
	s_and_not1_b32 vcc_lo, exec_lo, s3
	s_cbranch_vccnz .LBB91_268
; %bb.267:
	scratch_load_b64 v[62:63], v59, off
	ds_load_b64 v[64:65], v1
	s_wait_loadcnt_dscnt 0x0
	v_dual_mul_f32 v60, v65, v63 :: v_dual_mul_f32 v61, v64, v63
	s_delay_alu instid0(VALU_DEP_1)
	v_dual_fma_f32 v60, v64, v62, -v60 :: v_dual_fmac_f32 v61, v65, v62
	s_and_not1_b32 vcc_lo, exec_lo, s1
	s_cbranch_vccz .LBB91_269
	s_branch .LBB91_270
.LBB91_268:
                                        ; implicit-def: $vgpr60
.LBB91_269:
	ds_load_b64 v[60:61], v1
.LBB91_270:
	s_and_saveexec_b32 s1, s0
	s_cbranch_execz .LBB91_274
; %bb.271:
	v_add_nc_u32_e32 v62, -1, v0
	s_movk_i32 s5, 0xe8
	s_mov_b32 s0, 0
.LBB91_272:                             ; =>This Inner Loop Header: Depth=1
	scratch_load_b64 v[64:65], off, s4
	v_mov_b32_e32 v63, s5
	s_add_co_i32 s5, s5, 8
	s_wait_xcnt 0x0
	s_add_co_i32 s4, s4, 8
	v_add_nc_u32_e32 v62, -1, v62
	ds_load_b64 v[66:67], v63
	v_cmp_eq_u32_e32 vcc_lo, 0, v62
	s_or_b32 s0, vcc_lo, s0
	s_wait_loadcnt_dscnt 0x0
	v_dual_mul_f32 v63, v67, v65 :: v_dual_mul_f32 v65, v66, v65
	s_delay_alu instid0(VALU_DEP_1) | instskip(NEXT) | instid1(VALU_DEP_1)
	v_dual_fma_f32 v63, v66, v64, -v63 :: v_dual_fmac_f32 v65, v67, v64
	v_dual_add_f32 v60, v60, v63 :: v_dual_add_f32 v61, v61, v65
	s_and_not1_b32 exec_lo, exec_lo, s0
	s_cbranch_execnz .LBB91_272
; %bb.273:
	s_or_b32 exec_lo, exec_lo, s0
.LBB91_274:
	s_delay_alu instid0(SALU_CYCLE_1)
	s_or_b32 exec_lo, exec_lo, s1
	v_mov_b32_e32 v62, 0
	s_mov_b32 s1, exec_lo
	s_or_b32 s5, 0, 4
	ds_load_b64 v[62:63], v62
	s_wait_dscnt 0x0
	v_dual_mul_f32 v64, v61, v63 :: v_dual_mul_f32 v82, v60, v63
	s_delay_alu instid0(VALU_DEP_1)
	v_dual_fma_f32 v60, v60, v62, -v64 :: v_dual_fmac_f32 v82, v61, v62
	scratch_store_b32 off, v60, off
.LBB91_275:
	s_wait_xcnt 0x0
	s_or_b32 exec_lo, exec_lo, s8
	s_delay_alu instid0(SALU_CYCLE_1)
	s_and_b32 vcc_lo, exec_lo, s2
	s_cbranch_vccz .LBB91_541
.LBB91_276:
	scratch_load_b64 v[60:61], off, off offset:8
	v_cmp_eq_u32_e64 s0, 0, v0
	s_wait_loadcnt 0x0
	ds_store_b64 v1, v[60:61]
	s_wait_storecnt_dscnt 0x0
	s_barrier_signal -1
	s_barrier_wait -1
	s_wait_xcnt 0x0
	s_and_saveexec_b32 s2, s0
	s_cbranch_execz .LBB91_282
; %bb.277:
	s_and_b32 vcc_lo, exec_lo, s3
	s_cbranch_vccz .LBB91_279
; %bb.278:
	scratch_load_b64 v[60:61], v59, off
	ds_load_b64 v[62:63], v1
	s_wait_loadcnt_dscnt 0x0
	v_pk_mul_f32 v[64:65], v[62:63], v[60:61] op_sel:[1,1] op_sel_hi:[0,1]
	v_pk_mul_f32 v[66:67], v[62:63], v[60:61] op_sel_hi:[1,0]
	s_delay_alu instid0(VALU_DEP_2) | instskip(NEXT) | instid1(VALU_DEP_2)
	v_pk_fma_f32 v[60:61], v[62:63], v[60:61], v[64:65] op_sel_hi:[1,0,1]
	v_sub_f32_e32 v60, v66, v64
	s_cbranch_execz .LBB91_280
	s_branch .LBB91_281
.LBB91_279:
                                        ; implicit-def: $vgpr61
.LBB91_280:
	ds_load_b64 v[60:61], v1
.LBB91_281:
	s_wait_dscnt 0x0
	v_dual_mov_b32 v62, 0 :: v_dual_mov_b32 v64, v61
	v_mov_b32_e32 v65, v60
	ds_load_b64 v[62:63], v62 offset:8
	s_wait_dscnt 0x0
	v_pk_mul_f32 v[64:65], v[64:65], v[62:63] op_sel:[0,1]
	s_delay_alu instid0(VALU_DEP_1) | instskip(SKIP_1) | instid1(VALU_DEP_2)
	v_pk_fma_f32 v[66:67], v[60:61], v[62:63], v[64:65] op_sel_hi:[1,0,1]
	v_pk_fma_f32 v[60:61], v[60:61], v[62:63], v[64:65] neg_lo:[0,0,1] neg_hi:[0,0,1]
	v_mov_b32_e32 v61, v67
	scratch_store_b64 off, v[60:61], off offset:8
.LBB91_282:
	s_wait_xcnt 0x0
	s_or_b32 exec_lo, exec_lo, s2
	scratch_load_b64 v[60:61], off, off offset:16
	v_cndmask_b32_e64 v62, 0, 1, s3
	s_mov_b32 s2, exec_lo
	s_wait_loadcnt 0x0
	ds_store_b64 v1, v[60:61]
	s_wait_storecnt_dscnt 0x0
	s_barrier_signal -1
	s_barrier_wait -1
	s_wait_xcnt 0x0
	v_cmpx_gt_u32_e32 2, v0
	s_cbranch_execz .LBB91_290
; %bb.283:
	s_and_not1_b32 vcc_lo, exec_lo, s3
	s_cbranch_vccnz .LBB91_285
; %bb.284:
	scratch_load_b64 v[60:61], v59, off
	ds_load_b64 v[64:65], v1
	s_wait_loadcnt_dscnt 0x0
	v_pk_mul_f32 v[66:67], v[64:65], v[60:61] op_sel:[1,1] op_sel_hi:[0,1]
	s_delay_alu instid0(VALU_DEP_1) | instskip(SKIP_1) | instid1(VALU_DEP_2)
	v_pk_fma_f32 v[68:69], v[64:65], v[60:61], v[66:67] op_sel_hi:[1,0,1]
	v_pk_fma_f32 v[60:61], v[64:65], v[60:61], v[66:67] neg_lo:[0,0,1] neg_hi:[0,0,1]
	v_mov_b32_e32 v61, v69
	s_cbranch_execz .LBB91_286
	s_branch .LBB91_287
.LBB91_285:
                                        ; implicit-def: $vgpr60_vgpr61
.LBB91_286:
	ds_load_b64 v[60:61], v1
.LBB91_287:
	s_and_saveexec_b32 s3, s0
	s_cbranch_execz .LBB91_289
; %bb.288:
	scratch_load_b64 v[64:65], off, off offset:8
	v_mov_b32_e32 v63, 0
	ds_load_b64 v[66:67], v63 offset:232
	s_wait_loadcnt_dscnt 0x0
	v_pk_mul_f32 v[68:69], v[66:67], v[64:65] op_sel:[1,1] op_sel_hi:[0,1]
	s_delay_alu instid0(VALU_DEP_1) | instskip(SKIP_1) | instid1(VALU_DEP_2)
	v_pk_fma_f32 v[70:71], v[66:67], v[64:65], v[68:69] op_sel_hi:[1,0,1]
	v_pk_fma_f32 v[64:65], v[66:67], v[64:65], v[68:69] neg_lo:[0,0,1] neg_hi:[0,0,1]
	v_mov_b32_e32 v65, v71
	s_delay_alu instid0(VALU_DEP_1)
	v_pk_add_f32 v[60:61], v[60:61], v[64:65]
.LBB91_289:
	s_or_b32 exec_lo, exec_lo, s3
	v_mov_b32_e32 v63, 0
	ds_load_b64 v[64:65], v63 offset:16
	s_wait_dscnt 0x0
	v_pk_mul_f32 v[66:67], v[60:61], v[64:65] op_sel:[1,1] op_sel_hi:[0,1]
	s_delay_alu instid0(VALU_DEP_1) | instskip(SKIP_1) | instid1(VALU_DEP_2)
	v_pk_fma_f32 v[68:69], v[60:61], v[64:65], v[66:67] op_sel_hi:[1,0,1]
	v_pk_fma_f32 v[60:61], v[60:61], v[64:65], v[66:67] neg_lo:[0,0,1] neg_hi:[0,0,1]
	v_mov_b32_e32 v61, v69
	scratch_store_b64 off, v[60:61], off offset:16
.LBB91_290:
	s_wait_xcnt 0x0
	s_or_b32 exec_lo, exec_lo, s2
	scratch_load_b64 v[60:61], off, off offset:24
	s_mov_b32 s2, exec_lo
	s_wait_loadcnt 0x0
	ds_store_b64 v1, v[60:61]
	s_wait_storecnt_dscnt 0x0
	s_barrier_signal -1
	s_barrier_wait -1
	s_wait_xcnt 0x0
	v_cmpx_gt_u32_e32 3, v0
	s_cbranch_execz .LBB91_300
; %bb.291:
	v_cmp_ne_u32_e32 vcc_lo, 1, v62
	s_cbranch_vccnz .LBB91_293
; %bb.292:
	scratch_load_b64 v[60:61], v59, off
	ds_load_b64 v[64:65], v1
	s_wait_loadcnt_dscnt 0x0
	v_pk_mul_f32 v[66:67], v[64:65], v[60:61] op_sel:[1,1] op_sel_hi:[0,1]
	s_delay_alu instid0(VALU_DEP_1) | instskip(SKIP_1) | instid1(VALU_DEP_2)
	v_pk_fma_f32 v[68:69], v[64:65], v[60:61], v[66:67] op_sel_hi:[1,0,1]
	v_pk_fma_f32 v[60:61], v[64:65], v[60:61], v[66:67] neg_lo:[0,0,1] neg_hi:[0,0,1]
	v_mov_b32_e32 v61, v69
	s_cbranch_execz .LBB91_294
	s_branch .LBB91_295
.LBB91_293:
                                        ; implicit-def: $vgpr60_vgpr61
.LBB91_294:
	ds_load_b64 v[60:61], v1
.LBB91_295:
	s_mov_b32 s3, exec_lo
	v_cmpx_ne_u32_e32 2, v0
	s_cbranch_execz .LBB91_299
; %bb.296:
	scratch_load_b64 v[64:65], v59, off offset:8
	ds_load_b64 v[66:67], v1 offset:8
	s_wait_loadcnt_dscnt 0x0
	v_pk_mul_f32 v[68:69], v[66:67], v[64:65] op_sel:[1,1] op_sel_hi:[0,1]
	s_delay_alu instid0(VALU_DEP_1) | instskip(SKIP_1) | instid1(VALU_DEP_2)
	v_pk_fma_f32 v[70:71], v[66:67], v[64:65], v[68:69] op_sel_hi:[1,0,1]
	v_pk_fma_f32 v[64:65], v[66:67], v[64:65], v[68:69] neg_lo:[0,0,1] neg_hi:[0,0,1]
	v_mov_b32_e32 v65, v71
	s_delay_alu instid0(VALU_DEP_1)
	v_pk_add_f32 v[60:61], v[60:61], v[64:65]
	s_and_saveexec_b32 s4, s0
	s_cbranch_execz .LBB91_298
; %bb.297:
	scratch_load_b64 v[64:65], off, off offset:16
	v_mov_b32_e32 v63, 0
	ds_load_b64 v[66:67], v63 offset:240
	s_wait_loadcnt_dscnt 0x0
	v_pk_mul_f32 v[68:69], v[66:67], v[64:65] op_sel:[1,1] op_sel_hi:[0,1]
	s_delay_alu instid0(VALU_DEP_1) | instskip(SKIP_1) | instid1(VALU_DEP_2)
	v_pk_fma_f32 v[70:71], v[66:67], v[64:65], v[68:69] op_sel_hi:[1,0,1]
	v_pk_fma_f32 v[64:65], v[66:67], v[64:65], v[68:69] neg_lo:[0,0,1] neg_hi:[0,0,1]
	v_mov_b32_e32 v65, v71
	s_delay_alu instid0(VALU_DEP_1)
	v_pk_add_f32 v[60:61], v[60:61], v[64:65]
.LBB91_298:
	s_or_b32 exec_lo, exec_lo, s4
.LBB91_299:
	s_delay_alu instid0(SALU_CYCLE_1) | instskip(SKIP_4) | instid1(VALU_DEP_1)
	s_or_b32 exec_lo, exec_lo, s3
	v_mov_b32_e32 v63, 0
	ds_load_b64 v[64:65], v63 offset:24
	s_wait_dscnt 0x0
	v_pk_mul_f32 v[66:67], v[60:61], v[64:65] op_sel:[1,1] op_sel_hi:[0,1]
	v_pk_fma_f32 v[68:69], v[60:61], v[64:65], v[66:67] op_sel_hi:[1,0,1]
	v_pk_fma_f32 v[60:61], v[60:61], v[64:65], v[66:67] neg_lo:[0,0,1] neg_hi:[0,0,1]
	s_delay_alu instid0(VALU_DEP_2)
	v_mov_b32_e32 v61, v69
	scratch_store_b64 off, v[60:61], off offset:24
.LBB91_300:
	s_wait_xcnt 0x0
	s_or_b32 exec_lo, exec_lo, s2
	scratch_load_b64 v[60:61], off, off offset:32
	s_mov_b32 s0, exec_lo
	s_wait_loadcnt 0x0
	ds_store_b64 v1, v[60:61]
	s_wait_storecnt_dscnt 0x0
	s_barrier_signal -1
	s_barrier_wait -1
	s_wait_xcnt 0x0
	v_cmpx_gt_u32_e32 4, v0
	s_cbranch_execz .LBB91_310
; %bb.301:
	v_cmp_ne_u32_e32 vcc_lo, 1, v62
	s_cbranch_vccnz .LBB91_303
; %bb.302:
	scratch_load_b64 v[60:61], v59, off
	ds_load_b64 v[64:65], v1
	s_wait_loadcnt_dscnt 0x0
	v_pk_mul_f32 v[66:67], v[64:65], v[60:61] op_sel:[1,1] op_sel_hi:[0,1]
	s_delay_alu instid0(VALU_DEP_1) | instskip(SKIP_1) | instid1(VALU_DEP_2)
	v_pk_fma_f32 v[68:69], v[64:65], v[60:61], v[66:67] op_sel_hi:[1,0,1]
	v_pk_fma_f32 v[60:61], v[64:65], v[60:61], v[66:67] neg_lo:[0,0,1] neg_hi:[0,0,1]
	v_mov_b32_e32 v61, v69
	s_cbranch_execz .LBB91_304
	s_branch .LBB91_305
.LBB91_303:
                                        ; implicit-def: $vgpr60_vgpr61
.LBB91_304:
	ds_load_b64 v[60:61], v1
.LBB91_305:
	s_mov_b32 s2, exec_lo
	v_cmpx_ne_u32_e32 3, v0
	s_cbranch_execz .LBB91_309
; %bb.306:
	v_add_nc_u32_e32 v63, 0xe8, v58
	v_add3_u32 v64, 0, v58, 8
	v_mov_b32_e32 v65, v0
	s_mov_b32 s3, 0
.LBB91_307:                             ; =>This Inner Loop Header: Depth=1
	scratch_load_b64 v[66:67], v64, off
	ds_load_b64 v[68:69], v63
	s_wait_xcnt 0x0
	v_dual_add_nc_u32 v63, 8, v63 :: v_dual_add_nc_u32 v64, 8, v64
	s_wait_loadcnt_dscnt 0x0
	v_pk_mul_f32 v[70:71], v[68:69], v[66:67] op_sel:[1,1] op_sel_hi:[0,1]
	s_delay_alu instid0(VALU_DEP_1) | instskip(SKIP_2) | instid1(VALU_DEP_3)
	v_pk_fma_f32 v[72:73], v[68:69], v[66:67], v[70:71] op_sel_hi:[1,0,1]
	v_add_nc_u32_e32 v65, 1, v65
	v_pk_fma_f32 v[66:67], v[68:69], v[66:67], v[70:71] neg_lo:[0,0,1] neg_hi:[0,0,1]
	v_mov_b32_e32 v67, v73
	s_delay_alu instid0(VALU_DEP_3) | instskip(NEXT) | instid1(VALU_DEP_2)
	v_cmp_lt_u32_e32 vcc_lo, 2, v65
	v_pk_add_f32 v[60:61], v[60:61], v[66:67]
	s_or_b32 s3, vcc_lo, s3
	s_delay_alu instid0(SALU_CYCLE_1)
	s_and_not1_b32 exec_lo, exec_lo, s3
	s_cbranch_execnz .LBB91_307
; %bb.308:
	s_or_b32 exec_lo, exec_lo, s3
.LBB91_309:
	s_delay_alu instid0(SALU_CYCLE_1) | instskip(SKIP_4) | instid1(VALU_DEP_1)
	s_or_b32 exec_lo, exec_lo, s2
	v_mov_b32_e32 v63, 0
	ds_load_b64 v[64:65], v63 offset:32
	s_wait_dscnt 0x0
	v_pk_mul_f32 v[66:67], v[60:61], v[64:65] op_sel:[1,1] op_sel_hi:[0,1]
	v_pk_fma_f32 v[68:69], v[60:61], v[64:65], v[66:67] op_sel_hi:[1,0,1]
	v_pk_fma_f32 v[60:61], v[60:61], v[64:65], v[66:67] neg_lo:[0,0,1] neg_hi:[0,0,1]
	s_delay_alu instid0(VALU_DEP_2)
	v_mov_b32_e32 v61, v69
	scratch_store_b64 off, v[60:61], off offset:32
.LBB91_310:
	s_wait_xcnt 0x0
	s_or_b32 exec_lo, exec_lo, s0
	scratch_load_b64 v[60:61], off, off offset:40
	s_mov_b32 s0, exec_lo
	s_wait_loadcnt 0x0
	ds_store_b64 v1, v[60:61]
	s_wait_storecnt_dscnt 0x0
	s_barrier_signal -1
	s_barrier_wait -1
	s_wait_xcnt 0x0
	v_cmpx_gt_u32_e32 5, v0
	s_cbranch_execz .LBB91_320
; %bb.311:
	v_cmp_ne_u32_e32 vcc_lo, 1, v62
	s_cbranch_vccnz .LBB91_313
; %bb.312:
	scratch_load_b64 v[60:61], v59, off
	ds_load_b64 v[64:65], v1
	s_wait_loadcnt_dscnt 0x0
	v_pk_mul_f32 v[66:67], v[64:65], v[60:61] op_sel:[1,1] op_sel_hi:[0,1]
	s_delay_alu instid0(VALU_DEP_1) | instskip(SKIP_1) | instid1(VALU_DEP_2)
	v_pk_fma_f32 v[68:69], v[64:65], v[60:61], v[66:67] op_sel_hi:[1,0,1]
	v_pk_fma_f32 v[60:61], v[64:65], v[60:61], v[66:67] neg_lo:[0,0,1] neg_hi:[0,0,1]
	v_mov_b32_e32 v61, v69
	s_cbranch_execz .LBB91_314
	s_branch .LBB91_315
.LBB91_313:
                                        ; implicit-def: $vgpr60_vgpr61
.LBB91_314:
	ds_load_b64 v[60:61], v1
.LBB91_315:
	s_mov_b32 s2, exec_lo
	v_cmpx_ne_u32_e32 4, v0
	s_cbranch_execz .LBB91_319
; %bb.316:
	v_add_nc_u32_e32 v63, 0xe8, v58
	v_add3_u32 v64, 0, v58, 8
	v_mov_b32_e32 v65, v0
	s_mov_b32 s3, 0
.LBB91_317:                             ; =>This Inner Loop Header: Depth=1
	scratch_load_b64 v[66:67], v64, off
	ds_load_b64 v[68:69], v63
	s_wait_xcnt 0x0
	v_dual_add_nc_u32 v63, 8, v63 :: v_dual_add_nc_u32 v64, 8, v64
	s_wait_loadcnt_dscnt 0x0
	v_pk_mul_f32 v[70:71], v[68:69], v[66:67] op_sel:[1,1] op_sel_hi:[0,1]
	s_delay_alu instid0(VALU_DEP_1) | instskip(SKIP_2) | instid1(VALU_DEP_3)
	v_pk_fma_f32 v[72:73], v[68:69], v[66:67], v[70:71] op_sel_hi:[1,0,1]
	v_add_nc_u32_e32 v65, 1, v65
	v_pk_fma_f32 v[66:67], v[68:69], v[66:67], v[70:71] neg_lo:[0,0,1] neg_hi:[0,0,1]
	v_mov_b32_e32 v67, v73
	s_delay_alu instid0(VALU_DEP_3) | instskip(NEXT) | instid1(VALU_DEP_2)
	v_cmp_lt_u32_e32 vcc_lo, 3, v65
	v_pk_add_f32 v[60:61], v[60:61], v[66:67]
	s_or_b32 s3, vcc_lo, s3
	s_delay_alu instid0(SALU_CYCLE_1)
	s_and_not1_b32 exec_lo, exec_lo, s3
	s_cbranch_execnz .LBB91_317
; %bb.318:
	s_or_b32 exec_lo, exec_lo, s3
.LBB91_319:
	s_delay_alu instid0(SALU_CYCLE_1) | instskip(SKIP_4) | instid1(VALU_DEP_1)
	s_or_b32 exec_lo, exec_lo, s2
	v_mov_b32_e32 v63, 0
	ds_load_b64 v[64:65], v63 offset:40
	s_wait_dscnt 0x0
	v_pk_mul_f32 v[66:67], v[60:61], v[64:65] op_sel:[1,1] op_sel_hi:[0,1]
	v_pk_fma_f32 v[68:69], v[60:61], v[64:65], v[66:67] op_sel_hi:[1,0,1]
	v_pk_fma_f32 v[60:61], v[60:61], v[64:65], v[66:67] neg_lo:[0,0,1] neg_hi:[0,0,1]
	s_delay_alu instid0(VALU_DEP_2)
	v_mov_b32_e32 v61, v69
	scratch_store_b64 off, v[60:61], off offset:40
.LBB91_320:
	s_wait_xcnt 0x0
	s_or_b32 exec_lo, exec_lo, s0
	scratch_load_b64 v[60:61], off, off offset:48
	s_mov_b32 s0, exec_lo
	s_wait_loadcnt 0x0
	ds_store_b64 v1, v[60:61]
	s_wait_storecnt_dscnt 0x0
	s_barrier_signal -1
	s_barrier_wait -1
	s_wait_xcnt 0x0
	v_cmpx_gt_u32_e32 6, v0
	s_cbranch_execz .LBB91_330
; %bb.321:
	v_cmp_ne_u32_e32 vcc_lo, 1, v62
	s_cbranch_vccnz .LBB91_323
; %bb.322:
	scratch_load_b64 v[60:61], v59, off
	ds_load_b64 v[64:65], v1
	s_wait_loadcnt_dscnt 0x0
	v_pk_mul_f32 v[66:67], v[64:65], v[60:61] op_sel:[1,1] op_sel_hi:[0,1]
	s_delay_alu instid0(VALU_DEP_1) | instskip(SKIP_1) | instid1(VALU_DEP_2)
	v_pk_fma_f32 v[68:69], v[64:65], v[60:61], v[66:67] op_sel_hi:[1,0,1]
	v_pk_fma_f32 v[60:61], v[64:65], v[60:61], v[66:67] neg_lo:[0,0,1] neg_hi:[0,0,1]
	v_mov_b32_e32 v61, v69
	s_cbranch_execz .LBB91_324
	s_branch .LBB91_325
.LBB91_323:
                                        ; implicit-def: $vgpr60_vgpr61
.LBB91_324:
	ds_load_b64 v[60:61], v1
.LBB91_325:
	s_mov_b32 s2, exec_lo
	v_cmpx_ne_u32_e32 5, v0
	s_cbranch_execz .LBB91_329
; %bb.326:
	v_add_nc_u32_e32 v63, 0xe8, v58
	v_add3_u32 v64, 0, v58, 8
	v_mov_b32_e32 v65, v0
	s_mov_b32 s3, 0
.LBB91_327:                             ; =>This Inner Loop Header: Depth=1
	scratch_load_b64 v[66:67], v64, off
	ds_load_b64 v[68:69], v63
	s_wait_xcnt 0x0
	v_dual_add_nc_u32 v63, 8, v63 :: v_dual_add_nc_u32 v64, 8, v64
	s_wait_loadcnt_dscnt 0x0
	v_pk_mul_f32 v[70:71], v[68:69], v[66:67] op_sel:[1,1] op_sel_hi:[0,1]
	s_delay_alu instid0(VALU_DEP_1) | instskip(SKIP_2) | instid1(VALU_DEP_3)
	v_pk_fma_f32 v[72:73], v[68:69], v[66:67], v[70:71] op_sel_hi:[1,0,1]
	v_add_nc_u32_e32 v65, 1, v65
	v_pk_fma_f32 v[66:67], v[68:69], v[66:67], v[70:71] neg_lo:[0,0,1] neg_hi:[0,0,1]
	v_mov_b32_e32 v67, v73
	s_delay_alu instid0(VALU_DEP_3) | instskip(NEXT) | instid1(VALU_DEP_2)
	v_cmp_lt_u32_e32 vcc_lo, 4, v65
	v_pk_add_f32 v[60:61], v[60:61], v[66:67]
	s_or_b32 s3, vcc_lo, s3
	s_delay_alu instid0(SALU_CYCLE_1)
	s_and_not1_b32 exec_lo, exec_lo, s3
	s_cbranch_execnz .LBB91_327
; %bb.328:
	s_or_b32 exec_lo, exec_lo, s3
.LBB91_329:
	s_delay_alu instid0(SALU_CYCLE_1) | instskip(SKIP_4) | instid1(VALU_DEP_1)
	s_or_b32 exec_lo, exec_lo, s2
	v_mov_b32_e32 v63, 0
	ds_load_b64 v[64:65], v63 offset:48
	s_wait_dscnt 0x0
	v_pk_mul_f32 v[66:67], v[60:61], v[64:65] op_sel:[1,1] op_sel_hi:[0,1]
	v_pk_fma_f32 v[68:69], v[60:61], v[64:65], v[66:67] op_sel_hi:[1,0,1]
	v_pk_fma_f32 v[60:61], v[60:61], v[64:65], v[66:67] neg_lo:[0,0,1] neg_hi:[0,0,1]
	s_delay_alu instid0(VALU_DEP_2)
	v_mov_b32_e32 v61, v69
	scratch_store_b64 off, v[60:61], off offset:48
.LBB91_330:
	s_wait_xcnt 0x0
	s_or_b32 exec_lo, exec_lo, s0
	scratch_load_b64 v[60:61], off, off offset:56
	s_mov_b32 s0, exec_lo
	s_wait_loadcnt 0x0
	ds_store_b64 v1, v[60:61]
	s_wait_storecnt_dscnt 0x0
	s_barrier_signal -1
	s_barrier_wait -1
	s_wait_xcnt 0x0
	v_cmpx_gt_u32_e32 7, v0
	s_cbranch_execz .LBB91_340
; %bb.331:
	v_cmp_ne_u32_e32 vcc_lo, 1, v62
	s_cbranch_vccnz .LBB91_333
; %bb.332:
	scratch_load_b64 v[60:61], v59, off
	ds_load_b64 v[64:65], v1
	s_wait_loadcnt_dscnt 0x0
	v_pk_mul_f32 v[66:67], v[64:65], v[60:61] op_sel:[1,1] op_sel_hi:[0,1]
	s_delay_alu instid0(VALU_DEP_1) | instskip(SKIP_1) | instid1(VALU_DEP_2)
	v_pk_fma_f32 v[68:69], v[64:65], v[60:61], v[66:67] op_sel_hi:[1,0,1]
	v_pk_fma_f32 v[60:61], v[64:65], v[60:61], v[66:67] neg_lo:[0,0,1] neg_hi:[0,0,1]
	v_mov_b32_e32 v61, v69
	s_cbranch_execz .LBB91_334
	s_branch .LBB91_335
.LBB91_333:
                                        ; implicit-def: $vgpr60_vgpr61
.LBB91_334:
	ds_load_b64 v[60:61], v1
.LBB91_335:
	s_mov_b32 s2, exec_lo
	v_cmpx_ne_u32_e32 6, v0
	s_cbranch_execz .LBB91_339
; %bb.336:
	v_add_nc_u32_e32 v63, 0xe8, v58
	v_add3_u32 v64, 0, v58, 8
	v_mov_b32_e32 v65, v0
	s_mov_b32 s3, 0
.LBB91_337:                             ; =>This Inner Loop Header: Depth=1
	scratch_load_b64 v[66:67], v64, off
	ds_load_b64 v[68:69], v63
	s_wait_xcnt 0x0
	v_dual_add_nc_u32 v63, 8, v63 :: v_dual_add_nc_u32 v64, 8, v64
	s_wait_loadcnt_dscnt 0x0
	v_pk_mul_f32 v[70:71], v[68:69], v[66:67] op_sel:[1,1] op_sel_hi:[0,1]
	s_delay_alu instid0(VALU_DEP_1) | instskip(SKIP_2) | instid1(VALU_DEP_3)
	v_pk_fma_f32 v[72:73], v[68:69], v[66:67], v[70:71] op_sel_hi:[1,0,1]
	v_add_nc_u32_e32 v65, 1, v65
	v_pk_fma_f32 v[66:67], v[68:69], v[66:67], v[70:71] neg_lo:[0,0,1] neg_hi:[0,0,1]
	v_mov_b32_e32 v67, v73
	s_delay_alu instid0(VALU_DEP_3) | instskip(NEXT) | instid1(VALU_DEP_2)
	v_cmp_lt_u32_e32 vcc_lo, 5, v65
	v_pk_add_f32 v[60:61], v[60:61], v[66:67]
	s_or_b32 s3, vcc_lo, s3
	s_delay_alu instid0(SALU_CYCLE_1)
	s_and_not1_b32 exec_lo, exec_lo, s3
	s_cbranch_execnz .LBB91_337
; %bb.338:
	s_or_b32 exec_lo, exec_lo, s3
.LBB91_339:
	s_delay_alu instid0(SALU_CYCLE_1) | instskip(SKIP_4) | instid1(VALU_DEP_1)
	s_or_b32 exec_lo, exec_lo, s2
	v_mov_b32_e32 v63, 0
	ds_load_b64 v[64:65], v63 offset:56
	s_wait_dscnt 0x0
	v_pk_mul_f32 v[66:67], v[60:61], v[64:65] op_sel:[1,1] op_sel_hi:[0,1]
	v_pk_fma_f32 v[68:69], v[60:61], v[64:65], v[66:67] op_sel_hi:[1,0,1]
	v_pk_fma_f32 v[60:61], v[60:61], v[64:65], v[66:67] neg_lo:[0,0,1] neg_hi:[0,0,1]
	s_delay_alu instid0(VALU_DEP_2)
	v_mov_b32_e32 v61, v69
	scratch_store_b64 off, v[60:61], off offset:56
.LBB91_340:
	s_wait_xcnt 0x0
	s_or_b32 exec_lo, exec_lo, s0
	scratch_load_b64 v[60:61], off, off offset:64
	s_mov_b32 s0, exec_lo
	s_wait_loadcnt 0x0
	ds_store_b64 v1, v[60:61]
	s_wait_storecnt_dscnt 0x0
	s_barrier_signal -1
	s_barrier_wait -1
	s_wait_xcnt 0x0
	v_cmpx_gt_u32_e32 8, v0
	s_cbranch_execz .LBB91_350
; %bb.341:
	v_cmp_ne_u32_e32 vcc_lo, 1, v62
	s_cbranch_vccnz .LBB91_343
; %bb.342:
	scratch_load_b64 v[60:61], v59, off
	ds_load_b64 v[64:65], v1
	s_wait_loadcnt_dscnt 0x0
	v_pk_mul_f32 v[66:67], v[64:65], v[60:61] op_sel:[1,1] op_sel_hi:[0,1]
	s_delay_alu instid0(VALU_DEP_1) | instskip(SKIP_1) | instid1(VALU_DEP_2)
	v_pk_fma_f32 v[68:69], v[64:65], v[60:61], v[66:67] op_sel_hi:[1,0,1]
	v_pk_fma_f32 v[60:61], v[64:65], v[60:61], v[66:67] neg_lo:[0,0,1] neg_hi:[0,0,1]
	v_mov_b32_e32 v61, v69
	s_cbranch_execz .LBB91_344
	s_branch .LBB91_345
.LBB91_343:
                                        ; implicit-def: $vgpr60_vgpr61
.LBB91_344:
	ds_load_b64 v[60:61], v1
.LBB91_345:
	s_mov_b32 s2, exec_lo
	v_cmpx_ne_u32_e32 7, v0
	s_cbranch_execz .LBB91_349
; %bb.346:
	v_add_nc_u32_e32 v63, 0xe8, v58
	v_add3_u32 v64, 0, v58, 8
	v_mov_b32_e32 v65, v0
	s_mov_b32 s3, 0
.LBB91_347:                             ; =>This Inner Loop Header: Depth=1
	scratch_load_b64 v[66:67], v64, off
	ds_load_b64 v[68:69], v63
	s_wait_xcnt 0x0
	v_dual_add_nc_u32 v63, 8, v63 :: v_dual_add_nc_u32 v64, 8, v64
	s_wait_loadcnt_dscnt 0x0
	v_pk_mul_f32 v[70:71], v[68:69], v[66:67] op_sel:[1,1] op_sel_hi:[0,1]
	s_delay_alu instid0(VALU_DEP_1) | instskip(SKIP_2) | instid1(VALU_DEP_3)
	v_pk_fma_f32 v[72:73], v[68:69], v[66:67], v[70:71] op_sel_hi:[1,0,1]
	v_add_nc_u32_e32 v65, 1, v65
	v_pk_fma_f32 v[66:67], v[68:69], v[66:67], v[70:71] neg_lo:[0,0,1] neg_hi:[0,0,1]
	v_mov_b32_e32 v67, v73
	s_delay_alu instid0(VALU_DEP_3) | instskip(NEXT) | instid1(VALU_DEP_2)
	v_cmp_lt_u32_e32 vcc_lo, 6, v65
	v_pk_add_f32 v[60:61], v[60:61], v[66:67]
	s_or_b32 s3, vcc_lo, s3
	s_delay_alu instid0(SALU_CYCLE_1)
	s_and_not1_b32 exec_lo, exec_lo, s3
	s_cbranch_execnz .LBB91_347
; %bb.348:
	s_or_b32 exec_lo, exec_lo, s3
.LBB91_349:
	s_delay_alu instid0(SALU_CYCLE_1) | instskip(SKIP_4) | instid1(VALU_DEP_1)
	s_or_b32 exec_lo, exec_lo, s2
	v_mov_b32_e32 v63, 0
	ds_load_b64 v[64:65], v63 offset:64
	s_wait_dscnt 0x0
	v_pk_mul_f32 v[66:67], v[60:61], v[64:65] op_sel:[1,1] op_sel_hi:[0,1]
	v_pk_fma_f32 v[68:69], v[60:61], v[64:65], v[66:67] op_sel_hi:[1,0,1]
	v_pk_fma_f32 v[60:61], v[60:61], v[64:65], v[66:67] neg_lo:[0,0,1] neg_hi:[0,0,1]
	s_delay_alu instid0(VALU_DEP_2)
	v_mov_b32_e32 v61, v69
	scratch_store_b64 off, v[60:61], off offset:64
.LBB91_350:
	s_wait_xcnt 0x0
	s_or_b32 exec_lo, exec_lo, s0
	scratch_load_b64 v[60:61], off, off offset:72
	s_mov_b32 s0, exec_lo
	s_wait_loadcnt 0x0
	ds_store_b64 v1, v[60:61]
	s_wait_storecnt_dscnt 0x0
	s_barrier_signal -1
	s_barrier_wait -1
	s_wait_xcnt 0x0
	v_cmpx_gt_u32_e32 9, v0
	s_cbranch_execz .LBB91_360
; %bb.351:
	v_cmp_ne_u32_e32 vcc_lo, 1, v62
	s_cbranch_vccnz .LBB91_353
; %bb.352:
	scratch_load_b64 v[60:61], v59, off
	ds_load_b64 v[64:65], v1
	s_wait_loadcnt_dscnt 0x0
	v_pk_mul_f32 v[66:67], v[64:65], v[60:61] op_sel:[1,1] op_sel_hi:[0,1]
	s_delay_alu instid0(VALU_DEP_1) | instskip(SKIP_1) | instid1(VALU_DEP_2)
	v_pk_fma_f32 v[68:69], v[64:65], v[60:61], v[66:67] op_sel_hi:[1,0,1]
	v_pk_fma_f32 v[60:61], v[64:65], v[60:61], v[66:67] neg_lo:[0,0,1] neg_hi:[0,0,1]
	v_mov_b32_e32 v61, v69
	s_cbranch_execz .LBB91_354
	s_branch .LBB91_355
.LBB91_353:
                                        ; implicit-def: $vgpr60_vgpr61
.LBB91_354:
	ds_load_b64 v[60:61], v1
.LBB91_355:
	s_mov_b32 s2, exec_lo
	v_cmpx_ne_u32_e32 8, v0
	s_cbranch_execz .LBB91_359
; %bb.356:
	v_add_nc_u32_e32 v63, 0xe8, v58
	v_add3_u32 v64, 0, v58, 8
	v_mov_b32_e32 v65, v0
	s_mov_b32 s3, 0
.LBB91_357:                             ; =>This Inner Loop Header: Depth=1
	scratch_load_b64 v[66:67], v64, off
	ds_load_b64 v[68:69], v63
	s_wait_xcnt 0x0
	v_dual_add_nc_u32 v63, 8, v63 :: v_dual_add_nc_u32 v64, 8, v64
	s_wait_loadcnt_dscnt 0x0
	v_pk_mul_f32 v[70:71], v[68:69], v[66:67] op_sel:[1,1] op_sel_hi:[0,1]
	s_delay_alu instid0(VALU_DEP_1) | instskip(SKIP_2) | instid1(VALU_DEP_3)
	v_pk_fma_f32 v[72:73], v[68:69], v[66:67], v[70:71] op_sel_hi:[1,0,1]
	v_add_nc_u32_e32 v65, 1, v65
	v_pk_fma_f32 v[66:67], v[68:69], v[66:67], v[70:71] neg_lo:[0,0,1] neg_hi:[0,0,1]
	v_mov_b32_e32 v67, v73
	s_delay_alu instid0(VALU_DEP_3) | instskip(NEXT) | instid1(VALU_DEP_2)
	v_cmp_lt_u32_e32 vcc_lo, 7, v65
	v_pk_add_f32 v[60:61], v[60:61], v[66:67]
	s_or_b32 s3, vcc_lo, s3
	s_delay_alu instid0(SALU_CYCLE_1)
	s_and_not1_b32 exec_lo, exec_lo, s3
	s_cbranch_execnz .LBB91_357
; %bb.358:
	s_or_b32 exec_lo, exec_lo, s3
.LBB91_359:
	s_delay_alu instid0(SALU_CYCLE_1) | instskip(SKIP_4) | instid1(VALU_DEP_1)
	s_or_b32 exec_lo, exec_lo, s2
	v_mov_b32_e32 v63, 0
	ds_load_b64 v[64:65], v63 offset:72
	s_wait_dscnt 0x0
	v_pk_mul_f32 v[66:67], v[60:61], v[64:65] op_sel:[1,1] op_sel_hi:[0,1]
	v_pk_fma_f32 v[68:69], v[60:61], v[64:65], v[66:67] op_sel_hi:[1,0,1]
	v_pk_fma_f32 v[60:61], v[60:61], v[64:65], v[66:67] neg_lo:[0,0,1] neg_hi:[0,0,1]
	s_delay_alu instid0(VALU_DEP_2)
	v_mov_b32_e32 v61, v69
	scratch_store_b64 off, v[60:61], off offset:72
.LBB91_360:
	s_wait_xcnt 0x0
	s_or_b32 exec_lo, exec_lo, s0
	scratch_load_b64 v[60:61], off, off offset:80
	s_mov_b32 s0, exec_lo
	s_wait_loadcnt 0x0
	ds_store_b64 v1, v[60:61]
	s_wait_storecnt_dscnt 0x0
	s_barrier_signal -1
	s_barrier_wait -1
	s_wait_xcnt 0x0
	v_cmpx_gt_u32_e32 10, v0
	s_cbranch_execz .LBB91_370
; %bb.361:
	v_cmp_ne_u32_e32 vcc_lo, 1, v62
	s_cbranch_vccnz .LBB91_363
; %bb.362:
	scratch_load_b64 v[60:61], v59, off
	ds_load_b64 v[64:65], v1
	s_wait_loadcnt_dscnt 0x0
	v_pk_mul_f32 v[66:67], v[64:65], v[60:61] op_sel:[1,1] op_sel_hi:[0,1]
	s_delay_alu instid0(VALU_DEP_1) | instskip(SKIP_1) | instid1(VALU_DEP_2)
	v_pk_fma_f32 v[68:69], v[64:65], v[60:61], v[66:67] op_sel_hi:[1,0,1]
	v_pk_fma_f32 v[60:61], v[64:65], v[60:61], v[66:67] neg_lo:[0,0,1] neg_hi:[0,0,1]
	v_mov_b32_e32 v61, v69
	s_cbranch_execz .LBB91_364
	s_branch .LBB91_365
.LBB91_363:
                                        ; implicit-def: $vgpr60_vgpr61
.LBB91_364:
	ds_load_b64 v[60:61], v1
.LBB91_365:
	s_mov_b32 s2, exec_lo
	v_cmpx_ne_u32_e32 9, v0
	s_cbranch_execz .LBB91_369
; %bb.366:
	v_add_nc_u32_e32 v63, 0xe8, v58
	v_add3_u32 v64, 0, v58, 8
	v_mov_b32_e32 v65, v0
	s_mov_b32 s3, 0
.LBB91_367:                             ; =>This Inner Loop Header: Depth=1
	scratch_load_b64 v[66:67], v64, off
	ds_load_b64 v[68:69], v63
	s_wait_xcnt 0x0
	v_dual_add_nc_u32 v63, 8, v63 :: v_dual_add_nc_u32 v64, 8, v64
	s_wait_loadcnt_dscnt 0x0
	v_pk_mul_f32 v[70:71], v[68:69], v[66:67] op_sel:[1,1] op_sel_hi:[0,1]
	s_delay_alu instid0(VALU_DEP_1) | instskip(SKIP_2) | instid1(VALU_DEP_3)
	v_pk_fma_f32 v[72:73], v[68:69], v[66:67], v[70:71] op_sel_hi:[1,0,1]
	v_add_nc_u32_e32 v65, 1, v65
	v_pk_fma_f32 v[66:67], v[68:69], v[66:67], v[70:71] neg_lo:[0,0,1] neg_hi:[0,0,1]
	v_mov_b32_e32 v67, v73
	s_delay_alu instid0(VALU_DEP_3) | instskip(NEXT) | instid1(VALU_DEP_2)
	v_cmp_lt_u32_e32 vcc_lo, 8, v65
	v_pk_add_f32 v[60:61], v[60:61], v[66:67]
	s_or_b32 s3, vcc_lo, s3
	s_delay_alu instid0(SALU_CYCLE_1)
	s_and_not1_b32 exec_lo, exec_lo, s3
	s_cbranch_execnz .LBB91_367
; %bb.368:
	s_or_b32 exec_lo, exec_lo, s3
.LBB91_369:
	s_delay_alu instid0(SALU_CYCLE_1) | instskip(SKIP_4) | instid1(VALU_DEP_1)
	s_or_b32 exec_lo, exec_lo, s2
	v_mov_b32_e32 v63, 0
	ds_load_b64 v[64:65], v63 offset:80
	s_wait_dscnt 0x0
	v_pk_mul_f32 v[66:67], v[60:61], v[64:65] op_sel:[1,1] op_sel_hi:[0,1]
	v_pk_fma_f32 v[68:69], v[60:61], v[64:65], v[66:67] op_sel_hi:[1,0,1]
	v_pk_fma_f32 v[60:61], v[60:61], v[64:65], v[66:67] neg_lo:[0,0,1] neg_hi:[0,0,1]
	s_delay_alu instid0(VALU_DEP_2)
	v_mov_b32_e32 v61, v69
	scratch_store_b64 off, v[60:61], off offset:80
.LBB91_370:
	s_wait_xcnt 0x0
	s_or_b32 exec_lo, exec_lo, s0
	scratch_load_b64 v[60:61], off, off offset:88
	s_mov_b32 s0, exec_lo
	s_wait_loadcnt 0x0
	ds_store_b64 v1, v[60:61]
	s_wait_storecnt_dscnt 0x0
	s_barrier_signal -1
	s_barrier_wait -1
	s_wait_xcnt 0x0
	v_cmpx_gt_u32_e32 11, v0
	s_cbranch_execz .LBB91_380
; %bb.371:
	v_cmp_ne_u32_e32 vcc_lo, 1, v62
	s_cbranch_vccnz .LBB91_373
; %bb.372:
	scratch_load_b64 v[60:61], v59, off
	ds_load_b64 v[64:65], v1
	s_wait_loadcnt_dscnt 0x0
	v_pk_mul_f32 v[66:67], v[64:65], v[60:61] op_sel:[1,1] op_sel_hi:[0,1]
	s_delay_alu instid0(VALU_DEP_1) | instskip(SKIP_1) | instid1(VALU_DEP_2)
	v_pk_fma_f32 v[68:69], v[64:65], v[60:61], v[66:67] op_sel_hi:[1,0,1]
	v_pk_fma_f32 v[60:61], v[64:65], v[60:61], v[66:67] neg_lo:[0,0,1] neg_hi:[0,0,1]
	v_mov_b32_e32 v61, v69
	s_cbranch_execz .LBB91_374
	s_branch .LBB91_375
.LBB91_373:
                                        ; implicit-def: $vgpr60_vgpr61
.LBB91_374:
	ds_load_b64 v[60:61], v1
.LBB91_375:
	s_mov_b32 s2, exec_lo
	v_cmpx_ne_u32_e32 10, v0
	s_cbranch_execz .LBB91_379
; %bb.376:
	v_add_nc_u32_e32 v63, 0xe8, v58
	v_add3_u32 v64, 0, v58, 8
	v_mov_b32_e32 v65, v0
	s_mov_b32 s3, 0
.LBB91_377:                             ; =>This Inner Loop Header: Depth=1
	scratch_load_b64 v[66:67], v64, off
	ds_load_b64 v[68:69], v63
	s_wait_xcnt 0x0
	v_dual_add_nc_u32 v63, 8, v63 :: v_dual_add_nc_u32 v64, 8, v64
	s_wait_loadcnt_dscnt 0x0
	v_pk_mul_f32 v[70:71], v[68:69], v[66:67] op_sel:[1,1] op_sel_hi:[0,1]
	s_delay_alu instid0(VALU_DEP_1) | instskip(SKIP_2) | instid1(VALU_DEP_3)
	v_pk_fma_f32 v[72:73], v[68:69], v[66:67], v[70:71] op_sel_hi:[1,0,1]
	v_add_nc_u32_e32 v65, 1, v65
	v_pk_fma_f32 v[66:67], v[68:69], v[66:67], v[70:71] neg_lo:[0,0,1] neg_hi:[0,0,1]
	v_mov_b32_e32 v67, v73
	s_delay_alu instid0(VALU_DEP_3) | instskip(NEXT) | instid1(VALU_DEP_2)
	v_cmp_lt_u32_e32 vcc_lo, 9, v65
	v_pk_add_f32 v[60:61], v[60:61], v[66:67]
	s_or_b32 s3, vcc_lo, s3
	s_delay_alu instid0(SALU_CYCLE_1)
	s_and_not1_b32 exec_lo, exec_lo, s3
	s_cbranch_execnz .LBB91_377
; %bb.378:
	s_or_b32 exec_lo, exec_lo, s3
.LBB91_379:
	s_delay_alu instid0(SALU_CYCLE_1) | instskip(SKIP_4) | instid1(VALU_DEP_1)
	s_or_b32 exec_lo, exec_lo, s2
	v_mov_b32_e32 v63, 0
	ds_load_b64 v[64:65], v63 offset:88
	s_wait_dscnt 0x0
	v_pk_mul_f32 v[66:67], v[60:61], v[64:65] op_sel:[1,1] op_sel_hi:[0,1]
	v_pk_fma_f32 v[68:69], v[60:61], v[64:65], v[66:67] op_sel_hi:[1,0,1]
	v_pk_fma_f32 v[60:61], v[60:61], v[64:65], v[66:67] neg_lo:[0,0,1] neg_hi:[0,0,1]
	s_delay_alu instid0(VALU_DEP_2)
	v_mov_b32_e32 v61, v69
	scratch_store_b64 off, v[60:61], off offset:88
.LBB91_380:
	s_wait_xcnt 0x0
	s_or_b32 exec_lo, exec_lo, s0
	scratch_load_b64 v[60:61], off, off offset:96
	s_mov_b32 s0, exec_lo
	s_wait_loadcnt 0x0
	ds_store_b64 v1, v[60:61]
	s_wait_storecnt_dscnt 0x0
	s_barrier_signal -1
	s_barrier_wait -1
	s_wait_xcnt 0x0
	v_cmpx_gt_u32_e32 12, v0
	s_cbranch_execz .LBB91_390
; %bb.381:
	v_cmp_ne_u32_e32 vcc_lo, 1, v62
	s_cbranch_vccnz .LBB91_383
; %bb.382:
	scratch_load_b64 v[60:61], v59, off
	ds_load_b64 v[64:65], v1
	s_wait_loadcnt_dscnt 0x0
	v_pk_mul_f32 v[66:67], v[64:65], v[60:61] op_sel:[1,1] op_sel_hi:[0,1]
	s_delay_alu instid0(VALU_DEP_1) | instskip(SKIP_1) | instid1(VALU_DEP_2)
	v_pk_fma_f32 v[68:69], v[64:65], v[60:61], v[66:67] op_sel_hi:[1,0,1]
	v_pk_fma_f32 v[60:61], v[64:65], v[60:61], v[66:67] neg_lo:[0,0,1] neg_hi:[0,0,1]
	v_mov_b32_e32 v61, v69
	s_cbranch_execz .LBB91_384
	s_branch .LBB91_385
.LBB91_383:
                                        ; implicit-def: $vgpr60_vgpr61
.LBB91_384:
	ds_load_b64 v[60:61], v1
.LBB91_385:
	s_mov_b32 s2, exec_lo
	v_cmpx_ne_u32_e32 11, v0
	s_cbranch_execz .LBB91_389
; %bb.386:
	v_add_nc_u32_e32 v63, 0xe8, v58
	v_add3_u32 v64, 0, v58, 8
	v_mov_b32_e32 v65, v0
	s_mov_b32 s3, 0
.LBB91_387:                             ; =>This Inner Loop Header: Depth=1
	scratch_load_b64 v[66:67], v64, off
	ds_load_b64 v[68:69], v63
	s_wait_xcnt 0x0
	v_dual_add_nc_u32 v63, 8, v63 :: v_dual_add_nc_u32 v64, 8, v64
	s_wait_loadcnt_dscnt 0x0
	v_pk_mul_f32 v[70:71], v[68:69], v[66:67] op_sel:[1,1] op_sel_hi:[0,1]
	s_delay_alu instid0(VALU_DEP_1) | instskip(SKIP_2) | instid1(VALU_DEP_3)
	v_pk_fma_f32 v[72:73], v[68:69], v[66:67], v[70:71] op_sel_hi:[1,0,1]
	v_add_nc_u32_e32 v65, 1, v65
	v_pk_fma_f32 v[66:67], v[68:69], v[66:67], v[70:71] neg_lo:[0,0,1] neg_hi:[0,0,1]
	v_mov_b32_e32 v67, v73
	s_delay_alu instid0(VALU_DEP_3) | instskip(NEXT) | instid1(VALU_DEP_2)
	v_cmp_lt_u32_e32 vcc_lo, 10, v65
	v_pk_add_f32 v[60:61], v[60:61], v[66:67]
	s_or_b32 s3, vcc_lo, s3
	s_delay_alu instid0(SALU_CYCLE_1)
	s_and_not1_b32 exec_lo, exec_lo, s3
	s_cbranch_execnz .LBB91_387
; %bb.388:
	s_or_b32 exec_lo, exec_lo, s3
.LBB91_389:
	s_delay_alu instid0(SALU_CYCLE_1) | instskip(SKIP_4) | instid1(VALU_DEP_1)
	s_or_b32 exec_lo, exec_lo, s2
	v_mov_b32_e32 v63, 0
	ds_load_b64 v[64:65], v63 offset:96
	s_wait_dscnt 0x0
	v_pk_mul_f32 v[66:67], v[60:61], v[64:65] op_sel:[1,1] op_sel_hi:[0,1]
	v_pk_fma_f32 v[68:69], v[60:61], v[64:65], v[66:67] op_sel_hi:[1,0,1]
	v_pk_fma_f32 v[60:61], v[60:61], v[64:65], v[66:67] neg_lo:[0,0,1] neg_hi:[0,0,1]
	s_delay_alu instid0(VALU_DEP_2)
	v_mov_b32_e32 v61, v69
	scratch_store_b64 off, v[60:61], off offset:96
.LBB91_390:
	s_wait_xcnt 0x0
	s_or_b32 exec_lo, exec_lo, s0
	scratch_load_b64 v[60:61], off, off offset:104
	s_mov_b32 s0, exec_lo
	s_wait_loadcnt 0x0
	ds_store_b64 v1, v[60:61]
	s_wait_storecnt_dscnt 0x0
	s_barrier_signal -1
	s_barrier_wait -1
	s_wait_xcnt 0x0
	v_cmpx_gt_u32_e32 13, v0
	s_cbranch_execz .LBB91_400
; %bb.391:
	v_cmp_ne_u32_e32 vcc_lo, 1, v62
	s_cbranch_vccnz .LBB91_393
; %bb.392:
	scratch_load_b64 v[60:61], v59, off
	ds_load_b64 v[64:65], v1
	s_wait_loadcnt_dscnt 0x0
	v_pk_mul_f32 v[66:67], v[64:65], v[60:61] op_sel:[1,1] op_sel_hi:[0,1]
	s_delay_alu instid0(VALU_DEP_1) | instskip(SKIP_1) | instid1(VALU_DEP_2)
	v_pk_fma_f32 v[68:69], v[64:65], v[60:61], v[66:67] op_sel_hi:[1,0,1]
	v_pk_fma_f32 v[60:61], v[64:65], v[60:61], v[66:67] neg_lo:[0,0,1] neg_hi:[0,0,1]
	v_mov_b32_e32 v61, v69
	s_cbranch_execz .LBB91_394
	s_branch .LBB91_395
.LBB91_393:
                                        ; implicit-def: $vgpr60_vgpr61
.LBB91_394:
	ds_load_b64 v[60:61], v1
.LBB91_395:
	s_mov_b32 s2, exec_lo
	v_cmpx_ne_u32_e32 12, v0
	s_cbranch_execz .LBB91_399
; %bb.396:
	v_add_nc_u32_e32 v63, 0xe8, v58
	v_add3_u32 v64, 0, v58, 8
	v_mov_b32_e32 v65, v0
	s_mov_b32 s3, 0
.LBB91_397:                             ; =>This Inner Loop Header: Depth=1
	scratch_load_b64 v[66:67], v64, off
	ds_load_b64 v[68:69], v63
	s_wait_xcnt 0x0
	v_dual_add_nc_u32 v63, 8, v63 :: v_dual_add_nc_u32 v64, 8, v64
	s_wait_loadcnt_dscnt 0x0
	v_pk_mul_f32 v[70:71], v[68:69], v[66:67] op_sel:[1,1] op_sel_hi:[0,1]
	s_delay_alu instid0(VALU_DEP_1) | instskip(SKIP_2) | instid1(VALU_DEP_3)
	v_pk_fma_f32 v[72:73], v[68:69], v[66:67], v[70:71] op_sel_hi:[1,0,1]
	v_add_nc_u32_e32 v65, 1, v65
	v_pk_fma_f32 v[66:67], v[68:69], v[66:67], v[70:71] neg_lo:[0,0,1] neg_hi:[0,0,1]
	v_mov_b32_e32 v67, v73
	s_delay_alu instid0(VALU_DEP_3) | instskip(NEXT) | instid1(VALU_DEP_2)
	v_cmp_lt_u32_e32 vcc_lo, 11, v65
	v_pk_add_f32 v[60:61], v[60:61], v[66:67]
	s_or_b32 s3, vcc_lo, s3
	s_delay_alu instid0(SALU_CYCLE_1)
	s_and_not1_b32 exec_lo, exec_lo, s3
	s_cbranch_execnz .LBB91_397
; %bb.398:
	s_or_b32 exec_lo, exec_lo, s3
.LBB91_399:
	s_delay_alu instid0(SALU_CYCLE_1) | instskip(SKIP_4) | instid1(VALU_DEP_1)
	s_or_b32 exec_lo, exec_lo, s2
	v_mov_b32_e32 v63, 0
	ds_load_b64 v[64:65], v63 offset:104
	s_wait_dscnt 0x0
	v_pk_mul_f32 v[66:67], v[60:61], v[64:65] op_sel:[1,1] op_sel_hi:[0,1]
	v_pk_fma_f32 v[68:69], v[60:61], v[64:65], v[66:67] op_sel_hi:[1,0,1]
	v_pk_fma_f32 v[60:61], v[60:61], v[64:65], v[66:67] neg_lo:[0,0,1] neg_hi:[0,0,1]
	s_delay_alu instid0(VALU_DEP_2)
	v_mov_b32_e32 v61, v69
	scratch_store_b64 off, v[60:61], off offset:104
.LBB91_400:
	s_wait_xcnt 0x0
	s_or_b32 exec_lo, exec_lo, s0
	scratch_load_b64 v[60:61], off, off offset:112
	s_mov_b32 s0, exec_lo
	s_wait_loadcnt 0x0
	ds_store_b64 v1, v[60:61]
	s_wait_storecnt_dscnt 0x0
	s_barrier_signal -1
	s_barrier_wait -1
	s_wait_xcnt 0x0
	v_cmpx_gt_u32_e32 14, v0
	s_cbranch_execz .LBB91_410
; %bb.401:
	v_cmp_ne_u32_e32 vcc_lo, 1, v62
	s_cbranch_vccnz .LBB91_403
; %bb.402:
	scratch_load_b64 v[60:61], v59, off
	ds_load_b64 v[64:65], v1
	s_wait_loadcnt_dscnt 0x0
	v_pk_mul_f32 v[66:67], v[64:65], v[60:61] op_sel:[1,1] op_sel_hi:[0,1]
	s_delay_alu instid0(VALU_DEP_1) | instskip(SKIP_1) | instid1(VALU_DEP_2)
	v_pk_fma_f32 v[68:69], v[64:65], v[60:61], v[66:67] op_sel_hi:[1,0,1]
	v_pk_fma_f32 v[60:61], v[64:65], v[60:61], v[66:67] neg_lo:[0,0,1] neg_hi:[0,0,1]
	v_mov_b32_e32 v61, v69
	s_cbranch_execz .LBB91_404
	s_branch .LBB91_405
.LBB91_403:
                                        ; implicit-def: $vgpr60_vgpr61
.LBB91_404:
	ds_load_b64 v[60:61], v1
.LBB91_405:
	s_mov_b32 s2, exec_lo
	v_cmpx_ne_u32_e32 13, v0
	s_cbranch_execz .LBB91_409
; %bb.406:
	v_add_nc_u32_e32 v63, 0xe8, v58
	v_add3_u32 v64, 0, v58, 8
	v_mov_b32_e32 v65, v0
	s_mov_b32 s3, 0
.LBB91_407:                             ; =>This Inner Loop Header: Depth=1
	scratch_load_b64 v[66:67], v64, off
	ds_load_b64 v[68:69], v63
	s_wait_xcnt 0x0
	v_dual_add_nc_u32 v63, 8, v63 :: v_dual_add_nc_u32 v64, 8, v64
	s_wait_loadcnt_dscnt 0x0
	v_pk_mul_f32 v[70:71], v[68:69], v[66:67] op_sel:[1,1] op_sel_hi:[0,1]
	s_delay_alu instid0(VALU_DEP_1) | instskip(SKIP_2) | instid1(VALU_DEP_3)
	v_pk_fma_f32 v[72:73], v[68:69], v[66:67], v[70:71] op_sel_hi:[1,0,1]
	v_add_nc_u32_e32 v65, 1, v65
	v_pk_fma_f32 v[66:67], v[68:69], v[66:67], v[70:71] neg_lo:[0,0,1] neg_hi:[0,0,1]
	v_mov_b32_e32 v67, v73
	s_delay_alu instid0(VALU_DEP_3) | instskip(NEXT) | instid1(VALU_DEP_2)
	v_cmp_lt_u32_e32 vcc_lo, 12, v65
	v_pk_add_f32 v[60:61], v[60:61], v[66:67]
	s_or_b32 s3, vcc_lo, s3
	s_delay_alu instid0(SALU_CYCLE_1)
	s_and_not1_b32 exec_lo, exec_lo, s3
	s_cbranch_execnz .LBB91_407
; %bb.408:
	s_or_b32 exec_lo, exec_lo, s3
.LBB91_409:
	s_delay_alu instid0(SALU_CYCLE_1) | instskip(SKIP_4) | instid1(VALU_DEP_1)
	s_or_b32 exec_lo, exec_lo, s2
	v_mov_b32_e32 v63, 0
	ds_load_b64 v[64:65], v63 offset:112
	s_wait_dscnt 0x0
	v_pk_mul_f32 v[66:67], v[60:61], v[64:65] op_sel:[1,1] op_sel_hi:[0,1]
	v_pk_fma_f32 v[68:69], v[60:61], v[64:65], v[66:67] op_sel_hi:[1,0,1]
	v_pk_fma_f32 v[60:61], v[60:61], v[64:65], v[66:67] neg_lo:[0,0,1] neg_hi:[0,0,1]
	s_delay_alu instid0(VALU_DEP_2)
	v_mov_b32_e32 v61, v69
	scratch_store_b64 off, v[60:61], off offset:112
.LBB91_410:
	s_wait_xcnt 0x0
	s_or_b32 exec_lo, exec_lo, s0
	scratch_load_b64 v[60:61], off, off offset:120
	s_mov_b32 s0, exec_lo
	s_wait_loadcnt 0x0
	ds_store_b64 v1, v[60:61]
	s_wait_storecnt_dscnt 0x0
	s_barrier_signal -1
	s_barrier_wait -1
	s_wait_xcnt 0x0
	v_cmpx_gt_u32_e32 15, v0
	s_cbranch_execz .LBB91_420
; %bb.411:
	v_cmp_ne_u32_e32 vcc_lo, 1, v62
	s_cbranch_vccnz .LBB91_413
; %bb.412:
	scratch_load_b64 v[60:61], v59, off
	ds_load_b64 v[64:65], v1
	s_wait_loadcnt_dscnt 0x0
	v_pk_mul_f32 v[66:67], v[64:65], v[60:61] op_sel:[1,1] op_sel_hi:[0,1]
	s_delay_alu instid0(VALU_DEP_1) | instskip(SKIP_1) | instid1(VALU_DEP_2)
	v_pk_fma_f32 v[68:69], v[64:65], v[60:61], v[66:67] op_sel_hi:[1,0,1]
	v_pk_fma_f32 v[60:61], v[64:65], v[60:61], v[66:67] neg_lo:[0,0,1] neg_hi:[0,0,1]
	v_mov_b32_e32 v61, v69
	s_cbranch_execz .LBB91_414
	s_branch .LBB91_415
.LBB91_413:
                                        ; implicit-def: $vgpr60_vgpr61
.LBB91_414:
	ds_load_b64 v[60:61], v1
.LBB91_415:
	s_mov_b32 s2, exec_lo
	v_cmpx_ne_u32_e32 14, v0
	s_cbranch_execz .LBB91_419
; %bb.416:
	v_add_nc_u32_e32 v63, 0xe8, v58
	v_add3_u32 v64, 0, v58, 8
	v_mov_b32_e32 v65, v0
	s_mov_b32 s3, 0
.LBB91_417:                             ; =>This Inner Loop Header: Depth=1
	scratch_load_b64 v[66:67], v64, off
	ds_load_b64 v[68:69], v63
	s_wait_xcnt 0x0
	v_dual_add_nc_u32 v63, 8, v63 :: v_dual_add_nc_u32 v64, 8, v64
	s_wait_loadcnt_dscnt 0x0
	v_pk_mul_f32 v[70:71], v[68:69], v[66:67] op_sel:[1,1] op_sel_hi:[0,1]
	s_delay_alu instid0(VALU_DEP_1) | instskip(SKIP_2) | instid1(VALU_DEP_3)
	v_pk_fma_f32 v[72:73], v[68:69], v[66:67], v[70:71] op_sel_hi:[1,0,1]
	v_add_nc_u32_e32 v65, 1, v65
	v_pk_fma_f32 v[66:67], v[68:69], v[66:67], v[70:71] neg_lo:[0,0,1] neg_hi:[0,0,1]
	v_mov_b32_e32 v67, v73
	s_delay_alu instid0(VALU_DEP_3) | instskip(NEXT) | instid1(VALU_DEP_2)
	v_cmp_lt_u32_e32 vcc_lo, 13, v65
	v_pk_add_f32 v[60:61], v[60:61], v[66:67]
	s_or_b32 s3, vcc_lo, s3
	s_delay_alu instid0(SALU_CYCLE_1)
	s_and_not1_b32 exec_lo, exec_lo, s3
	s_cbranch_execnz .LBB91_417
; %bb.418:
	s_or_b32 exec_lo, exec_lo, s3
.LBB91_419:
	s_delay_alu instid0(SALU_CYCLE_1) | instskip(SKIP_4) | instid1(VALU_DEP_1)
	s_or_b32 exec_lo, exec_lo, s2
	v_mov_b32_e32 v63, 0
	ds_load_b64 v[64:65], v63 offset:120
	s_wait_dscnt 0x0
	v_pk_mul_f32 v[66:67], v[60:61], v[64:65] op_sel:[1,1] op_sel_hi:[0,1]
	v_pk_fma_f32 v[68:69], v[60:61], v[64:65], v[66:67] op_sel_hi:[1,0,1]
	v_pk_fma_f32 v[60:61], v[60:61], v[64:65], v[66:67] neg_lo:[0,0,1] neg_hi:[0,0,1]
	s_delay_alu instid0(VALU_DEP_2)
	v_mov_b32_e32 v61, v69
	scratch_store_b64 off, v[60:61], off offset:120
.LBB91_420:
	s_wait_xcnt 0x0
	s_or_b32 exec_lo, exec_lo, s0
	scratch_load_b64 v[60:61], off, off offset:128
	s_mov_b32 s0, exec_lo
	s_wait_loadcnt 0x0
	ds_store_b64 v1, v[60:61]
	s_wait_storecnt_dscnt 0x0
	s_barrier_signal -1
	s_barrier_wait -1
	s_wait_xcnt 0x0
	v_cmpx_gt_u32_e32 16, v0
	s_cbranch_execz .LBB91_430
; %bb.421:
	v_cmp_ne_u32_e32 vcc_lo, 1, v62
	s_cbranch_vccnz .LBB91_423
; %bb.422:
	scratch_load_b64 v[60:61], v59, off
	ds_load_b64 v[64:65], v1
	s_wait_loadcnt_dscnt 0x0
	v_pk_mul_f32 v[66:67], v[64:65], v[60:61] op_sel:[1,1] op_sel_hi:[0,1]
	s_delay_alu instid0(VALU_DEP_1) | instskip(SKIP_1) | instid1(VALU_DEP_2)
	v_pk_fma_f32 v[68:69], v[64:65], v[60:61], v[66:67] op_sel_hi:[1,0,1]
	v_pk_fma_f32 v[60:61], v[64:65], v[60:61], v[66:67] neg_lo:[0,0,1] neg_hi:[0,0,1]
	v_mov_b32_e32 v61, v69
	s_cbranch_execz .LBB91_424
	s_branch .LBB91_425
.LBB91_423:
                                        ; implicit-def: $vgpr60_vgpr61
.LBB91_424:
	ds_load_b64 v[60:61], v1
.LBB91_425:
	s_mov_b32 s2, exec_lo
	v_cmpx_ne_u32_e32 15, v0
	s_cbranch_execz .LBB91_429
; %bb.426:
	v_add_nc_u32_e32 v63, 0xe8, v58
	v_add3_u32 v64, 0, v58, 8
	v_mov_b32_e32 v65, v0
	s_mov_b32 s3, 0
.LBB91_427:                             ; =>This Inner Loop Header: Depth=1
	scratch_load_b64 v[66:67], v64, off
	ds_load_b64 v[68:69], v63
	s_wait_xcnt 0x0
	v_dual_add_nc_u32 v63, 8, v63 :: v_dual_add_nc_u32 v64, 8, v64
	s_wait_loadcnt_dscnt 0x0
	v_pk_mul_f32 v[70:71], v[68:69], v[66:67] op_sel:[1,1] op_sel_hi:[0,1]
	s_delay_alu instid0(VALU_DEP_1) | instskip(SKIP_2) | instid1(VALU_DEP_3)
	v_pk_fma_f32 v[72:73], v[68:69], v[66:67], v[70:71] op_sel_hi:[1,0,1]
	v_add_nc_u32_e32 v65, 1, v65
	v_pk_fma_f32 v[66:67], v[68:69], v[66:67], v[70:71] neg_lo:[0,0,1] neg_hi:[0,0,1]
	v_mov_b32_e32 v67, v73
	s_delay_alu instid0(VALU_DEP_3) | instskip(NEXT) | instid1(VALU_DEP_2)
	v_cmp_lt_u32_e32 vcc_lo, 14, v65
	v_pk_add_f32 v[60:61], v[60:61], v[66:67]
	s_or_b32 s3, vcc_lo, s3
	s_delay_alu instid0(SALU_CYCLE_1)
	s_and_not1_b32 exec_lo, exec_lo, s3
	s_cbranch_execnz .LBB91_427
; %bb.428:
	s_or_b32 exec_lo, exec_lo, s3
.LBB91_429:
	s_delay_alu instid0(SALU_CYCLE_1) | instskip(SKIP_4) | instid1(VALU_DEP_1)
	s_or_b32 exec_lo, exec_lo, s2
	v_mov_b32_e32 v63, 0
	ds_load_b64 v[64:65], v63 offset:128
	s_wait_dscnt 0x0
	v_pk_mul_f32 v[66:67], v[60:61], v[64:65] op_sel:[1,1] op_sel_hi:[0,1]
	v_pk_fma_f32 v[68:69], v[60:61], v[64:65], v[66:67] op_sel_hi:[1,0,1]
	v_pk_fma_f32 v[60:61], v[60:61], v[64:65], v[66:67] neg_lo:[0,0,1] neg_hi:[0,0,1]
	s_delay_alu instid0(VALU_DEP_2)
	v_mov_b32_e32 v61, v69
	scratch_store_b64 off, v[60:61], off offset:128
.LBB91_430:
	s_wait_xcnt 0x0
	s_or_b32 exec_lo, exec_lo, s0
	scratch_load_b64 v[60:61], off, off offset:136
	s_mov_b32 s0, exec_lo
	s_wait_loadcnt 0x0
	ds_store_b64 v1, v[60:61]
	s_wait_storecnt_dscnt 0x0
	s_barrier_signal -1
	s_barrier_wait -1
	s_wait_xcnt 0x0
	v_cmpx_gt_u32_e32 17, v0
	s_cbranch_execz .LBB91_440
; %bb.431:
	v_cmp_ne_u32_e32 vcc_lo, 1, v62
	s_cbranch_vccnz .LBB91_433
; %bb.432:
	scratch_load_b64 v[60:61], v59, off
	ds_load_b64 v[64:65], v1
	s_wait_loadcnt_dscnt 0x0
	v_pk_mul_f32 v[66:67], v[64:65], v[60:61] op_sel:[1,1] op_sel_hi:[0,1]
	s_delay_alu instid0(VALU_DEP_1) | instskip(SKIP_1) | instid1(VALU_DEP_2)
	v_pk_fma_f32 v[68:69], v[64:65], v[60:61], v[66:67] op_sel_hi:[1,0,1]
	v_pk_fma_f32 v[60:61], v[64:65], v[60:61], v[66:67] neg_lo:[0,0,1] neg_hi:[0,0,1]
	v_mov_b32_e32 v61, v69
	s_cbranch_execz .LBB91_434
	s_branch .LBB91_435
.LBB91_433:
                                        ; implicit-def: $vgpr60_vgpr61
.LBB91_434:
	ds_load_b64 v[60:61], v1
.LBB91_435:
	s_mov_b32 s2, exec_lo
	v_cmpx_ne_u32_e32 16, v0
	s_cbranch_execz .LBB91_439
; %bb.436:
	v_add_nc_u32_e32 v63, 0xe8, v58
	v_add3_u32 v64, 0, v58, 8
	v_mov_b32_e32 v65, v0
	s_mov_b32 s3, 0
.LBB91_437:                             ; =>This Inner Loop Header: Depth=1
	scratch_load_b64 v[66:67], v64, off
	ds_load_b64 v[68:69], v63
	s_wait_xcnt 0x0
	v_dual_add_nc_u32 v63, 8, v63 :: v_dual_add_nc_u32 v64, 8, v64
	s_wait_loadcnt_dscnt 0x0
	v_pk_mul_f32 v[70:71], v[68:69], v[66:67] op_sel:[1,1] op_sel_hi:[0,1]
	s_delay_alu instid0(VALU_DEP_1) | instskip(SKIP_2) | instid1(VALU_DEP_3)
	v_pk_fma_f32 v[72:73], v[68:69], v[66:67], v[70:71] op_sel_hi:[1,0,1]
	v_add_nc_u32_e32 v65, 1, v65
	v_pk_fma_f32 v[66:67], v[68:69], v[66:67], v[70:71] neg_lo:[0,0,1] neg_hi:[0,0,1]
	v_mov_b32_e32 v67, v73
	s_delay_alu instid0(VALU_DEP_3) | instskip(NEXT) | instid1(VALU_DEP_2)
	v_cmp_lt_u32_e32 vcc_lo, 15, v65
	v_pk_add_f32 v[60:61], v[60:61], v[66:67]
	s_or_b32 s3, vcc_lo, s3
	s_delay_alu instid0(SALU_CYCLE_1)
	s_and_not1_b32 exec_lo, exec_lo, s3
	s_cbranch_execnz .LBB91_437
; %bb.438:
	s_or_b32 exec_lo, exec_lo, s3
.LBB91_439:
	s_delay_alu instid0(SALU_CYCLE_1) | instskip(SKIP_4) | instid1(VALU_DEP_1)
	s_or_b32 exec_lo, exec_lo, s2
	v_mov_b32_e32 v63, 0
	ds_load_b64 v[64:65], v63 offset:136
	s_wait_dscnt 0x0
	v_pk_mul_f32 v[66:67], v[60:61], v[64:65] op_sel:[1,1] op_sel_hi:[0,1]
	v_pk_fma_f32 v[68:69], v[60:61], v[64:65], v[66:67] op_sel_hi:[1,0,1]
	v_pk_fma_f32 v[60:61], v[60:61], v[64:65], v[66:67] neg_lo:[0,0,1] neg_hi:[0,0,1]
	s_delay_alu instid0(VALU_DEP_2)
	v_mov_b32_e32 v61, v69
	scratch_store_b64 off, v[60:61], off offset:136
.LBB91_440:
	s_wait_xcnt 0x0
	s_or_b32 exec_lo, exec_lo, s0
	scratch_load_b64 v[60:61], off, off offset:144
	s_mov_b32 s0, exec_lo
	s_wait_loadcnt 0x0
	ds_store_b64 v1, v[60:61]
	s_wait_storecnt_dscnt 0x0
	s_barrier_signal -1
	s_barrier_wait -1
	s_wait_xcnt 0x0
	v_cmpx_gt_u32_e32 18, v0
	s_cbranch_execz .LBB91_450
; %bb.441:
	v_cmp_ne_u32_e32 vcc_lo, 1, v62
	s_cbranch_vccnz .LBB91_443
; %bb.442:
	scratch_load_b64 v[60:61], v59, off
	ds_load_b64 v[64:65], v1
	s_wait_loadcnt_dscnt 0x0
	v_pk_mul_f32 v[66:67], v[64:65], v[60:61] op_sel:[1,1] op_sel_hi:[0,1]
	s_delay_alu instid0(VALU_DEP_1) | instskip(SKIP_1) | instid1(VALU_DEP_2)
	v_pk_fma_f32 v[68:69], v[64:65], v[60:61], v[66:67] op_sel_hi:[1,0,1]
	v_pk_fma_f32 v[60:61], v[64:65], v[60:61], v[66:67] neg_lo:[0,0,1] neg_hi:[0,0,1]
	v_mov_b32_e32 v61, v69
	s_cbranch_execz .LBB91_444
	s_branch .LBB91_445
.LBB91_443:
                                        ; implicit-def: $vgpr60_vgpr61
.LBB91_444:
	ds_load_b64 v[60:61], v1
.LBB91_445:
	s_mov_b32 s2, exec_lo
	v_cmpx_ne_u32_e32 17, v0
	s_cbranch_execz .LBB91_449
; %bb.446:
	v_add_nc_u32_e32 v63, 0xe8, v58
	v_add3_u32 v64, 0, v58, 8
	v_mov_b32_e32 v65, v0
	s_mov_b32 s3, 0
.LBB91_447:                             ; =>This Inner Loop Header: Depth=1
	scratch_load_b64 v[66:67], v64, off
	ds_load_b64 v[68:69], v63
	s_wait_xcnt 0x0
	v_dual_add_nc_u32 v63, 8, v63 :: v_dual_add_nc_u32 v64, 8, v64
	s_wait_loadcnt_dscnt 0x0
	v_pk_mul_f32 v[70:71], v[68:69], v[66:67] op_sel:[1,1] op_sel_hi:[0,1]
	s_delay_alu instid0(VALU_DEP_1) | instskip(SKIP_2) | instid1(VALU_DEP_3)
	v_pk_fma_f32 v[72:73], v[68:69], v[66:67], v[70:71] op_sel_hi:[1,0,1]
	v_add_nc_u32_e32 v65, 1, v65
	v_pk_fma_f32 v[66:67], v[68:69], v[66:67], v[70:71] neg_lo:[0,0,1] neg_hi:[0,0,1]
	v_mov_b32_e32 v67, v73
	s_delay_alu instid0(VALU_DEP_3) | instskip(NEXT) | instid1(VALU_DEP_2)
	v_cmp_lt_u32_e32 vcc_lo, 16, v65
	v_pk_add_f32 v[60:61], v[60:61], v[66:67]
	s_or_b32 s3, vcc_lo, s3
	s_delay_alu instid0(SALU_CYCLE_1)
	s_and_not1_b32 exec_lo, exec_lo, s3
	s_cbranch_execnz .LBB91_447
; %bb.448:
	s_or_b32 exec_lo, exec_lo, s3
.LBB91_449:
	s_delay_alu instid0(SALU_CYCLE_1) | instskip(SKIP_4) | instid1(VALU_DEP_1)
	s_or_b32 exec_lo, exec_lo, s2
	v_mov_b32_e32 v63, 0
	ds_load_b64 v[64:65], v63 offset:144
	s_wait_dscnt 0x0
	v_pk_mul_f32 v[66:67], v[60:61], v[64:65] op_sel:[1,1] op_sel_hi:[0,1]
	v_pk_fma_f32 v[68:69], v[60:61], v[64:65], v[66:67] op_sel_hi:[1,0,1]
	v_pk_fma_f32 v[60:61], v[60:61], v[64:65], v[66:67] neg_lo:[0,0,1] neg_hi:[0,0,1]
	s_delay_alu instid0(VALU_DEP_2)
	v_mov_b32_e32 v61, v69
	scratch_store_b64 off, v[60:61], off offset:144
.LBB91_450:
	s_wait_xcnt 0x0
	s_or_b32 exec_lo, exec_lo, s0
	scratch_load_b64 v[60:61], off, off offset:152
	s_mov_b32 s0, exec_lo
	s_wait_loadcnt 0x0
	ds_store_b64 v1, v[60:61]
	s_wait_storecnt_dscnt 0x0
	s_barrier_signal -1
	s_barrier_wait -1
	s_wait_xcnt 0x0
	v_cmpx_gt_u32_e32 19, v0
	s_cbranch_execz .LBB91_460
; %bb.451:
	v_cmp_ne_u32_e32 vcc_lo, 1, v62
	s_cbranch_vccnz .LBB91_453
; %bb.452:
	scratch_load_b64 v[60:61], v59, off
	ds_load_b64 v[64:65], v1
	s_wait_loadcnt_dscnt 0x0
	v_pk_mul_f32 v[66:67], v[64:65], v[60:61] op_sel:[1,1] op_sel_hi:[0,1]
	s_delay_alu instid0(VALU_DEP_1) | instskip(SKIP_1) | instid1(VALU_DEP_2)
	v_pk_fma_f32 v[68:69], v[64:65], v[60:61], v[66:67] op_sel_hi:[1,0,1]
	v_pk_fma_f32 v[60:61], v[64:65], v[60:61], v[66:67] neg_lo:[0,0,1] neg_hi:[0,0,1]
	v_mov_b32_e32 v61, v69
	s_cbranch_execz .LBB91_454
	s_branch .LBB91_455
.LBB91_453:
                                        ; implicit-def: $vgpr60_vgpr61
.LBB91_454:
	ds_load_b64 v[60:61], v1
.LBB91_455:
	s_mov_b32 s2, exec_lo
	v_cmpx_ne_u32_e32 18, v0
	s_cbranch_execz .LBB91_459
; %bb.456:
	v_add_nc_u32_e32 v63, 0xe8, v58
	v_add3_u32 v64, 0, v58, 8
	v_mov_b32_e32 v65, v0
	s_mov_b32 s3, 0
.LBB91_457:                             ; =>This Inner Loop Header: Depth=1
	scratch_load_b64 v[66:67], v64, off
	ds_load_b64 v[68:69], v63
	s_wait_xcnt 0x0
	v_dual_add_nc_u32 v63, 8, v63 :: v_dual_add_nc_u32 v64, 8, v64
	s_wait_loadcnt_dscnt 0x0
	v_pk_mul_f32 v[70:71], v[68:69], v[66:67] op_sel:[1,1] op_sel_hi:[0,1]
	s_delay_alu instid0(VALU_DEP_1) | instskip(SKIP_2) | instid1(VALU_DEP_3)
	v_pk_fma_f32 v[72:73], v[68:69], v[66:67], v[70:71] op_sel_hi:[1,0,1]
	v_add_nc_u32_e32 v65, 1, v65
	v_pk_fma_f32 v[66:67], v[68:69], v[66:67], v[70:71] neg_lo:[0,0,1] neg_hi:[0,0,1]
	v_mov_b32_e32 v67, v73
	s_delay_alu instid0(VALU_DEP_3) | instskip(NEXT) | instid1(VALU_DEP_2)
	v_cmp_lt_u32_e32 vcc_lo, 17, v65
	v_pk_add_f32 v[60:61], v[60:61], v[66:67]
	s_or_b32 s3, vcc_lo, s3
	s_delay_alu instid0(SALU_CYCLE_1)
	s_and_not1_b32 exec_lo, exec_lo, s3
	s_cbranch_execnz .LBB91_457
; %bb.458:
	s_or_b32 exec_lo, exec_lo, s3
.LBB91_459:
	s_delay_alu instid0(SALU_CYCLE_1) | instskip(SKIP_4) | instid1(VALU_DEP_1)
	s_or_b32 exec_lo, exec_lo, s2
	v_mov_b32_e32 v63, 0
	ds_load_b64 v[64:65], v63 offset:152
	s_wait_dscnt 0x0
	v_pk_mul_f32 v[66:67], v[60:61], v[64:65] op_sel:[1,1] op_sel_hi:[0,1]
	v_pk_fma_f32 v[68:69], v[60:61], v[64:65], v[66:67] op_sel_hi:[1,0,1]
	v_pk_fma_f32 v[60:61], v[60:61], v[64:65], v[66:67] neg_lo:[0,0,1] neg_hi:[0,0,1]
	s_delay_alu instid0(VALU_DEP_2)
	v_mov_b32_e32 v61, v69
	scratch_store_b64 off, v[60:61], off offset:152
.LBB91_460:
	s_wait_xcnt 0x0
	s_or_b32 exec_lo, exec_lo, s0
	scratch_load_b64 v[60:61], off, off offset:160
	s_mov_b32 s0, exec_lo
	s_wait_loadcnt 0x0
	ds_store_b64 v1, v[60:61]
	s_wait_storecnt_dscnt 0x0
	s_barrier_signal -1
	s_barrier_wait -1
	s_wait_xcnt 0x0
	v_cmpx_gt_u32_e32 20, v0
	s_cbranch_execz .LBB91_470
; %bb.461:
	v_cmp_ne_u32_e32 vcc_lo, 1, v62
	s_cbranch_vccnz .LBB91_463
; %bb.462:
	scratch_load_b64 v[60:61], v59, off
	ds_load_b64 v[64:65], v1
	s_wait_loadcnt_dscnt 0x0
	v_pk_mul_f32 v[66:67], v[64:65], v[60:61] op_sel:[1,1] op_sel_hi:[0,1]
	s_delay_alu instid0(VALU_DEP_1) | instskip(SKIP_1) | instid1(VALU_DEP_2)
	v_pk_fma_f32 v[68:69], v[64:65], v[60:61], v[66:67] op_sel_hi:[1,0,1]
	v_pk_fma_f32 v[60:61], v[64:65], v[60:61], v[66:67] neg_lo:[0,0,1] neg_hi:[0,0,1]
	v_mov_b32_e32 v61, v69
	s_cbranch_execz .LBB91_464
	s_branch .LBB91_465
.LBB91_463:
                                        ; implicit-def: $vgpr60_vgpr61
.LBB91_464:
	ds_load_b64 v[60:61], v1
.LBB91_465:
	s_mov_b32 s2, exec_lo
	v_cmpx_ne_u32_e32 19, v0
	s_cbranch_execz .LBB91_469
; %bb.466:
	v_add_nc_u32_e32 v63, 0xe8, v58
	v_add3_u32 v64, 0, v58, 8
	v_mov_b32_e32 v65, v0
	s_mov_b32 s3, 0
.LBB91_467:                             ; =>This Inner Loop Header: Depth=1
	scratch_load_b64 v[66:67], v64, off
	ds_load_b64 v[68:69], v63
	s_wait_xcnt 0x0
	v_dual_add_nc_u32 v63, 8, v63 :: v_dual_add_nc_u32 v64, 8, v64
	s_wait_loadcnt_dscnt 0x0
	v_pk_mul_f32 v[70:71], v[68:69], v[66:67] op_sel:[1,1] op_sel_hi:[0,1]
	s_delay_alu instid0(VALU_DEP_1) | instskip(SKIP_2) | instid1(VALU_DEP_3)
	v_pk_fma_f32 v[72:73], v[68:69], v[66:67], v[70:71] op_sel_hi:[1,0,1]
	v_add_nc_u32_e32 v65, 1, v65
	v_pk_fma_f32 v[66:67], v[68:69], v[66:67], v[70:71] neg_lo:[0,0,1] neg_hi:[0,0,1]
	v_mov_b32_e32 v67, v73
	s_delay_alu instid0(VALU_DEP_3) | instskip(NEXT) | instid1(VALU_DEP_2)
	v_cmp_lt_u32_e32 vcc_lo, 18, v65
	v_pk_add_f32 v[60:61], v[60:61], v[66:67]
	s_or_b32 s3, vcc_lo, s3
	s_delay_alu instid0(SALU_CYCLE_1)
	s_and_not1_b32 exec_lo, exec_lo, s3
	s_cbranch_execnz .LBB91_467
; %bb.468:
	s_or_b32 exec_lo, exec_lo, s3
.LBB91_469:
	s_delay_alu instid0(SALU_CYCLE_1) | instskip(SKIP_4) | instid1(VALU_DEP_1)
	s_or_b32 exec_lo, exec_lo, s2
	v_mov_b32_e32 v63, 0
	ds_load_b64 v[64:65], v63 offset:160
	s_wait_dscnt 0x0
	v_pk_mul_f32 v[66:67], v[60:61], v[64:65] op_sel:[1,1] op_sel_hi:[0,1]
	v_pk_fma_f32 v[68:69], v[60:61], v[64:65], v[66:67] op_sel_hi:[1,0,1]
	v_pk_fma_f32 v[60:61], v[60:61], v[64:65], v[66:67] neg_lo:[0,0,1] neg_hi:[0,0,1]
	s_delay_alu instid0(VALU_DEP_2)
	v_mov_b32_e32 v61, v69
	scratch_store_b64 off, v[60:61], off offset:160
.LBB91_470:
	s_wait_xcnt 0x0
	s_or_b32 exec_lo, exec_lo, s0
	scratch_load_b64 v[60:61], off, off offset:168
	s_mov_b32 s0, exec_lo
	s_wait_loadcnt 0x0
	ds_store_b64 v1, v[60:61]
	s_wait_storecnt_dscnt 0x0
	s_barrier_signal -1
	s_barrier_wait -1
	s_wait_xcnt 0x0
	v_cmpx_gt_u32_e32 21, v0
	s_cbranch_execz .LBB91_480
; %bb.471:
	v_cmp_ne_u32_e32 vcc_lo, 1, v62
	s_cbranch_vccnz .LBB91_473
; %bb.472:
	scratch_load_b64 v[60:61], v59, off
	ds_load_b64 v[64:65], v1
	s_wait_loadcnt_dscnt 0x0
	v_pk_mul_f32 v[66:67], v[64:65], v[60:61] op_sel:[1,1] op_sel_hi:[0,1]
	s_delay_alu instid0(VALU_DEP_1) | instskip(SKIP_1) | instid1(VALU_DEP_2)
	v_pk_fma_f32 v[68:69], v[64:65], v[60:61], v[66:67] op_sel_hi:[1,0,1]
	v_pk_fma_f32 v[60:61], v[64:65], v[60:61], v[66:67] neg_lo:[0,0,1] neg_hi:[0,0,1]
	v_mov_b32_e32 v61, v69
	s_cbranch_execz .LBB91_474
	s_branch .LBB91_475
.LBB91_473:
                                        ; implicit-def: $vgpr60_vgpr61
.LBB91_474:
	ds_load_b64 v[60:61], v1
.LBB91_475:
	s_mov_b32 s2, exec_lo
	v_cmpx_ne_u32_e32 20, v0
	s_cbranch_execz .LBB91_479
; %bb.476:
	v_add_nc_u32_e32 v63, 0xe8, v58
	v_add3_u32 v64, 0, v58, 8
	v_mov_b32_e32 v65, v0
	s_mov_b32 s3, 0
.LBB91_477:                             ; =>This Inner Loop Header: Depth=1
	scratch_load_b64 v[66:67], v64, off
	ds_load_b64 v[68:69], v63
	s_wait_xcnt 0x0
	v_dual_add_nc_u32 v63, 8, v63 :: v_dual_add_nc_u32 v64, 8, v64
	s_wait_loadcnt_dscnt 0x0
	v_pk_mul_f32 v[70:71], v[68:69], v[66:67] op_sel:[1,1] op_sel_hi:[0,1]
	s_delay_alu instid0(VALU_DEP_1) | instskip(SKIP_2) | instid1(VALU_DEP_3)
	v_pk_fma_f32 v[72:73], v[68:69], v[66:67], v[70:71] op_sel_hi:[1,0,1]
	v_add_nc_u32_e32 v65, 1, v65
	v_pk_fma_f32 v[66:67], v[68:69], v[66:67], v[70:71] neg_lo:[0,0,1] neg_hi:[0,0,1]
	v_mov_b32_e32 v67, v73
	s_delay_alu instid0(VALU_DEP_3) | instskip(NEXT) | instid1(VALU_DEP_2)
	v_cmp_lt_u32_e32 vcc_lo, 19, v65
	v_pk_add_f32 v[60:61], v[60:61], v[66:67]
	s_or_b32 s3, vcc_lo, s3
	s_delay_alu instid0(SALU_CYCLE_1)
	s_and_not1_b32 exec_lo, exec_lo, s3
	s_cbranch_execnz .LBB91_477
; %bb.478:
	s_or_b32 exec_lo, exec_lo, s3
.LBB91_479:
	s_delay_alu instid0(SALU_CYCLE_1) | instskip(SKIP_4) | instid1(VALU_DEP_1)
	s_or_b32 exec_lo, exec_lo, s2
	v_mov_b32_e32 v63, 0
	ds_load_b64 v[64:65], v63 offset:168
	s_wait_dscnt 0x0
	v_pk_mul_f32 v[66:67], v[60:61], v[64:65] op_sel:[1,1] op_sel_hi:[0,1]
	v_pk_fma_f32 v[68:69], v[60:61], v[64:65], v[66:67] op_sel_hi:[1,0,1]
	v_pk_fma_f32 v[60:61], v[60:61], v[64:65], v[66:67] neg_lo:[0,0,1] neg_hi:[0,0,1]
	s_delay_alu instid0(VALU_DEP_2)
	v_mov_b32_e32 v61, v69
	scratch_store_b64 off, v[60:61], off offset:168
.LBB91_480:
	s_wait_xcnt 0x0
	s_or_b32 exec_lo, exec_lo, s0
	scratch_load_b64 v[60:61], off, off offset:176
	s_mov_b32 s0, exec_lo
	s_wait_loadcnt 0x0
	ds_store_b64 v1, v[60:61]
	s_wait_storecnt_dscnt 0x0
	s_barrier_signal -1
	s_barrier_wait -1
	s_wait_xcnt 0x0
	v_cmpx_gt_u32_e32 22, v0
	s_cbranch_execz .LBB91_490
; %bb.481:
	v_cmp_ne_u32_e32 vcc_lo, 1, v62
	s_cbranch_vccnz .LBB91_483
; %bb.482:
	scratch_load_b64 v[60:61], v59, off
	ds_load_b64 v[64:65], v1
	s_wait_loadcnt_dscnt 0x0
	v_pk_mul_f32 v[66:67], v[64:65], v[60:61] op_sel:[1,1] op_sel_hi:[0,1]
	s_delay_alu instid0(VALU_DEP_1) | instskip(SKIP_1) | instid1(VALU_DEP_2)
	v_pk_fma_f32 v[68:69], v[64:65], v[60:61], v[66:67] op_sel_hi:[1,0,1]
	v_pk_fma_f32 v[60:61], v[64:65], v[60:61], v[66:67] neg_lo:[0,0,1] neg_hi:[0,0,1]
	v_mov_b32_e32 v61, v69
	s_cbranch_execz .LBB91_484
	s_branch .LBB91_485
.LBB91_483:
                                        ; implicit-def: $vgpr60_vgpr61
.LBB91_484:
	ds_load_b64 v[60:61], v1
.LBB91_485:
	s_mov_b32 s2, exec_lo
	v_cmpx_ne_u32_e32 21, v0
	s_cbranch_execz .LBB91_489
; %bb.486:
	v_add_nc_u32_e32 v63, 0xe8, v58
	v_add3_u32 v64, 0, v58, 8
	v_mov_b32_e32 v65, v0
	s_mov_b32 s3, 0
.LBB91_487:                             ; =>This Inner Loop Header: Depth=1
	scratch_load_b64 v[66:67], v64, off
	ds_load_b64 v[68:69], v63
	s_wait_xcnt 0x0
	v_dual_add_nc_u32 v63, 8, v63 :: v_dual_add_nc_u32 v64, 8, v64
	s_wait_loadcnt_dscnt 0x0
	v_pk_mul_f32 v[70:71], v[68:69], v[66:67] op_sel:[1,1] op_sel_hi:[0,1]
	s_delay_alu instid0(VALU_DEP_1) | instskip(SKIP_2) | instid1(VALU_DEP_3)
	v_pk_fma_f32 v[72:73], v[68:69], v[66:67], v[70:71] op_sel_hi:[1,0,1]
	v_add_nc_u32_e32 v65, 1, v65
	v_pk_fma_f32 v[66:67], v[68:69], v[66:67], v[70:71] neg_lo:[0,0,1] neg_hi:[0,0,1]
	v_mov_b32_e32 v67, v73
	s_delay_alu instid0(VALU_DEP_3) | instskip(NEXT) | instid1(VALU_DEP_2)
	v_cmp_lt_u32_e32 vcc_lo, 20, v65
	v_pk_add_f32 v[60:61], v[60:61], v[66:67]
	s_or_b32 s3, vcc_lo, s3
	s_delay_alu instid0(SALU_CYCLE_1)
	s_and_not1_b32 exec_lo, exec_lo, s3
	s_cbranch_execnz .LBB91_487
; %bb.488:
	s_or_b32 exec_lo, exec_lo, s3
.LBB91_489:
	s_delay_alu instid0(SALU_CYCLE_1) | instskip(SKIP_4) | instid1(VALU_DEP_1)
	s_or_b32 exec_lo, exec_lo, s2
	v_mov_b32_e32 v63, 0
	ds_load_b64 v[64:65], v63 offset:176
	s_wait_dscnt 0x0
	v_pk_mul_f32 v[66:67], v[60:61], v[64:65] op_sel:[1,1] op_sel_hi:[0,1]
	v_pk_fma_f32 v[68:69], v[60:61], v[64:65], v[66:67] op_sel_hi:[1,0,1]
	v_pk_fma_f32 v[60:61], v[60:61], v[64:65], v[66:67] neg_lo:[0,0,1] neg_hi:[0,0,1]
	s_delay_alu instid0(VALU_DEP_2)
	v_mov_b32_e32 v61, v69
	scratch_store_b64 off, v[60:61], off offset:176
.LBB91_490:
	s_wait_xcnt 0x0
	s_or_b32 exec_lo, exec_lo, s0
	scratch_load_b64 v[60:61], off, off offset:184
	s_mov_b32 s0, exec_lo
	s_wait_loadcnt 0x0
	ds_store_b64 v1, v[60:61]
	s_wait_storecnt_dscnt 0x0
	s_barrier_signal -1
	s_barrier_wait -1
	s_wait_xcnt 0x0
	v_cmpx_gt_u32_e32 23, v0
	s_cbranch_execz .LBB91_500
; %bb.491:
	v_cmp_ne_u32_e32 vcc_lo, 1, v62
	s_cbranch_vccnz .LBB91_493
; %bb.492:
	scratch_load_b64 v[60:61], v59, off
	ds_load_b64 v[64:65], v1
	s_wait_loadcnt_dscnt 0x0
	v_pk_mul_f32 v[66:67], v[64:65], v[60:61] op_sel:[1,1] op_sel_hi:[0,1]
	s_delay_alu instid0(VALU_DEP_1) | instskip(SKIP_1) | instid1(VALU_DEP_2)
	v_pk_fma_f32 v[68:69], v[64:65], v[60:61], v[66:67] op_sel_hi:[1,0,1]
	v_pk_fma_f32 v[60:61], v[64:65], v[60:61], v[66:67] neg_lo:[0,0,1] neg_hi:[0,0,1]
	v_mov_b32_e32 v61, v69
	s_cbranch_execz .LBB91_494
	s_branch .LBB91_495
.LBB91_493:
                                        ; implicit-def: $vgpr60_vgpr61
.LBB91_494:
	ds_load_b64 v[60:61], v1
.LBB91_495:
	s_mov_b32 s2, exec_lo
	v_cmpx_ne_u32_e32 22, v0
	s_cbranch_execz .LBB91_499
; %bb.496:
	v_add_nc_u32_e32 v63, 0xe8, v58
	v_add3_u32 v64, 0, v58, 8
	v_mov_b32_e32 v65, v0
	s_mov_b32 s3, 0
.LBB91_497:                             ; =>This Inner Loop Header: Depth=1
	scratch_load_b64 v[66:67], v64, off
	ds_load_b64 v[68:69], v63
	s_wait_xcnt 0x0
	v_dual_add_nc_u32 v63, 8, v63 :: v_dual_add_nc_u32 v64, 8, v64
	s_wait_loadcnt_dscnt 0x0
	v_pk_mul_f32 v[70:71], v[68:69], v[66:67] op_sel:[1,1] op_sel_hi:[0,1]
	s_delay_alu instid0(VALU_DEP_1) | instskip(SKIP_2) | instid1(VALU_DEP_3)
	v_pk_fma_f32 v[72:73], v[68:69], v[66:67], v[70:71] op_sel_hi:[1,0,1]
	v_add_nc_u32_e32 v65, 1, v65
	v_pk_fma_f32 v[66:67], v[68:69], v[66:67], v[70:71] neg_lo:[0,0,1] neg_hi:[0,0,1]
	v_mov_b32_e32 v67, v73
	s_delay_alu instid0(VALU_DEP_3) | instskip(NEXT) | instid1(VALU_DEP_2)
	v_cmp_lt_u32_e32 vcc_lo, 21, v65
	v_pk_add_f32 v[60:61], v[60:61], v[66:67]
	s_or_b32 s3, vcc_lo, s3
	s_delay_alu instid0(SALU_CYCLE_1)
	s_and_not1_b32 exec_lo, exec_lo, s3
	s_cbranch_execnz .LBB91_497
; %bb.498:
	s_or_b32 exec_lo, exec_lo, s3
.LBB91_499:
	s_delay_alu instid0(SALU_CYCLE_1) | instskip(SKIP_4) | instid1(VALU_DEP_1)
	s_or_b32 exec_lo, exec_lo, s2
	v_mov_b32_e32 v63, 0
	ds_load_b64 v[64:65], v63 offset:184
	s_wait_dscnt 0x0
	v_pk_mul_f32 v[66:67], v[60:61], v[64:65] op_sel:[1,1] op_sel_hi:[0,1]
	v_pk_fma_f32 v[68:69], v[60:61], v[64:65], v[66:67] op_sel_hi:[1,0,1]
	v_pk_fma_f32 v[60:61], v[60:61], v[64:65], v[66:67] neg_lo:[0,0,1] neg_hi:[0,0,1]
	s_delay_alu instid0(VALU_DEP_2)
	v_mov_b32_e32 v61, v69
	scratch_store_b64 off, v[60:61], off offset:184
.LBB91_500:
	s_wait_xcnt 0x0
	s_or_b32 exec_lo, exec_lo, s0
	scratch_load_b64 v[60:61], off, off offset:192
	s_mov_b32 s0, exec_lo
	s_wait_loadcnt 0x0
	ds_store_b64 v1, v[60:61]
	s_wait_storecnt_dscnt 0x0
	s_barrier_signal -1
	s_barrier_wait -1
	s_wait_xcnt 0x0
	v_cmpx_gt_u32_e32 24, v0
	s_cbranch_execz .LBB91_510
; %bb.501:
	v_cmp_ne_u32_e32 vcc_lo, 1, v62
	s_cbranch_vccnz .LBB91_503
; %bb.502:
	scratch_load_b64 v[60:61], v59, off
	ds_load_b64 v[64:65], v1
	s_wait_loadcnt_dscnt 0x0
	v_pk_mul_f32 v[66:67], v[64:65], v[60:61] op_sel:[1,1] op_sel_hi:[0,1]
	s_delay_alu instid0(VALU_DEP_1) | instskip(SKIP_1) | instid1(VALU_DEP_2)
	v_pk_fma_f32 v[68:69], v[64:65], v[60:61], v[66:67] op_sel_hi:[1,0,1]
	v_pk_fma_f32 v[60:61], v[64:65], v[60:61], v[66:67] neg_lo:[0,0,1] neg_hi:[0,0,1]
	v_mov_b32_e32 v61, v69
	s_cbranch_execz .LBB91_504
	s_branch .LBB91_505
.LBB91_503:
                                        ; implicit-def: $vgpr60_vgpr61
.LBB91_504:
	ds_load_b64 v[60:61], v1
.LBB91_505:
	s_mov_b32 s2, exec_lo
	v_cmpx_ne_u32_e32 23, v0
	s_cbranch_execz .LBB91_509
; %bb.506:
	v_add_nc_u32_e32 v63, 0xe8, v58
	v_add3_u32 v64, 0, v58, 8
	v_mov_b32_e32 v65, v0
	s_mov_b32 s3, 0
.LBB91_507:                             ; =>This Inner Loop Header: Depth=1
	scratch_load_b64 v[66:67], v64, off
	ds_load_b64 v[68:69], v63
	s_wait_xcnt 0x0
	v_dual_add_nc_u32 v63, 8, v63 :: v_dual_add_nc_u32 v64, 8, v64
	s_wait_loadcnt_dscnt 0x0
	v_pk_mul_f32 v[70:71], v[68:69], v[66:67] op_sel:[1,1] op_sel_hi:[0,1]
	s_delay_alu instid0(VALU_DEP_1) | instskip(SKIP_2) | instid1(VALU_DEP_3)
	v_pk_fma_f32 v[72:73], v[68:69], v[66:67], v[70:71] op_sel_hi:[1,0,1]
	v_add_nc_u32_e32 v65, 1, v65
	v_pk_fma_f32 v[66:67], v[68:69], v[66:67], v[70:71] neg_lo:[0,0,1] neg_hi:[0,0,1]
	v_mov_b32_e32 v67, v73
	s_delay_alu instid0(VALU_DEP_3) | instskip(NEXT) | instid1(VALU_DEP_2)
	v_cmp_lt_u32_e32 vcc_lo, 22, v65
	v_pk_add_f32 v[60:61], v[60:61], v[66:67]
	s_or_b32 s3, vcc_lo, s3
	s_delay_alu instid0(SALU_CYCLE_1)
	s_and_not1_b32 exec_lo, exec_lo, s3
	s_cbranch_execnz .LBB91_507
; %bb.508:
	s_or_b32 exec_lo, exec_lo, s3
.LBB91_509:
	s_delay_alu instid0(SALU_CYCLE_1) | instskip(SKIP_4) | instid1(VALU_DEP_1)
	s_or_b32 exec_lo, exec_lo, s2
	v_mov_b32_e32 v63, 0
	ds_load_b64 v[64:65], v63 offset:192
	s_wait_dscnt 0x0
	v_pk_mul_f32 v[66:67], v[60:61], v[64:65] op_sel:[1,1] op_sel_hi:[0,1]
	v_pk_fma_f32 v[68:69], v[60:61], v[64:65], v[66:67] op_sel_hi:[1,0,1]
	v_pk_fma_f32 v[60:61], v[60:61], v[64:65], v[66:67] neg_lo:[0,0,1] neg_hi:[0,0,1]
	s_delay_alu instid0(VALU_DEP_2)
	v_mov_b32_e32 v61, v69
	scratch_store_b64 off, v[60:61], off offset:192
.LBB91_510:
	s_wait_xcnt 0x0
	s_or_b32 exec_lo, exec_lo, s0
	scratch_load_b64 v[60:61], off, off offset:200
	s_mov_b32 s0, exec_lo
	s_wait_loadcnt 0x0
	ds_store_b64 v1, v[60:61]
	s_wait_storecnt_dscnt 0x0
	s_barrier_signal -1
	s_barrier_wait -1
	s_wait_xcnt 0x0
	v_cmpx_gt_u32_e32 25, v0
	s_cbranch_execz .LBB91_520
; %bb.511:
	v_cmp_ne_u32_e32 vcc_lo, 1, v62
	s_cbranch_vccnz .LBB91_513
; %bb.512:
	scratch_load_b64 v[60:61], v59, off
	ds_load_b64 v[64:65], v1
	s_wait_loadcnt_dscnt 0x0
	v_pk_mul_f32 v[66:67], v[64:65], v[60:61] op_sel:[1,1] op_sel_hi:[0,1]
	s_delay_alu instid0(VALU_DEP_1) | instskip(SKIP_1) | instid1(VALU_DEP_2)
	v_pk_fma_f32 v[68:69], v[64:65], v[60:61], v[66:67] op_sel_hi:[1,0,1]
	v_pk_fma_f32 v[60:61], v[64:65], v[60:61], v[66:67] neg_lo:[0,0,1] neg_hi:[0,0,1]
	v_mov_b32_e32 v61, v69
	s_cbranch_execz .LBB91_514
	s_branch .LBB91_515
.LBB91_513:
                                        ; implicit-def: $vgpr60_vgpr61
.LBB91_514:
	ds_load_b64 v[60:61], v1
.LBB91_515:
	s_mov_b32 s2, exec_lo
	v_cmpx_ne_u32_e32 24, v0
	s_cbranch_execz .LBB91_519
; %bb.516:
	v_add_nc_u32_e32 v63, 0xe8, v58
	v_add3_u32 v64, 0, v58, 8
	v_mov_b32_e32 v65, v0
	s_mov_b32 s3, 0
.LBB91_517:                             ; =>This Inner Loop Header: Depth=1
	scratch_load_b64 v[66:67], v64, off
	ds_load_b64 v[68:69], v63
	s_wait_xcnt 0x0
	v_dual_add_nc_u32 v63, 8, v63 :: v_dual_add_nc_u32 v64, 8, v64
	s_wait_loadcnt_dscnt 0x0
	v_pk_mul_f32 v[70:71], v[68:69], v[66:67] op_sel:[1,1] op_sel_hi:[0,1]
	s_delay_alu instid0(VALU_DEP_1) | instskip(SKIP_2) | instid1(VALU_DEP_3)
	v_pk_fma_f32 v[72:73], v[68:69], v[66:67], v[70:71] op_sel_hi:[1,0,1]
	v_add_nc_u32_e32 v65, 1, v65
	v_pk_fma_f32 v[66:67], v[68:69], v[66:67], v[70:71] neg_lo:[0,0,1] neg_hi:[0,0,1]
	v_mov_b32_e32 v67, v73
	s_delay_alu instid0(VALU_DEP_3) | instskip(NEXT) | instid1(VALU_DEP_2)
	v_cmp_lt_u32_e32 vcc_lo, 23, v65
	v_pk_add_f32 v[60:61], v[60:61], v[66:67]
	s_or_b32 s3, vcc_lo, s3
	s_delay_alu instid0(SALU_CYCLE_1)
	s_and_not1_b32 exec_lo, exec_lo, s3
	s_cbranch_execnz .LBB91_517
; %bb.518:
	s_or_b32 exec_lo, exec_lo, s3
.LBB91_519:
	s_delay_alu instid0(SALU_CYCLE_1) | instskip(SKIP_4) | instid1(VALU_DEP_1)
	s_or_b32 exec_lo, exec_lo, s2
	v_mov_b32_e32 v63, 0
	ds_load_b64 v[64:65], v63 offset:200
	s_wait_dscnt 0x0
	v_pk_mul_f32 v[66:67], v[60:61], v[64:65] op_sel:[1,1] op_sel_hi:[0,1]
	v_pk_fma_f32 v[68:69], v[60:61], v[64:65], v[66:67] op_sel_hi:[1,0,1]
	v_pk_fma_f32 v[60:61], v[60:61], v[64:65], v[66:67] neg_lo:[0,0,1] neg_hi:[0,0,1]
	s_delay_alu instid0(VALU_DEP_2)
	v_mov_b32_e32 v61, v69
	scratch_store_b64 off, v[60:61], off offset:200
.LBB91_520:
	s_wait_xcnt 0x0
	s_or_b32 exec_lo, exec_lo, s0
	scratch_load_b64 v[60:61], off, off offset:208
	v_cmp_gt_u32_e64 s0, 26, v0
	s_wait_loadcnt 0x0
	ds_store_b64 v1, v[60:61]
	s_wait_storecnt_dscnt 0x0
	s_barrier_signal -1
	s_barrier_wait -1
	s_wait_xcnt 0x0
	s_and_saveexec_b32 s2, s0
	s_cbranch_execz .LBB91_530
; %bb.521:
	v_cmp_ne_u32_e32 vcc_lo, 1, v62
	s_cbranch_vccnz .LBB91_523
; %bb.522:
	scratch_load_b64 v[60:61], v59, off
	ds_load_b64 v[64:65], v1
	s_wait_loadcnt_dscnt 0x0
	v_pk_mul_f32 v[66:67], v[64:65], v[60:61] op_sel:[1,1] op_sel_hi:[0,1]
	s_delay_alu instid0(VALU_DEP_1) | instskip(SKIP_1) | instid1(VALU_DEP_2)
	v_pk_fma_f32 v[68:69], v[64:65], v[60:61], v[66:67] op_sel_hi:[1,0,1]
	v_pk_fma_f32 v[60:61], v[64:65], v[60:61], v[66:67] neg_lo:[0,0,1] neg_hi:[0,0,1]
	v_mov_b32_e32 v61, v69
	s_cbranch_execz .LBB91_524
	s_branch .LBB91_525
.LBB91_523:
                                        ; implicit-def: $vgpr60_vgpr61
.LBB91_524:
	ds_load_b64 v[60:61], v1
.LBB91_525:
	s_mov_b32 s3, exec_lo
	v_cmpx_ne_u32_e32 25, v0
	s_cbranch_execz .LBB91_529
; %bb.526:
	v_add_nc_u32_e32 v63, 0xe8, v58
	v_add3_u32 v64, 0, v58, 8
	v_mov_b32_e32 v65, v0
	s_mov_b32 s4, 0
.LBB91_527:                             ; =>This Inner Loop Header: Depth=1
	scratch_load_b64 v[66:67], v64, off
	ds_load_b64 v[68:69], v63
	s_wait_xcnt 0x0
	v_dual_add_nc_u32 v63, 8, v63 :: v_dual_add_nc_u32 v64, 8, v64
	s_wait_loadcnt_dscnt 0x0
	v_pk_mul_f32 v[70:71], v[68:69], v[66:67] op_sel:[1,1] op_sel_hi:[0,1]
	s_delay_alu instid0(VALU_DEP_1) | instskip(SKIP_2) | instid1(VALU_DEP_3)
	v_pk_fma_f32 v[72:73], v[68:69], v[66:67], v[70:71] op_sel_hi:[1,0,1]
	v_add_nc_u32_e32 v65, 1, v65
	v_pk_fma_f32 v[66:67], v[68:69], v[66:67], v[70:71] neg_lo:[0,0,1] neg_hi:[0,0,1]
	v_mov_b32_e32 v67, v73
	s_delay_alu instid0(VALU_DEP_3) | instskip(NEXT) | instid1(VALU_DEP_2)
	v_cmp_lt_u32_e32 vcc_lo, 24, v65
	v_pk_add_f32 v[60:61], v[60:61], v[66:67]
	s_or_b32 s4, vcc_lo, s4
	s_delay_alu instid0(SALU_CYCLE_1)
	s_and_not1_b32 exec_lo, exec_lo, s4
	s_cbranch_execnz .LBB91_527
; %bb.528:
	s_or_b32 exec_lo, exec_lo, s4
.LBB91_529:
	s_delay_alu instid0(SALU_CYCLE_1) | instskip(SKIP_4) | instid1(VALU_DEP_1)
	s_or_b32 exec_lo, exec_lo, s3
	v_mov_b32_e32 v63, 0
	ds_load_b64 v[64:65], v63 offset:208
	s_wait_dscnt 0x0
	v_pk_mul_f32 v[66:67], v[60:61], v[64:65] op_sel:[1,1] op_sel_hi:[0,1]
	v_pk_fma_f32 v[68:69], v[60:61], v[64:65], v[66:67] op_sel_hi:[1,0,1]
	v_pk_fma_f32 v[60:61], v[60:61], v[64:65], v[66:67] neg_lo:[0,0,1] neg_hi:[0,0,1]
	s_delay_alu instid0(VALU_DEP_2)
	v_mov_b32_e32 v61, v69
	scratch_store_b64 off, v[60:61], off offset:208
.LBB91_530:
	s_wait_xcnt 0x0
	s_or_b32 exec_lo, exec_lo, s2
	scratch_load_b64 v[60:61], off, off offset:216
	s_mov_b32 s2, exec_lo
                                        ; implicit-def: $vgpr82
                                        ; implicit-def: $sgpr5
	s_wait_loadcnt 0x0
	ds_store_b64 v1, v[60:61]
	s_wait_storecnt_dscnt 0x0
	s_barrier_signal -1
	s_barrier_wait -1
	s_wait_xcnt 0x0
	v_cmpx_ne_u32_e32 27, v0
	s_cbranch_execz .LBB91_540
; %bb.531:
	v_cmp_ne_u32_e32 vcc_lo, 1, v62
	s_cbranch_vccnz .LBB91_533
; %bb.532:
	scratch_load_b64 v[62:63], v59, off
	ds_load_b64 v[64:65], v1
	s_wait_loadcnt_dscnt 0x0
	v_dual_mul_f32 v59, v65, v63 :: v_dual_mul_f32 v61, v64, v63
	s_delay_alu instid0(VALU_DEP_1)
	v_dual_fma_f32 v60, v64, v62, -v59 :: v_dual_fmac_f32 v61, v65, v62
	s_cbranch_execz .LBB91_534
	s_branch .LBB91_535
.LBB91_533:
                                        ; implicit-def: $vgpr61
.LBB91_534:
	ds_load_b64 v[60:61], v1
.LBB91_535:
	s_and_saveexec_b32 s3, s0
	s_cbranch_execz .LBB91_539
; %bb.536:
	v_add_nc_u32_e32 v1, 0xe8, v58
	v_add3_u32 v58, 0, v58, 8
	s_mov_b32 s0, 0
.LBB91_537:                             ; =>This Inner Loop Header: Depth=1
	scratch_load_b64 v[62:63], v58, off
	ds_load_b64 v[64:65], v1
	s_wait_loadcnt_dscnt 0x0
	v_dual_add_nc_u32 v1, 8, v1 :: v_dual_mul_f32 v59, v65, v63
	v_dual_mul_f32 v63, v64, v63 :: v_dual_add_nc_u32 v0, 1, v0
	s_delay_alu instid0(VALU_DEP_2) | instskip(NEXT) | instid1(VALU_DEP_2)
	v_fma_f32 v59, v64, v62, -v59
	v_fmac_f32_e32 v63, v65, v62
	s_delay_alu instid0(VALU_DEP_3) | instskip(NEXT) | instid1(VALU_DEP_3)
	v_cmp_lt_u32_e32 vcc_lo, 25, v0
	v_dual_add_nc_u32 v58, 8, v58 :: v_dual_add_f32 v60, v60, v59
	s_delay_alu instid0(VALU_DEP_3) | instskip(SKIP_1) | instid1(SALU_CYCLE_1)
	v_add_f32_e32 v61, v61, v63
	s_or_b32 s0, vcc_lo, s0
	s_and_not1_b32 exec_lo, exec_lo, s0
	s_cbranch_execnz .LBB91_537
; %bb.538:
	s_or_b32 exec_lo, exec_lo, s0
.LBB91_539:
	s_delay_alu instid0(SALU_CYCLE_1)
	s_or_b32 exec_lo, exec_lo, s3
	v_mov_b32_e32 v0, 0
	s_movk_i32 s5, 0xdc
	s_or_b32 s1, s1, exec_lo
	ds_load_b64 v[0:1], v0 offset:216
	s_wait_dscnt 0x0
	v_dual_mul_f32 v58, v61, v1 :: v_dual_mul_f32 v82, v60, v1
	s_delay_alu instid0(VALU_DEP_1) | instskip(NEXT) | instid1(VALU_DEP_2)
	v_fma_f32 v1, v60, v0, -v58
	v_fmac_f32_e32 v82, v61, v0
	scratch_store_b32 off, v1, off offset:216
.LBB91_540:
	s_wait_xcnt 0x0
	s_or_b32 exec_lo, exec_lo, s2
.LBB91_541:
	v_lshl_add_u64 v[80:81], v[6:7], 3, s[6:7]
	v_lshl_add_u64 v[78:79], v[8:9], 3, s[6:7]
	;; [unrolled: 1-line block ×26, first 2 shown]
	s_and_saveexec_b32 s0, s1
	s_cbranch_execz .LBB91_543
; %bb.542:
	scratch_store_b32 off, v82, s5
.LBB91_543:
	s_wait_xcnt 0x0
	s_or_b32 exec_lo, exec_lo, s0
	scratch_load_b64 v[32:33], off, off
	s_wait_loadcnt 0x0
	flat_store_b64 v[2:3], v[32:33]
	scratch_load_b64 v[2:3], off, off offset:8
	s_wait_loadcnt 0x0
	flat_store_b64 v[4:5], v[2:3]
	scratch_load_b64 v[2:3], off, off offset:16
	;; [unrolled: 3-line block ×27, first 2 shown]
	s_wait_loadcnt 0x0
	flat_store_b64 v[0:1], v[2:3]
.LBB91_544:
	s_sendmsg sendmsg(MSG_DEALLOC_VGPRS)
	s_endpgm
	.section	.rodata,"a",@progbits
	.p2align	6, 0x0
	.amdhsa_kernel _ZN9rocsolver6v33100L18trti2_kernel_smallILi28E19rocblas_complex_numIfEPKPS3_EEv13rocblas_fill_17rocblas_diagonal_T1_iil
		.amdhsa_group_segment_fixed_size 448
		.amdhsa_private_segment_fixed_size 240
		.amdhsa_kernarg_size 32
		.amdhsa_user_sgpr_count 2
		.amdhsa_user_sgpr_dispatch_ptr 0
		.amdhsa_user_sgpr_queue_ptr 0
		.amdhsa_user_sgpr_kernarg_segment_ptr 1
		.amdhsa_user_sgpr_dispatch_id 0
		.amdhsa_user_sgpr_kernarg_preload_length 0
		.amdhsa_user_sgpr_kernarg_preload_offset 0
		.amdhsa_user_sgpr_private_segment_size 0
		.amdhsa_wavefront_size32 1
		.amdhsa_uses_dynamic_stack 0
		.amdhsa_enable_private_segment 1
		.amdhsa_system_sgpr_workgroup_id_x 1
		.amdhsa_system_sgpr_workgroup_id_y 0
		.amdhsa_system_sgpr_workgroup_id_z 0
		.amdhsa_system_sgpr_workgroup_info 0
		.amdhsa_system_vgpr_workitem_id 0
		.amdhsa_next_free_vgpr 83
		.amdhsa_next_free_sgpr 34
		.amdhsa_named_barrier_count 0
		.amdhsa_reserve_vcc 1
		.amdhsa_float_round_mode_32 0
		.amdhsa_float_round_mode_16_64 0
		.amdhsa_float_denorm_mode_32 3
		.amdhsa_float_denorm_mode_16_64 3
		.amdhsa_fp16_overflow 0
		.amdhsa_memory_ordered 1
		.amdhsa_forward_progress 1
		.amdhsa_inst_pref_size 168
		.amdhsa_round_robin_scheduling 0
		.amdhsa_exception_fp_ieee_invalid_op 0
		.amdhsa_exception_fp_denorm_src 0
		.amdhsa_exception_fp_ieee_div_zero 0
		.amdhsa_exception_fp_ieee_overflow 0
		.amdhsa_exception_fp_ieee_underflow 0
		.amdhsa_exception_fp_ieee_inexact 0
		.amdhsa_exception_int_div_zero 0
	.end_amdhsa_kernel
	.section	.text._ZN9rocsolver6v33100L18trti2_kernel_smallILi28E19rocblas_complex_numIfEPKPS3_EEv13rocblas_fill_17rocblas_diagonal_T1_iil,"axG",@progbits,_ZN9rocsolver6v33100L18trti2_kernel_smallILi28E19rocblas_complex_numIfEPKPS3_EEv13rocblas_fill_17rocblas_diagonal_T1_iil,comdat
.Lfunc_end91:
	.size	_ZN9rocsolver6v33100L18trti2_kernel_smallILi28E19rocblas_complex_numIfEPKPS3_EEv13rocblas_fill_17rocblas_diagonal_T1_iil, .Lfunc_end91-_ZN9rocsolver6v33100L18trti2_kernel_smallILi28E19rocblas_complex_numIfEPKPS3_EEv13rocblas_fill_17rocblas_diagonal_T1_iil
                                        ; -- End function
	.set _ZN9rocsolver6v33100L18trti2_kernel_smallILi28E19rocblas_complex_numIfEPKPS3_EEv13rocblas_fill_17rocblas_diagonal_T1_iil.num_vgpr, 83
	.set _ZN9rocsolver6v33100L18trti2_kernel_smallILi28E19rocblas_complex_numIfEPKPS3_EEv13rocblas_fill_17rocblas_diagonal_T1_iil.num_agpr, 0
	.set _ZN9rocsolver6v33100L18trti2_kernel_smallILi28E19rocblas_complex_numIfEPKPS3_EEv13rocblas_fill_17rocblas_diagonal_T1_iil.numbered_sgpr, 34
	.set _ZN9rocsolver6v33100L18trti2_kernel_smallILi28E19rocblas_complex_numIfEPKPS3_EEv13rocblas_fill_17rocblas_diagonal_T1_iil.num_named_barrier, 0
	.set _ZN9rocsolver6v33100L18trti2_kernel_smallILi28E19rocblas_complex_numIfEPKPS3_EEv13rocblas_fill_17rocblas_diagonal_T1_iil.private_seg_size, 240
	.set _ZN9rocsolver6v33100L18trti2_kernel_smallILi28E19rocblas_complex_numIfEPKPS3_EEv13rocblas_fill_17rocblas_diagonal_T1_iil.uses_vcc, 1
	.set _ZN9rocsolver6v33100L18trti2_kernel_smallILi28E19rocblas_complex_numIfEPKPS3_EEv13rocblas_fill_17rocblas_diagonal_T1_iil.uses_flat_scratch, 0
	.set _ZN9rocsolver6v33100L18trti2_kernel_smallILi28E19rocblas_complex_numIfEPKPS3_EEv13rocblas_fill_17rocblas_diagonal_T1_iil.has_dyn_sized_stack, 0
	.set _ZN9rocsolver6v33100L18trti2_kernel_smallILi28E19rocblas_complex_numIfEPKPS3_EEv13rocblas_fill_17rocblas_diagonal_T1_iil.has_recursion, 0
	.set _ZN9rocsolver6v33100L18trti2_kernel_smallILi28E19rocblas_complex_numIfEPKPS3_EEv13rocblas_fill_17rocblas_diagonal_T1_iil.has_indirect_call, 0
	.section	.AMDGPU.csdata,"",@progbits
; Kernel info:
; codeLenInByte = 21500
; TotalNumSgprs: 36
; NumVgprs: 83
; ScratchSize: 240
; MemoryBound: 0
; FloatMode: 240
; IeeeMode: 1
; LDSByteSize: 448 bytes/workgroup (compile time only)
; SGPRBlocks: 0
; VGPRBlocks: 5
; NumSGPRsForWavesPerEU: 36
; NumVGPRsForWavesPerEU: 83
; NamedBarCnt: 0
; Occupancy: 10
; WaveLimiterHint : 1
; COMPUTE_PGM_RSRC2:SCRATCH_EN: 1
; COMPUTE_PGM_RSRC2:USER_SGPR: 2
; COMPUTE_PGM_RSRC2:TRAP_HANDLER: 0
; COMPUTE_PGM_RSRC2:TGID_X_EN: 1
; COMPUTE_PGM_RSRC2:TGID_Y_EN: 0
; COMPUTE_PGM_RSRC2:TGID_Z_EN: 0
; COMPUTE_PGM_RSRC2:TIDIG_COMP_CNT: 0
	.section	.text._ZN9rocsolver6v33100L18trti2_kernel_smallILi29E19rocblas_complex_numIfEPKPS3_EEv13rocblas_fill_17rocblas_diagonal_T1_iil,"axG",@progbits,_ZN9rocsolver6v33100L18trti2_kernel_smallILi29E19rocblas_complex_numIfEPKPS3_EEv13rocblas_fill_17rocblas_diagonal_T1_iil,comdat
	.globl	_ZN9rocsolver6v33100L18trti2_kernel_smallILi29E19rocblas_complex_numIfEPKPS3_EEv13rocblas_fill_17rocblas_diagonal_T1_iil ; -- Begin function _ZN9rocsolver6v33100L18trti2_kernel_smallILi29E19rocblas_complex_numIfEPKPS3_EEv13rocblas_fill_17rocblas_diagonal_T1_iil
	.p2align	8
	.type	_ZN9rocsolver6v33100L18trti2_kernel_smallILi29E19rocblas_complex_numIfEPKPS3_EEv13rocblas_fill_17rocblas_diagonal_T1_iil,@function
_ZN9rocsolver6v33100L18trti2_kernel_smallILi29E19rocblas_complex_numIfEPKPS3_EEv13rocblas_fill_17rocblas_diagonal_T1_iil: ; @_ZN9rocsolver6v33100L18trti2_kernel_smallILi29E19rocblas_complex_numIfEPKPS3_EEv13rocblas_fill_17rocblas_diagonal_T1_iil
; %bb.0:
	s_mov_b32 s2, exec_lo
	v_cmpx_gt_u32_e32 29, v0
	s_cbranch_execz .LBB92_564
; %bb.1:
	s_clause 0x1
	s_load_b64 s[8:9], s[0:1], 0x10
	s_load_b128 s[4:7], s[0:1], 0x0
	s_wait_xcnt 0x0
	s_bfe_u32 s0, ttmp6, 0x4000c
	s_and_b32 s1, ttmp6, 15
	s_add_co_i32 s0, s0, 1
	s_getreg_b32 s2, hwreg(HW_REG_IB_STS2, 6, 4)
	s_mul_i32 s0, ttmp9, s0
	v_dual_mov_b32 v59, 0 :: v_dual_lshlrev_b32 v58, 3, v0
	s_add_co_i32 s0, s1, s0
	s_wait_kmcnt 0x0
	s_ashr_i32 s1, s8, 31
	s_cmp_eq_u32 s2, 0
	s_cselect_b32 s2, ttmp9, s0
	s_mov_b32 s0, s8
	s_ashr_i32 s3, s2, 31
	s_lshl_b64 s[0:1], s[0:1], 3
	s_lshl_b64 s[2:3], s[2:3], 3
	s_delay_alu instid0(SALU_CYCLE_1)
	s_add_nc_u64 s[2:3], s[6:7], s[2:3]
	s_load_b64 s[2:3], s[2:3], 0x0
	s_wait_kmcnt 0x0
	s_add_nc_u64 s[2:3], s[2:3], s[0:1]
	s_mov_b32 s0, s9
	flat_load_b64 v[6:7], v0, s[2:3] scale_offset
	v_add_nc_u64_e32 v[2:3], s[2:3], v[58:59]
	s_ashr_i32 s1, s9, 31
	s_cmp_lg_u32 s5, 0x84
	s_cselect_b32 s5, -1, 0
	s_delay_alu instid0(SALU_CYCLE_1) | instskip(NEXT) | instid1(VALU_DEP_1)
	s_and_b32 vcc_lo, exec_lo, s5
	v_lshl_add_u64 v[4:5], s[0:1], 3, v[2:3]
	s_mov_b32 s0, -1
	s_wait_loadcnt_dscnt 0x0
	scratch_store_b64 off, v[6:7], off
	flat_load_b64 v[8:9], v[4:5]
	s_wait_xcnt 0x1
	v_add3_u32 v6, s9, s9, v0
	s_wait_loadcnt_dscnt 0x0
	scratch_store_b64 off, v[8:9], off offset:8
	flat_load_b64 v[10:11], v6, s[2:3] scale_offset
	s_wait_xcnt 0x1
	v_add_nc_u32_e32 v8, s9, v6
	s_wait_loadcnt_dscnt 0x0
	scratch_store_b64 off, v[10:11], off offset:16
	flat_load_b64 v[12:13], v8, s[2:3] scale_offset
	s_wait_xcnt 0x1
	v_add_nc_u32_e32 v10, s9, v8
	;; [unrolled: 5-line block ×26, first 2 shown]
	s_wait_loadcnt_dscnt 0x0
	scratch_store_b64 off, v[62:63], off offset:216
	flat_load_b64 v[62:63], v60, s[2:3] scale_offset
	s_wait_loadcnt_dscnt 0x0
	scratch_store_b64 off, v[62:63], off offset:224
	s_cbranch_vccz .LBB92_7
; %bb.2:
	scratch_load_b64 v[62:63], v0, off scale_offset
                                        ; implicit-def: $vgpr67
                                        ; implicit-def: $vgpr64
	s_wait_loadcnt 0x0
	v_cmp_ngt_f32_e64 s0, |v62|, |v63|
	s_wait_xcnt 0x0
	s_and_saveexec_b32 s1, s0
	s_delay_alu instid0(SALU_CYCLE_1)
	s_xor_b32 s0, exec_lo, s1
	s_cbranch_execz .LBB92_4
; %bb.3:
	v_div_scale_f32 v1, null, v63, v63, v62
	v_div_scale_f32 v11, vcc_lo, v62, v63, v62
	s_delay_alu instid0(VALU_DEP_2) | instskip(SKIP_1) | instid1(TRANS32_DEP_1)
	v_rcp_f32_e32 v7, v1
	v_nop
	v_fma_f32 v9, -v1, v7, 1.0
	s_delay_alu instid0(VALU_DEP_1) | instskip(NEXT) | instid1(VALU_DEP_1)
	v_fmac_f32_e32 v7, v9, v7
	v_mul_f32_e32 v9, v11, v7
	s_delay_alu instid0(VALU_DEP_1) | instskip(NEXT) | instid1(VALU_DEP_1)
	v_fma_f32 v13, -v1, v9, v11
	v_fmac_f32_e32 v9, v13, v7
	s_delay_alu instid0(VALU_DEP_1) | instskip(NEXT) | instid1(VALU_DEP_1)
	v_fma_f32 v1, -v1, v9, v11
	v_div_fmas_f32 v1, v1, v7, v9
	s_delay_alu instid0(VALU_DEP_1) | instskip(NEXT) | instid1(VALU_DEP_1)
	v_div_fixup_f32 v1, v1, v63, v62
	v_fmac_f32_e32 v63, v62, v1
	s_delay_alu instid0(VALU_DEP_1) | instskip(NEXT) | instid1(VALU_DEP_1)
	v_div_scale_f32 v7, null, v63, v63, -1.0
	v_rcp_f32_e32 v9, v7
	v_nop
	s_delay_alu instid0(TRANS32_DEP_1) | instskip(NEXT) | instid1(VALU_DEP_1)
	v_fma_f32 v11, -v7, v9, 1.0
	v_fmac_f32_e32 v9, v11, v9
	v_div_scale_f32 v11, vcc_lo, -1.0, v63, -1.0
	s_delay_alu instid0(VALU_DEP_1) | instskip(NEXT) | instid1(VALU_DEP_1)
	v_mul_f32_e32 v13, v11, v9
	v_fma_f32 v15, -v7, v13, v11
	s_delay_alu instid0(VALU_DEP_1) | instskip(NEXT) | instid1(VALU_DEP_1)
	v_fmac_f32_e32 v13, v15, v9
	v_fma_f32 v7, -v7, v13, v11
	s_delay_alu instid0(VALU_DEP_1) | instskip(NEXT) | instid1(VALU_DEP_1)
	v_div_fmas_f32 v7, v7, v9, v13
	v_div_fixup_f32 v67, v7, v63, -1.0
                                        ; implicit-def: $vgpr62_vgpr63
	s_delay_alu instid0(VALU_DEP_1) | instskip(NEXT) | instid1(VALU_DEP_1)
	v_mul_f32_e32 v64, v1, v67
	v_xor_b32_e32 v66, 0x80000000, v64
.LBB92_4:
	s_or_saveexec_b32 s0, s0
	v_lshl_add_u32 v1, v0, 3, 0
	s_xor_b32 exec_lo, exec_lo, s0
	s_cbranch_execz .LBB92_6
; %bb.5:
	v_div_scale_f32 v7, null, v62, v62, v63
	v_div_scale_f32 v13, vcc_lo, v63, v62, v63
	s_delay_alu instid0(VALU_DEP_2) | instskip(SKIP_1) | instid1(TRANS32_DEP_1)
	v_rcp_f32_e32 v9, v7
	v_nop
	v_fma_f32 v11, -v7, v9, 1.0
	s_delay_alu instid0(VALU_DEP_1) | instskip(NEXT) | instid1(VALU_DEP_1)
	v_fmac_f32_e32 v9, v11, v9
	v_mul_f32_e32 v11, v13, v9
	s_delay_alu instid0(VALU_DEP_1) | instskip(NEXT) | instid1(VALU_DEP_1)
	v_fma_f32 v15, -v7, v11, v13
	v_fmac_f32_e32 v11, v15, v9
	s_delay_alu instid0(VALU_DEP_1) | instskip(NEXT) | instid1(VALU_DEP_1)
	v_fma_f32 v7, -v7, v11, v13
	v_div_fmas_f32 v7, v7, v9, v11
	s_delay_alu instid0(VALU_DEP_1) | instskip(NEXT) | instid1(VALU_DEP_1)
	v_div_fixup_f32 v7, v7, v62, v63
	v_fmac_f32_e32 v62, v63, v7
	s_delay_alu instid0(VALU_DEP_1) | instskip(SKIP_1) | instid1(VALU_DEP_2)
	v_div_scale_f32 v9, null, v62, v62, 1.0
	v_div_scale_f32 v15, vcc_lo, 1.0, v62, 1.0
	v_rcp_f32_e32 v11, v9
	v_nop
	s_delay_alu instid0(TRANS32_DEP_1) | instskip(NEXT) | instid1(VALU_DEP_1)
	v_fma_f32 v13, -v9, v11, 1.0
	v_fmac_f32_e32 v11, v13, v11
	s_delay_alu instid0(VALU_DEP_1) | instskip(NEXT) | instid1(VALU_DEP_1)
	v_mul_f32_e32 v13, v15, v11
	v_fma_f32 v17, -v9, v13, v15
	s_delay_alu instid0(VALU_DEP_1) | instskip(NEXT) | instid1(VALU_DEP_1)
	v_fmac_f32_e32 v13, v17, v11
	v_fma_f32 v9, -v9, v13, v15
	s_delay_alu instid0(VALU_DEP_1) | instskip(NEXT) | instid1(VALU_DEP_1)
	v_div_fmas_f32 v9, v9, v11, v13
	v_div_fixup_f32 v66, v9, v62, 1.0
	s_delay_alu instid0(VALU_DEP_1)
	v_xor_b32_e32 v64, 0x80000000, v66
	v_mul_f32_e64 v67, v7, -v66
.LBB92_6:
	s_or_b32 exec_lo, exec_lo, s0
	s_delay_alu instid0(VALU_DEP_1)
	v_xor_b32_e32 v65, 0x80000000, v67
	s_mov_b32 s0, 0
	scratch_store_b64 v1, v[66:67], off
	ds_store_b64 v58, v[64:65]
.LBB92_7:
	s_and_b32 vcc_lo, exec_lo, s0
	s_cbranch_vccz .LBB92_9
; %bb.8:
	s_mov_b64 s[0:1], 0xbf800000
	s_wait_xcnt 0x0
	v_mov_b64_e32 v[62:63], s[0:1]
	ds_store_b64 v58, v[62:63]
.LBB92_9:
	v_dual_ashrrev_i32 v7, 31, v6 :: v_dual_ashrrev_i32 v9, 31, v8
	v_dual_ashrrev_i32 v11, 31, v10 :: v_dual_ashrrev_i32 v13, 31, v12
	;; [unrolled: 1-line block ×13, first 2 shown]
	v_dual_ashrrev_i32 v61, 31, v60 :: v_dual_mov_b32 v59, v58
	s_wait_xcnt 0x0
	v_add_nc_u32_e32 v1, 0xf0, v58
	s_cmp_eq_u32 s4, 0x79
	s_cbranch_scc1 .LBB92_13
; %bb.10:
	scratch_load_b64 v[62:63], off, off offset:216
	v_cmp_eq_u32_e64 s0, 28, v0
	s_movk_i32 s1, 0x48
	s_movk_i32 s14, 0x50
	;; [unrolled: 1-line block ×18, first 2 shown]
	s_wait_loadcnt 0x0
	ds_store_b64 v1, v[62:63]
	s_wait_storecnt_dscnt 0x0
	s_barrier_signal -1
	s_barrier_wait -1
	s_wait_xcnt 0x0
	s_and_saveexec_b32 s4, s0
	s_cbranch_execz .LBB92_17
; %bb.11:
	s_and_b32 vcc_lo, exec_lo, s5
	s_cbranch_vccz .LBB92_14
; %bb.12:
	scratch_load_b64 v[62:63], v59, off
	ds_load_b64 v[64:65], v1
	s_wait_loadcnt_dscnt 0x0
	v_pk_mul_f32 v[66:67], v[64:65], v[62:63] op_sel:[1,1] op_sel_hi:[0,1]
	v_pk_mul_f32 v[68:69], v[64:65], v[62:63] op_sel_hi:[1,0]
	s_delay_alu instid0(VALU_DEP_2) | instskip(NEXT) | instid1(VALU_DEP_2)
	v_pk_fma_f32 v[62:63], v[64:65], v[62:63], v[66:67] op_sel_hi:[1,0,1]
	v_sub_f32_e32 v62, v68, v66
	s_cbranch_execz .LBB92_15
	s_branch .LBB92_16
.LBB92_13:
	s_mov_b32 s1, 0
                                        ; implicit-def: $vgpr86
                                        ; implicit-def: $sgpr7
	s_cbranch_execnz .LBB92_286
	s_branch .LBB92_561
.LBB92_14:
                                        ; implicit-def: $vgpr63
.LBB92_15:
	ds_load_b64 v[62:63], v1
.LBB92_16:
	s_wait_dscnt 0x0
	v_dual_mov_b32 v64, 0 :: v_dual_mov_b32 v66, v63
	v_mov_b32_e32 v67, v62
	ds_load_b64 v[64:65], v64 offset:216
	s_wait_dscnt 0x0
	v_pk_mul_f32 v[66:67], v[66:67], v[64:65] op_sel:[0,1]
	s_delay_alu instid0(VALU_DEP_1) | instskip(SKIP_1) | instid1(VALU_DEP_2)
	v_pk_fma_f32 v[68:69], v[62:63], v[64:65], v[66:67] op_sel_hi:[1,0,1]
	v_pk_fma_f32 v[62:63], v[62:63], v[64:65], v[66:67] neg_lo:[0,0,1] neg_hi:[0,0,1]
	v_mov_b32_e32 v63, v69
	scratch_store_b64 off, v[62:63], off offset:216
.LBB92_17:
	s_wait_xcnt 0x0
	s_or_b32 exec_lo, exec_lo, s4
	scratch_load_b64 v[62:63], off, off offset:208
	s_mov_b32 s13, s1
	v_cmp_lt_u32_e64 s1, 26, v0
	s_or_b32 s4, 0, 8
	s_mov_b32 s6, 16
	s_mov_b32 s7, 24
	;; [unrolled: 1-line block ×7, first 2 shown]
	s_wait_loadcnt 0x0
	ds_store_b64 v1, v[62:63]
	s_wait_storecnt_dscnt 0x0
	s_barrier_signal -1
	s_barrier_wait -1
	s_wait_xcnt 0x0
	s_and_saveexec_b32 s31, s1
	s_cbranch_execz .LBB92_25
; %bb.18:
	s_and_not1_b32 vcc_lo, exec_lo, s5
	s_cbranch_vccnz .LBB92_20
; %bb.19:
	scratch_load_b64 v[62:63], v59, off
	ds_load_b64 v[64:65], v1
	s_wait_loadcnt_dscnt 0x0
	v_pk_mul_f32 v[66:67], v[64:65], v[62:63] op_sel:[1,1] op_sel_hi:[0,1]
	s_delay_alu instid0(VALU_DEP_1) | instskip(SKIP_1) | instid1(VALU_DEP_2)
	v_pk_fma_f32 v[68:69], v[64:65], v[62:63], v[66:67] op_sel_hi:[1,0,1]
	v_pk_fma_f32 v[62:63], v[64:65], v[62:63], v[66:67] neg_lo:[0,0,1] neg_hi:[0,0,1]
	v_mov_b32_e32 v63, v69
	s_cbranch_execz .LBB92_21
	s_branch .LBB92_22
.LBB92_20:
                                        ; implicit-def: $vgpr62_vgpr63
.LBB92_21:
	ds_load_b64 v[62:63], v1
.LBB92_22:
	s_and_saveexec_b32 s33, s0
	s_cbranch_execz .LBB92_24
; %bb.23:
	scratch_load_b64 v[64:65], off, off offset:216
	v_mov_b32_e32 v66, 0
	ds_load_b64 v[66:67], v66 offset:456
	s_wait_loadcnt_dscnt 0x0
	v_pk_mul_f32 v[68:69], v[66:67], v[64:65] op_sel:[1,1] op_sel_hi:[0,1]
	s_delay_alu instid0(VALU_DEP_1) | instskip(SKIP_1) | instid1(VALU_DEP_2)
	v_pk_fma_f32 v[70:71], v[66:67], v[64:65], v[68:69] op_sel_hi:[1,0,1]
	v_pk_fma_f32 v[64:65], v[66:67], v[64:65], v[68:69] neg_lo:[0,0,1] neg_hi:[0,0,1]
	v_mov_b32_e32 v65, v71
	s_delay_alu instid0(VALU_DEP_1)
	v_pk_add_f32 v[62:63], v[62:63], v[64:65]
.LBB92_24:
	s_or_b32 exec_lo, exec_lo, s33
	v_mov_b32_e32 v64, 0
	ds_load_b64 v[64:65], v64 offset:208
	s_wait_dscnt 0x0
	v_pk_mul_f32 v[66:67], v[62:63], v[64:65] op_sel:[1,1] op_sel_hi:[0,1]
	s_delay_alu instid0(VALU_DEP_1) | instskip(SKIP_1) | instid1(VALU_DEP_2)
	v_pk_fma_f32 v[68:69], v[62:63], v[64:65], v[66:67] op_sel_hi:[1,0,1]
	v_pk_fma_f32 v[62:63], v[62:63], v[64:65], v[66:67] neg_lo:[0,0,1] neg_hi:[0,0,1]
	v_mov_b32_e32 v63, v69
	scratch_store_b64 off, v[62:63], off offset:208
.LBB92_25:
	s_wait_xcnt 0x0
	s_or_b32 exec_lo, exec_lo, s31
	scratch_load_b64 v[62:63], off, off offset:200
	v_cmp_lt_u32_e64 s0, 25, v0
	s_wait_loadcnt 0x0
	ds_store_b64 v1, v[62:63]
	s_wait_storecnt_dscnt 0x0
	s_barrier_signal -1
	s_barrier_wait -1
	s_wait_xcnt 0x0
	s_and_saveexec_b32 s31, s0
	s_cbranch_execz .LBB92_35
; %bb.26:
	s_and_not1_b32 vcc_lo, exec_lo, s5
	s_cbranch_vccnz .LBB92_28
; %bb.27:
	scratch_load_b64 v[62:63], v59, off
	ds_load_b64 v[64:65], v1
	s_wait_loadcnt_dscnt 0x0
	v_pk_mul_f32 v[66:67], v[64:65], v[62:63] op_sel:[1,1] op_sel_hi:[0,1]
	s_delay_alu instid0(VALU_DEP_1) | instskip(SKIP_1) | instid1(VALU_DEP_2)
	v_pk_fma_f32 v[68:69], v[64:65], v[62:63], v[66:67] op_sel_hi:[1,0,1]
	v_pk_fma_f32 v[62:63], v[64:65], v[62:63], v[66:67] neg_lo:[0,0,1] neg_hi:[0,0,1]
	v_mov_b32_e32 v63, v69
	s_cbranch_execz .LBB92_29
	s_branch .LBB92_30
.LBB92_28:
                                        ; implicit-def: $vgpr62_vgpr63
.LBB92_29:
	ds_load_b64 v[62:63], v1
.LBB92_30:
	s_and_saveexec_b32 s33, s1
	s_cbranch_execz .LBB92_34
; %bb.31:
	v_subrev_nc_u32_e32 v64, 26, v0
	s_movk_i32 s34, 0x1c0
	s_mov_b32 s1, 0
.LBB92_32:                              ; =>This Inner Loop Header: Depth=1
	scratch_load_b64 v[66:67], off, s30
	v_dual_mov_b32 v65, s34 :: v_dual_add_nc_u32 v64, -1, v64
	s_add_co_i32 s34, s34, 8
	s_wait_xcnt 0x0
	s_add_co_i32 s30, s30, 8
	ds_load_b64 v[68:69], v65
	v_cmp_eq_u32_e32 vcc_lo, 0, v64
	s_or_b32 s1, vcc_lo, s1
	s_wait_loadcnt_dscnt 0x0
	v_pk_mul_f32 v[70:71], v[68:69], v[66:67] op_sel:[1,1] op_sel_hi:[0,1]
	s_delay_alu instid0(VALU_DEP_1) | instskip(SKIP_1) | instid1(VALU_DEP_2)
	v_pk_fma_f32 v[72:73], v[68:69], v[66:67], v[70:71] op_sel_hi:[1,0,1]
	v_pk_fma_f32 v[66:67], v[68:69], v[66:67], v[70:71] neg_lo:[0,0,1] neg_hi:[0,0,1]
	v_mov_b32_e32 v67, v73
	s_delay_alu instid0(VALU_DEP_1)
	v_pk_add_f32 v[62:63], v[62:63], v[66:67]
	s_and_not1_b32 exec_lo, exec_lo, s1
	s_cbranch_execnz .LBB92_32
; %bb.33:
	s_or_b32 exec_lo, exec_lo, s1
.LBB92_34:
	s_delay_alu instid0(SALU_CYCLE_1) | instskip(SKIP_4) | instid1(VALU_DEP_1)
	s_or_b32 exec_lo, exec_lo, s33
	v_mov_b32_e32 v64, 0
	ds_load_b64 v[64:65], v64 offset:200
	s_wait_dscnt 0x0
	v_pk_mul_f32 v[66:67], v[62:63], v[64:65] op_sel:[1,1] op_sel_hi:[0,1]
	v_pk_fma_f32 v[68:69], v[62:63], v[64:65], v[66:67] op_sel_hi:[1,0,1]
	v_pk_fma_f32 v[62:63], v[62:63], v[64:65], v[66:67] neg_lo:[0,0,1] neg_hi:[0,0,1]
	s_delay_alu instid0(VALU_DEP_2)
	v_mov_b32_e32 v63, v69
	scratch_store_b64 off, v[62:63], off offset:200
.LBB92_35:
	s_wait_xcnt 0x0
	s_or_b32 exec_lo, exec_lo, s31
	scratch_load_b64 v[62:63], off, off offset:192
	v_cmp_lt_u32_e64 s1, 24, v0
	s_wait_loadcnt 0x0
	ds_store_b64 v1, v[62:63]
	s_wait_storecnt_dscnt 0x0
	s_barrier_signal -1
	s_barrier_wait -1
	s_wait_xcnt 0x0
	s_and_saveexec_b32 s30, s1
	s_cbranch_execz .LBB92_45
; %bb.36:
	s_and_not1_b32 vcc_lo, exec_lo, s5
	s_cbranch_vccnz .LBB92_38
; %bb.37:
	scratch_load_b64 v[62:63], v59, off
	ds_load_b64 v[64:65], v1
	s_wait_loadcnt_dscnt 0x0
	v_pk_mul_f32 v[66:67], v[64:65], v[62:63] op_sel:[1,1] op_sel_hi:[0,1]
	s_delay_alu instid0(VALU_DEP_1) | instskip(SKIP_1) | instid1(VALU_DEP_2)
	v_pk_fma_f32 v[68:69], v[64:65], v[62:63], v[66:67] op_sel_hi:[1,0,1]
	v_pk_fma_f32 v[62:63], v[64:65], v[62:63], v[66:67] neg_lo:[0,0,1] neg_hi:[0,0,1]
	v_mov_b32_e32 v63, v69
	s_cbranch_execz .LBB92_39
	s_branch .LBB92_40
.LBB92_38:
                                        ; implicit-def: $vgpr62_vgpr63
.LBB92_39:
	ds_load_b64 v[62:63], v1
.LBB92_40:
	s_and_saveexec_b32 s31, s0
	s_cbranch_execz .LBB92_44
; %bb.41:
	v_subrev_nc_u32_e32 v64, 25, v0
	s_movk_i32 s33, 0x1b8
	s_mov_b32 s0, 0
.LBB92_42:                              ; =>This Inner Loop Header: Depth=1
	scratch_load_b64 v[66:67], off, s29
	v_dual_mov_b32 v65, s33 :: v_dual_add_nc_u32 v64, -1, v64
	s_add_co_i32 s33, s33, 8
	s_wait_xcnt 0x0
	s_add_co_i32 s29, s29, 8
	ds_load_b64 v[68:69], v65
	v_cmp_eq_u32_e32 vcc_lo, 0, v64
	s_or_b32 s0, vcc_lo, s0
	s_wait_loadcnt_dscnt 0x0
	v_pk_mul_f32 v[70:71], v[68:69], v[66:67] op_sel:[1,1] op_sel_hi:[0,1]
	s_delay_alu instid0(VALU_DEP_1) | instskip(SKIP_1) | instid1(VALU_DEP_2)
	v_pk_fma_f32 v[72:73], v[68:69], v[66:67], v[70:71] op_sel_hi:[1,0,1]
	v_pk_fma_f32 v[66:67], v[68:69], v[66:67], v[70:71] neg_lo:[0,0,1] neg_hi:[0,0,1]
	v_mov_b32_e32 v67, v73
	s_delay_alu instid0(VALU_DEP_1)
	v_pk_add_f32 v[62:63], v[62:63], v[66:67]
	s_and_not1_b32 exec_lo, exec_lo, s0
	s_cbranch_execnz .LBB92_42
; %bb.43:
	s_or_b32 exec_lo, exec_lo, s0
.LBB92_44:
	s_delay_alu instid0(SALU_CYCLE_1) | instskip(SKIP_4) | instid1(VALU_DEP_1)
	s_or_b32 exec_lo, exec_lo, s31
	v_mov_b32_e32 v64, 0
	ds_load_b64 v[64:65], v64 offset:192
	s_wait_dscnt 0x0
	v_pk_mul_f32 v[66:67], v[62:63], v[64:65] op_sel:[1,1] op_sel_hi:[0,1]
	v_pk_fma_f32 v[68:69], v[62:63], v[64:65], v[66:67] op_sel_hi:[1,0,1]
	v_pk_fma_f32 v[62:63], v[62:63], v[64:65], v[66:67] neg_lo:[0,0,1] neg_hi:[0,0,1]
	s_delay_alu instid0(VALU_DEP_2)
	v_mov_b32_e32 v63, v69
	scratch_store_b64 off, v[62:63], off offset:192
.LBB92_45:
	s_wait_xcnt 0x0
	s_or_b32 exec_lo, exec_lo, s30
	scratch_load_b64 v[62:63], off, off offset:184
	v_cmp_lt_u32_e64 s0, 23, v0
	s_wait_loadcnt 0x0
	ds_store_b64 v1, v[62:63]
	s_wait_storecnt_dscnt 0x0
	s_barrier_signal -1
	s_barrier_wait -1
	s_wait_xcnt 0x0
	s_and_saveexec_b32 s29, s0
	s_cbranch_execz .LBB92_55
; %bb.46:
	s_and_not1_b32 vcc_lo, exec_lo, s5
	s_cbranch_vccnz .LBB92_48
; %bb.47:
	scratch_load_b64 v[62:63], v59, off
	ds_load_b64 v[64:65], v1
	s_wait_loadcnt_dscnt 0x0
	v_pk_mul_f32 v[66:67], v[64:65], v[62:63] op_sel:[1,1] op_sel_hi:[0,1]
	s_delay_alu instid0(VALU_DEP_1) | instskip(SKIP_1) | instid1(VALU_DEP_2)
	v_pk_fma_f32 v[68:69], v[64:65], v[62:63], v[66:67] op_sel_hi:[1,0,1]
	v_pk_fma_f32 v[62:63], v[64:65], v[62:63], v[66:67] neg_lo:[0,0,1] neg_hi:[0,0,1]
	v_mov_b32_e32 v63, v69
	s_cbranch_execz .LBB92_49
	s_branch .LBB92_50
.LBB92_48:
                                        ; implicit-def: $vgpr62_vgpr63
.LBB92_49:
	ds_load_b64 v[62:63], v1
.LBB92_50:
	s_and_saveexec_b32 s30, s1
	s_cbranch_execz .LBB92_54
; %bb.51:
	v_subrev_nc_u32_e32 v64, 24, v0
	s_movk_i32 s31, 0x1b0
	s_mov_b32 s1, 0
.LBB92_52:                              ; =>This Inner Loop Header: Depth=1
	scratch_load_b64 v[66:67], off, s28
	v_dual_mov_b32 v65, s31 :: v_dual_add_nc_u32 v64, -1, v64
	s_add_co_i32 s31, s31, 8
	s_wait_xcnt 0x0
	s_add_co_i32 s28, s28, 8
	ds_load_b64 v[68:69], v65
	v_cmp_eq_u32_e32 vcc_lo, 0, v64
	s_or_b32 s1, vcc_lo, s1
	s_wait_loadcnt_dscnt 0x0
	v_pk_mul_f32 v[70:71], v[68:69], v[66:67] op_sel:[1,1] op_sel_hi:[0,1]
	s_delay_alu instid0(VALU_DEP_1) | instskip(SKIP_1) | instid1(VALU_DEP_2)
	v_pk_fma_f32 v[72:73], v[68:69], v[66:67], v[70:71] op_sel_hi:[1,0,1]
	v_pk_fma_f32 v[66:67], v[68:69], v[66:67], v[70:71] neg_lo:[0,0,1] neg_hi:[0,0,1]
	v_mov_b32_e32 v67, v73
	s_delay_alu instid0(VALU_DEP_1)
	v_pk_add_f32 v[62:63], v[62:63], v[66:67]
	s_and_not1_b32 exec_lo, exec_lo, s1
	s_cbranch_execnz .LBB92_52
; %bb.53:
	s_or_b32 exec_lo, exec_lo, s1
.LBB92_54:
	s_delay_alu instid0(SALU_CYCLE_1) | instskip(SKIP_4) | instid1(VALU_DEP_1)
	s_or_b32 exec_lo, exec_lo, s30
	v_mov_b32_e32 v64, 0
	ds_load_b64 v[64:65], v64 offset:184
	s_wait_dscnt 0x0
	v_pk_mul_f32 v[66:67], v[62:63], v[64:65] op_sel:[1,1] op_sel_hi:[0,1]
	v_pk_fma_f32 v[68:69], v[62:63], v[64:65], v[66:67] op_sel_hi:[1,0,1]
	v_pk_fma_f32 v[62:63], v[62:63], v[64:65], v[66:67] neg_lo:[0,0,1] neg_hi:[0,0,1]
	s_delay_alu instid0(VALU_DEP_2)
	v_mov_b32_e32 v63, v69
	scratch_store_b64 off, v[62:63], off offset:184
.LBB92_55:
	s_wait_xcnt 0x0
	s_or_b32 exec_lo, exec_lo, s29
	scratch_load_b64 v[62:63], off, off offset:176
	v_cmp_lt_u32_e64 s1, 22, v0
	s_wait_loadcnt 0x0
	ds_store_b64 v1, v[62:63]
	s_wait_storecnt_dscnt 0x0
	s_barrier_signal -1
	s_barrier_wait -1
	s_wait_xcnt 0x0
	s_and_saveexec_b32 s28, s1
	s_cbranch_execz .LBB92_65
; %bb.56:
	s_and_not1_b32 vcc_lo, exec_lo, s5
	s_cbranch_vccnz .LBB92_58
; %bb.57:
	scratch_load_b64 v[62:63], v59, off
	ds_load_b64 v[64:65], v1
	s_wait_loadcnt_dscnt 0x0
	v_pk_mul_f32 v[66:67], v[64:65], v[62:63] op_sel:[1,1] op_sel_hi:[0,1]
	s_delay_alu instid0(VALU_DEP_1) | instskip(SKIP_1) | instid1(VALU_DEP_2)
	v_pk_fma_f32 v[68:69], v[64:65], v[62:63], v[66:67] op_sel_hi:[1,0,1]
	v_pk_fma_f32 v[62:63], v[64:65], v[62:63], v[66:67] neg_lo:[0,0,1] neg_hi:[0,0,1]
	v_mov_b32_e32 v63, v69
	s_cbranch_execz .LBB92_59
	s_branch .LBB92_60
.LBB92_58:
                                        ; implicit-def: $vgpr62_vgpr63
.LBB92_59:
	ds_load_b64 v[62:63], v1
.LBB92_60:
	s_and_saveexec_b32 s29, s0
	s_cbranch_execz .LBB92_64
; %bb.61:
	v_subrev_nc_u32_e32 v64, 23, v0
	s_movk_i32 s30, 0x1a8
	s_mov_b32 s0, 0
.LBB92_62:                              ; =>This Inner Loop Header: Depth=1
	scratch_load_b64 v[66:67], off, s27
	v_dual_mov_b32 v65, s30 :: v_dual_add_nc_u32 v64, -1, v64
	s_add_co_i32 s30, s30, 8
	s_wait_xcnt 0x0
	s_add_co_i32 s27, s27, 8
	ds_load_b64 v[68:69], v65
	v_cmp_eq_u32_e32 vcc_lo, 0, v64
	s_or_b32 s0, vcc_lo, s0
	s_wait_loadcnt_dscnt 0x0
	v_pk_mul_f32 v[70:71], v[68:69], v[66:67] op_sel:[1,1] op_sel_hi:[0,1]
	s_delay_alu instid0(VALU_DEP_1) | instskip(SKIP_1) | instid1(VALU_DEP_2)
	v_pk_fma_f32 v[72:73], v[68:69], v[66:67], v[70:71] op_sel_hi:[1,0,1]
	v_pk_fma_f32 v[66:67], v[68:69], v[66:67], v[70:71] neg_lo:[0,0,1] neg_hi:[0,0,1]
	v_mov_b32_e32 v67, v73
	s_delay_alu instid0(VALU_DEP_1)
	v_pk_add_f32 v[62:63], v[62:63], v[66:67]
	s_and_not1_b32 exec_lo, exec_lo, s0
	s_cbranch_execnz .LBB92_62
; %bb.63:
	s_or_b32 exec_lo, exec_lo, s0
.LBB92_64:
	s_delay_alu instid0(SALU_CYCLE_1) | instskip(SKIP_4) | instid1(VALU_DEP_1)
	s_or_b32 exec_lo, exec_lo, s29
	v_mov_b32_e32 v64, 0
	ds_load_b64 v[64:65], v64 offset:176
	s_wait_dscnt 0x0
	v_pk_mul_f32 v[66:67], v[62:63], v[64:65] op_sel:[1,1] op_sel_hi:[0,1]
	v_pk_fma_f32 v[68:69], v[62:63], v[64:65], v[66:67] op_sel_hi:[1,0,1]
	v_pk_fma_f32 v[62:63], v[62:63], v[64:65], v[66:67] neg_lo:[0,0,1] neg_hi:[0,0,1]
	s_delay_alu instid0(VALU_DEP_2)
	v_mov_b32_e32 v63, v69
	scratch_store_b64 off, v[62:63], off offset:176
.LBB92_65:
	s_wait_xcnt 0x0
	s_or_b32 exec_lo, exec_lo, s28
	scratch_load_b64 v[62:63], off, off offset:168
	v_cmp_lt_u32_e64 s0, 21, v0
	s_wait_loadcnt 0x0
	ds_store_b64 v1, v[62:63]
	s_wait_storecnt_dscnt 0x0
	s_barrier_signal -1
	s_barrier_wait -1
	s_wait_xcnt 0x0
	s_and_saveexec_b32 s27, s0
	s_cbranch_execz .LBB92_75
; %bb.66:
	s_and_not1_b32 vcc_lo, exec_lo, s5
	s_cbranch_vccnz .LBB92_68
; %bb.67:
	scratch_load_b64 v[62:63], v59, off
	ds_load_b64 v[64:65], v1
	s_wait_loadcnt_dscnt 0x0
	v_pk_mul_f32 v[66:67], v[64:65], v[62:63] op_sel:[1,1] op_sel_hi:[0,1]
	s_delay_alu instid0(VALU_DEP_1) | instskip(SKIP_1) | instid1(VALU_DEP_2)
	v_pk_fma_f32 v[68:69], v[64:65], v[62:63], v[66:67] op_sel_hi:[1,0,1]
	v_pk_fma_f32 v[62:63], v[64:65], v[62:63], v[66:67] neg_lo:[0,0,1] neg_hi:[0,0,1]
	v_mov_b32_e32 v63, v69
	s_cbranch_execz .LBB92_69
	s_branch .LBB92_70
.LBB92_68:
                                        ; implicit-def: $vgpr62_vgpr63
.LBB92_69:
	ds_load_b64 v[62:63], v1
.LBB92_70:
	s_and_saveexec_b32 s28, s1
	s_cbranch_execz .LBB92_74
; %bb.71:
	v_subrev_nc_u32_e32 v64, 22, v0
	s_movk_i32 s29, 0x1a0
	s_mov_b32 s1, 0
.LBB92_72:                              ; =>This Inner Loop Header: Depth=1
	scratch_load_b64 v[66:67], off, s26
	v_dual_mov_b32 v65, s29 :: v_dual_add_nc_u32 v64, -1, v64
	s_add_co_i32 s29, s29, 8
	s_wait_xcnt 0x0
	s_add_co_i32 s26, s26, 8
	ds_load_b64 v[68:69], v65
	v_cmp_eq_u32_e32 vcc_lo, 0, v64
	s_or_b32 s1, vcc_lo, s1
	s_wait_loadcnt_dscnt 0x0
	v_pk_mul_f32 v[70:71], v[68:69], v[66:67] op_sel:[1,1] op_sel_hi:[0,1]
	s_delay_alu instid0(VALU_DEP_1) | instskip(SKIP_1) | instid1(VALU_DEP_2)
	v_pk_fma_f32 v[72:73], v[68:69], v[66:67], v[70:71] op_sel_hi:[1,0,1]
	v_pk_fma_f32 v[66:67], v[68:69], v[66:67], v[70:71] neg_lo:[0,0,1] neg_hi:[0,0,1]
	v_mov_b32_e32 v67, v73
	s_delay_alu instid0(VALU_DEP_1)
	v_pk_add_f32 v[62:63], v[62:63], v[66:67]
	s_and_not1_b32 exec_lo, exec_lo, s1
	s_cbranch_execnz .LBB92_72
; %bb.73:
	s_or_b32 exec_lo, exec_lo, s1
.LBB92_74:
	s_delay_alu instid0(SALU_CYCLE_1) | instskip(SKIP_4) | instid1(VALU_DEP_1)
	s_or_b32 exec_lo, exec_lo, s28
	v_mov_b32_e32 v64, 0
	ds_load_b64 v[64:65], v64 offset:168
	s_wait_dscnt 0x0
	v_pk_mul_f32 v[66:67], v[62:63], v[64:65] op_sel:[1,1] op_sel_hi:[0,1]
	v_pk_fma_f32 v[68:69], v[62:63], v[64:65], v[66:67] op_sel_hi:[1,0,1]
	v_pk_fma_f32 v[62:63], v[62:63], v[64:65], v[66:67] neg_lo:[0,0,1] neg_hi:[0,0,1]
	s_delay_alu instid0(VALU_DEP_2)
	v_mov_b32_e32 v63, v69
	scratch_store_b64 off, v[62:63], off offset:168
.LBB92_75:
	s_wait_xcnt 0x0
	s_or_b32 exec_lo, exec_lo, s27
	scratch_load_b64 v[62:63], off, off offset:160
	v_cmp_lt_u32_e64 s1, 20, v0
	s_wait_loadcnt 0x0
	ds_store_b64 v1, v[62:63]
	s_wait_storecnt_dscnt 0x0
	s_barrier_signal -1
	s_barrier_wait -1
	s_wait_xcnt 0x0
	s_and_saveexec_b32 s26, s1
	s_cbranch_execz .LBB92_85
; %bb.76:
	s_and_not1_b32 vcc_lo, exec_lo, s5
	s_cbranch_vccnz .LBB92_78
; %bb.77:
	scratch_load_b64 v[62:63], v59, off
	ds_load_b64 v[64:65], v1
	s_wait_loadcnt_dscnt 0x0
	v_pk_mul_f32 v[66:67], v[64:65], v[62:63] op_sel:[1,1] op_sel_hi:[0,1]
	s_delay_alu instid0(VALU_DEP_1) | instskip(SKIP_1) | instid1(VALU_DEP_2)
	v_pk_fma_f32 v[68:69], v[64:65], v[62:63], v[66:67] op_sel_hi:[1,0,1]
	v_pk_fma_f32 v[62:63], v[64:65], v[62:63], v[66:67] neg_lo:[0,0,1] neg_hi:[0,0,1]
	v_mov_b32_e32 v63, v69
	s_cbranch_execz .LBB92_79
	s_branch .LBB92_80
.LBB92_78:
                                        ; implicit-def: $vgpr62_vgpr63
.LBB92_79:
	ds_load_b64 v[62:63], v1
.LBB92_80:
	s_and_saveexec_b32 s27, s0
	s_cbranch_execz .LBB92_84
; %bb.81:
	v_subrev_nc_u32_e32 v64, 21, v0
	s_movk_i32 s28, 0x198
	s_mov_b32 s0, 0
.LBB92_82:                              ; =>This Inner Loop Header: Depth=1
	scratch_load_b64 v[66:67], off, s25
	v_dual_mov_b32 v65, s28 :: v_dual_add_nc_u32 v64, -1, v64
	s_add_co_i32 s28, s28, 8
	s_wait_xcnt 0x0
	s_add_co_i32 s25, s25, 8
	ds_load_b64 v[68:69], v65
	v_cmp_eq_u32_e32 vcc_lo, 0, v64
	s_or_b32 s0, vcc_lo, s0
	s_wait_loadcnt_dscnt 0x0
	v_pk_mul_f32 v[70:71], v[68:69], v[66:67] op_sel:[1,1] op_sel_hi:[0,1]
	s_delay_alu instid0(VALU_DEP_1) | instskip(SKIP_1) | instid1(VALU_DEP_2)
	v_pk_fma_f32 v[72:73], v[68:69], v[66:67], v[70:71] op_sel_hi:[1,0,1]
	v_pk_fma_f32 v[66:67], v[68:69], v[66:67], v[70:71] neg_lo:[0,0,1] neg_hi:[0,0,1]
	v_mov_b32_e32 v67, v73
	s_delay_alu instid0(VALU_DEP_1)
	v_pk_add_f32 v[62:63], v[62:63], v[66:67]
	s_and_not1_b32 exec_lo, exec_lo, s0
	s_cbranch_execnz .LBB92_82
; %bb.83:
	s_or_b32 exec_lo, exec_lo, s0
.LBB92_84:
	s_delay_alu instid0(SALU_CYCLE_1) | instskip(SKIP_4) | instid1(VALU_DEP_1)
	s_or_b32 exec_lo, exec_lo, s27
	v_mov_b32_e32 v64, 0
	ds_load_b64 v[64:65], v64 offset:160
	s_wait_dscnt 0x0
	v_pk_mul_f32 v[66:67], v[62:63], v[64:65] op_sel:[1,1] op_sel_hi:[0,1]
	v_pk_fma_f32 v[68:69], v[62:63], v[64:65], v[66:67] op_sel_hi:[1,0,1]
	v_pk_fma_f32 v[62:63], v[62:63], v[64:65], v[66:67] neg_lo:[0,0,1] neg_hi:[0,0,1]
	s_delay_alu instid0(VALU_DEP_2)
	v_mov_b32_e32 v63, v69
	scratch_store_b64 off, v[62:63], off offset:160
.LBB92_85:
	s_wait_xcnt 0x0
	s_or_b32 exec_lo, exec_lo, s26
	scratch_load_b64 v[62:63], off, off offset:152
	v_cmp_lt_u32_e64 s0, 19, v0
	s_wait_loadcnt 0x0
	ds_store_b64 v1, v[62:63]
	s_wait_storecnt_dscnt 0x0
	s_barrier_signal -1
	s_barrier_wait -1
	s_wait_xcnt 0x0
	s_and_saveexec_b32 s25, s0
	s_cbranch_execz .LBB92_95
; %bb.86:
	s_and_not1_b32 vcc_lo, exec_lo, s5
	s_cbranch_vccnz .LBB92_88
; %bb.87:
	scratch_load_b64 v[62:63], v59, off
	ds_load_b64 v[64:65], v1
	s_wait_loadcnt_dscnt 0x0
	v_pk_mul_f32 v[66:67], v[64:65], v[62:63] op_sel:[1,1] op_sel_hi:[0,1]
	s_delay_alu instid0(VALU_DEP_1) | instskip(SKIP_1) | instid1(VALU_DEP_2)
	v_pk_fma_f32 v[68:69], v[64:65], v[62:63], v[66:67] op_sel_hi:[1,0,1]
	v_pk_fma_f32 v[62:63], v[64:65], v[62:63], v[66:67] neg_lo:[0,0,1] neg_hi:[0,0,1]
	v_mov_b32_e32 v63, v69
	s_cbranch_execz .LBB92_89
	s_branch .LBB92_90
.LBB92_88:
                                        ; implicit-def: $vgpr62_vgpr63
.LBB92_89:
	ds_load_b64 v[62:63], v1
.LBB92_90:
	s_and_saveexec_b32 s26, s1
	s_cbranch_execz .LBB92_94
; %bb.91:
	v_subrev_nc_u32_e32 v64, 20, v0
	s_movk_i32 s27, 0x190
	s_mov_b32 s1, 0
.LBB92_92:                              ; =>This Inner Loop Header: Depth=1
	scratch_load_b64 v[66:67], off, s24
	v_dual_mov_b32 v65, s27 :: v_dual_add_nc_u32 v64, -1, v64
	s_add_co_i32 s27, s27, 8
	s_wait_xcnt 0x0
	s_add_co_i32 s24, s24, 8
	ds_load_b64 v[68:69], v65
	v_cmp_eq_u32_e32 vcc_lo, 0, v64
	s_or_b32 s1, vcc_lo, s1
	s_wait_loadcnt_dscnt 0x0
	v_pk_mul_f32 v[70:71], v[68:69], v[66:67] op_sel:[1,1] op_sel_hi:[0,1]
	s_delay_alu instid0(VALU_DEP_1) | instskip(SKIP_1) | instid1(VALU_DEP_2)
	v_pk_fma_f32 v[72:73], v[68:69], v[66:67], v[70:71] op_sel_hi:[1,0,1]
	v_pk_fma_f32 v[66:67], v[68:69], v[66:67], v[70:71] neg_lo:[0,0,1] neg_hi:[0,0,1]
	v_mov_b32_e32 v67, v73
	s_delay_alu instid0(VALU_DEP_1)
	v_pk_add_f32 v[62:63], v[62:63], v[66:67]
	s_and_not1_b32 exec_lo, exec_lo, s1
	s_cbranch_execnz .LBB92_92
; %bb.93:
	s_or_b32 exec_lo, exec_lo, s1
.LBB92_94:
	s_delay_alu instid0(SALU_CYCLE_1) | instskip(SKIP_4) | instid1(VALU_DEP_1)
	s_or_b32 exec_lo, exec_lo, s26
	v_mov_b32_e32 v64, 0
	ds_load_b64 v[64:65], v64 offset:152
	s_wait_dscnt 0x0
	v_pk_mul_f32 v[66:67], v[62:63], v[64:65] op_sel:[1,1] op_sel_hi:[0,1]
	v_pk_fma_f32 v[68:69], v[62:63], v[64:65], v[66:67] op_sel_hi:[1,0,1]
	v_pk_fma_f32 v[62:63], v[62:63], v[64:65], v[66:67] neg_lo:[0,0,1] neg_hi:[0,0,1]
	s_delay_alu instid0(VALU_DEP_2)
	v_mov_b32_e32 v63, v69
	scratch_store_b64 off, v[62:63], off offset:152
.LBB92_95:
	s_wait_xcnt 0x0
	s_or_b32 exec_lo, exec_lo, s25
	scratch_load_b64 v[62:63], off, off offset:144
	v_cmp_lt_u32_e64 s1, 18, v0
	s_wait_loadcnt 0x0
	ds_store_b64 v1, v[62:63]
	s_wait_storecnt_dscnt 0x0
	s_barrier_signal -1
	s_barrier_wait -1
	s_wait_xcnt 0x0
	s_and_saveexec_b32 s24, s1
	s_cbranch_execz .LBB92_105
; %bb.96:
	s_and_not1_b32 vcc_lo, exec_lo, s5
	s_cbranch_vccnz .LBB92_98
; %bb.97:
	scratch_load_b64 v[62:63], v59, off
	ds_load_b64 v[64:65], v1
	s_wait_loadcnt_dscnt 0x0
	v_pk_mul_f32 v[66:67], v[64:65], v[62:63] op_sel:[1,1] op_sel_hi:[0,1]
	s_delay_alu instid0(VALU_DEP_1) | instskip(SKIP_1) | instid1(VALU_DEP_2)
	v_pk_fma_f32 v[68:69], v[64:65], v[62:63], v[66:67] op_sel_hi:[1,0,1]
	v_pk_fma_f32 v[62:63], v[64:65], v[62:63], v[66:67] neg_lo:[0,0,1] neg_hi:[0,0,1]
	v_mov_b32_e32 v63, v69
	s_cbranch_execz .LBB92_99
	s_branch .LBB92_100
.LBB92_98:
                                        ; implicit-def: $vgpr62_vgpr63
.LBB92_99:
	ds_load_b64 v[62:63], v1
.LBB92_100:
	s_and_saveexec_b32 s25, s0
	s_cbranch_execz .LBB92_104
; %bb.101:
	v_subrev_nc_u32_e32 v64, 19, v0
	s_movk_i32 s26, 0x188
	s_mov_b32 s0, 0
.LBB92_102:                             ; =>This Inner Loop Header: Depth=1
	scratch_load_b64 v[66:67], off, s23
	v_dual_mov_b32 v65, s26 :: v_dual_add_nc_u32 v64, -1, v64
	s_add_co_i32 s26, s26, 8
	s_wait_xcnt 0x0
	s_add_co_i32 s23, s23, 8
	ds_load_b64 v[68:69], v65
	v_cmp_eq_u32_e32 vcc_lo, 0, v64
	s_or_b32 s0, vcc_lo, s0
	s_wait_loadcnt_dscnt 0x0
	v_pk_mul_f32 v[70:71], v[68:69], v[66:67] op_sel:[1,1] op_sel_hi:[0,1]
	s_delay_alu instid0(VALU_DEP_1) | instskip(SKIP_1) | instid1(VALU_DEP_2)
	v_pk_fma_f32 v[72:73], v[68:69], v[66:67], v[70:71] op_sel_hi:[1,0,1]
	v_pk_fma_f32 v[66:67], v[68:69], v[66:67], v[70:71] neg_lo:[0,0,1] neg_hi:[0,0,1]
	v_mov_b32_e32 v67, v73
	s_delay_alu instid0(VALU_DEP_1)
	v_pk_add_f32 v[62:63], v[62:63], v[66:67]
	s_and_not1_b32 exec_lo, exec_lo, s0
	s_cbranch_execnz .LBB92_102
; %bb.103:
	s_or_b32 exec_lo, exec_lo, s0
.LBB92_104:
	s_delay_alu instid0(SALU_CYCLE_1) | instskip(SKIP_4) | instid1(VALU_DEP_1)
	s_or_b32 exec_lo, exec_lo, s25
	v_mov_b32_e32 v64, 0
	ds_load_b64 v[64:65], v64 offset:144
	s_wait_dscnt 0x0
	v_pk_mul_f32 v[66:67], v[62:63], v[64:65] op_sel:[1,1] op_sel_hi:[0,1]
	v_pk_fma_f32 v[68:69], v[62:63], v[64:65], v[66:67] op_sel_hi:[1,0,1]
	v_pk_fma_f32 v[62:63], v[62:63], v[64:65], v[66:67] neg_lo:[0,0,1] neg_hi:[0,0,1]
	s_delay_alu instid0(VALU_DEP_2)
	v_mov_b32_e32 v63, v69
	scratch_store_b64 off, v[62:63], off offset:144
.LBB92_105:
	s_wait_xcnt 0x0
	s_or_b32 exec_lo, exec_lo, s24
	scratch_load_b64 v[62:63], off, off offset:136
	v_cmp_lt_u32_e64 s0, 17, v0
	s_wait_loadcnt 0x0
	ds_store_b64 v1, v[62:63]
	s_wait_storecnt_dscnt 0x0
	s_barrier_signal -1
	s_barrier_wait -1
	s_wait_xcnt 0x0
	s_and_saveexec_b32 s23, s0
	s_cbranch_execz .LBB92_115
; %bb.106:
	s_and_not1_b32 vcc_lo, exec_lo, s5
	s_cbranch_vccnz .LBB92_108
; %bb.107:
	scratch_load_b64 v[62:63], v59, off
	ds_load_b64 v[64:65], v1
	s_wait_loadcnt_dscnt 0x0
	v_pk_mul_f32 v[66:67], v[64:65], v[62:63] op_sel:[1,1] op_sel_hi:[0,1]
	s_delay_alu instid0(VALU_DEP_1) | instskip(SKIP_1) | instid1(VALU_DEP_2)
	v_pk_fma_f32 v[68:69], v[64:65], v[62:63], v[66:67] op_sel_hi:[1,0,1]
	v_pk_fma_f32 v[62:63], v[64:65], v[62:63], v[66:67] neg_lo:[0,0,1] neg_hi:[0,0,1]
	v_mov_b32_e32 v63, v69
	s_cbranch_execz .LBB92_109
	s_branch .LBB92_110
.LBB92_108:
                                        ; implicit-def: $vgpr62_vgpr63
.LBB92_109:
	ds_load_b64 v[62:63], v1
.LBB92_110:
	s_and_saveexec_b32 s24, s1
	s_cbranch_execz .LBB92_114
; %bb.111:
	v_subrev_nc_u32_e32 v64, 18, v0
	s_movk_i32 s25, 0x180
	s_mov_b32 s1, 0
.LBB92_112:                             ; =>This Inner Loop Header: Depth=1
	scratch_load_b64 v[66:67], off, s22
	v_dual_mov_b32 v65, s25 :: v_dual_add_nc_u32 v64, -1, v64
	s_add_co_i32 s25, s25, 8
	s_wait_xcnt 0x0
	s_add_co_i32 s22, s22, 8
	ds_load_b64 v[68:69], v65
	v_cmp_eq_u32_e32 vcc_lo, 0, v64
	s_or_b32 s1, vcc_lo, s1
	s_wait_loadcnt_dscnt 0x0
	v_pk_mul_f32 v[70:71], v[68:69], v[66:67] op_sel:[1,1] op_sel_hi:[0,1]
	s_delay_alu instid0(VALU_DEP_1) | instskip(SKIP_1) | instid1(VALU_DEP_2)
	v_pk_fma_f32 v[72:73], v[68:69], v[66:67], v[70:71] op_sel_hi:[1,0,1]
	v_pk_fma_f32 v[66:67], v[68:69], v[66:67], v[70:71] neg_lo:[0,0,1] neg_hi:[0,0,1]
	v_mov_b32_e32 v67, v73
	s_delay_alu instid0(VALU_DEP_1)
	v_pk_add_f32 v[62:63], v[62:63], v[66:67]
	s_and_not1_b32 exec_lo, exec_lo, s1
	s_cbranch_execnz .LBB92_112
; %bb.113:
	s_or_b32 exec_lo, exec_lo, s1
.LBB92_114:
	s_delay_alu instid0(SALU_CYCLE_1) | instskip(SKIP_4) | instid1(VALU_DEP_1)
	s_or_b32 exec_lo, exec_lo, s24
	v_mov_b32_e32 v64, 0
	ds_load_b64 v[64:65], v64 offset:136
	s_wait_dscnt 0x0
	v_pk_mul_f32 v[66:67], v[62:63], v[64:65] op_sel:[1,1] op_sel_hi:[0,1]
	v_pk_fma_f32 v[68:69], v[62:63], v[64:65], v[66:67] op_sel_hi:[1,0,1]
	v_pk_fma_f32 v[62:63], v[62:63], v[64:65], v[66:67] neg_lo:[0,0,1] neg_hi:[0,0,1]
	s_delay_alu instid0(VALU_DEP_2)
	v_mov_b32_e32 v63, v69
	scratch_store_b64 off, v[62:63], off offset:136
.LBB92_115:
	s_wait_xcnt 0x0
	s_or_b32 exec_lo, exec_lo, s23
	scratch_load_b64 v[62:63], off, off offset:128
	v_cmp_lt_u32_e64 s1, 16, v0
	s_wait_loadcnt 0x0
	ds_store_b64 v1, v[62:63]
	s_wait_storecnt_dscnt 0x0
	s_barrier_signal -1
	s_barrier_wait -1
	s_wait_xcnt 0x0
	s_and_saveexec_b32 s22, s1
	s_cbranch_execz .LBB92_125
; %bb.116:
	s_and_not1_b32 vcc_lo, exec_lo, s5
	s_cbranch_vccnz .LBB92_118
; %bb.117:
	scratch_load_b64 v[62:63], v59, off
	ds_load_b64 v[64:65], v1
	s_wait_loadcnt_dscnt 0x0
	v_pk_mul_f32 v[66:67], v[64:65], v[62:63] op_sel:[1,1] op_sel_hi:[0,1]
	s_delay_alu instid0(VALU_DEP_1) | instskip(SKIP_1) | instid1(VALU_DEP_2)
	v_pk_fma_f32 v[68:69], v[64:65], v[62:63], v[66:67] op_sel_hi:[1,0,1]
	v_pk_fma_f32 v[62:63], v[64:65], v[62:63], v[66:67] neg_lo:[0,0,1] neg_hi:[0,0,1]
	v_mov_b32_e32 v63, v69
	s_cbranch_execz .LBB92_119
	s_branch .LBB92_120
.LBB92_118:
                                        ; implicit-def: $vgpr62_vgpr63
.LBB92_119:
	ds_load_b64 v[62:63], v1
.LBB92_120:
	s_and_saveexec_b32 s23, s0
	s_cbranch_execz .LBB92_124
; %bb.121:
	v_subrev_nc_u32_e32 v64, 17, v0
	s_movk_i32 s24, 0x178
	s_mov_b32 s0, 0
.LBB92_122:                             ; =>This Inner Loop Header: Depth=1
	scratch_load_b64 v[66:67], off, s21
	v_dual_mov_b32 v65, s24 :: v_dual_add_nc_u32 v64, -1, v64
	s_add_co_i32 s24, s24, 8
	s_wait_xcnt 0x0
	s_add_co_i32 s21, s21, 8
	ds_load_b64 v[68:69], v65
	v_cmp_eq_u32_e32 vcc_lo, 0, v64
	s_or_b32 s0, vcc_lo, s0
	s_wait_loadcnt_dscnt 0x0
	v_pk_mul_f32 v[70:71], v[68:69], v[66:67] op_sel:[1,1] op_sel_hi:[0,1]
	s_delay_alu instid0(VALU_DEP_1) | instskip(SKIP_1) | instid1(VALU_DEP_2)
	v_pk_fma_f32 v[72:73], v[68:69], v[66:67], v[70:71] op_sel_hi:[1,0,1]
	v_pk_fma_f32 v[66:67], v[68:69], v[66:67], v[70:71] neg_lo:[0,0,1] neg_hi:[0,0,1]
	v_mov_b32_e32 v67, v73
	s_delay_alu instid0(VALU_DEP_1)
	v_pk_add_f32 v[62:63], v[62:63], v[66:67]
	s_and_not1_b32 exec_lo, exec_lo, s0
	s_cbranch_execnz .LBB92_122
; %bb.123:
	s_or_b32 exec_lo, exec_lo, s0
.LBB92_124:
	s_delay_alu instid0(SALU_CYCLE_1) | instskip(SKIP_4) | instid1(VALU_DEP_1)
	s_or_b32 exec_lo, exec_lo, s23
	v_mov_b32_e32 v64, 0
	ds_load_b64 v[64:65], v64 offset:128
	s_wait_dscnt 0x0
	v_pk_mul_f32 v[66:67], v[62:63], v[64:65] op_sel:[1,1] op_sel_hi:[0,1]
	v_pk_fma_f32 v[68:69], v[62:63], v[64:65], v[66:67] op_sel_hi:[1,0,1]
	v_pk_fma_f32 v[62:63], v[62:63], v[64:65], v[66:67] neg_lo:[0,0,1] neg_hi:[0,0,1]
	s_delay_alu instid0(VALU_DEP_2)
	v_mov_b32_e32 v63, v69
	scratch_store_b64 off, v[62:63], off offset:128
.LBB92_125:
	s_wait_xcnt 0x0
	s_or_b32 exec_lo, exec_lo, s22
	scratch_load_b64 v[62:63], off, off offset:120
	v_cmp_lt_u32_e64 s0, 15, v0
	s_wait_loadcnt 0x0
	ds_store_b64 v1, v[62:63]
	s_wait_storecnt_dscnt 0x0
	s_barrier_signal -1
	s_barrier_wait -1
	s_wait_xcnt 0x0
	s_and_saveexec_b32 s21, s0
	s_cbranch_execz .LBB92_135
; %bb.126:
	s_and_not1_b32 vcc_lo, exec_lo, s5
	s_cbranch_vccnz .LBB92_128
; %bb.127:
	scratch_load_b64 v[62:63], v59, off
	ds_load_b64 v[64:65], v1
	s_wait_loadcnt_dscnt 0x0
	v_pk_mul_f32 v[66:67], v[64:65], v[62:63] op_sel:[1,1] op_sel_hi:[0,1]
	s_delay_alu instid0(VALU_DEP_1) | instskip(SKIP_1) | instid1(VALU_DEP_2)
	v_pk_fma_f32 v[68:69], v[64:65], v[62:63], v[66:67] op_sel_hi:[1,0,1]
	v_pk_fma_f32 v[62:63], v[64:65], v[62:63], v[66:67] neg_lo:[0,0,1] neg_hi:[0,0,1]
	v_mov_b32_e32 v63, v69
	s_cbranch_execz .LBB92_129
	s_branch .LBB92_130
.LBB92_128:
                                        ; implicit-def: $vgpr62_vgpr63
.LBB92_129:
	ds_load_b64 v[62:63], v1
.LBB92_130:
	s_and_saveexec_b32 s22, s1
	s_cbranch_execz .LBB92_134
; %bb.131:
	v_add_nc_u32_e32 v64, -16, v0
	s_movk_i32 s23, 0x170
	s_mov_b32 s1, 0
.LBB92_132:                             ; =>This Inner Loop Header: Depth=1
	scratch_load_b64 v[66:67], off, s20
	v_dual_mov_b32 v65, s23 :: v_dual_add_nc_u32 v64, -1, v64
	s_add_co_i32 s23, s23, 8
	s_wait_xcnt 0x0
	s_add_co_i32 s20, s20, 8
	ds_load_b64 v[68:69], v65
	v_cmp_eq_u32_e32 vcc_lo, 0, v64
	s_or_b32 s1, vcc_lo, s1
	s_wait_loadcnt_dscnt 0x0
	v_pk_mul_f32 v[70:71], v[68:69], v[66:67] op_sel:[1,1] op_sel_hi:[0,1]
	s_delay_alu instid0(VALU_DEP_1) | instskip(SKIP_1) | instid1(VALU_DEP_2)
	v_pk_fma_f32 v[72:73], v[68:69], v[66:67], v[70:71] op_sel_hi:[1,0,1]
	v_pk_fma_f32 v[66:67], v[68:69], v[66:67], v[70:71] neg_lo:[0,0,1] neg_hi:[0,0,1]
	v_mov_b32_e32 v67, v73
	s_delay_alu instid0(VALU_DEP_1)
	v_pk_add_f32 v[62:63], v[62:63], v[66:67]
	s_and_not1_b32 exec_lo, exec_lo, s1
	s_cbranch_execnz .LBB92_132
; %bb.133:
	s_or_b32 exec_lo, exec_lo, s1
.LBB92_134:
	s_delay_alu instid0(SALU_CYCLE_1) | instskip(SKIP_4) | instid1(VALU_DEP_1)
	s_or_b32 exec_lo, exec_lo, s22
	v_mov_b32_e32 v64, 0
	ds_load_b64 v[64:65], v64 offset:120
	s_wait_dscnt 0x0
	v_pk_mul_f32 v[66:67], v[62:63], v[64:65] op_sel:[1,1] op_sel_hi:[0,1]
	v_pk_fma_f32 v[68:69], v[62:63], v[64:65], v[66:67] op_sel_hi:[1,0,1]
	v_pk_fma_f32 v[62:63], v[62:63], v[64:65], v[66:67] neg_lo:[0,0,1] neg_hi:[0,0,1]
	s_delay_alu instid0(VALU_DEP_2)
	v_mov_b32_e32 v63, v69
	scratch_store_b64 off, v[62:63], off offset:120
.LBB92_135:
	s_wait_xcnt 0x0
	s_or_b32 exec_lo, exec_lo, s21
	scratch_load_b64 v[62:63], off, off offset:112
	v_cmp_lt_u32_e64 s1, 14, v0
	s_wait_loadcnt 0x0
	ds_store_b64 v1, v[62:63]
	s_wait_storecnt_dscnt 0x0
	s_barrier_signal -1
	s_barrier_wait -1
	s_wait_xcnt 0x0
	s_and_saveexec_b32 s20, s1
	s_cbranch_execz .LBB92_145
; %bb.136:
	s_and_not1_b32 vcc_lo, exec_lo, s5
	s_cbranch_vccnz .LBB92_138
; %bb.137:
	scratch_load_b64 v[62:63], v59, off
	ds_load_b64 v[64:65], v1
	s_wait_loadcnt_dscnt 0x0
	v_pk_mul_f32 v[66:67], v[64:65], v[62:63] op_sel:[1,1] op_sel_hi:[0,1]
	s_delay_alu instid0(VALU_DEP_1) | instskip(SKIP_1) | instid1(VALU_DEP_2)
	v_pk_fma_f32 v[68:69], v[64:65], v[62:63], v[66:67] op_sel_hi:[1,0,1]
	v_pk_fma_f32 v[62:63], v[64:65], v[62:63], v[66:67] neg_lo:[0,0,1] neg_hi:[0,0,1]
	v_mov_b32_e32 v63, v69
	s_cbranch_execz .LBB92_139
	s_branch .LBB92_140
.LBB92_138:
                                        ; implicit-def: $vgpr62_vgpr63
.LBB92_139:
	ds_load_b64 v[62:63], v1
.LBB92_140:
	s_and_saveexec_b32 s21, s0
	s_cbranch_execz .LBB92_144
; %bb.141:
	v_add_nc_u32_e32 v64, -15, v0
	s_movk_i32 s22, 0x168
	s_mov_b32 s0, 0
.LBB92_142:                             ; =>This Inner Loop Header: Depth=1
	scratch_load_b64 v[66:67], off, s19
	v_dual_mov_b32 v65, s22 :: v_dual_add_nc_u32 v64, -1, v64
	s_add_co_i32 s22, s22, 8
	s_wait_xcnt 0x0
	s_add_co_i32 s19, s19, 8
	ds_load_b64 v[68:69], v65
	v_cmp_eq_u32_e32 vcc_lo, 0, v64
	s_or_b32 s0, vcc_lo, s0
	s_wait_loadcnt_dscnt 0x0
	v_pk_mul_f32 v[70:71], v[68:69], v[66:67] op_sel:[1,1] op_sel_hi:[0,1]
	s_delay_alu instid0(VALU_DEP_1) | instskip(SKIP_1) | instid1(VALU_DEP_2)
	v_pk_fma_f32 v[72:73], v[68:69], v[66:67], v[70:71] op_sel_hi:[1,0,1]
	v_pk_fma_f32 v[66:67], v[68:69], v[66:67], v[70:71] neg_lo:[0,0,1] neg_hi:[0,0,1]
	v_mov_b32_e32 v67, v73
	s_delay_alu instid0(VALU_DEP_1)
	v_pk_add_f32 v[62:63], v[62:63], v[66:67]
	s_and_not1_b32 exec_lo, exec_lo, s0
	s_cbranch_execnz .LBB92_142
; %bb.143:
	s_or_b32 exec_lo, exec_lo, s0
.LBB92_144:
	s_delay_alu instid0(SALU_CYCLE_1) | instskip(SKIP_4) | instid1(VALU_DEP_1)
	s_or_b32 exec_lo, exec_lo, s21
	v_mov_b32_e32 v64, 0
	ds_load_b64 v[64:65], v64 offset:112
	s_wait_dscnt 0x0
	v_pk_mul_f32 v[66:67], v[62:63], v[64:65] op_sel:[1,1] op_sel_hi:[0,1]
	v_pk_fma_f32 v[68:69], v[62:63], v[64:65], v[66:67] op_sel_hi:[1,0,1]
	v_pk_fma_f32 v[62:63], v[62:63], v[64:65], v[66:67] neg_lo:[0,0,1] neg_hi:[0,0,1]
	s_delay_alu instid0(VALU_DEP_2)
	v_mov_b32_e32 v63, v69
	scratch_store_b64 off, v[62:63], off offset:112
.LBB92_145:
	s_wait_xcnt 0x0
	s_or_b32 exec_lo, exec_lo, s20
	scratch_load_b64 v[62:63], off, off offset:104
	v_cmp_lt_u32_e64 s0, 13, v0
	s_wait_loadcnt 0x0
	ds_store_b64 v1, v[62:63]
	s_wait_storecnt_dscnt 0x0
	s_barrier_signal -1
	s_barrier_wait -1
	s_wait_xcnt 0x0
	s_and_saveexec_b32 s19, s0
	s_cbranch_execz .LBB92_155
; %bb.146:
	s_and_not1_b32 vcc_lo, exec_lo, s5
	s_cbranch_vccnz .LBB92_148
; %bb.147:
	scratch_load_b64 v[62:63], v59, off
	ds_load_b64 v[64:65], v1
	s_wait_loadcnt_dscnt 0x0
	v_pk_mul_f32 v[66:67], v[64:65], v[62:63] op_sel:[1,1] op_sel_hi:[0,1]
	s_delay_alu instid0(VALU_DEP_1) | instskip(SKIP_1) | instid1(VALU_DEP_2)
	v_pk_fma_f32 v[68:69], v[64:65], v[62:63], v[66:67] op_sel_hi:[1,0,1]
	v_pk_fma_f32 v[62:63], v[64:65], v[62:63], v[66:67] neg_lo:[0,0,1] neg_hi:[0,0,1]
	v_mov_b32_e32 v63, v69
	s_cbranch_execz .LBB92_149
	s_branch .LBB92_150
.LBB92_148:
                                        ; implicit-def: $vgpr62_vgpr63
.LBB92_149:
	ds_load_b64 v[62:63], v1
.LBB92_150:
	s_and_saveexec_b32 s20, s1
	s_cbranch_execz .LBB92_154
; %bb.151:
	v_add_nc_u32_e32 v64, -14, v0
	s_movk_i32 s21, 0x160
	s_mov_b32 s1, 0
.LBB92_152:                             ; =>This Inner Loop Header: Depth=1
	scratch_load_b64 v[66:67], off, s18
	v_dual_mov_b32 v65, s21 :: v_dual_add_nc_u32 v64, -1, v64
	s_add_co_i32 s21, s21, 8
	s_wait_xcnt 0x0
	s_add_co_i32 s18, s18, 8
	ds_load_b64 v[68:69], v65
	v_cmp_eq_u32_e32 vcc_lo, 0, v64
	s_or_b32 s1, vcc_lo, s1
	s_wait_loadcnt_dscnt 0x0
	v_pk_mul_f32 v[70:71], v[68:69], v[66:67] op_sel:[1,1] op_sel_hi:[0,1]
	s_delay_alu instid0(VALU_DEP_1) | instskip(SKIP_1) | instid1(VALU_DEP_2)
	v_pk_fma_f32 v[72:73], v[68:69], v[66:67], v[70:71] op_sel_hi:[1,0,1]
	v_pk_fma_f32 v[66:67], v[68:69], v[66:67], v[70:71] neg_lo:[0,0,1] neg_hi:[0,0,1]
	v_mov_b32_e32 v67, v73
	s_delay_alu instid0(VALU_DEP_1)
	v_pk_add_f32 v[62:63], v[62:63], v[66:67]
	s_and_not1_b32 exec_lo, exec_lo, s1
	s_cbranch_execnz .LBB92_152
; %bb.153:
	s_or_b32 exec_lo, exec_lo, s1
.LBB92_154:
	s_delay_alu instid0(SALU_CYCLE_1) | instskip(SKIP_4) | instid1(VALU_DEP_1)
	s_or_b32 exec_lo, exec_lo, s20
	v_mov_b32_e32 v64, 0
	ds_load_b64 v[64:65], v64 offset:104
	s_wait_dscnt 0x0
	v_pk_mul_f32 v[66:67], v[62:63], v[64:65] op_sel:[1,1] op_sel_hi:[0,1]
	v_pk_fma_f32 v[68:69], v[62:63], v[64:65], v[66:67] op_sel_hi:[1,0,1]
	v_pk_fma_f32 v[62:63], v[62:63], v[64:65], v[66:67] neg_lo:[0,0,1] neg_hi:[0,0,1]
	s_delay_alu instid0(VALU_DEP_2)
	v_mov_b32_e32 v63, v69
	scratch_store_b64 off, v[62:63], off offset:104
.LBB92_155:
	s_wait_xcnt 0x0
	s_or_b32 exec_lo, exec_lo, s19
	scratch_load_b64 v[62:63], off, off offset:96
	v_cmp_lt_u32_e64 s1, 12, v0
	s_wait_loadcnt 0x0
	ds_store_b64 v1, v[62:63]
	s_wait_storecnt_dscnt 0x0
	s_barrier_signal -1
	s_barrier_wait -1
	s_wait_xcnt 0x0
	s_and_saveexec_b32 s18, s1
	s_cbranch_execz .LBB92_165
; %bb.156:
	s_and_not1_b32 vcc_lo, exec_lo, s5
	s_cbranch_vccnz .LBB92_158
; %bb.157:
	scratch_load_b64 v[62:63], v59, off
	ds_load_b64 v[64:65], v1
	s_wait_loadcnt_dscnt 0x0
	v_pk_mul_f32 v[66:67], v[64:65], v[62:63] op_sel:[1,1] op_sel_hi:[0,1]
	s_delay_alu instid0(VALU_DEP_1) | instskip(SKIP_1) | instid1(VALU_DEP_2)
	v_pk_fma_f32 v[68:69], v[64:65], v[62:63], v[66:67] op_sel_hi:[1,0,1]
	v_pk_fma_f32 v[62:63], v[64:65], v[62:63], v[66:67] neg_lo:[0,0,1] neg_hi:[0,0,1]
	v_mov_b32_e32 v63, v69
	s_cbranch_execz .LBB92_159
	s_branch .LBB92_160
.LBB92_158:
                                        ; implicit-def: $vgpr62_vgpr63
.LBB92_159:
	ds_load_b64 v[62:63], v1
.LBB92_160:
	s_and_saveexec_b32 s19, s0
	s_cbranch_execz .LBB92_164
; %bb.161:
	v_add_nc_u32_e32 v64, -13, v0
	s_movk_i32 s20, 0x158
	s_mov_b32 s0, 0
.LBB92_162:                             ; =>This Inner Loop Header: Depth=1
	scratch_load_b64 v[66:67], off, s17
	v_dual_mov_b32 v65, s20 :: v_dual_add_nc_u32 v64, -1, v64
	s_add_co_i32 s20, s20, 8
	s_wait_xcnt 0x0
	s_add_co_i32 s17, s17, 8
	ds_load_b64 v[68:69], v65
	v_cmp_eq_u32_e32 vcc_lo, 0, v64
	s_or_b32 s0, vcc_lo, s0
	s_wait_loadcnt_dscnt 0x0
	v_pk_mul_f32 v[70:71], v[68:69], v[66:67] op_sel:[1,1] op_sel_hi:[0,1]
	s_delay_alu instid0(VALU_DEP_1) | instskip(SKIP_1) | instid1(VALU_DEP_2)
	v_pk_fma_f32 v[72:73], v[68:69], v[66:67], v[70:71] op_sel_hi:[1,0,1]
	v_pk_fma_f32 v[66:67], v[68:69], v[66:67], v[70:71] neg_lo:[0,0,1] neg_hi:[0,0,1]
	v_mov_b32_e32 v67, v73
	s_delay_alu instid0(VALU_DEP_1)
	v_pk_add_f32 v[62:63], v[62:63], v[66:67]
	s_and_not1_b32 exec_lo, exec_lo, s0
	s_cbranch_execnz .LBB92_162
; %bb.163:
	s_or_b32 exec_lo, exec_lo, s0
.LBB92_164:
	s_delay_alu instid0(SALU_CYCLE_1) | instskip(SKIP_4) | instid1(VALU_DEP_1)
	s_or_b32 exec_lo, exec_lo, s19
	v_mov_b32_e32 v64, 0
	ds_load_b64 v[64:65], v64 offset:96
	s_wait_dscnt 0x0
	v_pk_mul_f32 v[66:67], v[62:63], v[64:65] op_sel:[1,1] op_sel_hi:[0,1]
	v_pk_fma_f32 v[68:69], v[62:63], v[64:65], v[66:67] op_sel_hi:[1,0,1]
	v_pk_fma_f32 v[62:63], v[62:63], v[64:65], v[66:67] neg_lo:[0,0,1] neg_hi:[0,0,1]
	s_delay_alu instid0(VALU_DEP_2)
	v_mov_b32_e32 v63, v69
	scratch_store_b64 off, v[62:63], off offset:96
.LBB92_165:
	s_wait_xcnt 0x0
	s_or_b32 exec_lo, exec_lo, s18
	scratch_load_b64 v[62:63], off, off offset:88
	v_cmp_lt_u32_e64 s0, 11, v0
	s_wait_loadcnt 0x0
	ds_store_b64 v1, v[62:63]
	s_wait_storecnt_dscnt 0x0
	s_barrier_signal -1
	s_barrier_wait -1
	s_wait_xcnt 0x0
	s_and_saveexec_b32 s17, s0
	s_cbranch_execz .LBB92_175
; %bb.166:
	s_and_not1_b32 vcc_lo, exec_lo, s5
	s_cbranch_vccnz .LBB92_168
; %bb.167:
	scratch_load_b64 v[62:63], v59, off
	ds_load_b64 v[64:65], v1
	s_wait_loadcnt_dscnt 0x0
	v_pk_mul_f32 v[66:67], v[64:65], v[62:63] op_sel:[1,1] op_sel_hi:[0,1]
	s_delay_alu instid0(VALU_DEP_1) | instskip(SKIP_1) | instid1(VALU_DEP_2)
	v_pk_fma_f32 v[68:69], v[64:65], v[62:63], v[66:67] op_sel_hi:[1,0,1]
	v_pk_fma_f32 v[62:63], v[64:65], v[62:63], v[66:67] neg_lo:[0,0,1] neg_hi:[0,0,1]
	v_mov_b32_e32 v63, v69
	s_cbranch_execz .LBB92_169
	s_branch .LBB92_170
.LBB92_168:
                                        ; implicit-def: $vgpr62_vgpr63
.LBB92_169:
	ds_load_b64 v[62:63], v1
.LBB92_170:
	s_and_saveexec_b32 s18, s1
	s_cbranch_execz .LBB92_174
; %bb.171:
	v_add_nc_u32_e32 v64, -12, v0
	s_movk_i32 s19, 0x150
	s_mov_b32 s1, 0
.LBB92_172:                             ; =>This Inner Loop Header: Depth=1
	scratch_load_b64 v[66:67], off, s16
	v_dual_mov_b32 v65, s19 :: v_dual_add_nc_u32 v64, -1, v64
	s_add_co_i32 s19, s19, 8
	s_wait_xcnt 0x0
	s_add_co_i32 s16, s16, 8
	ds_load_b64 v[68:69], v65
	v_cmp_eq_u32_e32 vcc_lo, 0, v64
	s_or_b32 s1, vcc_lo, s1
	s_wait_loadcnt_dscnt 0x0
	v_pk_mul_f32 v[70:71], v[68:69], v[66:67] op_sel:[1,1] op_sel_hi:[0,1]
	s_delay_alu instid0(VALU_DEP_1) | instskip(SKIP_1) | instid1(VALU_DEP_2)
	v_pk_fma_f32 v[72:73], v[68:69], v[66:67], v[70:71] op_sel_hi:[1,0,1]
	v_pk_fma_f32 v[66:67], v[68:69], v[66:67], v[70:71] neg_lo:[0,0,1] neg_hi:[0,0,1]
	v_mov_b32_e32 v67, v73
	s_delay_alu instid0(VALU_DEP_1)
	v_pk_add_f32 v[62:63], v[62:63], v[66:67]
	s_and_not1_b32 exec_lo, exec_lo, s1
	s_cbranch_execnz .LBB92_172
; %bb.173:
	s_or_b32 exec_lo, exec_lo, s1
.LBB92_174:
	s_delay_alu instid0(SALU_CYCLE_1) | instskip(SKIP_4) | instid1(VALU_DEP_1)
	s_or_b32 exec_lo, exec_lo, s18
	v_mov_b32_e32 v64, 0
	ds_load_b64 v[64:65], v64 offset:88
	s_wait_dscnt 0x0
	v_pk_mul_f32 v[66:67], v[62:63], v[64:65] op_sel:[1,1] op_sel_hi:[0,1]
	v_pk_fma_f32 v[68:69], v[62:63], v[64:65], v[66:67] op_sel_hi:[1,0,1]
	v_pk_fma_f32 v[62:63], v[62:63], v[64:65], v[66:67] neg_lo:[0,0,1] neg_hi:[0,0,1]
	s_delay_alu instid0(VALU_DEP_2)
	v_mov_b32_e32 v63, v69
	scratch_store_b64 off, v[62:63], off offset:88
.LBB92_175:
	s_wait_xcnt 0x0
	s_or_b32 exec_lo, exec_lo, s17
	scratch_load_b64 v[62:63], off, off offset:80
	v_cmp_lt_u32_e64 s1, 10, v0
	s_wait_loadcnt 0x0
	ds_store_b64 v1, v[62:63]
	s_wait_storecnt_dscnt 0x0
	s_barrier_signal -1
	s_barrier_wait -1
	s_wait_xcnt 0x0
	s_and_saveexec_b32 s16, s1
	s_cbranch_execz .LBB92_185
; %bb.176:
	s_and_not1_b32 vcc_lo, exec_lo, s5
	s_cbranch_vccnz .LBB92_178
; %bb.177:
	scratch_load_b64 v[62:63], v59, off
	ds_load_b64 v[64:65], v1
	s_wait_loadcnt_dscnt 0x0
	v_pk_mul_f32 v[66:67], v[64:65], v[62:63] op_sel:[1,1] op_sel_hi:[0,1]
	s_delay_alu instid0(VALU_DEP_1) | instskip(SKIP_1) | instid1(VALU_DEP_2)
	v_pk_fma_f32 v[68:69], v[64:65], v[62:63], v[66:67] op_sel_hi:[1,0,1]
	v_pk_fma_f32 v[62:63], v[64:65], v[62:63], v[66:67] neg_lo:[0,0,1] neg_hi:[0,0,1]
	v_mov_b32_e32 v63, v69
	s_cbranch_execz .LBB92_179
	s_branch .LBB92_180
.LBB92_178:
                                        ; implicit-def: $vgpr62_vgpr63
.LBB92_179:
	ds_load_b64 v[62:63], v1
.LBB92_180:
	s_and_saveexec_b32 s17, s0
	s_cbranch_execz .LBB92_184
; %bb.181:
	v_add_nc_u32_e32 v64, -11, v0
	s_movk_i32 s18, 0x148
	s_mov_b32 s0, 0
.LBB92_182:                             ; =>This Inner Loop Header: Depth=1
	scratch_load_b64 v[66:67], off, s15
	v_dual_mov_b32 v65, s18 :: v_dual_add_nc_u32 v64, -1, v64
	s_add_co_i32 s18, s18, 8
	s_wait_xcnt 0x0
	s_add_co_i32 s15, s15, 8
	ds_load_b64 v[68:69], v65
	v_cmp_eq_u32_e32 vcc_lo, 0, v64
	s_or_b32 s0, vcc_lo, s0
	s_wait_loadcnt_dscnt 0x0
	v_pk_mul_f32 v[70:71], v[68:69], v[66:67] op_sel:[1,1] op_sel_hi:[0,1]
	s_delay_alu instid0(VALU_DEP_1) | instskip(SKIP_1) | instid1(VALU_DEP_2)
	v_pk_fma_f32 v[72:73], v[68:69], v[66:67], v[70:71] op_sel_hi:[1,0,1]
	v_pk_fma_f32 v[66:67], v[68:69], v[66:67], v[70:71] neg_lo:[0,0,1] neg_hi:[0,0,1]
	v_mov_b32_e32 v67, v73
	s_delay_alu instid0(VALU_DEP_1)
	v_pk_add_f32 v[62:63], v[62:63], v[66:67]
	s_and_not1_b32 exec_lo, exec_lo, s0
	s_cbranch_execnz .LBB92_182
; %bb.183:
	s_or_b32 exec_lo, exec_lo, s0
.LBB92_184:
	s_delay_alu instid0(SALU_CYCLE_1) | instskip(SKIP_4) | instid1(VALU_DEP_1)
	s_or_b32 exec_lo, exec_lo, s17
	v_mov_b32_e32 v64, 0
	ds_load_b64 v[64:65], v64 offset:80
	s_wait_dscnt 0x0
	v_pk_mul_f32 v[66:67], v[62:63], v[64:65] op_sel:[1,1] op_sel_hi:[0,1]
	v_pk_fma_f32 v[68:69], v[62:63], v[64:65], v[66:67] op_sel_hi:[1,0,1]
	v_pk_fma_f32 v[62:63], v[62:63], v[64:65], v[66:67] neg_lo:[0,0,1] neg_hi:[0,0,1]
	s_delay_alu instid0(VALU_DEP_2)
	v_mov_b32_e32 v63, v69
	scratch_store_b64 off, v[62:63], off offset:80
.LBB92_185:
	s_wait_xcnt 0x0
	s_or_b32 exec_lo, exec_lo, s16
	scratch_load_b64 v[62:63], off, off offset:72
	v_cmp_lt_u32_e64 s0, 9, v0
	s_wait_loadcnt 0x0
	ds_store_b64 v1, v[62:63]
	s_wait_storecnt_dscnt 0x0
	s_barrier_signal -1
	s_barrier_wait -1
	s_wait_xcnt 0x0
	s_and_saveexec_b32 s15, s0
	s_cbranch_execz .LBB92_195
; %bb.186:
	s_and_not1_b32 vcc_lo, exec_lo, s5
	s_cbranch_vccnz .LBB92_188
; %bb.187:
	scratch_load_b64 v[62:63], v59, off
	ds_load_b64 v[64:65], v1
	s_wait_loadcnt_dscnt 0x0
	v_pk_mul_f32 v[66:67], v[64:65], v[62:63] op_sel:[1,1] op_sel_hi:[0,1]
	s_delay_alu instid0(VALU_DEP_1) | instskip(SKIP_1) | instid1(VALU_DEP_2)
	v_pk_fma_f32 v[68:69], v[64:65], v[62:63], v[66:67] op_sel_hi:[1,0,1]
	v_pk_fma_f32 v[62:63], v[64:65], v[62:63], v[66:67] neg_lo:[0,0,1] neg_hi:[0,0,1]
	v_mov_b32_e32 v63, v69
	s_cbranch_execz .LBB92_189
	s_branch .LBB92_190
.LBB92_188:
                                        ; implicit-def: $vgpr62_vgpr63
.LBB92_189:
	ds_load_b64 v[62:63], v1
.LBB92_190:
	s_and_saveexec_b32 s16, s1
	s_cbranch_execz .LBB92_194
; %bb.191:
	v_add_nc_u32_e32 v64, -10, v0
	s_movk_i32 s17, 0x140
	s_mov_b32 s1, 0
.LBB92_192:                             ; =>This Inner Loop Header: Depth=1
	scratch_load_b64 v[66:67], off, s14
	v_dual_mov_b32 v65, s17 :: v_dual_add_nc_u32 v64, -1, v64
	s_add_co_i32 s17, s17, 8
	s_wait_xcnt 0x0
	s_add_co_i32 s14, s14, 8
	ds_load_b64 v[68:69], v65
	v_cmp_eq_u32_e32 vcc_lo, 0, v64
	s_or_b32 s1, vcc_lo, s1
	s_wait_loadcnt_dscnt 0x0
	v_pk_mul_f32 v[70:71], v[68:69], v[66:67] op_sel:[1,1] op_sel_hi:[0,1]
	s_delay_alu instid0(VALU_DEP_1) | instskip(SKIP_1) | instid1(VALU_DEP_2)
	v_pk_fma_f32 v[72:73], v[68:69], v[66:67], v[70:71] op_sel_hi:[1,0,1]
	v_pk_fma_f32 v[66:67], v[68:69], v[66:67], v[70:71] neg_lo:[0,0,1] neg_hi:[0,0,1]
	v_mov_b32_e32 v67, v73
	s_delay_alu instid0(VALU_DEP_1)
	v_pk_add_f32 v[62:63], v[62:63], v[66:67]
	s_and_not1_b32 exec_lo, exec_lo, s1
	s_cbranch_execnz .LBB92_192
; %bb.193:
	s_or_b32 exec_lo, exec_lo, s1
.LBB92_194:
	s_delay_alu instid0(SALU_CYCLE_1) | instskip(SKIP_4) | instid1(VALU_DEP_1)
	s_or_b32 exec_lo, exec_lo, s16
	v_mov_b32_e32 v64, 0
	ds_load_b64 v[64:65], v64 offset:72
	s_wait_dscnt 0x0
	v_pk_mul_f32 v[66:67], v[62:63], v[64:65] op_sel:[1,1] op_sel_hi:[0,1]
	v_pk_fma_f32 v[68:69], v[62:63], v[64:65], v[66:67] op_sel_hi:[1,0,1]
	v_pk_fma_f32 v[62:63], v[62:63], v[64:65], v[66:67] neg_lo:[0,0,1] neg_hi:[0,0,1]
	s_delay_alu instid0(VALU_DEP_2)
	v_mov_b32_e32 v63, v69
	scratch_store_b64 off, v[62:63], off offset:72
.LBB92_195:
	s_wait_xcnt 0x0
	s_or_b32 exec_lo, exec_lo, s15
	scratch_load_b64 v[62:63], off, off offset:64
	v_cmp_lt_u32_e64 s1, 8, v0
	s_wait_loadcnt 0x0
	ds_store_b64 v1, v[62:63]
	s_wait_storecnt_dscnt 0x0
	s_barrier_signal -1
	s_barrier_wait -1
	s_wait_xcnt 0x0
	s_and_saveexec_b32 s14, s1
	s_cbranch_execz .LBB92_205
; %bb.196:
	s_and_not1_b32 vcc_lo, exec_lo, s5
	s_cbranch_vccnz .LBB92_198
; %bb.197:
	scratch_load_b64 v[62:63], v59, off
	ds_load_b64 v[64:65], v1
	s_wait_loadcnt_dscnt 0x0
	v_pk_mul_f32 v[66:67], v[64:65], v[62:63] op_sel:[1,1] op_sel_hi:[0,1]
	s_delay_alu instid0(VALU_DEP_1) | instskip(SKIP_1) | instid1(VALU_DEP_2)
	v_pk_fma_f32 v[68:69], v[64:65], v[62:63], v[66:67] op_sel_hi:[1,0,1]
	v_pk_fma_f32 v[62:63], v[64:65], v[62:63], v[66:67] neg_lo:[0,0,1] neg_hi:[0,0,1]
	v_mov_b32_e32 v63, v69
	s_cbranch_execz .LBB92_199
	s_branch .LBB92_200
.LBB92_198:
                                        ; implicit-def: $vgpr62_vgpr63
.LBB92_199:
	ds_load_b64 v[62:63], v1
.LBB92_200:
	s_and_saveexec_b32 s15, s0
	s_cbranch_execz .LBB92_204
; %bb.201:
	v_add_nc_u32_e32 v64, -9, v0
	s_movk_i32 s16, 0x138
	s_mov_b32 s0, 0
.LBB92_202:                             ; =>This Inner Loop Header: Depth=1
	scratch_load_b64 v[66:67], off, s13
	v_dual_mov_b32 v65, s16 :: v_dual_add_nc_u32 v64, -1, v64
	s_add_co_i32 s16, s16, 8
	s_wait_xcnt 0x0
	s_add_co_i32 s13, s13, 8
	ds_load_b64 v[68:69], v65
	v_cmp_eq_u32_e32 vcc_lo, 0, v64
	s_or_b32 s0, vcc_lo, s0
	s_wait_loadcnt_dscnt 0x0
	v_pk_mul_f32 v[70:71], v[68:69], v[66:67] op_sel:[1,1] op_sel_hi:[0,1]
	s_delay_alu instid0(VALU_DEP_1) | instskip(SKIP_1) | instid1(VALU_DEP_2)
	v_pk_fma_f32 v[72:73], v[68:69], v[66:67], v[70:71] op_sel_hi:[1,0,1]
	v_pk_fma_f32 v[66:67], v[68:69], v[66:67], v[70:71] neg_lo:[0,0,1] neg_hi:[0,0,1]
	v_mov_b32_e32 v67, v73
	s_delay_alu instid0(VALU_DEP_1)
	v_pk_add_f32 v[62:63], v[62:63], v[66:67]
	s_and_not1_b32 exec_lo, exec_lo, s0
	s_cbranch_execnz .LBB92_202
; %bb.203:
	s_or_b32 exec_lo, exec_lo, s0
.LBB92_204:
	s_delay_alu instid0(SALU_CYCLE_1) | instskip(SKIP_4) | instid1(VALU_DEP_1)
	s_or_b32 exec_lo, exec_lo, s15
	v_mov_b32_e32 v64, 0
	ds_load_b64 v[64:65], v64 offset:64
	s_wait_dscnt 0x0
	v_pk_mul_f32 v[66:67], v[62:63], v[64:65] op_sel:[1,1] op_sel_hi:[0,1]
	v_pk_fma_f32 v[68:69], v[62:63], v[64:65], v[66:67] op_sel_hi:[1,0,1]
	v_pk_fma_f32 v[62:63], v[62:63], v[64:65], v[66:67] neg_lo:[0,0,1] neg_hi:[0,0,1]
	s_delay_alu instid0(VALU_DEP_2)
	v_mov_b32_e32 v63, v69
	scratch_store_b64 off, v[62:63], off offset:64
.LBB92_205:
	s_wait_xcnt 0x0
	s_or_b32 exec_lo, exec_lo, s14
	scratch_load_b64 v[62:63], off, off offset:56
	v_cmp_lt_u32_e64 s0, 7, v0
	s_wait_loadcnt 0x0
	ds_store_b64 v1, v[62:63]
	s_wait_storecnt_dscnt 0x0
	s_barrier_signal -1
	s_barrier_wait -1
	s_wait_xcnt 0x0
	s_and_saveexec_b32 s13, s0
	s_cbranch_execz .LBB92_215
; %bb.206:
	s_and_not1_b32 vcc_lo, exec_lo, s5
	s_cbranch_vccnz .LBB92_208
; %bb.207:
	scratch_load_b64 v[62:63], v59, off
	ds_load_b64 v[64:65], v1
	s_wait_loadcnt_dscnt 0x0
	v_pk_mul_f32 v[66:67], v[64:65], v[62:63] op_sel:[1,1] op_sel_hi:[0,1]
	s_delay_alu instid0(VALU_DEP_1) | instskip(SKIP_1) | instid1(VALU_DEP_2)
	v_pk_fma_f32 v[68:69], v[64:65], v[62:63], v[66:67] op_sel_hi:[1,0,1]
	v_pk_fma_f32 v[62:63], v[64:65], v[62:63], v[66:67] neg_lo:[0,0,1] neg_hi:[0,0,1]
	v_mov_b32_e32 v63, v69
	s_cbranch_execz .LBB92_209
	s_branch .LBB92_210
.LBB92_208:
                                        ; implicit-def: $vgpr62_vgpr63
.LBB92_209:
	ds_load_b64 v[62:63], v1
.LBB92_210:
	s_and_saveexec_b32 s14, s1
	s_cbranch_execz .LBB92_214
; %bb.211:
	v_add_nc_u32_e32 v64, -8, v0
	s_movk_i32 s15, 0x130
	s_mov_b32 s1, 0
.LBB92_212:                             ; =>This Inner Loop Header: Depth=1
	scratch_load_b64 v[66:67], off, s12
	v_dual_mov_b32 v65, s15 :: v_dual_add_nc_u32 v64, -1, v64
	s_add_co_i32 s15, s15, 8
	s_wait_xcnt 0x0
	s_add_co_i32 s12, s12, 8
	ds_load_b64 v[68:69], v65
	v_cmp_eq_u32_e32 vcc_lo, 0, v64
	s_or_b32 s1, vcc_lo, s1
	s_wait_loadcnt_dscnt 0x0
	v_pk_mul_f32 v[70:71], v[68:69], v[66:67] op_sel:[1,1] op_sel_hi:[0,1]
	s_delay_alu instid0(VALU_DEP_1) | instskip(SKIP_1) | instid1(VALU_DEP_2)
	v_pk_fma_f32 v[72:73], v[68:69], v[66:67], v[70:71] op_sel_hi:[1,0,1]
	v_pk_fma_f32 v[66:67], v[68:69], v[66:67], v[70:71] neg_lo:[0,0,1] neg_hi:[0,0,1]
	v_mov_b32_e32 v67, v73
	s_delay_alu instid0(VALU_DEP_1)
	v_pk_add_f32 v[62:63], v[62:63], v[66:67]
	s_and_not1_b32 exec_lo, exec_lo, s1
	s_cbranch_execnz .LBB92_212
; %bb.213:
	s_or_b32 exec_lo, exec_lo, s1
.LBB92_214:
	s_delay_alu instid0(SALU_CYCLE_1) | instskip(SKIP_4) | instid1(VALU_DEP_1)
	s_or_b32 exec_lo, exec_lo, s14
	v_mov_b32_e32 v64, 0
	ds_load_b64 v[64:65], v64 offset:56
	s_wait_dscnt 0x0
	v_pk_mul_f32 v[66:67], v[62:63], v[64:65] op_sel:[1,1] op_sel_hi:[0,1]
	v_pk_fma_f32 v[68:69], v[62:63], v[64:65], v[66:67] op_sel_hi:[1,0,1]
	v_pk_fma_f32 v[62:63], v[62:63], v[64:65], v[66:67] neg_lo:[0,0,1] neg_hi:[0,0,1]
	s_delay_alu instid0(VALU_DEP_2)
	v_mov_b32_e32 v63, v69
	scratch_store_b64 off, v[62:63], off offset:56
.LBB92_215:
	s_wait_xcnt 0x0
	s_or_b32 exec_lo, exec_lo, s13
	scratch_load_b64 v[62:63], off, off offset:48
	v_cmp_lt_u32_e64 s1, 6, v0
	s_wait_loadcnt 0x0
	ds_store_b64 v1, v[62:63]
	s_wait_storecnt_dscnt 0x0
	s_barrier_signal -1
	s_barrier_wait -1
	s_wait_xcnt 0x0
	s_and_saveexec_b32 s12, s1
	s_cbranch_execz .LBB92_225
; %bb.216:
	s_and_not1_b32 vcc_lo, exec_lo, s5
	s_cbranch_vccnz .LBB92_218
; %bb.217:
	scratch_load_b64 v[62:63], v59, off
	ds_load_b64 v[64:65], v1
	s_wait_loadcnt_dscnt 0x0
	v_pk_mul_f32 v[66:67], v[64:65], v[62:63] op_sel:[1,1] op_sel_hi:[0,1]
	s_delay_alu instid0(VALU_DEP_1) | instskip(SKIP_1) | instid1(VALU_DEP_2)
	v_pk_fma_f32 v[68:69], v[64:65], v[62:63], v[66:67] op_sel_hi:[1,0,1]
	v_pk_fma_f32 v[62:63], v[64:65], v[62:63], v[66:67] neg_lo:[0,0,1] neg_hi:[0,0,1]
	v_mov_b32_e32 v63, v69
	s_cbranch_execz .LBB92_219
	s_branch .LBB92_220
.LBB92_218:
                                        ; implicit-def: $vgpr62_vgpr63
.LBB92_219:
	ds_load_b64 v[62:63], v1
.LBB92_220:
	s_and_saveexec_b32 s13, s0
	s_cbranch_execz .LBB92_224
; %bb.221:
	v_add_nc_u32_e32 v64, -7, v0
	s_movk_i32 s14, 0x128
	s_mov_b32 s0, 0
.LBB92_222:                             ; =>This Inner Loop Header: Depth=1
	scratch_load_b64 v[66:67], off, s11
	v_dual_mov_b32 v65, s14 :: v_dual_add_nc_u32 v64, -1, v64
	s_add_co_i32 s14, s14, 8
	s_wait_xcnt 0x0
	s_add_co_i32 s11, s11, 8
	ds_load_b64 v[68:69], v65
	v_cmp_eq_u32_e32 vcc_lo, 0, v64
	s_or_b32 s0, vcc_lo, s0
	s_wait_loadcnt_dscnt 0x0
	v_pk_mul_f32 v[70:71], v[68:69], v[66:67] op_sel:[1,1] op_sel_hi:[0,1]
	s_delay_alu instid0(VALU_DEP_1) | instskip(SKIP_1) | instid1(VALU_DEP_2)
	v_pk_fma_f32 v[72:73], v[68:69], v[66:67], v[70:71] op_sel_hi:[1,0,1]
	v_pk_fma_f32 v[66:67], v[68:69], v[66:67], v[70:71] neg_lo:[0,0,1] neg_hi:[0,0,1]
	v_mov_b32_e32 v67, v73
	s_delay_alu instid0(VALU_DEP_1)
	v_pk_add_f32 v[62:63], v[62:63], v[66:67]
	s_and_not1_b32 exec_lo, exec_lo, s0
	s_cbranch_execnz .LBB92_222
; %bb.223:
	s_or_b32 exec_lo, exec_lo, s0
.LBB92_224:
	s_delay_alu instid0(SALU_CYCLE_1) | instskip(SKIP_4) | instid1(VALU_DEP_1)
	s_or_b32 exec_lo, exec_lo, s13
	v_mov_b32_e32 v64, 0
	ds_load_b64 v[64:65], v64 offset:48
	s_wait_dscnt 0x0
	v_pk_mul_f32 v[66:67], v[62:63], v[64:65] op_sel:[1,1] op_sel_hi:[0,1]
	v_pk_fma_f32 v[68:69], v[62:63], v[64:65], v[66:67] op_sel_hi:[1,0,1]
	v_pk_fma_f32 v[62:63], v[62:63], v[64:65], v[66:67] neg_lo:[0,0,1] neg_hi:[0,0,1]
	s_delay_alu instid0(VALU_DEP_2)
	v_mov_b32_e32 v63, v69
	scratch_store_b64 off, v[62:63], off offset:48
.LBB92_225:
	s_wait_xcnt 0x0
	s_or_b32 exec_lo, exec_lo, s12
	scratch_load_b64 v[62:63], off, off offset:40
	v_cmp_lt_u32_e64 s0, 5, v0
	s_wait_loadcnt 0x0
	ds_store_b64 v1, v[62:63]
	s_wait_storecnt_dscnt 0x0
	s_barrier_signal -1
	s_barrier_wait -1
	s_wait_xcnt 0x0
	s_and_saveexec_b32 s11, s0
	s_cbranch_execz .LBB92_235
; %bb.226:
	s_and_not1_b32 vcc_lo, exec_lo, s5
	s_cbranch_vccnz .LBB92_228
; %bb.227:
	scratch_load_b64 v[62:63], v59, off
	ds_load_b64 v[64:65], v1
	s_wait_loadcnt_dscnt 0x0
	v_pk_mul_f32 v[66:67], v[64:65], v[62:63] op_sel:[1,1] op_sel_hi:[0,1]
	s_delay_alu instid0(VALU_DEP_1) | instskip(SKIP_1) | instid1(VALU_DEP_2)
	v_pk_fma_f32 v[68:69], v[64:65], v[62:63], v[66:67] op_sel_hi:[1,0,1]
	v_pk_fma_f32 v[62:63], v[64:65], v[62:63], v[66:67] neg_lo:[0,0,1] neg_hi:[0,0,1]
	v_mov_b32_e32 v63, v69
	s_cbranch_execz .LBB92_229
	s_branch .LBB92_230
.LBB92_228:
                                        ; implicit-def: $vgpr62_vgpr63
.LBB92_229:
	ds_load_b64 v[62:63], v1
.LBB92_230:
	s_and_saveexec_b32 s12, s1
	s_cbranch_execz .LBB92_234
; %bb.231:
	v_add_nc_u32_e32 v64, -6, v0
	s_movk_i32 s13, 0x120
	s_mov_b32 s1, 0
.LBB92_232:                             ; =>This Inner Loop Header: Depth=1
	scratch_load_b64 v[66:67], off, s10
	v_dual_mov_b32 v65, s13 :: v_dual_add_nc_u32 v64, -1, v64
	s_add_co_i32 s13, s13, 8
	s_wait_xcnt 0x0
	s_add_co_i32 s10, s10, 8
	ds_load_b64 v[68:69], v65
	v_cmp_eq_u32_e32 vcc_lo, 0, v64
	s_or_b32 s1, vcc_lo, s1
	s_wait_loadcnt_dscnt 0x0
	v_pk_mul_f32 v[70:71], v[68:69], v[66:67] op_sel:[1,1] op_sel_hi:[0,1]
	s_delay_alu instid0(VALU_DEP_1) | instskip(SKIP_1) | instid1(VALU_DEP_2)
	v_pk_fma_f32 v[72:73], v[68:69], v[66:67], v[70:71] op_sel_hi:[1,0,1]
	v_pk_fma_f32 v[66:67], v[68:69], v[66:67], v[70:71] neg_lo:[0,0,1] neg_hi:[0,0,1]
	v_mov_b32_e32 v67, v73
	s_delay_alu instid0(VALU_DEP_1)
	v_pk_add_f32 v[62:63], v[62:63], v[66:67]
	s_and_not1_b32 exec_lo, exec_lo, s1
	s_cbranch_execnz .LBB92_232
; %bb.233:
	s_or_b32 exec_lo, exec_lo, s1
.LBB92_234:
	s_delay_alu instid0(SALU_CYCLE_1) | instskip(SKIP_4) | instid1(VALU_DEP_1)
	s_or_b32 exec_lo, exec_lo, s12
	v_mov_b32_e32 v64, 0
	ds_load_b64 v[64:65], v64 offset:40
	s_wait_dscnt 0x0
	v_pk_mul_f32 v[66:67], v[62:63], v[64:65] op_sel:[1,1] op_sel_hi:[0,1]
	v_pk_fma_f32 v[68:69], v[62:63], v[64:65], v[66:67] op_sel_hi:[1,0,1]
	v_pk_fma_f32 v[62:63], v[62:63], v[64:65], v[66:67] neg_lo:[0,0,1] neg_hi:[0,0,1]
	s_delay_alu instid0(VALU_DEP_2)
	v_mov_b32_e32 v63, v69
	scratch_store_b64 off, v[62:63], off offset:40
.LBB92_235:
	s_wait_xcnt 0x0
	s_or_b32 exec_lo, exec_lo, s11
	scratch_load_b64 v[62:63], off, off offset:32
	v_cmp_lt_u32_e64 s1, 4, v0
	s_wait_loadcnt 0x0
	ds_store_b64 v1, v[62:63]
	s_wait_storecnt_dscnt 0x0
	s_barrier_signal -1
	s_barrier_wait -1
	s_wait_xcnt 0x0
	s_and_saveexec_b32 s10, s1
	s_cbranch_execz .LBB92_245
; %bb.236:
	s_and_not1_b32 vcc_lo, exec_lo, s5
	s_cbranch_vccnz .LBB92_238
; %bb.237:
	scratch_load_b64 v[62:63], v59, off
	ds_load_b64 v[64:65], v1
	s_wait_loadcnt_dscnt 0x0
	v_pk_mul_f32 v[66:67], v[64:65], v[62:63] op_sel:[1,1] op_sel_hi:[0,1]
	s_delay_alu instid0(VALU_DEP_1) | instskip(SKIP_1) | instid1(VALU_DEP_2)
	v_pk_fma_f32 v[68:69], v[64:65], v[62:63], v[66:67] op_sel_hi:[1,0,1]
	v_pk_fma_f32 v[62:63], v[64:65], v[62:63], v[66:67] neg_lo:[0,0,1] neg_hi:[0,0,1]
	v_mov_b32_e32 v63, v69
	s_cbranch_execz .LBB92_239
	s_branch .LBB92_240
.LBB92_238:
                                        ; implicit-def: $vgpr62_vgpr63
.LBB92_239:
	ds_load_b64 v[62:63], v1
.LBB92_240:
	s_and_saveexec_b32 s11, s0
	s_cbranch_execz .LBB92_244
; %bb.241:
	v_add_nc_u32_e32 v64, -5, v0
	s_movk_i32 s12, 0x118
	s_mov_b32 s0, 0
.LBB92_242:                             ; =>This Inner Loop Header: Depth=1
	scratch_load_b64 v[66:67], off, s9
	v_dual_mov_b32 v65, s12 :: v_dual_add_nc_u32 v64, -1, v64
	s_add_co_i32 s12, s12, 8
	s_wait_xcnt 0x0
	s_add_co_i32 s9, s9, 8
	ds_load_b64 v[68:69], v65
	v_cmp_eq_u32_e32 vcc_lo, 0, v64
	s_or_b32 s0, vcc_lo, s0
	s_wait_loadcnt_dscnt 0x0
	v_pk_mul_f32 v[70:71], v[68:69], v[66:67] op_sel:[1,1] op_sel_hi:[0,1]
	s_delay_alu instid0(VALU_DEP_1) | instskip(SKIP_1) | instid1(VALU_DEP_2)
	v_pk_fma_f32 v[72:73], v[68:69], v[66:67], v[70:71] op_sel_hi:[1,0,1]
	v_pk_fma_f32 v[66:67], v[68:69], v[66:67], v[70:71] neg_lo:[0,0,1] neg_hi:[0,0,1]
	v_mov_b32_e32 v67, v73
	s_delay_alu instid0(VALU_DEP_1)
	v_pk_add_f32 v[62:63], v[62:63], v[66:67]
	s_and_not1_b32 exec_lo, exec_lo, s0
	s_cbranch_execnz .LBB92_242
; %bb.243:
	s_or_b32 exec_lo, exec_lo, s0
.LBB92_244:
	s_delay_alu instid0(SALU_CYCLE_1) | instskip(SKIP_4) | instid1(VALU_DEP_1)
	s_or_b32 exec_lo, exec_lo, s11
	v_mov_b32_e32 v64, 0
	ds_load_b64 v[64:65], v64 offset:32
	s_wait_dscnt 0x0
	v_pk_mul_f32 v[66:67], v[62:63], v[64:65] op_sel:[1,1] op_sel_hi:[0,1]
	v_pk_fma_f32 v[68:69], v[62:63], v[64:65], v[66:67] op_sel_hi:[1,0,1]
	v_pk_fma_f32 v[62:63], v[62:63], v[64:65], v[66:67] neg_lo:[0,0,1] neg_hi:[0,0,1]
	s_delay_alu instid0(VALU_DEP_2)
	v_mov_b32_e32 v63, v69
	scratch_store_b64 off, v[62:63], off offset:32
.LBB92_245:
	s_wait_xcnt 0x0
	s_or_b32 exec_lo, exec_lo, s10
	scratch_load_b64 v[62:63], off, off offset:24
	v_cmp_lt_u32_e64 s0, 3, v0
	s_wait_loadcnt 0x0
	ds_store_b64 v1, v[62:63]
	s_wait_storecnt_dscnt 0x0
	s_barrier_signal -1
	s_barrier_wait -1
	s_wait_xcnt 0x0
	s_and_saveexec_b32 s9, s0
	s_cbranch_execz .LBB92_255
; %bb.246:
	s_and_not1_b32 vcc_lo, exec_lo, s5
	s_cbranch_vccnz .LBB92_248
; %bb.247:
	scratch_load_b64 v[62:63], v59, off
	ds_load_b64 v[64:65], v1
	s_wait_loadcnt_dscnt 0x0
	v_pk_mul_f32 v[66:67], v[64:65], v[62:63] op_sel:[1,1] op_sel_hi:[0,1]
	s_delay_alu instid0(VALU_DEP_1) | instskip(SKIP_1) | instid1(VALU_DEP_2)
	v_pk_fma_f32 v[68:69], v[64:65], v[62:63], v[66:67] op_sel_hi:[1,0,1]
	v_pk_fma_f32 v[62:63], v[64:65], v[62:63], v[66:67] neg_lo:[0,0,1] neg_hi:[0,0,1]
	v_mov_b32_e32 v63, v69
	s_cbranch_execz .LBB92_249
	s_branch .LBB92_250
.LBB92_248:
                                        ; implicit-def: $vgpr62_vgpr63
.LBB92_249:
	ds_load_b64 v[62:63], v1
.LBB92_250:
	s_and_saveexec_b32 s10, s1
	s_cbranch_execz .LBB92_254
; %bb.251:
	v_add_nc_u32_e32 v64, -4, v0
	s_movk_i32 s11, 0x110
	s_mov_b32 s1, 0
.LBB92_252:                             ; =>This Inner Loop Header: Depth=1
	scratch_load_b64 v[66:67], off, s8
	v_dual_mov_b32 v65, s11 :: v_dual_add_nc_u32 v64, -1, v64
	s_add_co_i32 s11, s11, 8
	s_wait_xcnt 0x0
	s_add_co_i32 s8, s8, 8
	ds_load_b64 v[68:69], v65
	v_cmp_eq_u32_e32 vcc_lo, 0, v64
	s_or_b32 s1, vcc_lo, s1
	s_wait_loadcnt_dscnt 0x0
	v_pk_mul_f32 v[70:71], v[68:69], v[66:67] op_sel:[1,1] op_sel_hi:[0,1]
	s_delay_alu instid0(VALU_DEP_1) | instskip(SKIP_1) | instid1(VALU_DEP_2)
	v_pk_fma_f32 v[72:73], v[68:69], v[66:67], v[70:71] op_sel_hi:[1,0,1]
	v_pk_fma_f32 v[66:67], v[68:69], v[66:67], v[70:71] neg_lo:[0,0,1] neg_hi:[0,0,1]
	v_mov_b32_e32 v67, v73
	s_delay_alu instid0(VALU_DEP_1)
	v_pk_add_f32 v[62:63], v[62:63], v[66:67]
	s_and_not1_b32 exec_lo, exec_lo, s1
	s_cbranch_execnz .LBB92_252
; %bb.253:
	s_or_b32 exec_lo, exec_lo, s1
.LBB92_254:
	s_delay_alu instid0(SALU_CYCLE_1) | instskip(SKIP_4) | instid1(VALU_DEP_1)
	s_or_b32 exec_lo, exec_lo, s10
	v_mov_b32_e32 v64, 0
	ds_load_b64 v[64:65], v64 offset:24
	s_wait_dscnt 0x0
	v_pk_mul_f32 v[66:67], v[62:63], v[64:65] op_sel:[1,1] op_sel_hi:[0,1]
	v_pk_fma_f32 v[68:69], v[62:63], v[64:65], v[66:67] op_sel_hi:[1,0,1]
	v_pk_fma_f32 v[62:63], v[62:63], v[64:65], v[66:67] neg_lo:[0,0,1] neg_hi:[0,0,1]
	s_delay_alu instid0(VALU_DEP_2)
	v_mov_b32_e32 v63, v69
	scratch_store_b64 off, v[62:63], off offset:24
.LBB92_255:
	s_wait_xcnt 0x0
	s_or_b32 exec_lo, exec_lo, s9
	scratch_load_b64 v[62:63], off, off offset:16
	v_cmp_lt_u32_e64 s1, 2, v0
	s_wait_loadcnt 0x0
	ds_store_b64 v1, v[62:63]
	s_wait_storecnt_dscnt 0x0
	s_barrier_signal -1
	s_barrier_wait -1
	s_wait_xcnt 0x0
	s_and_saveexec_b32 s8, s1
	s_cbranch_execz .LBB92_265
; %bb.256:
	s_and_not1_b32 vcc_lo, exec_lo, s5
	s_cbranch_vccnz .LBB92_258
; %bb.257:
	scratch_load_b64 v[62:63], v59, off
	ds_load_b64 v[64:65], v1
	s_wait_loadcnt_dscnt 0x0
	v_pk_mul_f32 v[66:67], v[64:65], v[62:63] op_sel:[1,1] op_sel_hi:[0,1]
	s_delay_alu instid0(VALU_DEP_1) | instskip(SKIP_1) | instid1(VALU_DEP_2)
	v_pk_fma_f32 v[68:69], v[64:65], v[62:63], v[66:67] op_sel_hi:[1,0,1]
	v_pk_fma_f32 v[62:63], v[64:65], v[62:63], v[66:67] neg_lo:[0,0,1] neg_hi:[0,0,1]
	v_mov_b32_e32 v63, v69
	s_cbranch_execz .LBB92_259
	s_branch .LBB92_260
.LBB92_258:
                                        ; implicit-def: $vgpr62_vgpr63
.LBB92_259:
	ds_load_b64 v[62:63], v1
.LBB92_260:
	s_and_saveexec_b32 s9, s0
	s_cbranch_execz .LBB92_264
; %bb.261:
	v_add_nc_u32_e32 v64, -3, v0
	s_movk_i32 s10, 0x108
	s_mov_b32 s0, 0
.LBB92_262:                             ; =>This Inner Loop Header: Depth=1
	scratch_load_b64 v[66:67], off, s7
	v_dual_mov_b32 v65, s10 :: v_dual_add_nc_u32 v64, -1, v64
	s_add_co_i32 s10, s10, 8
	s_wait_xcnt 0x0
	s_add_co_i32 s7, s7, 8
	ds_load_b64 v[68:69], v65
	v_cmp_eq_u32_e32 vcc_lo, 0, v64
	s_or_b32 s0, vcc_lo, s0
	s_wait_loadcnt_dscnt 0x0
	v_pk_mul_f32 v[70:71], v[68:69], v[66:67] op_sel:[1,1] op_sel_hi:[0,1]
	s_delay_alu instid0(VALU_DEP_1) | instskip(SKIP_1) | instid1(VALU_DEP_2)
	v_pk_fma_f32 v[72:73], v[68:69], v[66:67], v[70:71] op_sel_hi:[1,0,1]
	v_pk_fma_f32 v[66:67], v[68:69], v[66:67], v[70:71] neg_lo:[0,0,1] neg_hi:[0,0,1]
	v_mov_b32_e32 v67, v73
	s_delay_alu instid0(VALU_DEP_1)
	v_pk_add_f32 v[62:63], v[62:63], v[66:67]
	s_and_not1_b32 exec_lo, exec_lo, s0
	s_cbranch_execnz .LBB92_262
; %bb.263:
	s_or_b32 exec_lo, exec_lo, s0
.LBB92_264:
	s_delay_alu instid0(SALU_CYCLE_1) | instskip(SKIP_4) | instid1(VALU_DEP_1)
	s_or_b32 exec_lo, exec_lo, s9
	v_mov_b32_e32 v64, 0
	ds_load_b64 v[64:65], v64 offset:16
	s_wait_dscnt 0x0
	v_pk_mul_f32 v[66:67], v[62:63], v[64:65] op_sel:[1,1] op_sel_hi:[0,1]
	v_pk_fma_f32 v[68:69], v[62:63], v[64:65], v[66:67] op_sel_hi:[1,0,1]
	v_pk_fma_f32 v[62:63], v[62:63], v[64:65], v[66:67] neg_lo:[0,0,1] neg_hi:[0,0,1]
	s_delay_alu instid0(VALU_DEP_2)
	v_mov_b32_e32 v63, v69
	scratch_store_b64 off, v[62:63], off offset:16
.LBB92_265:
	s_wait_xcnt 0x0
	s_or_b32 exec_lo, exec_lo, s8
	scratch_load_b64 v[62:63], off, off offset:8
	v_cmp_lt_u32_e64 s0, 1, v0
	s_wait_loadcnt 0x0
	ds_store_b64 v1, v[62:63]
	s_wait_storecnt_dscnt 0x0
	s_barrier_signal -1
	s_barrier_wait -1
	s_wait_xcnt 0x0
	s_and_saveexec_b32 s7, s0
	s_cbranch_execz .LBB92_275
; %bb.266:
	s_and_not1_b32 vcc_lo, exec_lo, s5
	s_cbranch_vccnz .LBB92_268
; %bb.267:
	scratch_load_b64 v[62:63], v59, off
	ds_load_b64 v[64:65], v1
	s_wait_loadcnt_dscnt 0x0
	v_pk_mul_f32 v[66:67], v[64:65], v[62:63] op_sel:[1,1] op_sel_hi:[0,1]
	s_delay_alu instid0(VALU_DEP_1) | instskip(SKIP_1) | instid1(VALU_DEP_2)
	v_pk_fma_f32 v[68:69], v[64:65], v[62:63], v[66:67] op_sel_hi:[1,0,1]
	v_pk_fma_f32 v[62:63], v[64:65], v[62:63], v[66:67] neg_lo:[0,0,1] neg_hi:[0,0,1]
	v_mov_b32_e32 v63, v69
	s_cbranch_execz .LBB92_269
	s_branch .LBB92_270
.LBB92_268:
                                        ; implicit-def: $vgpr62_vgpr63
.LBB92_269:
	ds_load_b64 v[62:63], v1
.LBB92_270:
	s_and_saveexec_b32 s8, s1
	s_cbranch_execz .LBB92_274
; %bb.271:
	v_add_nc_u32_e32 v64, -2, v0
	s_movk_i32 s9, 0x100
	s_mov_b32 s1, 0
.LBB92_272:                             ; =>This Inner Loop Header: Depth=1
	scratch_load_b64 v[66:67], off, s6
	v_dual_mov_b32 v65, s9 :: v_dual_add_nc_u32 v64, -1, v64
	s_add_co_i32 s9, s9, 8
	s_wait_xcnt 0x0
	s_add_co_i32 s6, s6, 8
	ds_load_b64 v[68:69], v65
	v_cmp_eq_u32_e32 vcc_lo, 0, v64
	s_or_b32 s1, vcc_lo, s1
	s_wait_loadcnt_dscnt 0x0
	v_pk_mul_f32 v[70:71], v[68:69], v[66:67] op_sel:[1,1] op_sel_hi:[0,1]
	s_delay_alu instid0(VALU_DEP_1) | instskip(SKIP_1) | instid1(VALU_DEP_2)
	v_pk_fma_f32 v[72:73], v[68:69], v[66:67], v[70:71] op_sel_hi:[1,0,1]
	v_pk_fma_f32 v[66:67], v[68:69], v[66:67], v[70:71] neg_lo:[0,0,1] neg_hi:[0,0,1]
	v_mov_b32_e32 v67, v73
	s_delay_alu instid0(VALU_DEP_1)
	v_pk_add_f32 v[62:63], v[62:63], v[66:67]
	s_and_not1_b32 exec_lo, exec_lo, s1
	s_cbranch_execnz .LBB92_272
; %bb.273:
	s_or_b32 exec_lo, exec_lo, s1
.LBB92_274:
	s_delay_alu instid0(SALU_CYCLE_1) | instskip(SKIP_4) | instid1(VALU_DEP_1)
	s_or_b32 exec_lo, exec_lo, s8
	v_mov_b32_e32 v64, 0
	ds_load_b64 v[64:65], v64 offset:8
	s_wait_dscnt 0x0
	v_pk_mul_f32 v[66:67], v[62:63], v[64:65] op_sel:[1,1] op_sel_hi:[0,1]
	v_pk_fma_f32 v[68:69], v[62:63], v[64:65], v[66:67] op_sel_hi:[1,0,1]
	v_pk_fma_f32 v[62:63], v[62:63], v[64:65], v[66:67] neg_lo:[0,0,1] neg_hi:[0,0,1]
	s_delay_alu instid0(VALU_DEP_2)
	v_mov_b32_e32 v63, v69
	scratch_store_b64 off, v[62:63], off offset:8
.LBB92_275:
	s_wait_xcnt 0x0
	s_or_b32 exec_lo, exec_lo, s7
	scratch_load_b64 v[62:63], off, off
	s_mov_b32 s6, 0
	s_mov_b32 s1, 0
	s_mov_b32 s8, exec_lo
                                        ; implicit-def: $vgpr86
                                        ; implicit-def: $sgpr7
	s_wait_loadcnt 0x0
	ds_store_b64 v1, v[62:63]
	s_wait_storecnt_dscnt 0x0
	s_barrier_signal -1
	s_barrier_wait -1
	s_wait_xcnt 0x0
	v_cmpx_ne_u32_e32 0, v0
	s_cbranch_execz .LBB92_285
; %bb.276:
	s_and_not1_b32 vcc_lo, exec_lo, s5
	s_cbranch_vccnz .LBB92_278
; %bb.277:
	scratch_load_b64 v[64:65], v59, off
	ds_load_b64 v[66:67], v1
	s_wait_loadcnt_dscnt 0x0
	v_dual_mul_f32 v62, v67, v65 :: v_dual_mul_f32 v63, v66, v65
	s_delay_alu instid0(VALU_DEP_1)
	v_dual_fma_f32 v62, v66, v64, -v62 :: v_dual_fmac_f32 v63, v67, v64
	s_and_not1_b32 vcc_lo, exec_lo, s1
	s_cbranch_vccz .LBB92_279
	s_branch .LBB92_280
.LBB92_278:
                                        ; implicit-def: $vgpr62
.LBB92_279:
	ds_load_b64 v[62:63], v1
.LBB92_280:
	s_and_saveexec_b32 s1, s0
	s_cbranch_execz .LBB92_284
; %bb.281:
	v_add_nc_u32_e32 v64, -1, v0
	s_movk_i32 s7, 0xf8
	s_mov_b32 s0, 0
.LBB92_282:                             ; =>This Inner Loop Header: Depth=1
	scratch_load_b64 v[66:67], off, s4
	v_mov_b32_e32 v65, s7
	s_add_co_i32 s7, s7, 8
	s_wait_xcnt 0x0
	s_add_co_i32 s4, s4, 8
	v_add_nc_u32_e32 v64, -1, v64
	ds_load_b64 v[68:69], v65
	v_cmp_eq_u32_e32 vcc_lo, 0, v64
	s_or_b32 s0, vcc_lo, s0
	s_wait_loadcnt_dscnt 0x0
	v_dual_mul_f32 v65, v69, v67 :: v_dual_mul_f32 v67, v68, v67
	s_delay_alu instid0(VALU_DEP_1) | instskip(NEXT) | instid1(VALU_DEP_1)
	v_dual_fma_f32 v65, v68, v66, -v65 :: v_dual_fmac_f32 v67, v69, v66
	v_dual_add_f32 v62, v62, v65 :: v_dual_add_f32 v63, v63, v67
	s_and_not1_b32 exec_lo, exec_lo, s0
	s_cbranch_execnz .LBB92_282
; %bb.283:
	s_or_b32 exec_lo, exec_lo, s0
.LBB92_284:
	s_delay_alu instid0(SALU_CYCLE_1)
	s_or_b32 exec_lo, exec_lo, s1
	v_mov_b32_e32 v64, 0
	s_mov_b32 s1, exec_lo
	s_or_b32 s7, 0, 4
	ds_load_b64 v[64:65], v64
	s_wait_dscnt 0x0
	v_dual_mul_f32 v66, v63, v65 :: v_dual_mul_f32 v86, v62, v65
	s_delay_alu instid0(VALU_DEP_1) | instskip(NEXT) | instid1(VALU_DEP_2)
	v_fma_f32 v62, v62, v64, -v66
	v_fmac_f32_e32 v86, v63, v64
	scratch_store_b32 off, v62, off
.LBB92_285:
	s_wait_xcnt 0x0
	s_or_b32 exec_lo, exec_lo, s8
	s_delay_alu instid0(SALU_CYCLE_1)
	s_and_b32 vcc_lo, exec_lo, s6
	s_cbranch_vccz .LBB92_561
.LBB92_286:
	scratch_load_b64 v[62:63], off, off offset:8
	v_cmp_eq_u32_e64 s0, 0, v0
	s_wait_loadcnt 0x0
	ds_store_b64 v1, v[62:63]
	s_wait_storecnt_dscnt 0x0
	s_barrier_signal -1
	s_barrier_wait -1
	s_wait_xcnt 0x0
	s_and_saveexec_b32 s4, s0
	s_cbranch_execz .LBB92_292
; %bb.287:
	s_and_b32 vcc_lo, exec_lo, s5
	s_cbranch_vccz .LBB92_289
; %bb.288:
	scratch_load_b64 v[62:63], v59, off
	ds_load_b64 v[64:65], v1
	s_wait_loadcnt_dscnt 0x0
	v_pk_mul_f32 v[66:67], v[64:65], v[62:63] op_sel:[1,1] op_sel_hi:[0,1]
	v_pk_mul_f32 v[68:69], v[64:65], v[62:63] op_sel_hi:[1,0]
	s_delay_alu instid0(VALU_DEP_2) | instskip(NEXT) | instid1(VALU_DEP_2)
	v_pk_fma_f32 v[62:63], v[64:65], v[62:63], v[66:67] op_sel_hi:[1,0,1]
	v_sub_f32_e32 v62, v68, v66
	s_cbranch_execz .LBB92_290
	s_branch .LBB92_291
.LBB92_289:
                                        ; implicit-def: $vgpr63
.LBB92_290:
	ds_load_b64 v[62:63], v1
.LBB92_291:
	s_wait_dscnt 0x0
	v_dual_mov_b32 v64, 0 :: v_dual_mov_b32 v66, v63
	v_mov_b32_e32 v67, v62
	ds_load_b64 v[64:65], v64 offset:8
	s_wait_dscnt 0x0
	v_pk_mul_f32 v[66:67], v[66:67], v[64:65] op_sel:[0,1]
	s_delay_alu instid0(VALU_DEP_1) | instskip(SKIP_1) | instid1(VALU_DEP_2)
	v_pk_fma_f32 v[68:69], v[62:63], v[64:65], v[66:67] op_sel_hi:[1,0,1]
	v_pk_fma_f32 v[62:63], v[62:63], v[64:65], v[66:67] neg_lo:[0,0,1] neg_hi:[0,0,1]
	v_mov_b32_e32 v63, v69
	scratch_store_b64 off, v[62:63], off offset:8
.LBB92_292:
	s_wait_xcnt 0x0
	s_or_b32 exec_lo, exec_lo, s4
	scratch_load_b64 v[62:63], off, off offset:16
	v_cndmask_b32_e64 v64, 0, 1, s5
	s_mov_b32 s4, exec_lo
	s_wait_loadcnt 0x0
	ds_store_b64 v1, v[62:63]
	s_wait_storecnt_dscnt 0x0
	s_barrier_signal -1
	s_barrier_wait -1
	s_wait_xcnt 0x0
	v_cmpx_gt_u32_e32 2, v0
	s_cbranch_execz .LBB92_300
; %bb.293:
	s_and_not1_b32 vcc_lo, exec_lo, s5
	s_cbranch_vccnz .LBB92_295
; %bb.294:
	scratch_load_b64 v[62:63], v59, off
	ds_load_b64 v[66:67], v1
	s_wait_loadcnt_dscnt 0x0
	v_pk_mul_f32 v[68:69], v[66:67], v[62:63] op_sel:[1,1] op_sel_hi:[0,1]
	s_delay_alu instid0(VALU_DEP_1) | instskip(SKIP_1) | instid1(VALU_DEP_2)
	v_pk_fma_f32 v[70:71], v[66:67], v[62:63], v[68:69] op_sel_hi:[1,0,1]
	v_pk_fma_f32 v[62:63], v[66:67], v[62:63], v[68:69] neg_lo:[0,0,1] neg_hi:[0,0,1]
	v_mov_b32_e32 v63, v71
	s_cbranch_execz .LBB92_296
	s_branch .LBB92_297
.LBB92_295:
                                        ; implicit-def: $vgpr62_vgpr63
.LBB92_296:
	ds_load_b64 v[62:63], v1
.LBB92_297:
	s_and_saveexec_b32 s5, s0
	s_cbranch_execz .LBB92_299
; %bb.298:
	scratch_load_b64 v[66:67], off, off offset:8
	v_mov_b32_e32 v65, 0
	ds_load_b64 v[68:69], v65 offset:248
	s_wait_loadcnt_dscnt 0x0
	v_pk_mul_f32 v[70:71], v[68:69], v[66:67] op_sel:[1,1] op_sel_hi:[0,1]
	s_delay_alu instid0(VALU_DEP_1) | instskip(SKIP_1) | instid1(VALU_DEP_2)
	v_pk_fma_f32 v[72:73], v[68:69], v[66:67], v[70:71] op_sel_hi:[1,0,1]
	v_pk_fma_f32 v[66:67], v[68:69], v[66:67], v[70:71] neg_lo:[0,0,1] neg_hi:[0,0,1]
	v_mov_b32_e32 v67, v73
	s_delay_alu instid0(VALU_DEP_1)
	v_pk_add_f32 v[62:63], v[62:63], v[66:67]
.LBB92_299:
	s_or_b32 exec_lo, exec_lo, s5
	v_mov_b32_e32 v65, 0
	ds_load_b64 v[66:67], v65 offset:16
	s_wait_dscnt 0x0
	v_pk_mul_f32 v[68:69], v[62:63], v[66:67] op_sel:[1,1] op_sel_hi:[0,1]
	s_delay_alu instid0(VALU_DEP_1) | instskip(SKIP_1) | instid1(VALU_DEP_2)
	v_pk_fma_f32 v[70:71], v[62:63], v[66:67], v[68:69] op_sel_hi:[1,0,1]
	v_pk_fma_f32 v[62:63], v[62:63], v[66:67], v[68:69] neg_lo:[0,0,1] neg_hi:[0,0,1]
	v_mov_b32_e32 v63, v71
	scratch_store_b64 off, v[62:63], off offset:16
.LBB92_300:
	s_wait_xcnt 0x0
	s_or_b32 exec_lo, exec_lo, s4
	scratch_load_b64 v[62:63], off, off offset:24
	s_mov_b32 s4, exec_lo
	s_wait_loadcnt 0x0
	ds_store_b64 v1, v[62:63]
	s_wait_storecnt_dscnt 0x0
	s_barrier_signal -1
	s_barrier_wait -1
	s_wait_xcnt 0x0
	v_cmpx_gt_u32_e32 3, v0
	s_cbranch_execz .LBB92_310
; %bb.301:
	v_cmp_ne_u32_e32 vcc_lo, 1, v64
	s_cbranch_vccnz .LBB92_303
; %bb.302:
	scratch_load_b64 v[62:63], v59, off
	ds_load_b64 v[66:67], v1
	s_wait_loadcnt_dscnt 0x0
	v_pk_mul_f32 v[68:69], v[66:67], v[62:63] op_sel:[1,1] op_sel_hi:[0,1]
	s_delay_alu instid0(VALU_DEP_1) | instskip(SKIP_1) | instid1(VALU_DEP_2)
	v_pk_fma_f32 v[70:71], v[66:67], v[62:63], v[68:69] op_sel_hi:[1,0,1]
	v_pk_fma_f32 v[62:63], v[66:67], v[62:63], v[68:69] neg_lo:[0,0,1] neg_hi:[0,0,1]
	v_mov_b32_e32 v63, v71
	s_cbranch_execz .LBB92_304
	s_branch .LBB92_305
.LBB92_303:
                                        ; implicit-def: $vgpr62_vgpr63
.LBB92_304:
	ds_load_b64 v[62:63], v1
.LBB92_305:
	s_mov_b32 s5, exec_lo
	v_cmpx_ne_u32_e32 2, v0
	s_cbranch_execz .LBB92_309
; %bb.306:
	scratch_load_b64 v[66:67], v59, off offset:8
	ds_load_b64 v[68:69], v1 offset:8
	s_wait_loadcnt_dscnt 0x0
	v_pk_mul_f32 v[70:71], v[68:69], v[66:67] op_sel:[1,1] op_sel_hi:[0,1]
	s_delay_alu instid0(VALU_DEP_1) | instskip(SKIP_1) | instid1(VALU_DEP_2)
	v_pk_fma_f32 v[72:73], v[68:69], v[66:67], v[70:71] op_sel_hi:[1,0,1]
	v_pk_fma_f32 v[66:67], v[68:69], v[66:67], v[70:71] neg_lo:[0,0,1] neg_hi:[0,0,1]
	v_mov_b32_e32 v67, v73
	s_delay_alu instid0(VALU_DEP_1)
	v_pk_add_f32 v[62:63], v[62:63], v[66:67]
	s_and_saveexec_b32 s6, s0
	s_cbranch_execz .LBB92_308
; %bb.307:
	scratch_load_b64 v[66:67], off, off offset:16
	v_mov_b32_e32 v65, 0
	ds_load_b64 v[68:69], v65 offset:256
	s_wait_loadcnt_dscnt 0x0
	v_pk_mul_f32 v[70:71], v[68:69], v[66:67] op_sel:[1,1] op_sel_hi:[0,1]
	s_delay_alu instid0(VALU_DEP_1) | instskip(SKIP_1) | instid1(VALU_DEP_2)
	v_pk_fma_f32 v[72:73], v[68:69], v[66:67], v[70:71] op_sel_hi:[1,0,1]
	v_pk_fma_f32 v[66:67], v[68:69], v[66:67], v[70:71] neg_lo:[0,0,1] neg_hi:[0,0,1]
	v_mov_b32_e32 v67, v73
	s_delay_alu instid0(VALU_DEP_1)
	v_pk_add_f32 v[62:63], v[62:63], v[66:67]
.LBB92_308:
	s_or_b32 exec_lo, exec_lo, s6
.LBB92_309:
	s_delay_alu instid0(SALU_CYCLE_1) | instskip(SKIP_4) | instid1(VALU_DEP_1)
	s_or_b32 exec_lo, exec_lo, s5
	v_mov_b32_e32 v65, 0
	ds_load_b64 v[66:67], v65 offset:24
	s_wait_dscnt 0x0
	v_pk_mul_f32 v[68:69], v[62:63], v[66:67] op_sel:[1,1] op_sel_hi:[0,1]
	v_pk_fma_f32 v[70:71], v[62:63], v[66:67], v[68:69] op_sel_hi:[1,0,1]
	v_pk_fma_f32 v[62:63], v[62:63], v[66:67], v[68:69] neg_lo:[0,0,1] neg_hi:[0,0,1]
	s_delay_alu instid0(VALU_DEP_2)
	v_mov_b32_e32 v63, v71
	scratch_store_b64 off, v[62:63], off offset:24
.LBB92_310:
	s_wait_xcnt 0x0
	s_or_b32 exec_lo, exec_lo, s4
	scratch_load_b64 v[62:63], off, off offset:32
	s_mov_b32 s0, exec_lo
	s_wait_loadcnt 0x0
	ds_store_b64 v1, v[62:63]
	s_wait_storecnt_dscnt 0x0
	s_barrier_signal -1
	s_barrier_wait -1
	s_wait_xcnt 0x0
	v_cmpx_gt_u32_e32 4, v0
	s_cbranch_execz .LBB92_320
; %bb.311:
	v_cmp_ne_u32_e32 vcc_lo, 1, v64
	s_cbranch_vccnz .LBB92_313
; %bb.312:
	scratch_load_b64 v[62:63], v59, off
	ds_load_b64 v[66:67], v1
	s_wait_loadcnt_dscnt 0x0
	v_pk_mul_f32 v[68:69], v[66:67], v[62:63] op_sel:[1,1] op_sel_hi:[0,1]
	s_delay_alu instid0(VALU_DEP_1) | instskip(SKIP_1) | instid1(VALU_DEP_2)
	v_pk_fma_f32 v[70:71], v[66:67], v[62:63], v[68:69] op_sel_hi:[1,0,1]
	v_pk_fma_f32 v[62:63], v[66:67], v[62:63], v[68:69] neg_lo:[0,0,1] neg_hi:[0,0,1]
	v_mov_b32_e32 v63, v71
	s_cbranch_execz .LBB92_314
	s_branch .LBB92_315
.LBB92_313:
                                        ; implicit-def: $vgpr62_vgpr63
.LBB92_314:
	ds_load_b64 v[62:63], v1
.LBB92_315:
	s_mov_b32 s4, exec_lo
	v_cmpx_ne_u32_e32 3, v0
	s_cbranch_execz .LBB92_319
; %bb.316:
	v_add_nc_u32_e32 v65, 0xf8, v58
	v_add3_u32 v66, 0, v58, 8
	v_mov_b32_e32 v67, v0
	s_mov_b32 s5, 0
.LBB92_317:                             ; =>This Inner Loop Header: Depth=1
	scratch_load_b64 v[68:69], v66, off
	ds_load_b64 v[70:71], v65
	s_wait_xcnt 0x0
	v_dual_add_nc_u32 v65, 8, v65 :: v_dual_add_nc_u32 v66, 8, v66
	s_wait_loadcnt_dscnt 0x0
	v_pk_mul_f32 v[72:73], v[70:71], v[68:69] op_sel:[1,1] op_sel_hi:[0,1]
	s_delay_alu instid0(VALU_DEP_1) | instskip(SKIP_2) | instid1(VALU_DEP_3)
	v_pk_fma_f32 v[74:75], v[70:71], v[68:69], v[72:73] op_sel_hi:[1,0,1]
	v_add_nc_u32_e32 v67, 1, v67
	v_pk_fma_f32 v[68:69], v[70:71], v[68:69], v[72:73] neg_lo:[0,0,1] neg_hi:[0,0,1]
	v_mov_b32_e32 v69, v75
	s_delay_alu instid0(VALU_DEP_3) | instskip(NEXT) | instid1(VALU_DEP_2)
	v_cmp_lt_u32_e32 vcc_lo, 2, v67
	v_pk_add_f32 v[62:63], v[62:63], v[68:69]
	s_or_b32 s5, vcc_lo, s5
	s_delay_alu instid0(SALU_CYCLE_1)
	s_and_not1_b32 exec_lo, exec_lo, s5
	s_cbranch_execnz .LBB92_317
; %bb.318:
	s_or_b32 exec_lo, exec_lo, s5
.LBB92_319:
	s_delay_alu instid0(SALU_CYCLE_1) | instskip(SKIP_4) | instid1(VALU_DEP_1)
	s_or_b32 exec_lo, exec_lo, s4
	v_mov_b32_e32 v65, 0
	ds_load_b64 v[66:67], v65 offset:32
	s_wait_dscnt 0x0
	v_pk_mul_f32 v[68:69], v[62:63], v[66:67] op_sel:[1,1] op_sel_hi:[0,1]
	v_pk_fma_f32 v[70:71], v[62:63], v[66:67], v[68:69] op_sel_hi:[1,0,1]
	v_pk_fma_f32 v[62:63], v[62:63], v[66:67], v[68:69] neg_lo:[0,0,1] neg_hi:[0,0,1]
	s_delay_alu instid0(VALU_DEP_2)
	v_mov_b32_e32 v63, v71
	scratch_store_b64 off, v[62:63], off offset:32
.LBB92_320:
	s_wait_xcnt 0x0
	s_or_b32 exec_lo, exec_lo, s0
	scratch_load_b64 v[62:63], off, off offset:40
	s_mov_b32 s0, exec_lo
	s_wait_loadcnt 0x0
	ds_store_b64 v1, v[62:63]
	s_wait_storecnt_dscnt 0x0
	s_barrier_signal -1
	s_barrier_wait -1
	s_wait_xcnt 0x0
	v_cmpx_gt_u32_e32 5, v0
	s_cbranch_execz .LBB92_330
; %bb.321:
	v_cmp_ne_u32_e32 vcc_lo, 1, v64
	s_cbranch_vccnz .LBB92_323
; %bb.322:
	scratch_load_b64 v[62:63], v59, off
	ds_load_b64 v[66:67], v1
	s_wait_loadcnt_dscnt 0x0
	v_pk_mul_f32 v[68:69], v[66:67], v[62:63] op_sel:[1,1] op_sel_hi:[0,1]
	s_delay_alu instid0(VALU_DEP_1) | instskip(SKIP_1) | instid1(VALU_DEP_2)
	v_pk_fma_f32 v[70:71], v[66:67], v[62:63], v[68:69] op_sel_hi:[1,0,1]
	v_pk_fma_f32 v[62:63], v[66:67], v[62:63], v[68:69] neg_lo:[0,0,1] neg_hi:[0,0,1]
	v_mov_b32_e32 v63, v71
	s_cbranch_execz .LBB92_324
	s_branch .LBB92_325
.LBB92_323:
                                        ; implicit-def: $vgpr62_vgpr63
.LBB92_324:
	ds_load_b64 v[62:63], v1
.LBB92_325:
	s_mov_b32 s4, exec_lo
	v_cmpx_ne_u32_e32 4, v0
	s_cbranch_execz .LBB92_329
; %bb.326:
	v_add_nc_u32_e32 v65, 0xf8, v58
	v_add3_u32 v66, 0, v58, 8
	v_mov_b32_e32 v67, v0
	s_mov_b32 s5, 0
.LBB92_327:                             ; =>This Inner Loop Header: Depth=1
	scratch_load_b64 v[68:69], v66, off
	ds_load_b64 v[70:71], v65
	s_wait_xcnt 0x0
	v_dual_add_nc_u32 v65, 8, v65 :: v_dual_add_nc_u32 v66, 8, v66
	s_wait_loadcnt_dscnt 0x0
	v_pk_mul_f32 v[72:73], v[70:71], v[68:69] op_sel:[1,1] op_sel_hi:[0,1]
	s_delay_alu instid0(VALU_DEP_1) | instskip(SKIP_2) | instid1(VALU_DEP_3)
	v_pk_fma_f32 v[74:75], v[70:71], v[68:69], v[72:73] op_sel_hi:[1,0,1]
	v_add_nc_u32_e32 v67, 1, v67
	v_pk_fma_f32 v[68:69], v[70:71], v[68:69], v[72:73] neg_lo:[0,0,1] neg_hi:[0,0,1]
	v_mov_b32_e32 v69, v75
	s_delay_alu instid0(VALU_DEP_3) | instskip(NEXT) | instid1(VALU_DEP_2)
	v_cmp_lt_u32_e32 vcc_lo, 3, v67
	v_pk_add_f32 v[62:63], v[62:63], v[68:69]
	s_or_b32 s5, vcc_lo, s5
	s_delay_alu instid0(SALU_CYCLE_1)
	s_and_not1_b32 exec_lo, exec_lo, s5
	s_cbranch_execnz .LBB92_327
; %bb.328:
	s_or_b32 exec_lo, exec_lo, s5
.LBB92_329:
	s_delay_alu instid0(SALU_CYCLE_1) | instskip(SKIP_4) | instid1(VALU_DEP_1)
	s_or_b32 exec_lo, exec_lo, s4
	v_mov_b32_e32 v65, 0
	ds_load_b64 v[66:67], v65 offset:40
	s_wait_dscnt 0x0
	v_pk_mul_f32 v[68:69], v[62:63], v[66:67] op_sel:[1,1] op_sel_hi:[0,1]
	v_pk_fma_f32 v[70:71], v[62:63], v[66:67], v[68:69] op_sel_hi:[1,0,1]
	v_pk_fma_f32 v[62:63], v[62:63], v[66:67], v[68:69] neg_lo:[0,0,1] neg_hi:[0,0,1]
	s_delay_alu instid0(VALU_DEP_2)
	v_mov_b32_e32 v63, v71
	scratch_store_b64 off, v[62:63], off offset:40
.LBB92_330:
	s_wait_xcnt 0x0
	s_or_b32 exec_lo, exec_lo, s0
	scratch_load_b64 v[62:63], off, off offset:48
	s_mov_b32 s0, exec_lo
	s_wait_loadcnt 0x0
	ds_store_b64 v1, v[62:63]
	s_wait_storecnt_dscnt 0x0
	s_barrier_signal -1
	s_barrier_wait -1
	s_wait_xcnt 0x0
	v_cmpx_gt_u32_e32 6, v0
	s_cbranch_execz .LBB92_340
; %bb.331:
	v_cmp_ne_u32_e32 vcc_lo, 1, v64
	s_cbranch_vccnz .LBB92_333
; %bb.332:
	scratch_load_b64 v[62:63], v59, off
	ds_load_b64 v[66:67], v1
	s_wait_loadcnt_dscnt 0x0
	v_pk_mul_f32 v[68:69], v[66:67], v[62:63] op_sel:[1,1] op_sel_hi:[0,1]
	s_delay_alu instid0(VALU_DEP_1) | instskip(SKIP_1) | instid1(VALU_DEP_2)
	v_pk_fma_f32 v[70:71], v[66:67], v[62:63], v[68:69] op_sel_hi:[1,0,1]
	v_pk_fma_f32 v[62:63], v[66:67], v[62:63], v[68:69] neg_lo:[0,0,1] neg_hi:[0,0,1]
	v_mov_b32_e32 v63, v71
	s_cbranch_execz .LBB92_334
	s_branch .LBB92_335
.LBB92_333:
                                        ; implicit-def: $vgpr62_vgpr63
.LBB92_334:
	ds_load_b64 v[62:63], v1
.LBB92_335:
	s_mov_b32 s4, exec_lo
	v_cmpx_ne_u32_e32 5, v0
	s_cbranch_execz .LBB92_339
; %bb.336:
	v_add_nc_u32_e32 v65, 0xf8, v58
	v_add3_u32 v66, 0, v58, 8
	v_mov_b32_e32 v67, v0
	s_mov_b32 s5, 0
.LBB92_337:                             ; =>This Inner Loop Header: Depth=1
	scratch_load_b64 v[68:69], v66, off
	ds_load_b64 v[70:71], v65
	s_wait_xcnt 0x0
	v_dual_add_nc_u32 v65, 8, v65 :: v_dual_add_nc_u32 v66, 8, v66
	s_wait_loadcnt_dscnt 0x0
	v_pk_mul_f32 v[72:73], v[70:71], v[68:69] op_sel:[1,1] op_sel_hi:[0,1]
	s_delay_alu instid0(VALU_DEP_1) | instskip(SKIP_2) | instid1(VALU_DEP_3)
	v_pk_fma_f32 v[74:75], v[70:71], v[68:69], v[72:73] op_sel_hi:[1,0,1]
	v_add_nc_u32_e32 v67, 1, v67
	v_pk_fma_f32 v[68:69], v[70:71], v[68:69], v[72:73] neg_lo:[0,0,1] neg_hi:[0,0,1]
	v_mov_b32_e32 v69, v75
	s_delay_alu instid0(VALU_DEP_3) | instskip(NEXT) | instid1(VALU_DEP_2)
	v_cmp_lt_u32_e32 vcc_lo, 4, v67
	v_pk_add_f32 v[62:63], v[62:63], v[68:69]
	s_or_b32 s5, vcc_lo, s5
	s_delay_alu instid0(SALU_CYCLE_1)
	s_and_not1_b32 exec_lo, exec_lo, s5
	s_cbranch_execnz .LBB92_337
; %bb.338:
	s_or_b32 exec_lo, exec_lo, s5
.LBB92_339:
	s_delay_alu instid0(SALU_CYCLE_1) | instskip(SKIP_4) | instid1(VALU_DEP_1)
	s_or_b32 exec_lo, exec_lo, s4
	v_mov_b32_e32 v65, 0
	ds_load_b64 v[66:67], v65 offset:48
	s_wait_dscnt 0x0
	v_pk_mul_f32 v[68:69], v[62:63], v[66:67] op_sel:[1,1] op_sel_hi:[0,1]
	v_pk_fma_f32 v[70:71], v[62:63], v[66:67], v[68:69] op_sel_hi:[1,0,1]
	v_pk_fma_f32 v[62:63], v[62:63], v[66:67], v[68:69] neg_lo:[0,0,1] neg_hi:[0,0,1]
	s_delay_alu instid0(VALU_DEP_2)
	v_mov_b32_e32 v63, v71
	scratch_store_b64 off, v[62:63], off offset:48
.LBB92_340:
	s_wait_xcnt 0x0
	s_or_b32 exec_lo, exec_lo, s0
	scratch_load_b64 v[62:63], off, off offset:56
	s_mov_b32 s0, exec_lo
	s_wait_loadcnt 0x0
	ds_store_b64 v1, v[62:63]
	s_wait_storecnt_dscnt 0x0
	s_barrier_signal -1
	s_barrier_wait -1
	s_wait_xcnt 0x0
	v_cmpx_gt_u32_e32 7, v0
	s_cbranch_execz .LBB92_350
; %bb.341:
	v_cmp_ne_u32_e32 vcc_lo, 1, v64
	s_cbranch_vccnz .LBB92_343
; %bb.342:
	scratch_load_b64 v[62:63], v59, off
	ds_load_b64 v[66:67], v1
	s_wait_loadcnt_dscnt 0x0
	v_pk_mul_f32 v[68:69], v[66:67], v[62:63] op_sel:[1,1] op_sel_hi:[0,1]
	s_delay_alu instid0(VALU_DEP_1) | instskip(SKIP_1) | instid1(VALU_DEP_2)
	v_pk_fma_f32 v[70:71], v[66:67], v[62:63], v[68:69] op_sel_hi:[1,0,1]
	v_pk_fma_f32 v[62:63], v[66:67], v[62:63], v[68:69] neg_lo:[0,0,1] neg_hi:[0,0,1]
	v_mov_b32_e32 v63, v71
	s_cbranch_execz .LBB92_344
	s_branch .LBB92_345
.LBB92_343:
                                        ; implicit-def: $vgpr62_vgpr63
.LBB92_344:
	ds_load_b64 v[62:63], v1
.LBB92_345:
	s_mov_b32 s4, exec_lo
	v_cmpx_ne_u32_e32 6, v0
	s_cbranch_execz .LBB92_349
; %bb.346:
	v_add_nc_u32_e32 v65, 0xf8, v58
	v_add3_u32 v66, 0, v58, 8
	v_mov_b32_e32 v67, v0
	s_mov_b32 s5, 0
.LBB92_347:                             ; =>This Inner Loop Header: Depth=1
	scratch_load_b64 v[68:69], v66, off
	ds_load_b64 v[70:71], v65
	s_wait_xcnt 0x0
	v_dual_add_nc_u32 v65, 8, v65 :: v_dual_add_nc_u32 v66, 8, v66
	s_wait_loadcnt_dscnt 0x0
	v_pk_mul_f32 v[72:73], v[70:71], v[68:69] op_sel:[1,1] op_sel_hi:[0,1]
	s_delay_alu instid0(VALU_DEP_1) | instskip(SKIP_2) | instid1(VALU_DEP_3)
	v_pk_fma_f32 v[74:75], v[70:71], v[68:69], v[72:73] op_sel_hi:[1,0,1]
	v_add_nc_u32_e32 v67, 1, v67
	v_pk_fma_f32 v[68:69], v[70:71], v[68:69], v[72:73] neg_lo:[0,0,1] neg_hi:[0,0,1]
	v_mov_b32_e32 v69, v75
	s_delay_alu instid0(VALU_DEP_3) | instskip(NEXT) | instid1(VALU_DEP_2)
	v_cmp_lt_u32_e32 vcc_lo, 5, v67
	v_pk_add_f32 v[62:63], v[62:63], v[68:69]
	s_or_b32 s5, vcc_lo, s5
	s_delay_alu instid0(SALU_CYCLE_1)
	s_and_not1_b32 exec_lo, exec_lo, s5
	s_cbranch_execnz .LBB92_347
; %bb.348:
	s_or_b32 exec_lo, exec_lo, s5
.LBB92_349:
	s_delay_alu instid0(SALU_CYCLE_1) | instskip(SKIP_4) | instid1(VALU_DEP_1)
	s_or_b32 exec_lo, exec_lo, s4
	v_mov_b32_e32 v65, 0
	ds_load_b64 v[66:67], v65 offset:56
	s_wait_dscnt 0x0
	v_pk_mul_f32 v[68:69], v[62:63], v[66:67] op_sel:[1,1] op_sel_hi:[0,1]
	v_pk_fma_f32 v[70:71], v[62:63], v[66:67], v[68:69] op_sel_hi:[1,0,1]
	v_pk_fma_f32 v[62:63], v[62:63], v[66:67], v[68:69] neg_lo:[0,0,1] neg_hi:[0,0,1]
	s_delay_alu instid0(VALU_DEP_2)
	v_mov_b32_e32 v63, v71
	scratch_store_b64 off, v[62:63], off offset:56
.LBB92_350:
	s_wait_xcnt 0x0
	s_or_b32 exec_lo, exec_lo, s0
	scratch_load_b64 v[62:63], off, off offset:64
	s_mov_b32 s0, exec_lo
	s_wait_loadcnt 0x0
	ds_store_b64 v1, v[62:63]
	s_wait_storecnt_dscnt 0x0
	s_barrier_signal -1
	s_barrier_wait -1
	s_wait_xcnt 0x0
	v_cmpx_gt_u32_e32 8, v0
	s_cbranch_execz .LBB92_360
; %bb.351:
	v_cmp_ne_u32_e32 vcc_lo, 1, v64
	s_cbranch_vccnz .LBB92_353
; %bb.352:
	scratch_load_b64 v[62:63], v59, off
	ds_load_b64 v[66:67], v1
	s_wait_loadcnt_dscnt 0x0
	v_pk_mul_f32 v[68:69], v[66:67], v[62:63] op_sel:[1,1] op_sel_hi:[0,1]
	s_delay_alu instid0(VALU_DEP_1) | instskip(SKIP_1) | instid1(VALU_DEP_2)
	v_pk_fma_f32 v[70:71], v[66:67], v[62:63], v[68:69] op_sel_hi:[1,0,1]
	v_pk_fma_f32 v[62:63], v[66:67], v[62:63], v[68:69] neg_lo:[0,0,1] neg_hi:[0,0,1]
	v_mov_b32_e32 v63, v71
	s_cbranch_execz .LBB92_354
	s_branch .LBB92_355
.LBB92_353:
                                        ; implicit-def: $vgpr62_vgpr63
.LBB92_354:
	ds_load_b64 v[62:63], v1
.LBB92_355:
	s_mov_b32 s4, exec_lo
	v_cmpx_ne_u32_e32 7, v0
	s_cbranch_execz .LBB92_359
; %bb.356:
	v_add_nc_u32_e32 v65, 0xf8, v58
	v_add3_u32 v66, 0, v58, 8
	v_mov_b32_e32 v67, v0
	s_mov_b32 s5, 0
.LBB92_357:                             ; =>This Inner Loop Header: Depth=1
	scratch_load_b64 v[68:69], v66, off
	ds_load_b64 v[70:71], v65
	s_wait_xcnt 0x0
	v_dual_add_nc_u32 v65, 8, v65 :: v_dual_add_nc_u32 v66, 8, v66
	s_wait_loadcnt_dscnt 0x0
	v_pk_mul_f32 v[72:73], v[70:71], v[68:69] op_sel:[1,1] op_sel_hi:[0,1]
	s_delay_alu instid0(VALU_DEP_1) | instskip(SKIP_2) | instid1(VALU_DEP_3)
	v_pk_fma_f32 v[74:75], v[70:71], v[68:69], v[72:73] op_sel_hi:[1,0,1]
	v_add_nc_u32_e32 v67, 1, v67
	v_pk_fma_f32 v[68:69], v[70:71], v[68:69], v[72:73] neg_lo:[0,0,1] neg_hi:[0,0,1]
	v_mov_b32_e32 v69, v75
	s_delay_alu instid0(VALU_DEP_3) | instskip(NEXT) | instid1(VALU_DEP_2)
	v_cmp_lt_u32_e32 vcc_lo, 6, v67
	v_pk_add_f32 v[62:63], v[62:63], v[68:69]
	s_or_b32 s5, vcc_lo, s5
	s_delay_alu instid0(SALU_CYCLE_1)
	s_and_not1_b32 exec_lo, exec_lo, s5
	s_cbranch_execnz .LBB92_357
; %bb.358:
	s_or_b32 exec_lo, exec_lo, s5
.LBB92_359:
	s_delay_alu instid0(SALU_CYCLE_1) | instskip(SKIP_4) | instid1(VALU_DEP_1)
	s_or_b32 exec_lo, exec_lo, s4
	v_mov_b32_e32 v65, 0
	ds_load_b64 v[66:67], v65 offset:64
	s_wait_dscnt 0x0
	v_pk_mul_f32 v[68:69], v[62:63], v[66:67] op_sel:[1,1] op_sel_hi:[0,1]
	v_pk_fma_f32 v[70:71], v[62:63], v[66:67], v[68:69] op_sel_hi:[1,0,1]
	v_pk_fma_f32 v[62:63], v[62:63], v[66:67], v[68:69] neg_lo:[0,0,1] neg_hi:[0,0,1]
	s_delay_alu instid0(VALU_DEP_2)
	v_mov_b32_e32 v63, v71
	scratch_store_b64 off, v[62:63], off offset:64
.LBB92_360:
	s_wait_xcnt 0x0
	s_or_b32 exec_lo, exec_lo, s0
	scratch_load_b64 v[62:63], off, off offset:72
	s_mov_b32 s0, exec_lo
	s_wait_loadcnt 0x0
	ds_store_b64 v1, v[62:63]
	s_wait_storecnt_dscnt 0x0
	s_barrier_signal -1
	s_barrier_wait -1
	s_wait_xcnt 0x0
	v_cmpx_gt_u32_e32 9, v0
	s_cbranch_execz .LBB92_370
; %bb.361:
	v_cmp_ne_u32_e32 vcc_lo, 1, v64
	s_cbranch_vccnz .LBB92_363
; %bb.362:
	scratch_load_b64 v[62:63], v59, off
	ds_load_b64 v[66:67], v1
	s_wait_loadcnt_dscnt 0x0
	v_pk_mul_f32 v[68:69], v[66:67], v[62:63] op_sel:[1,1] op_sel_hi:[0,1]
	s_delay_alu instid0(VALU_DEP_1) | instskip(SKIP_1) | instid1(VALU_DEP_2)
	v_pk_fma_f32 v[70:71], v[66:67], v[62:63], v[68:69] op_sel_hi:[1,0,1]
	v_pk_fma_f32 v[62:63], v[66:67], v[62:63], v[68:69] neg_lo:[0,0,1] neg_hi:[0,0,1]
	v_mov_b32_e32 v63, v71
	s_cbranch_execz .LBB92_364
	s_branch .LBB92_365
.LBB92_363:
                                        ; implicit-def: $vgpr62_vgpr63
.LBB92_364:
	ds_load_b64 v[62:63], v1
.LBB92_365:
	s_mov_b32 s4, exec_lo
	v_cmpx_ne_u32_e32 8, v0
	s_cbranch_execz .LBB92_369
; %bb.366:
	v_add_nc_u32_e32 v65, 0xf8, v58
	v_add3_u32 v66, 0, v58, 8
	v_mov_b32_e32 v67, v0
	s_mov_b32 s5, 0
.LBB92_367:                             ; =>This Inner Loop Header: Depth=1
	scratch_load_b64 v[68:69], v66, off
	ds_load_b64 v[70:71], v65
	s_wait_xcnt 0x0
	v_dual_add_nc_u32 v65, 8, v65 :: v_dual_add_nc_u32 v66, 8, v66
	s_wait_loadcnt_dscnt 0x0
	v_pk_mul_f32 v[72:73], v[70:71], v[68:69] op_sel:[1,1] op_sel_hi:[0,1]
	s_delay_alu instid0(VALU_DEP_1) | instskip(SKIP_2) | instid1(VALU_DEP_3)
	v_pk_fma_f32 v[74:75], v[70:71], v[68:69], v[72:73] op_sel_hi:[1,0,1]
	v_add_nc_u32_e32 v67, 1, v67
	v_pk_fma_f32 v[68:69], v[70:71], v[68:69], v[72:73] neg_lo:[0,0,1] neg_hi:[0,0,1]
	v_mov_b32_e32 v69, v75
	s_delay_alu instid0(VALU_DEP_3) | instskip(NEXT) | instid1(VALU_DEP_2)
	v_cmp_lt_u32_e32 vcc_lo, 7, v67
	v_pk_add_f32 v[62:63], v[62:63], v[68:69]
	s_or_b32 s5, vcc_lo, s5
	s_delay_alu instid0(SALU_CYCLE_1)
	s_and_not1_b32 exec_lo, exec_lo, s5
	s_cbranch_execnz .LBB92_367
; %bb.368:
	s_or_b32 exec_lo, exec_lo, s5
.LBB92_369:
	s_delay_alu instid0(SALU_CYCLE_1) | instskip(SKIP_4) | instid1(VALU_DEP_1)
	s_or_b32 exec_lo, exec_lo, s4
	v_mov_b32_e32 v65, 0
	ds_load_b64 v[66:67], v65 offset:72
	s_wait_dscnt 0x0
	v_pk_mul_f32 v[68:69], v[62:63], v[66:67] op_sel:[1,1] op_sel_hi:[0,1]
	v_pk_fma_f32 v[70:71], v[62:63], v[66:67], v[68:69] op_sel_hi:[1,0,1]
	v_pk_fma_f32 v[62:63], v[62:63], v[66:67], v[68:69] neg_lo:[0,0,1] neg_hi:[0,0,1]
	s_delay_alu instid0(VALU_DEP_2)
	v_mov_b32_e32 v63, v71
	scratch_store_b64 off, v[62:63], off offset:72
.LBB92_370:
	s_wait_xcnt 0x0
	s_or_b32 exec_lo, exec_lo, s0
	scratch_load_b64 v[62:63], off, off offset:80
	s_mov_b32 s0, exec_lo
	s_wait_loadcnt 0x0
	ds_store_b64 v1, v[62:63]
	s_wait_storecnt_dscnt 0x0
	s_barrier_signal -1
	s_barrier_wait -1
	s_wait_xcnt 0x0
	v_cmpx_gt_u32_e32 10, v0
	s_cbranch_execz .LBB92_380
; %bb.371:
	v_cmp_ne_u32_e32 vcc_lo, 1, v64
	s_cbranch_vccnz .LBB92_373
; %bb.372:
	scratch_load_b64 v[62:63], v59, off
	ds_load_b64 v[66:67], v1
	s_wait_loadcnt_dscnt 0x0
	v_pk_mul_f32 v[68:69], v[66:67], v[62:63] op_sel:[1,1] op_sel_hi:[0,1]
	s_delay_alu instid0(VALU_DEP_1) | instskip(SKIP_1) | instid1(VALU_DEP_2)
	v_pk_fma_f32 v[70:71], v[66:67], v[62:63], v[68:69] op_sel_hi:[1,0,1]
	v_pk_fma_f32 v[62:63], v[66:67], v[62:63], v[68:69] neg_lo:[0,0,1] neg_hi:[0,0,1]
	v_mov_b32_e32 v63, v71
	s_cbranch_execz .LBB92_374
	s_branch .LBB92_375
.LBB92_373:
                                        ; implicit-def: $vgpr62_vgpr63
.LBB92_374:
	ds_load_b64 v[62:63], v1
.LBB92_375:
	s_mov_b32 s4, exec_lo
	v_cmpx_ne_u32_e32 9, v0
	s_cbranch_execz .LBB92_379
; %bb.376:
	v_add_nc_u32_e32 v65, 0xf8, v58
	v_add3_u32 v66, 0, v58, 8
	v_mov_b32_e32 v67, v0
	s_mov_b32 s5, 0
.LBB92_377:                             ; =>This Inner Loop Header: Depth=1
	scratch_load_b64 v[68:69], v66, off
	ds_load_b64 v[70:71], v65
	s_wait_xcnt 0x0
	v_dual_add_nc_u32 v65, 8, v65 :: v_dual_add_nc_u32 v66, 8, v66
	s_wait_loadcnt_dscnt 0x0
	v_pk_mul_f32 v[72:73], v[70:71], v[68:69] op_sel:[1,1] op_sel_hi:[0,1]
	s_delay_alu instid0(VALU_DEP_1) | instskip(SKIP_2) | instid1(VALU_DEP_3)
	v_pk_fma_f32 v[74:75], v[70:71], v[68:69], v[72:73] op_sel_hi:[1,0,1]
	v_add_nc_u32_e32 v67, 1, v67
	v_pk_fma_f32 v[68:69], v[70:71], v[68:69], v[72:73] neg_lo:[0,0,1] neg_hi:[0,0,1]
	v_mov_b32_e32 v69, v75
	s_delay_alu instid0(VALU_DEP_3) | instskip(NEXT) | instid1(VALU_DEP_2)
	v_cmp_lt_u32_e32 vcc_lo, 8, v67
	v_pk_add_f32 v[62:63], v[62:63], v[68:69]
	s_or_b32 s5, vcc_lo, s5
	s_delay_alu instid0(SALU_CYCLE_1)
	s_and_not1_b32 exec_lo, exec_lo, s5
	s_cbranch_execnz .LBB92_377
; %bb.378:
	s_or_b32 exec_lo, exec_lo, s5
.LBB92_379:
	s_delay_alu instid0(SALU_CYCLE_1) | instskip(SKIP_4) | instid1(VALU_DEP_1)
	s_or_b32 exec_lo, exec_lo, s4
	v_mov_b32_e32 v65, 0
	ds_load_b64 v[66:67], v65 offset:80
	s_wait_dscnt 0x0
	v_pk_mul_f32 v[68:69], v[62:63], v[66:67] op_sel:[1,1] op_sel_hi:[0,1]
	v_pk_fma_f32 v[70:71], v[62:63], v[66:67], v[68:69] op_sel_hi:[1,0,1]
	v_pk_fma_f32 v[62:63], v[62:63], v[66:67], v[68:69] neg_lo:[0,0,1] neg_hi:[0,0,1]
	s_delay_alu instid0(VALU_DEP_2)
	v_mov_b32_e32 v63, v71
	scratch_store_b64 off, v[62:63], off offset:80
.LBB92_380:
	s_wait_xcnt 0x0
	s_or_b32 exec_lo, exec_lo, s0
	scratch_load_b64 v[62:63], off, off offset:88
	s_mov_b32 s0, exec_lo
	s_wait_loadcnt 0x0
	ds_store_b64 v1, v[62:63]
	s_wait_storecnt_dscnt 0x0
	s_barrier_signal -1
	s_barrier_wait -1
	s_wait_xcnt 0x0
	v_cmpx_gt_u32_e32 11, v0
	s_cbranch_execz .LBB92_390
; %bb.381:
	v_cmp_ne_u32_e32 vcc_lo, 1, v64
	s_cbranch_vccnz .LBB92_383
; %bb.382:
	scratch_load_b64 v[62:63], v59, off
	ds_load_b64 v[66:67], v1
	s_wait_loadcnt_dscnt 0x0
	v_pk_mul_f32 v[68:69], v[66:67], v[62:63] op_sel:[1,1] op_sel_hi:[0,1]
	s_delay_alu instid0(VALU_DEP_1) | instskip(SKIP_1) | instid1(VALU_DEP_2)
	v_pk_fma_f32 v[70:71], v[66:67], v[62:63], v[68:69] op_sel_hi:[1,0,1]
	v_pk_fma_f32 v[62:63], v[66:67], v[62:63], v[68:69] neg_lo:[0,0,1] neg_hi:[0,0,1]
	v_mov_b32_e32 v63, v71
	s_cbranch_execz .LBB92_384
	s_branch .LBB92_385
.LBB92_383:
                                        ; implicit-def: $vgpr62_vgpr63
.LBB92_384:
	ds_load_b64 v[62:63], v1
.LBB92_385:
	s_mov_b32 s4, exec_lo
	v_cmpx_ne_u32_e32 10, v0
	s_cbranch_execz .LBB92_389
; %bb.386:
	v_add_nc_u32_e32 v65, 0xf8, v58
	v_add3_u32 v66, 0, v58, 8
	v_mov_b32_e32 v67, v0
	s_mov_b32 s5, 0
.LBB92_387:                             ; =>This Inner Loop Header: Depth=1
	scratch_load_b64 v[68:69], v66, off
	ds_load_b64 v[70:71], v65
	s_wait_xcnt 0x0
	v_dual_add_nc_u32 v65, 8, v65 :: v_dual_add_nc_u32 v66, 8, v66
	s_wait_loadcnt_dscnt 0x0
	v_pk_mul_f32 v[72:73], v[70:71], v[68:69] op_sel:[1,1] op_sel_hi:[0,1]
	s_delay_alu instid0(VALU_DEP_1) | instskip(SKIP_2) | instid1(VALU_DEP_3)
	v_pk_fma_f32 v[74:75], v[70:71], v[68:69], v[72:73] op_sel_hi:[1,0,1]
	v_add_nc_u32_e32 v67, 1, v67
	v_pk_fma_f32 v[68:69], v[70:71], v[68:69], v[72:73] neg_lo:[0,0,1] neg_hi:[0,0,1]
	v_mov_b32_e32 v69, v75
	s_delay_alu instid0(VALU_DEP_3) | instskip(NEXT) | instid1(VALU_DEP_2)
	v_cmp_lt_u32_e32 vcc_lo, 9, v67
	v_pk_add_f32 v[62:63], v[62:63], v[68:69]
	s_or_b32 s5, vcc_lo, s5
	s_delay_alu instid0(SALU_CYCLE_1)
	s_and_not1_b32 exec_lo, exec_lo, s5
	s_cbranch_execnz .LBB92_387
; %bb.388:
	s_or_b32 exec_lo, exec_lo, s5
.LBB92_389:
	s_delay_alu instid0(SALU_CYCLE_1) | instskip(SKIP_4) | instid1(VALU_DEP_1)
	s_or_b32 exec_lo, exec_lo, s4
	v_mov_b32_e32 v65, 0
	ds_load_b64 v[66:67], v65 offset:88
	s_wait_dscnt 0x0
	v_pk_mul_f32 v[68:69], v[62:63], v[66:67] op_sel:[1,1] op_sel_hi:[0,1]
	v_pk_fma_f32 v[70:71], v[62:63], v[66:67], v[68:69] op_sel_hi:[1,0,1]
	v_pk_fma_f32 v[62:63], v[62:63], v[66:67], v[68:69] neg_lo:[0,0,1] neg_hi:[0,0,1]
	s_delay_alu instid0(VALU_DEP_2)
	v_mov_b32_e32 v63, v71
	scratch_store_b64 off, v[62:63], off offset:88
.LBB92_390:
	s_wait_xcnt 0x0
	s_or_b32 exec_lo, exec_lo, s0
	scratch_load_b64 v[62:63], off, off offset:96
	s_mov_b32 s0, exec_lo
	s_wait_loadcnt 0x0
	ds_store_b64 v1, v[62:63]
	s_wait_storecnt_dscnt 0x0
	s_barrier_signal -1
	s_barrier_wait -1
	s_wait_xcnt 0x0
	v_cmpx_gt_u32_e32 12, v0
	s_cbranch_execz .LBB92_400
; %bb.391:
	v_cmp_ne_u32_e32 vcc_lo, 1, v64
	s_cbranch_vccnz .LBB92_393
; %bb.392:
	scratch_load_b64 v[62:63], v59, off
	ds_load_b64 v[66:67], v1
	s_wait_loadcnt_dscnt 0x0
	v_pk_mul_f32 v[68:69], v[66:67], v[62:63] op_sel:[1,1] op_sel_hi:[0,1]
	s_delay_alu instid0(VALU_DEP_1) | instskip(SKIP_1) | instid1(VALU_DEP_2)
	v_pk_fma_f32 v[70:71], v[66:67], v[62:63], v[68:69] op_sel_hi:[1,0,1]
	v_pk_fma_f32 v[62:63], v[66:67], v[62:63], v[68:69] neg_lo:[0,0,1] neg_hi:[0,0,1]
	v_mov_b32_e32 v63, v71
	s_cbranch_execz .LBB92_394
	s_branch .LBB92_395
.LBB92_393:
                                        ; implicit-def: $vgpr62_vgpr63
.LBB92_394:
	ds_load_b64 v[62:63], v1
.LBB92_395:
	s_mov_b32 s4, exec_lo
	v_cmpx_ne_u32_e32 11, v0
	s_cbranch_execz .LBB92_399
; %bb.396:
	v_add_nc_u32_e32 v65, 0xf8, v58
	v_add3_u32 v66, 0, v58, 8
	v_mov_b32_e32 v67, v0
	s_mov_b32 s5, 0
.LBB92_397:                             ; =>This Inner Loop Header: Depth=1
	scratch_load_b64 v[68:69], v66, off
	ds_load_b64 v[70:71], v65
	s_wait_xcnt 0x0
	v_dual_add_nc_u32 v65, 8, v65 :: v_dual_add_nc_u32 v66, 8, v66
	s_wait_loadcnt_dscnt 0x0
	v_pk_mul_f32 v[72:73], v[70:71], v[68:69] op_sel:[1,1] op_sel_hi:[0,1]
	s_delay_alu instid0(VALU_DEP_1) | instskip(SKIP_2) | instid1(VALU_DEP_3)
	v_pk_fma_f32 v[74:75], v[70:71], v[68:69], v[72:73] op_sel_hi:[1,0,1]
	v_add_nc_u32_e32 v67, 1, v67
	v_pk_fma_f32 v[68:69], v[70:71], v[68:69], v[72:73] neg_lo:[0,0,1] neg_hi:[0,0,1]
	v_mov_b32_e32 v69, v75
	s_delay_alu instid0(VALU_DEP_3) | instskip(NEXT) | instid1(VALU_DEP_2)
	v_cmp_lt_u32_e32 vcc_lo, 10, v67
	v_pk_add_f32 v[62:63], v[62:63], v[68:69]
	s_or_b32 s5, vcc_lo, s5
	s_delay_alu instid0(SALU_CYCLE_1)
	s_and_not1_b32 exec_lo, exec_lo, s5
	s_cbranch_execnz .LBB92_397
; %bb.398:
	s_or_b32 exec_lo, exec_lo, s5
.LBB92_399:
	s_delay_alu instid0(SALU_CYCLE_1) | instskip(SKIP_4) | instid1(VALU_DEP_1)
	s_or_b32 exec_lo, exec_lo, s4
	v_mov_b32_e32 v65, 0
	ds_load_b64 v[66:67], v65 offset:96
	s_wait_dscnt 0x0
	v_pk_mul_f32 v[68:69], v[62:63], v[66:67] op_sel:[1,1] op_sel_hi:[0,1]
	v_pk_fma_f32 v[70:71], v[62:63], v[66:67], v[68:69] op_sel_hi:[1,0,1]
	v_pk_fma_f32 v[62:63], v[62:63], v[66:67], v[68:69] neg_lo:[0,0,1] neg_hi:[0,0,1]
	s_delay_alu instid0(VALU_DEP_2)
	v_mov_b32_e32 v63, v71
	scratch_store_b64 off, v[62:63], off offset:96
.LBB92_400:
	s_wait_xcnt 0x0
	s_or_b32 exec_lo, exec_lo, s0
	scratch_load_b64 v[62:63], off, off offset:104
	s_mov_b32 s0, exec_lo
	s_wait_loadcnt 0x0
	ds_store_b64 v1, v[62:63]
	s_wait_storecnt_dscnt 0x0
	s_barrier_signal -1
	s_barrier_wait -1
	s_wait_xcnt 0x0
	v_cmpx_gt_u32_e32 13, v0
	s_cbranch_execz .LBB92_410
; %bb.401:
	v_cmp_ne_u32_e32 vcc_lo, 1, v64
	s_cbranch_vccnz .LBB92_403
; %bb.402:
	scratch_load_b64 v[62:63], v59, off
	ds_load_b64 v[66:67], v1
	s_wait_loadcnt_dscnt 0x0
	v_pk_mul_f32 v[68:69], v[66:67], v[62:63] op_sel:[1,1] op_sel_hi:[0,1]
	s_delay_alu instid0(VALU_DEP_1) | instskip(SKIP_1) | instid1(VALU_DEP_2)
	v_pk_fma_f32 v[70:71], v[66:67], v[62:63], v[68:69] op_sel_hi:[1,0,1]
	v_pk_fma_f32 v[62:63], v[66:67], v[62:63], v[68:69] neg_lo:[0,0,1] neg_hi:[0,0,1]
	v_mov_b32_e32 v63, v71
	s_cbranch_execz .LBB92_404
	s_branch .LBB92_405
.LBB92_403:
                                        ; implicit-def: $vgpr62_vgpr63
.LBB92_404:
	ds_load_b64 v[62:63], v1
.LBB92_405:
	s_mov_b32 s4, exec_lo
	v_cmpx_ne_u32_e32 12, v0
	s_cbranch_execz .LBB92_409
; %bb.406:
	v_add_nc_u32_e32 v65, 0xf8, v58
	v_add3_u32 v66, 0, v58, 8
	v_mov_b32_e32 v67, v0
	s_mov_b32 s5, 0
.LBB92_407:                             ; =>This Inner Loop Header: Depth=1
	scratch_load_b64 v[68:69], v66, off
	ds_load_b64 v[70:71], v65
	s_wait_xcnt 0x0
	v_dual_add_nc_u32 v65, 8, v65 :: v_dual_add_nc_u32 v66, 8, v66
	s_wait_loadcnt_dscnt 0x0
	v_pk_mul_f32 v[72:73], v[70:71], v[68:69] op_sel:[1,1] op_sel_hi:[0,1]
	s_delay_alu instid0(VALU_DEP_1) | instskip(SKIP_2) | instid1(VALU_DEP_3)
	v_pk_fma_f32 v[74:75], v[70:71], v[68:69], v[72:73] op_sel_hi:[1,0,1]
	v_add_nc_u32_e32 v67, 1, v67
	v_pk_fma_f32 v[68:69], v[70:71], v[68:69], v[72:73] neg_lo:[0,0,1] neg_hi:[0,0,1]
	v_mov_b32_e32 v69, v75
	s_delay_alu instid0(VALU_DEP_3) | instskip(NEXT) | instid1(VALU_DEP_2)
	v_cmp_lt_u32_e32 vcc_lo, 11, v67
	v_pk_add_f32 v[62:63], v[62:63], v[68:69]
	s_or_b32 s5, vcc_lo, s5
	s_delay_alu instid0(SALU_CYCLE_1)
	s_and_not1_b32 exec_lo, exec_lo, s5
	s_cbranch_execnz .LBB92_407
; %bb.408:
	s_or_b32 exec_lo, exec_lo, s5
.LBB92_409:
	s_delay_alu instid0(SALU_CYCLE_1) | instskip(SKIP_4) | instid1(VALU_DEP_1)
	s_or_b32 exec_lo, exec_lo, s4
	v_mov_b32_e32 v65, 0
	ds_load_b64 v[66:67], v65 offset:104
	s_wait_dscnt 0x0
	v_pk_mul_f32 v[68:69], v[62:63], v[66:67] op_sel:[1,1] op_sel_hi:[0,1]
	v_pk_fma_f32 v[70:71], v[62:63], v[66:67], v[68:69] op_sel_hi:[1,0,1]
	v_pk_fma_f32 v[62:63], v[62:63], v[66:67], v[68:69] neg_lo:[0,0,1] neg_hi:[0,0,1]
	s_delay_alu instid0(VALU_DEP_2)
	v_mov_b32_e32 v63, v71
	scratch_store_b64 off, v[62:63], off offset:104
.LBB92_410:
	s_wait_xcnt 0x0
	s_or_b32 exec_lo, exec_lo, s0
	scratch_load_b64 v[62:63], off, off offset:112
	s_mov_b32 s0, exec_lo
	s_wait_loadcnt 0x0
	ds_store_b64 v1, v[62:63]
	s_wait_storecnt_dscnt 0x0
	s_barrier_signal -1
	s_barrier_wait -1
	s_wait_xcnt 0x0
	v_cmpx_gt_u32_e32 14, v0
	s_cbranch_execz .LBB92_420
; %bb.411:
	v_cmp_ne_u32_e32 vcc_lo, 1, v64
	s_cbranch_vccnz .LBB92_413
; %bb.412:
	scratch_load_b64 v[62:63], v59, off
	ds_load_b64 v[66:67], v1
	s_wait_loadcnt_dscnt 0x0
	v_pk_mul_f32 v[68:69], v[66:67], v[62:63] op_sel:[1,1] op_sel_hi:[0,1]
	s_delay_alu instid0(VALU_DEP_1) | instskip(SKIP_1) | instid1(VALU_DEP_2)
	v_pk_fma_f32 v[70:71], v[66:67], v[62:63], v[68:69] op_sel_hi:[1,0,1]
	v_pk_fma_f32 v[62:63], v[66:67], v[62:63], v[68:69] neg_lo:[0,0,1] neg_hi:[0,0,1]
	v_mov_b32_e32 v63, v71
	s_cbranch_execz .LBB92_414
	s_branch .LBB92_415
.LBB92_413:
                                        ; implicit-def: $vgpr62_vgpr63
.LBB92_414:
	ds_load_b64 v[62:63], v1
.LBB92_415:
	s_mov_b32 s4, exec_lo
	v_cmpx_ne_u32_e32 13, v0
	s_cbranch_execz .LBB92_419
; %bb.416:
	v_add_nc_u32_e32 v65, 0xf8, v58
	v_add3_u32 v66, 0, v58, 8
	v_mov_b32_e32 v67, v0
	s_mov_b32 s5, 0
.LBB92_417:                             ; =>This Inner Loop Header: Depth=1
	scratch_load_b64 v[68:69], v66, off
	ds_load_b64 v[70:71], v65
	s_wait_xcnt 0x0
	v_dual_add_nc_u32 v65, 8, v65 :: v_dual_add_nc_u32 v66, 8, v66
	s_wait_loadcnt_dscnt 0x0
	v_pk_mul_f32 v[72:73], v[70:71], v[68:69] op_sel:[1,1] op_sel_hi:[0,1]
	s_delay_alu instid0(VALU_DEP_1) | instskip(SKIP_2) | instid1(VALU_DEP_3)
	v_pk_fma_f32 v[74:75], v[70:71], v[68:69], v[72:73] op_sel_hi:[1,0,1]
	v_add_nc_u32_e32 v67, 1, v67
	v_pk_fma_f32 v[68:69], v[70:71], v[68:69], v[72:73] neg_lo:[0,0,1] neg_hi:[0,0,1]
	v_mov_b32_e32 v69, v75
	s_delay_alu instid0(VALU_DEP_3) | instskip(NEXT) | instid1(VALU_DEP_2)
	v_cmp_lt_u32_e32 vcc_lo, 12, v67
	v_pk_add_f32 v[62:63], v[62:63], v[68:69]
	s_or_b32 s5, vcc_lo, s5
	s_delay_alu instid0(SALU_CYCLE_1)
	s_and_not1_b32 exec_lo, exec_lo, s5
	s_cbranch_execnz .LBB92_417
; %bb.418:
	s_or_b32 exec_lo, exec_lo, s5
.LBB92_419:
	s_delay_alu instid0(SALU_CYCLE_1) | instskip(SKIP_4) | instid1(VALU_DEP_1)
	s_or_b32 exec_lo, exec_lo, s4
	v_mov_b32_e32 v65, 0
	ds_load_b64 v[66:67], v65 offset:112
	s_wait_dscnt 0x0
	v_pk_mul_f32 v[68:69], v[62:63], v[66:67] op_sel:[1,1] op_sel_hi:[0,1]
	v_pk_fma_f32 v[70:71], v[62:63], v[66:67], v[68:69] op_sel_hi:[1,0,1]
	v_pk_fma_f32 v[62:63], v[62:63], v[66:67], v[68:69] neg_lo:[0,0,1] neg_hi:[0,0,1]
	s_delay_alu instid0(VALU_DEP_2)
	v_mov_b32_e32 v63, v71
	scratch_store_b64 off, v[62:63], off offset:112
.LBB92_420:
	s_wait_xcnt 0x0
	s_or_b32 exec_lo, exec_lo, s0
	scratch_load_b64 v[62:63], off, off offset:120
	s_mov_b32 s0, exec_lo
	s_wait_loadcnt 0x0
	ds_store_b64 v1, v[62:63]
	s_wait_storecnt_dscnt 0x0
	s_barrier_signal -1
	s_barrier_wait -1
	s_wait_xcnt 0x0
	v_cmpx_gt_u32_e32 15, v0
	s_cbranch_execz .LBB92_430
; %bb.421:
	v_cmp_ne_u32_e32 vcc_lo, 1, v64
	s_cbranch_vccnz .LBB92_423
; %bb.422:
	scratch_load_b64 v[62:63], v59, off
	ds_load_b64 v[66:67], v1
	s_wait_loadcnt_dscnt 0x0
	v_pk_mul_f32 v[68:69], v[66:67], v[62:63] op_sel:[1,1] op_sel_hi:[0,1]
	s_delay_alu instid0(VALU_DEP_1) | instskip(SKIP_1) | instid1(VALU_DEP_2)
	v_pk_fma_f32 v[70:71], v[66:67], v[62:63], v[68:69] op_sel_hi:[1,0,1]
	v_pk_fma_f32 v[62:63], v[66:67], v[62:63], v[68:69] neg_lo:[0,0,1] neg_hi:[0,0,1]
	v_mov_b32_e32 v63, v71
	s_cbranch_execz .LBB92_424
	s_branch .LBB92_425
.LBB92_423:
                                        ; implicit-def: $vgpr62_vgpr63
.LBB92_424:
	ds_load_b64 v[62:63], v1
.LBB92_425:
	s_mov_b32 s4, exec_lo
	v_cmpx_ne_u32_e32 14, v0
	s_cbranch_execz .LBB92_429
; %bb.426:
	v_add_nc_u32_e32 v65, 0xf8, v58
	v_add3_u32 v66, 0, v58, 8
	v_mov_b32_e32 v67, v0
	s_mov_b32 s5, 0
.LBB92_427:                             ; =>This Inner Loop Header: Depth=1
	scratch_load_b64 v[68:69], v66, off
	ds_load_b64 v[70:71], v65
	s_wait_xcnt 0x0
	v_dual_add_nc_u32 v65, 8, v65 :: v_dual_add_nc_u32 v66, 8, v66
	s_wait_loadcnt_dscnt 0x0
	v_pk_mul_f32 v[72:73], v[70:71], v[68:69] op_sel:[1,1] op_sel_hi:[0,1]
	s_delay_alu instid0(VALU_DEP_1) | instskip(SKIP_2) | instid1(VALU_DEP_3)
	v_pk_fma_f32 v[74:75], v[70:71], v[68:69], v[72:73] op_sel_hi:[1,0,1]
	v_add_nc_u32_e32 v67, 1, v67
	v_pk_fma_f32 v[68:69], v[70:71], v[68:69], v[72:73] neg_lo:[0,0,1] neg_hi:[0,0,1]
	v_mov_b32_e32 v69, v75
	s_delay_alu instid0(VALU_DEP_3) | instskip(NEXT) | instid1(VALU_DEP_2)
	v_cmp_lt_u32_e32 vcc_lo, 13, v67
	v_pk_add_f32 v[62:63], v[62:63], v[68:69]
	s_or_b32 s5, vcc_lo, s5
	s_delay_alu instid0(SALU_CYCLE_1)
	s_and_not1_b32 exec_lo, exec_lo, s5
	s_cbranch_execnz .LBB92_427
; %bb.428:
	s_or_b32 exec_lo, exec_lo, s5
.LBB92_429:
	s_delay_alu instid0(SALU_CYCLE_1) | instskip(SKIP_4) | instid1(VALU_DEP_1)
	s_or_b32 exec_lo, exec_lo, s4
	v_mov_b32_e32 v65, 0
	ds_load_b64 v[66:67], v65 offset:120
	s_wait_dscnt 0x0
	v_pk_mul_f32 v[68:69], v[62:63], v[66:67] op_sel:[1,1] op_sel_hi:[0,1]
	v_pk_fma_f32 v[70:71], v[62:63], v[66:67], v[68:69] op_sel_hi:[1,0,1]
	v_pk_fma_f32 v[62:63], v[62:63], v[66:67], v[68:69] neg_lo:[0,0,1] neg_hi:[0,0,1]
	s_delay_alu instid0(VALU_DEP_2)
	v_mov_b32_e32 v63, v71
	scratch_store_b64 off, v[62:63], off offset:120
.LBB92_430:
	s_wait_xcnt 0x0
	s_or_b32 exec_lo, exec_lo, s0
	scratch_load_b64 v[62:63], off, off offset:128
	s_mov_b32 s0, exec_lo
	s_wait_loadcnt 0x0
	ds_store_b64 v1, v[62:63]
	s_wait_storecnt_dscnt 0x0
	s_barrier_signal -1
	s_barrier_wait -1
	s_wait_xcnt 0x0
	v_cmpx_gt_u32_e32 16, v0
	s_cbranch_execz .LBB92_440
; %bb.431:
	v_cmp_ne_u32_e32 vcc_lo, 1, v64
	s_cbranch_vccnz .LBB92_433
; %bb.432:
	scratch_load_b64 v[62:63], v59, off
	ds_load_b64 v[66:67], v1
	s_wait_loadcnt_dscnt 0x0
	v_pk_mul_f32 v[68:69], v[66:67], v[62:63] op_sel:[1,1] op_sel_hi:[0,1]
	s_delay_alu instid0(VALU_DEP_1) | instskip(SKIP_1) | instid1(VALU_DEP_2)
	v_pk_fma_f32 v[70:71], v[66:67], v[62:63], v[68:69] op_sel_hi:[1,0,1]
	v_pk_fma_f32 v[62:63], v[66:67], v[62:63], v[68:69] neg_lo:[0,0,1] neg_hi:[0,0,1]
	v_mov_b32_e32 v63, v71
	s_cbranch_execz .LBB92_434
	s_branch .LBB92_435
.LBB92_433:
                                        ; implicit-def: $vgpr62_vgpr63
.LBB92_434:
	ds_load_b64 v[62:63], v1
.LBB92_435:
	s_mov_b32 s4, exec_lo
	v_cmpx_ne_u32_e32 15, v0
	s_cbranch_execz .LBB92_439
; %bb.436:
	v_add_nc_u32_e32 v65, 0xf8, v58
	v_add3_u32 v66, 0, v58, 8
	v_mov_b32_e32 v67, v0
	s_mov_b32 s5, 0
.LBB92_437:                             ; =>This Inner Loop Header: Depth=1
	scratch_load_b64 v[68:69], v66, off
	ds_load_b64 v[70:71], v65
	s_wait_xcnt 0x0
	v_dual_add_nc_u32 v65, 8, v65 :: v_dual_add_nc_u32 v66, 8, v66
	s_wait_loadcnt_dscnt 0x0
	v_pk_mul_f32 v[72:73], v[70:71], v[68:69] op_sel:[1,1] op_sel_hi:[0,1]
	s_delay_alu instid0(VALU_DEP_1) | instskip(SKIP_2) | instid1(VALU_DEP_3)
	v_pk_fma_f32 v[74:75], v[70:71], v[68:69], v[72:73] op_sel_hi:[1,0,1]
	v_add_nc_u32_e32 v67, 1, v67
	v_pk_fma_f32 v[68:69], v[70:71], v[68:69], v[72:73] neg_lo:[0,0,1] neg_hi:[0,0,1]
	v_mov_b32_e32 v69, v75
	s_delay_alu instid0(VALU_DEP_3) | instskip(NEXT) | instid1(VALU_DEP_2)
	v_cmp_lt_u32_e32 vcc_lo, 14, v67
	v_pk_add_f32 v[62:63], v[62:63], v[68:69]
	s_or_b32 s5, vcc_lo, s5
	s_delay_alu instid0(SALU_CYCLE_1)
	s_and_not1_b32 exec_lo, exec_lo, s5
	s_cbranch_execnz .LBB92_437
; %bb.438:
	s_or_b32 exec_lo, exec_lo, s5
.LBB92_439:
	s_delay_alu instid0(SALU_CYCLE_1) | instskip(SKIP_4) | instid1(VALU_DEP_1)
	s_or_b32 exec_lo, exec_lo, s4
	v_mov_b32_e32 v65, 0
	ds_load_b64 v[66:67], v65 offset:128
	s_wait_dscnt 0x0
	v_pk_mul_f32 v[68:69], v[62:63], v[66:67] op_sel:[1,1] op_sel_hi:[0,1]
	v_pk_fma_f32 v[70:71], v[62:63], v[66:67], v[68:69] op_sel_hi:[1,0,1]
	v_pk_fma_f32 v[62:63], v[62:63], v[66:67], v[68:69] neg_lo:[0,0,1] neg_hi:[0,0,1]
	s_delay_alu instid0(VALU_DEP_2)
	v_mov_b32_e32 v63, v71
	scratch_store_b64 off, v[62:63], off offset:128
.LBB92_440:
	s_wait_xcnt 0x0
	s_or_b32 exec_lo, exec_lo, s0
	scratch_load_b64 v[62:63], off, off offset:136
	s_mov_b32 s0, exec_lo
	s_wait_loadcnt 0x0
	ds_store_b64 v1, v[62:63]
	s_wait_storecnt_dscnt 0x0
	s_barrier_signal -1
	s_barrier_wait -1
	s_wait_xcnt 0x0
	v_cmpx_gt_u32_e32 17, v0
	s_cbranch_execz .LBB92_450
; %bb.441:
	v_cmp_ne_u32_e32 vcc_lo, 1, v64
	s_cbranch_vccnz .LBB92_443
; %bb.442:
	scratch_load_b64 v[62:63], v59, off
	ds_load_b64 v[66:67], v1
	s_wait_loadcnt_dscnt 0x0
	v_pk_mul_f32 v[68:69], v[66:67], v[62:63] op_sel:[1,1] op_sel_hi:[0,1]
	s_delay_alu instid0(VALU_DEP_1) | instskip(SKIP_1) | instid1(VALU_DEP_2)
	v_pk_fma_f32 v[70:71], v[66:67], v[62:63], v[68:69] op_sel_hi:[1,0,1]
	v_pk_fma_f32 v[62:63], v[66:67], v[62:63], v[68:69] neg_lo:[0,0,1] neg_hi:[0,0,1]
	v_mov_b32_e32 v63, v71
	s_cbranch_execz .LBB92_444
	s_branch .LBB92_445
.LBB92_443:
                                        ; implicit-def: $vgpr62_vgpr63
.LBB92_444:
	ds_load_b64 v[62:63], v1
.LBB92_445:
	s_mov_b32 s4, exec_lo
	v_cmpx_ne_u32_e32 16, v0
	s_cbranch_execz .LBB92_449
; %bb.446:
	v_add_nc_u32_e32 v65, 0xf8, v58
	v_add3_u32 v66, 0, v58, 8
	v_mov_b32_e32 v67, v0
	s_mov_b32 s5, 0
.LBB92_447:                             ; =>This Inner Loop Header: Depth=1
	scratch_load_b64 v[68:69], v66, off
	ds_load_b64 v[70:71], v65
	s_wait_xcnt 0x0
	v_dual_add_nc_u32 v65, 8, v65 :: v_dual_add_nc_u32 v66, 8, v66
	s_wait_loadcnt_dscnt 0x0
	v_pk_mul_f32 v[72:73], v[70:71], v[68:69] op_sel:[1,1] op_sel_hi:[0,1]
	s_delay_alu instid0(VALU_DEP_1) | instskip(SKIP_2) | instid1(VALU_DEP_3)
	v_pk_fma_f32 v[74:75], v[70:71], v[68:69], v[72:73] op_sel_hi:[1,0,1]
	v_add_nc_u32_e32 v67, 1, v67
	v_pk_fma_f32 v[68:69], v[70:71], v[68:69], v[72:73] neg_lo:[0,0,1] neg_hi:[0,0,1]
	v_mov_b32_e32 v69, v75
	s_delay_alu instid0(VALU_DEP_3) | instskip(NEXT) | instid1(VALU_DEP_2)
	v_cmp_lt_u32_e32 vcc_lo, 15, v67
	v_pk_add_f32 v[62:63], v[62:63], v[68:69]
	s_or_b32 s5, vcc_lo, s5
	s_delay_alu instid0(SALU_CYCLE_1)
	s_and_not1_b32 exec_lo, exec_lo, s5
	s_cbranch_execnz .LBB92_447
; %bb.448:
	s_or_b32 exec_lo, exec_lo, s5
.LBB92_449:
	s_delay_alu instid0(SALU_CYCLE_1) | instskip(SKIP_4) | instid1(VALU_DEP_1)
	s_or_b32 exec_lo, exec_lo, s4
	v_mov_b32_e32 v65, 0
	ds_load_b64 v[66:67], v65 offset:136
	s_wait_dscnt 0x0
	v_pk_mul_f32 v[68:69], v[62:63], v[66:67] op_sel:[1,1] op_sel_hi:[0,1]
	v_pk_fma_f32 v[70:71], v[62:63], v[66:67], v[68:69] op_sel_hi:[1,0,1]
	v_pk_fma_f32 v[62:63], v[62:63], v[66:67], v[68:69] neg_lo:[0,0,1] neg_hi:[0,0,1]
	s_delay_alu instid0(VALU_DEP_2)
	v_mov_b32_e32 v63, v71
	scratch_store_b64 off, v[62:63], off offset:136
.LBB92_450:
	s_wait_xcnt 0x0
	s_or_b32 exec_lo, exec_lo, s0
	scratch_load_b64 v[62:63], off, off offset:144
	s_mov_b32 s0, exec_lo
	s_wait_loadcnt 0x0
	ds_store_b64 v1, v[62:63]
	s_wait_storecnt_dscnt 0x0
	s_barrier_signal -1
	s_barrier_wait -1
	s_wait_xcnt 0x0
	v_cmpx_gt_u32_e32 18, v0
	s_cbranch_execz .LBB92_460
; %bb.451:
	v_cmp_ne_u32_e32 vcc_lo, 1, v64
	s_cbranch_vccnz .LBB92_453
; %bb.452:
	scratch_load_b64 v[62:63], v59, off
	ds_load_b64 v[66:67], v1
	s_wait_loadcnt_dscnt 0x0
	v_pk_mul_f32 v[68:69], v[66:67], v[62:63] op_sel:[1,1] op_sel_hi:[0,1]
	s_delay_alu instid0(VALU_DEP_1) | instskip(SKIP_1) | instid1(VALU_DEP_2)
	v_pk_fma_f32 v[70:71], v[66:67], v[62:63], v[68:69] op_sel_hi:[1,0,1]
	v_pk_fma_f32 v[62:63], v[66:67], v[62:63], v[68:69] neg_lo:[0,0,1] neg_hi:[0,0,1]
	v_mov_b32_e32 v63, v71
	s_cbranch_execz .LBB92_454
	s_branch .LBB92_455
.LBB92_453:
                                        ; implicit-def: $vgpr62_vgpr63
.LBB92_454:
	ds_load_b64 v[62:63], v1
.LBB92_455:
	s_mov_b32 s4, exec_lo
	v_cmpx_ne_u32_e32 17, v0
	s_cbranch_execz .LBB92_459
; %bb.456:
	v_add_nc_u32_e32 v65, 0xf8, v58
	v_add3_u32 v66, 0, v58, 8
	v_mov_b32_e32 v67, v0
	s_mov_b32 s5, 0
.LBB92_457:                             ; =>This Inner Loop Header: Depth=1
	scratch_load_b64 v[68:69], v66, off
	ds_load_b64 v[70:71], v65
	s_wait_xcnt 0x0
	v_dual_add_nc_u32 v65, 8, v65 :: v_dual_add_nc_u32 v66, 8, v66
	s_wait_loadcnt_dscnt 0x0
	v_pk_mul_f32 v[72:73], v[70:71], v[68:69] op_sel:[1,1] op_sel_hi:[0,1]
	s_delay_alu instid0(VALU_DEP_1) | instskip(SKIP_2) | instid1(VALU_DEP_3)
	v_pk_fma_f32 v[74:75], v[70:71], v[68:69], v[72:73] op_sel_hi:[1,0,1]
	v_add_nc_u32_e32 v67, 1, v67
	v_pk_fma_f32 v[68:69], v[70:71], v[68:69], v[72:73] neg_lo:[0,0,1] neg_hi:[0,0,1]
	v_mov_b32_e32 v69, v75
	s_delay_alu instid0(VALU_DEP_3) | instskip(NEXT) | instid1(VALU_DEP_2)
	v_cmp_lt_u32_e32 vcc_lo, 16, v67
	v_pk_add_f32 v[62:63], v[62:63], v[68:69]
	s_or_b32 s5, vcc_lo, s5
	s_delay_alu instid0(SALU_CYCLE_1)
	s_and_not1_b32 exec_lo, exec_lo, s5
	s_cbranch_execnz .LBB92_457
; %bb.458:
	s_or_b32 exec_lo, exec_lo, s5
.LBB92_459:
	s_delay_alu instid0(SALU_CYCLE_1) | instskip(SKIP_4) | instid1(VALU_DEP_1)
	s_or_b32 exec_lo, exec_lo, s4
	v_mov_b32_e32 v65, 0
	ds_load_b64 v[66:67], v65 offset:144
	s_wait_dscnt 0x0
	v_pk_mul_f32 v[68:69], v[62:63], v[66:67] op_sel:[1,1] op_sel_hi:[0,1]
	v_pk_fma_f32 v[70:71], v[62:63], v[66:67], v[68:69] op_sel_hi:[1,0,1]
	v_pk_fma_f32 v[62:63], v[62:63], v[66:67], v[68:69] neg_lo:[0,0,1] neg_hi:[0,0,1]
	s_delay_alu instid0(VALU_DEP_2)
	v_mov_b32_e32 v63, v71
	scratch_store_b64 off, v[62:63], off offset:144
.LBB92_460:
	s_wait_xcnt 0x0
	s_or_b32 exec_lo, exec_lo, s0
	scratch_load_b64 v[62:63], off, off offset:152
	s_mov_b32 s0, exec_lo
	s_wait_loadcnt 0x0
	ds_store_b64 v1, v[62:63]
	s_wait_storecnt_dscnt 0x0
	s_barrier_signal -1
	s_barrier_wait -1
	s_wait_xcnt 0x0
	v_cmpx_gt_u32_e32 19, v0
	s_cbranch_execz .LBB92_470
; %bb.461:
	v_cmp_ne_u32_e32 vcc_lo, 1, v64
	s_cbranch_vccnz .LBB92_463
; %bb.462:
	scratch_load_b64 v[62:63], v59, off
	ds_load_b64 v[66:67], v1
	s_wait_loadcnt_dscnt 0x0
	v_pk_mul_f32 v[68:69], v[66:67], v[62:63] op_sel:[1,1] op_sel_hi:[0,1]
	s_delay_alu instid0(VALU_DEP_1) | instskip(SKIP_1) | instid1(VALU_DEP_2)
	v_pk_fma_f32 v[70:71], v[66:67], v[62:63], v[68:69] op_sel_hi:[1,0,1]
	v_pk_fma_f32 v[62:63], v[66:67], v[62:63], v[68:69] neg_lo:[0,0,1] neg_hi:[0,0,1]
	v_mov_b32_e32 v63, v71
	s_cbranch_execz .LBB92_464
	s_branch .LBB92_465
.LBB92_463:
                                        ; implicit-def: $vgpr62_vgpr63
.LBB92_464:
	ds_load_b64 v[62:63], v1
.LBB92_465:
	s_mov_b32 s4, exec_lo
	v_cmpx_ne_u32_e32 18, v0
	s_cbranch_execz .LBB92_469
; %bb.466:
	v_add_nc_u32_e32 v65, 0xf8, v58
	v_add3_u32 v66, 0, v58, 8
	v_mov_b32_e32 v67, v0
	s_mov_b32 s5, 0
.LBB92_467:                             ; =>This Inner Loop Header: Depth=1
	scratch_load_b64 v[68:69], v66, off
	ds_load_b64 v[70:71], v65
	s_wait_xcnt 0x0
	v_dual_add_nc_u32 v65, 8, v65 :: v_dual_add_nc_u32 v66, 8, v66
	s_wait_loadcnt_dscnt 0x0
	v_pk_mul_f32 v[72:73], v[70:71], v[68:69] op_sel:[1,1] op_sel_hi:[0,1]
	s_delay_alu instid0(VALU_DEP_1) | instskip(SKIP_2) | instid1(VALU_DEP_3)
	v_pk_fma_f32 v[74:75], v[70:71], v[68:69], v[72:73] op_sel_hi:[1,0,1]
	v_add_nc_u32_e32 v67, 1, v67
	v_pk_fma_f32 v[68:69], v[70:71], v[68:69], v[72:73] neg_lo:[0,0,1] neg_hi:[0,0,1]
	v_mov_b32_e32 v69, v75
	s_delay_alu instid0(VALU_DEP_3) | instskip(NEXT) | instid1(VALU_DEP_2)
	v_cmp_lt_u32_e32 vcc_lo, 17, v67
	v_pk_add_f32 v[62:63], v[62:63], v[68:69]
	s_or_b32 s5, vcc_lo, s5
	s_delay_alu instid0(SALU_CYCLE_1)
	s_and_not1_b32 exec_lo, exec_lo, s5
	s_cbranch_execnz .LBB92_467
; %bb.468:
	s_or_b32 exec_lo, exec_lo, s5
.LBB92_469:
	s_delay_alu instid0(SALU_CYCLE_1) | instskip(SKIP_4) | instid1(VALU_DEP_1)
	s_or_b32 exec_lo, exec_lo, s4
	v_mov_b32_e32 v65, 0
	ds_load_b64 v[66:67], v65 offset:152
	s_wait_dscnt 0x0
	v_pk_mul_f32 v[68:69], v[62:63], v[66:67] op_sel:[1,1] op_sel_hi:[0,1]
	v_pk_fma_f32 v[70:71], v[62:63], v[66:67], v[68:69] op_sel_hi:[1,0,1]
	v_pk_fma_f32 v[62:63], v[62:63], v[66:67], v[68:69] neg_lo:[0,0,1] neg_hi:[0,0,1]
	s_delay_alu instid0(VALU_DEP_2)
	v_mov_b32_e32 v63, v71
	scratch_store_b64 off, v[62:63], off offset:152
.LBB92_470:
	s_wait_xcnt 0x0
	s_or_b32 exec_lo, exec_lo, s0
	scratch_load_b64 v[62:63], off, off offset:160
	s_mov_b32 s0, exec_lo
	s_wait_loadcnt 0x0
	ds_store_b64 v1, v[62:63]
	s_wait_storecnt_dscnt 0x0
	s_barrier_signal -1
	s_barrier_wait -1
	s_wait_xcnt 0x0
	v_cmpx_gt_u32_e32 20, v0
	s_cbranch_execz .LBB92_480
; %bb.471:
	v_cmp_ne_u32_e32 vcc_lo, 1, v64
	s_cbranch_vccnz .LBB92_473
; %bb.472:
	scratch_load_b64 v[62:63], v59, off
	ds_load_b64 v[66:67], v1
	s_wait_loadcnt_dscnt 0x0
	v_pk_mul_f32 v[68:69], v[66:67], v[62:63] op_sel:[1,1] op_sel_hi:[0,1]
	s_delay_alu instid0(VALU_DEP_1) | instskip(SKIP_1) | instid1(VALU_DEP_2)
	v_pk_fma_f32 v[70:71], v[66:67], v[62:63], v[68:69] op_sel_hi:[1,0,1]
	v_pk_fma_f32 v[62:63], v[66:67], v[62:63], v[68:69] neg_lo:[0,0,1] neg_hi:[0,0,1]
	v_mov_b32_e32 v63, v71
	s_cbranch_execz .LBB92_474
	s_branch .LBB92_475
.LBB92_473:
                                        ; implicit-def: $vgpr62_vgpr63
.LBB92_474:
	ds_load_b64 v[62:63], v1
.LBB92_475:
	s_mov_b32 s4, exec_lo
	v_cmpx_ne_u32_e32 19, v0
	s_cbranch_execz .LBB92_479
; %bb.476:
	v_add_nc_u32_e32 v65, 0xf8, v58
	v_add3_u32 v66, 0, v58, 8
	v_mov_b32_e32 v67, v0
	s_mov_b32 s5, 0
.LBB92_477:                             ; =>This Inner Loop Header: Depth=1
	scratch_load_b64 v[68:69], v66, off
	ds_load_b64 v[70:71], v65
	s_wait_xcnt 0x0
	v_dual_add_nc_u32 v65, 8, v65 :: v_dual_add_nc_u32 v66, 8, v66
	s_wait_loadcnt_dscnt 0x0
	v_pk_mul_f32 v[72:73], v[70:71], v[68:69] op_sel:[1,1] op_sel_hi:[0,1]
	s_delay_alu instid0(VALU_DEP_1) | instskip(SKIP_2) | instid1(VALU_DEP_3)
	v_pk_fma_f32 v[74:75], v[70:71], v[68:69], v[72:73] op_sel_hi:[1,0,1]
	v_add_nc_u32_e32 v67, 1, v67
	v_pk_fma_f32 v[68:69], v[70:71], v[68:69], v[72:73] neg_lo:[0,0,1] neg_hi:[0,0,1]
	v_mov_b32_e32 v69, v75
	s_delay_alu instid0(VALU_DEP_3) | instskip(NEXT) | instid1(VALU_DEP_2)
	v_cmp_lt_u32_e32 vcc_lo, 18, v67
	v_pk_add_f32 v[62:63], v[62:63], v[68:69]
	s_or_b32 s5, vcc_lo, s5
	s_delay_alu instid0(SALU_CYCLE_1)
	s_and_not1_b32 exec_lo, exec_lo, s5
	s_cbranch_execnz .LBB92_477
; %bb.478:
	s_or_b32 exec_lo, exec_lo, s5
.LBB92_479:
	s_delay_alu instid0(SALU_CYCLE_1) | instskip(SKIP_4) | instid1(VALU_DEP_1)
	s_or_b32 exec_lo, exec_lo, s4
	v_mov_b32_e32 v65, 0
	ds_load_b64 v[66:67], v65 offset:160
	s_wait_dscnt 0x0
	v_pk_mul_f32 v[68:69], v[62:63], v[66:67] op_sel:[1,1] op_sel_hi:[0,1]
	v_pk_fma_f32 v[70:71], v[62:63], v[66:67], v[68:69] op_sel_hi:[1,0,1]
	v_pk_fma_f32 v[62:63], v[62:63], v[66:67], v[68:69] neg_lo:[0,0,1] neg_hi:[0,0,1]
	s_delay_alu instid0(VALU_DEP_2)
	v_mov_b32_e32 v63, v71
	scratch_store_b64 off, v[62:63], off offset:160
.LBB92_480:
	s_wait_xcnt 0x0
	s_or_b32 exec_lo, exec_lo, s0
	scratch_load_b64 v[62:63], off, off offset:168
	s_mov_b32 s0, exec_lo
	s_wait_loadcnt 0x0
	ds_store_b64 v1, v[62:63]
	s_wait_storecnt_dscnt 0x0
	s_barrier_signal -1
	s_barrier_wait -1
	s_wait_xcnt 0x0
	v_cmpx_gt_u32_e32 21, v0
	s_cbranch_execz .LBB92_490
; %bb.481:
	v_cmp_ne_u32_e32 vcc_lo, 1, v64
	s_cbranch_vccnz .LBB92_483
; %bb.482:
	scratch_load_b64 v[62:63], v59, off
	ds_load_b64 v[66:67], v1
	s_wait_loadcnt_dscnt 0x0
	v_pk_mul_f32 v[68:69], v[66:67], v[62:63] op_sel:[1,1] op_sel_hi:[0,1]
	s_delay_alu instid0(VALU_DEP_1) | instskip(SKIP_1) | instid1(VALU_DEP_2)
	v_pk_fma_f32 v[70:71], v[66:67], v[62:63], v[68:69] op_sel_hi:[1,0,1]
	v_pk_fma_f32 v[62:63], v[66:67], v[62:63], v[68:69] neg_lo:[0,0,1] neg_hi:[0,0,1]
	v_mov_b32_e32 v63, v71
	s_cbranch_execz .LBB92_484
	s_branch .LBB92_485
.LBB92_483:
                                        ; implicit-def: $vgpr62_vgpr63
.LBB92_484:
	ds_load_b64 v[62:63], v1
.LBB92_485:
	s_mov_b32 s4, exec_lo
	v_cmpx_ne_u32_e32 20, v0
	s_cbranch_execz .LBB92_489
; %bb.486:
	v_add_nc_u32_e32 v65, 0xf8, v58
	v_add3_u32 v66, 0, v58, 8
	v_mov_b32_e32 v67, v0
	s_mov_b32 s5, 0
.LBB92_487:                             ; =>This Inner Loop Header: Depth=1
	scratch_load_b64 v[68:69], v66, off
	ds_load_b64 v[70:71], v65
	s_wait_xcnt 0x0
	v_dual_add_nc_u32 v65, 8, v65 :: v_dual_add_nc_u32 v66, 8, v66
	s_wait_loadcnt_dscnt 0x0
	v_pk_mul_f32 v[72:73], v[70:71], v[68:69] op_sel:[1,1] op_sel_hi:[0,1]
	s_delay_alu instid0(VALU_DEP_1) | instskip(SKIP_2) | instid1(VALU_DEP_3)
	v_pk_fma_f32 v[74:75], v[70:71], v[68:69], v[72:73] op_sel_hi:[1,0,1]
	v_add_nc_u32_e32 v67, 1, v67
	v_pk_fma_f32 v[68:69], v[70:71], v[68:69], v[72:73] neg_lo:[0,0,1] neg_hi:[0,0,1]
	v_mov_b32_e32 v69, v75
	s_delay_alu instid0(VALU_DEP_3) | instskip(NEXT) | instid1(VALU_DEP_2)
	v_cmp_lt_u32_e32 vcc_lo, 19, v67
	v_pk_add_f32 v[62:63], v[62:63], v[68:69]
	s_or_b32 s5, vcc_lo, s5
	s_delay_alu instid0(SALU_CYCLE_1)
	s_and_not1_b32 exec_lo, exec_lo, s5
	s_cbranch_execnz .LBB92_487
; %bb.488:
	s_or_b32 exec_lo, exec_lo, s5
.LBB92_489:
	s_delay_alu instid0(SALU_CYCLE_1) | instskip(SKIP_4) | instid1(VALU_DEP_1)
	s_or_b32 exec_lo, exec_lo, s4
	v_mov_b32_e32 v65, 0
	ds_load_b64 v[66:67], v65 offset:168
	s_wait_dscnt 0x0
	v_pk_mul_f32 v[68:69], v[62:63], v[66:67] op_sel:[1,1] op_sel_hi:[0,1]
	v_pk_fma_f32 v[70:71], v[62:63], v[66:67], v[68:69] op_sel_hi:[1,0,1]
	v_pk_fma_f32 v[62:63], v[62:63], v[66:67], v[68:69] neg_lo:[0,0,1] neg_hi:[0,0,1]
	s_delay_alu instid0(VALU_DEP_2)
	v_mov_b32_e32 v63, v71
	scratch_store_b64 off, v[62:63], off offset:168
.LBB92_490:
	s_wait_xcnt 0x0
	s_or_b32 exec_lo, exec_lo, s0
	scratch_load_b64 v[62:63], off, off offset:176
	s_mov_b32 s0, exec_lo
	s_wait_loadcnt 0x0
	ds_store_b64 v1, v[62:63]
	s_wait_storecnt_dscnt 0x0
	s_barrier_signal -1
	s_barrier_wait -1
	s_wait_xcnt 0x0
	v_cmpx_gt_u32_e32 22, v0
	s_cbranch_execz .LBB92_500
; %bb.491:
	v_cmp_ne_u32_e32 vcc_lo, 1, v64
	s_cbranch_vccnz .LBB92_493
; %bb.492:
	scratch_load_b64 v[62:63], v59, off
	ds_load_b64 v[66:67], v1
	s_wait_loadcnt_dscnt 0x0
	v_pk_mul_f32 v[68:69], v[66:67], v[62:63] op_sel:[1,1] op_sel_hi:[0,1]
	s_delay_alu instid0(VALU_DEP_1) | instskip(SKIP_1) | instid1(VALU_DEP_2)
	v_pk_fma_f32 v[70:71], v[66:67], v[62:63], v[68:69] op_sel_hi:[1,0,1]
	v_pk_fma_f32 v[62:63], v[66:67], v[62:63], v[68:69] neg_lo:[0,0,1] neg_hi:[0,0,1]
	v_mov_b32_e32 v63, v71
	s_cbranch_execz .LBB92_494
	s_branch .LBB92_495
.LBB92_493:
                                        ; implicit-def: $vgpr62_vgpr63
.LBB92_494:
	ds_load_b64 v[62:63], v1
.LBB92_495:
	s_mov_b32 s4, exec_lo
	v_cmpx_ne_u32_e32 21, v0
	s_cbranch_execz .LBB92_499
; %bb.496:
	v_add_nc_u32_e32 v65, 0xf8, v58
	v_add3_u32 v66, 0, v58, 8
	v_mov_b32_e32 v67, v0
	s_mov_b32 s5, 0
.LBB92_497:                             ; =>This Inner Loop Header: Depth=1
	scratch_load_b64 v[68:69], v66, off
	ds_load_b64 v[70:71], v65
	s_wait_xcnt 0x0
	v_dual_add_nc_u32 v65, 8, v65 :: v_dual_add_nc_u32 v66, 8, v66
	s_wait_loadcnt_dscnt 0x0
	v_pk_mul_f32 v[72:73], v[70:71], v[68:69] op_sel:[1,1] op_sel_hi:[0,1]
	s_delay_alu instid0(VALU_DEP_1) | instskip(SKIP_2) | instid1(VALU_DEP_3)
	v_pk_fma_f32 v[74:75], v[70:71], v[68:69], v[72:73] op_sel_hi:[1,0,1]
	v_add_nc_u32_e32 v67, 1, v67
	v_pk_fma_f32 v[68:69], v[70:71], v[68:69], v[72:73] neg_lo:[0,0,1] neg_hi:[0,0,1]
	v_mov_b32_e32 v69, v75
	s_delay_alu instid0(VALU_DEP_3) | instskip(NEXT) | instid1(VALU_DEP_2)
	v_cmp_lt_u32_e32 vcc_lo, 20, v67
	v_pk_add_f32 v[62:63], v[62:63], v[68:69]
	s_or_b32 s5, vcc_lo, s5
	s_delay_alu instid0(SALU_CYCLE_1)
	s_and_not1_b32 exec_lo, exec_lo, s5
	s_cbranch_execnz .LBB92_497
; %bb.498:
	s_or_b32 exec_lo, exec_lo, s5
.LBB92_499:
	s_delay_alu instid0(SALU_CYCLE_1) | instskip(SKIP_4) | instid1(VALU_DEP_1)
	s_or_b32 exec_lo, exec_lo, s4
	v_mov_b32_e32 v65, 0
	ds_load_b64 v[66:67], v65 offset:176
	s_wait_dscnt 0x0
	v_pk_mul_f32 v[68:69], v[62:63], v[66:67] op_sel:[1,1] op_sel_hi:[0,1]
	v_pk_fma_f32 v[70:71], v[62:63], v[66:67], v[68:69] op_sel_hi:[1,0,1]
	v_pk_fma_f32 v[62:63], v[62:63], v[66:67], v[68:69] neg_lo:[0,0,1] neg_hi:[0,0,1]
	s_delay_alu instid0(VALU_DEP_2)
	v_mov_b32_e32 v63, v71
	scratch_store_b64 off, v[62:63], off offset:176
.LBB92_500:
	s_wait_xcnt 0x0
	s_or_b32 exec_lo, exec_lo, s0
	scratch_load_b64 v[62:63], off, off offset:184
	s_mov_b32 s0, exec_lo
	s_wait_loadcnt 0x0
	ds_store_b64 v1, v[62:63]
	s_wait_storecnt_dscnt 0x0
	s_barrier_signal -1
	s_barrier_wait -1
	s_wait_xcnt 0x0
	v_cmpx_gt_u32_e32 23, v0
	s_cbranch_execz .LBB92_510
; %bb.501:
	v_cmp_ne_u32_e32 vcc_lo, 1, v64
	s_cbranch_vccnz .LBB92_503
; %bb.502:
	scratch_load_b64 v[62:63], v59, off
	ds_load_b64 v[66:67], v1
	s_wait_loadcnt_dscnt 0x0
	v_pk_mul_f32 v[68:69], v[66:67], v[62:63] op_sel:[1,1] op_sel_hi:[0,1]
	s_delay_alu instid0(VALU_DEP_1) | instskip(SKIP_1) | instid1(VALU_DEP_2)
	v_pk_fma_f32 v[70:71], v[66:67], v[62:63], v[68:69] op_sel_hi:[1,0,1]
	v_pk_fma_f32 v[62:63], v[66:67], v[62:63], v[68:69] neg_lo:[0,0,1] neg_hi:[0,0,1]
	v_mov_b32_e32 v63, v71
	s_cbranch_execz .LBB92_504
	s_branch .LBB92_505
.LBB92_503:
                                        ; implicit-def: $vgpr62_vgpr63
.LBB92_504:
	ds_load_b64 v[62:63], v1
.LBB92_505:
	s_mov_b32 s4, exec_lo
	v_cmpx_ne_u32_e32 22, v0
	s_cbranch_execz .LBB92_509
; %bb.506:
	v_add_nc_u32_e32 v65, 0xf8, v58
	v_add3_u32 v66, 0, v58, 8
	v_mov_b32_e32 v67, v0
	s_mov_b32 s5, 0
.LBB92_507:                             ; =>This Inner Loop Header: Depth=1
	scratch_load_b64 v[68:69], v66, off
	ds_load_b64 v[70:71], v65
	s_wait_xcnt 0x0
	v_dual_add_nc_u32 v65, 8, v65 :: v_dual_add_nc_u32 v66, 8, v66
	s_wait_loadcnt_dscnt 0x0
	v_pk_mul_f32 v[72:73], v[70:71], v[68:69] op_sel:[1,1] op_sel_hi:[0,1]
	s_delay_alu instid0(VALU_DEP_1) | instskip(SKIP_2) | instid1(VALU_DEP_3)
	v_pk_fma_f32 v[74:75], v[70:71], v[68:69], v[72:73] op_sel_hi:[1,0,1]
	v_add_nc_u32_e32 v67, 1, v67
	v_pk_fma_f32 v[68:69], v[70:71], v[68:69], v[72:73] neg_lo:[0,0,1] neg_hi:[0,0,1]
	v_mov_b32_e32 v69, v75
	s_delay_alu instid0(VALU_DEP_3) | instskip(NEXT) | instid1(VALU_DEP_2)
	v_cmp_lt_u32_e32 vcc_lo, 21, v67
	v_pk_add_f32 v[62:63], v[62:63], v[68:69]
	s_or_b32 s5, vcc_lo, s5
	s_delay_alu instid0(SALU_CYCLE_1)
	s_and_not1_b32 exec_lo, exec_lo, s5
	s_cbranch_execnz .LBB92_507
; %bb.508:
	s_or_b32 exec_lo, exec_lo, s5
.LBB92_509:
	s_delay_alu instid0(SALU_CYCLE_1) | instskip(SKIP_4) | instid1(VALU_DEP_1)
	s_or_b32 exec_lo, exec_lo, s4
	v_mov_b32_e32 v65, 0
	ds_load_b64 v[66:67], v65 offset:184
	s_wait_dscnt 0x0
	v_pk_mul_f32 v[68:69], v[62:63], v[66:67] op_sel:[1,1] op_sel_hi:[0,1]
	v_pk_fma_f32 v[70:71], v[62:63], v[66:67], v[68:69] op_sel_hi:[1,0,1]
	v_pk_fma_f32 v[62:63], v[62:63], v[66:67], v[68:69] neg_lo:[0,0,1] neg_hi:[0,0,1]
	s_delay_alu instid0(VALU_DEP_2)
	v_mov_b32_e32 v63, v71
	scratch_store_b64 off, v[62:63], off offset:184
.LBB92_510:
	s_wait_xcnt 0x0
	s_or_b32 exec_lo, exec_lo, s0
	scratch_load_b64 v[62:63], off, off offset:192
	s_mov_b32 s0, exec_lo
	s_wait_loadcnt 0x0
	ds_store_b64 v1, v[62:63]
	s_wait_storecnt_dscnt 0x0
	s_barrier_signal -1
	s_barrier_wait -1
	s_wait_xcnt 0x0
	v_cmpx_gt_u32_e32 24, v0
	s_cbranch_execz .LBB92_520
; %bb.511:
	v_cmp_ne_u32_e32 vcc_lo, 1, v64
	s_cbranch_vccnz .LBB92_513
; %bb.512:
	scratch_load_b64 v[62:63], v59, off
	ds_load_b64 v[66:67], v1
	s_wait_loadcnt_dscnt 0x0
	v_pk_mul_f32 v[68:69], v[66:67], v[62:63] op_sel:[1,1] op_sel_hi:[0,1]
	s_delay_alu instid0(VALU_DEP_1) | instskip(SKIP_1) | instid1(VALU_DEP_2)
	v_pk_fma_f32 v[70:71], v[66:67], v[62:63], v[68:69] op_sel_hi:[1,0,1]
	v_pk_fma_f32 v[62:63], v[66:67], v[62:63], v[68:69] neg_lo:[0,0,1] neg_hi:[0,0,1]
	v_mov_b32_e32 v63, v71
	s_cbranch_execz .LBB92_514
	s_branch .LBB92_515
.LBB92_513:
                                        ; implicit-def: $vgpr62_vgpr63
.LBB92_514:
	ds_load_b64 v[62:63], v1
.LBB92_515:
	s_mov_b32 s4, exec_lo
	v_cmpx_ne_u32_e32 23, v0
	s_cbranch_execz .LBB92_519
; %bb.516:
	v_add_nc_u32_e32 v65, 0xf8, v58
	v_add3_u32 v66, 0, v58, 8
	v_mov_b32_e32 v67, v0
	s_mov_b32 s5, 0
.LBB92_517:                             ; =>This Inner Loop Header: Depth=1
	scratch_load_b64 v[68:69], v66, off
	ds_load_b64 v[70:71], v65
	s_wait_xcnt 0x0
	v_dual_add_nc_u32 v65, 8, v65 :: v_dual_add_nc_u32 v66, 8, v66
	s_wait_loadcnt_dscnt 0x0
	v_pk_mul_f32 v[72:73], v[70:71], v[68:69] op_sel:[1,1] op_sel_hi:[0,1]
	s_delay_alu instid0(VALU_DEP_1) | instskip(SKIP_2) | instid1(VALU_DEP_3)
	v_pk_fma_f32 v[74:75], v[70:71], v[68:69], v[72:73] op_sel_hi:[1,0,1]
	v_add_nc_u32_e32 v67, 1, v67
	v_pk_fma_f32 v[68:69], v[70:71], v[68:69], v[72:73] neg_lo:[0,0,1] neg_hi:[0,0,1]
	v_mov_b32_e32 v69, v75
	s_delay_alu instid0(VALU_DEP_3) | instskip(NEXT) | instid1(VALU_DEP_2)
	v_cmp_lt_u32_e32 vcc_lo, 22, v67
	v_pk_add_f32 v[62:63], v[62:63], v[68:69]
	s_or_b32 s5, vcc_lo, s5
	s_delay_alu instid0(SALU_CYCLE_1)
	s_and_not1_b32 exec_lo, exec_lo, s5
	s_cbranch_execnz .LBB92_517
; %bb.518:
	s_or_b32 exec_lo, exec_lo, s5
.LBB92_519:
	s_delay_alu instid0(SALU_CYCLE_1) | instskip(SKIP_4) | instid1(VALU_DEP_1)
	s_or_b32 exec_lo, exec_lo, s4
	v_mov_b32_e32 v65, 0
	ds_load_b64 v[66:67], v65 offset:192
	s_wait_dscnt 0x0
	v_pk_mul_f32 v[68:69], v[62:63], v[66:67] op_sel:[1,1] op_sel_hi:[0,1]
	v_pk_fma_f32 v[70:71], v[62:63], v[66:67], v[68:69] op_sel_hi:[1,0,1]
	v_pk_fma_f32 v[62:63], v[62:63], v[66:67], v[68:69] neg_lo:[0,0,1] neg_hi:[0,0,1]
	s_delay_alu instid0(VALU_DEP_2)
	v_mov_b32_e32 v63, v71
	scratch_store_b64 off, v[62:63], off offset:192
.LBB92_520:
	s_wait_xcnt 0x0
	s_or_b32 exec_lo, exec_lo, s0
	scratch_load_b64 v[62:63], off, off offset:200
	s_mov_b32 s0, exec_lo
	s_wait_loadcnt 0x0
	ds_store_b64 v1, v[62:63]
	s_wait_storecnt_dscnt 0x0
	s_barrier_signal -1
	s_barrier_wait -1
	s_wait_xcnt 0x0
	v_cmpx_gt_u32_e32 25, v0
	s_cbranch_execz .LBB92_530
; %bb.521:
	v_cmp_ne_u32_e32 vcc_lo, 1, v64
	s_cbranch_vccnz .LBB92_523
; %bb.522:
	scratch_load_b64 v[62:63], v59, off
	ds_load_b64 v[66:67], v1
	s_wait_loadcnt_dscnt 0x0
	v_pk_mul_f32 v[68:69], v[66:67], v[62:63] op_sel:[1,1] op_sel_hi:[0,1]
	s_delay_alu instid0(VALU_DEP_1) | instskip(SKIP_1) | instid1(VALU_DEP_2)
	v_pk_fma_f32 v[70:71], v[66:67], v[62:63], v[68:69] op_sel_hi:[1,0,1]
	v_pk_fma_f32 v[62:63], v[66:67], v[62:63], v[68:69] neg_lo:[0,0,1] neg_hi:[0,0,1]
	v_mov_b32_e32 v63, v71
	s_cbranch_execz .LBB92_524
	s_branch .LBB92_525
.LBB92_523:
                                        ; implicit-def: $vgpr62_vgpr63
.LBB92_524:
	ds_load_b64 v[62:63], v1
.LBB92_525:
	s_mov_b32 s4, exec_lo
	v_cmpx_ne_u32_e32 24, v0
	s_cbranch_execz .LBB92_529
; %bb.526:
	v_add_nc_u32_e32 v65, 0xf8, v58
	v_add3_u32 v66, 0, v58, 8
	v_mov_b32_e32 v67, v0
	s_mov_b32 s5, 0
.LBB92_527:                             ; =>This Inner Loop Header: Depth=1
	scratch_load_b64 v[68:69], v66, off
	ds_load_b64 v[70:71], v65
	s_wait_xcnt 0x0
	v_dual_add_nc_u32 v65, 8, v65 :: v_dual_add_nc_u32 v66, 8, v66
	s_wait_loadcnt_dscnt 0x0
	v_pk_mul_f32 v[72:73], v[70:71], v[68:69] op_sel:[1,1] op_sel_hi:[0,1]
	s_delay_alu instid0(VALU_DEP_1) | instskip(SKIP_2) | instid1(VALU_DEP_3)
	v_pk_fma_f32 v[74:75], v[70:71], v[68:69], v[72:73] op_sel_hi:[1,0,1]
	v_add_nc_u32_e32 v67, 1, v67
	v_pk_fma_f32 v[68:69], v[70:71], v[68:69], v[72:73] neg_lo:[0,0,1] neg_hi:[0,0,1]
	v_mov_b32_e32 v69, v75
	s_delay_alu instid0(VALU_DEP_3) | instskip(NEXT) | instid1(VALU_DEP_2)
	v_cmp_lt_u32_e32 vcc_lo, 23, v67
	v_pk_add_f32 v[62:63], v[62:63], v[68:69]
	s_or_b32 s5, vcc_lo, s5
	s_delay_alu instid0(SALU_CYCLE_1)
	s_and_not1_b32 exec_lo, exec_lo, s5
	s_cbranch_execnz .LBB92_527
; %bb.528:
	s_or_b32 exec_lo, exec_lo, s5
.LBB92_529:
	s_delay_alu instid0(SALU_CYCLE_1) | instskip(SKIP_4) | instid1(VALU_DEP_1)
	s_or_b32 exec_lo, exec_lo, s4
	v_mov_b32_e32 v65, 0
	ds_load_b64 v[66:67], v65 offset:200
	s_wait_dscnt 0x0
	v_pk_mul_f32 v[68:69], v[62:63], v[66:67] op_sel:[1,1] op_sel_hi:[0,1]
	v_pk_fma_f32 v[70:71], v[62:63], v[66:67], v[68:69] op_sel_hi:[1,0,1]
	v_pk_fma_f32 v[62:63], v[62:63], v[66:67], v[68:69] neg_lo:[0,0,1] neg_hi:[0,0,1]
	s_delay_alu instid0(VALU_DEP_2)
	v_mov_b32_e32 v63, v71
	scratch_store_b64 off, v[62:63], off offset:200
.LBB92_530:
	s_wait_xcnt 0x0
	s_or_b32 exec_lo, exec_lo, s0
	scratch_load_b64 v[62:63], off, off offset:208
	s_mov_b32 s0, exec_lo
	s_wait_loadcnt 0x0
	ds_store_b64 v1, v[62:63]
	s_wait_storecnt_dscnt 0x0
	s_barrier_signal -1
	s_barrier_wait -1
	s_wait_xcnt 0x0
	v_cmpx_gt_u32_e32 26, v0
	s_cbranch_execz .LBB92_540
; %bb.531:
	v_cmp_ne_u32_e32 vcc_lo, 1, v64
	s_cbranch_vccnz .LBB92_533
; %bb.532:
	scratch_load_b64 v[62:63], v59, off
	ds_load_b64 v[66:67], v1
	s_wait_loadcnt_dscnt 0x0
	v_pk_mul_f32 v[68:69], v[66:67], v[62:63] op_sel:[1,1] op_sel_hi:[0,1]
	s_delay_alu instid0(VALU_DEP_1) | instskip(SKIP_1) | instid1(VALU_DEP_2)
	v_pk_fma_f32 v[70:71], v[66:67], v[62:63], v[68:69] op_sel_hi:[1,0,1]
	v_pk_fma_f32 v[62:63], v[66:67], v[62:63], v[68:69] neg_lo:[0,0,1] neg_hi:[0,0,1]
	v_mov_b32_e32 v63, v71
	s_cbranch_execz .LBB92_534
	s_branch .LBB92_535
.LBB92_533:
                                        ; implicit-def: $vgpr62_vgpr63
.LBB92_534:
	ds_load_b64 v[62:63], v1
.LBB92_535:
	s_mov_b32 s4, exec_lo
	v_cmpx_ne_u32_e32 25, v0
	s_cbranch_execz .LBB92_539
; %bb.536:
	v_add_nc_u32_e32 v65, 0xf8, v58
	v_add3_u32 v66, 0, v58, 8
	v_mov_b32_e32 v67, v0
	s_mov_b32 s5, 0
.LBB92_537:                             ; =>This Inner Loop Header: Depth=1
	scratch_load_b64 v[68:69], v66, off
	ds_load_b64 v[70:71], v65
	s_wait_xcnt 0x0
	v_dual_add_nc_u32 v65, 8, v65 :: v_dual_add_nc_u32 v66, 8, v66
	s_wait_loadcnt_dscnt 0x0
	v_pk_mul_f32 v[72:73], v[70:71], v[68:69] op_sel:[1,1] op_sel_hi:[0,1]
	s_delay_alu instid0(VALU_DEP_1) | instskip(SKIP_2) | instid1(VALU_DEP_3)
	v_pk_fma_f32 v[74:75], v[70:71], v[68:69], v[72:73] op_sel_hi:[1,0,1]
	v_add_nc_u32_e32 v67, 1, v67
	v_pk_fma_f32 v[68:69], v[70:71], v[68:69], v[72:73] neg_lo:[0,0,1] neg_hi:[0,0,1]
	v_mov_b32_e32 v69, v75
	s_delay_alu instid0(VALU_DEP_3) | instskip(NEXT) | instid1(VALU_DEP_2)
	v_cmp_lt_u32_e32 vcc_lo, 24, v67
	v_pk_add_f32 v[62:63], v[62:63], v[68:69]
	s_or_b32 s5, vcc_lo, s5
	s_delay_alu instid0(SALU_CYCLE_1)
	s_and_not1_b32 exec_lo, exec_lo, s5
	s_cbranch_execnz .LBB92_537
; %bb.538:
	s_or_b32 exec_lo, exec_lo, s5
.LBB92_539:
	s_delay_alu instid0(SALU_CYCLE_1) | instskip(SKIP_4) | instid1(VALU_DEP_1)
	s_or_b32 exec_lo, exec_lo, s4
	v_mov_b32_e32 v65, 0
	ds_load_b64 v[66:67], v65 offset:208
	s_wait_dscnt 0x0
	v_pk_mul_f32 v[68:69], v[62:63], v[66:67] op_sel:[1,1] op_sel_hi:[0,1]
	v_pk_fma_f32 v[70:71], v[62:63], v[66:67], v[68:69] op_sel_hi:[1,0,1]
	v_pk_fma_f32 v[62:63], v[62:63], v[66:67], v[68:69] neg_lo:[0,0,1] neg_hi:[0,0,1]
	s_delay_alu instid0(VALU_DEP_2)
	v_mov_b32_e32 v63, v71
	scratch_store_b64 off, v[62:63], off offset:208
.LBB92_540:
	s_wait_xcnt 0x0
	s_or_b32 exec_lo, exec_lo, s0
	scratch_load_b64 v[62:63], off, off offset:216
	v_cmp_gt_u32_e64 s0, 27, v0
	s_wait_loadcnt 0x0
	ds_store_b64 v1, v[62:63]
	s_wait_storecnt_dscnt 0x0
	s_barrier_signal -1
	s_barrier_wait -1
	s_wait_xcnt 0x0
	s_and_saveexec_b32 s4, s0
	s_cbranch_execz .LBB92_550
; %bb.541:
	v_cmp_ne_u32_e32 vcc_lo, 1, v64
	s_cbranch_vccnz .LBB92_543
; %bb.542:
	scratch_load_b64 v[62:63], v59, off
	ds_load_b64 v[66:67], v1
	s_wait_loadcnt_dscnt 0x0
	v_pk_mul_f32 v[68:69], v[66:67], v[62:63] op_sel:[1,1] op_sel_hi:[0,1]
	s_delay_alu instid0(VALU_DEP_1) | instskip(SKIP_1) | instid1(VALU_DEP_2)
	v_pk_fma_f32 v[70:71], v[66:67], v[62:63], v[68:69] op_sel_hi:[1,0,1]
	v_pk_fma_f32 v[62:63], v[66:67], v[62:63], v[68:69] neg_lo:[0,0,1] neg_hi:[0,0,1]
	v_mov_b32_e32 v63, v71
	s_cbranch_execz .LBB92_544
	s_branch .LBB92_545
.LBB92_543:
                                        ; implicit-def: $vgpr62_vgpr63
.LBB92_544:
	ds_load_b64 v[62:63], v1
.LBB92_545:
	s_mov_b32 s5, exec_lo
	v_cmpx_ne_u32_e32 26, v0
	s_cbranch_execz .LBB92_549
; %bb.546:
	v_add_nc_u32_e32 v65, 0xf8, v58
	v_add3_u32 v66, 0, v58, 8
	v_mov_b32_e32 v67, v0
	s_mov_b32 s6, 0
.LBB92_547:                             ; =>This Inner Loop Header: Depth=1
	scratch_load_b64 v[68:69], v66, off
	ds_load_b64 v[70:71], v65
	s_wait_xcnt 0x0
	v_dual_add_nc_u32 v65, 8, v65 :: v_dual_add_nc_u32 v66, 8, v66
	s_wait_loadcnt_dscnt 0x0
	v_pk_mul_f32 v[72:73], v[70:71], v[68:69] op_sel:[1,1] op_sel_hi:[0,1]
	s_delay_alu instid0(VALU_DEP_1) | instskip(SKIP_2) | instid1(VALU_DEP_3)
	v_pk_fma_f32 v[74:75], v[70:71], v[68:69], v[72:73] op_sel_hi:[1,0,1]
	v_add_nc_u32_e32 v67, 1, v67
	v_pk_fma_f32 v[68:69], v[70:71], v[68:69], v[72:73] neg_lo:[0,0,1] neg_hi:[0,0,1]
	v_mov_b32_e32 v69, v75
	s_delay_alu instid0(VALU_DEP_3) | instskip(NEXT) | instid1(VALU_DEP_2)
	v_cmp_lt_u32_e32 vcc_lo, 25, v67
	v_pk_add_f32 v[62:63], v[62:63], v[68:69]
	s_or_b32 s6, vcc_lo, s6
	s_delay_alu instid0(SALU_CYCLE_1)
	s_and_not1_b32 exec_lo, exec_lo, s6
	s_cbranch_execnz .LBB92_547
; %bb.548:
	s_or_b32 exec_lo, exec_lo, s6
.LBB92_549:
	s_delay_alu instid0(SALU_CYCLE_1) | instskip(SKIP_4) | instid1(VALU_DEP_1)
	s_or_b32 exec_lo, exec_lo, s5
	v_mov_b32_e32 v65, 0
	ds_load_b64 v[66:67], v65 offset:216
	s_wait_dscnt 0x0
	v_pk_mul_f32 v[68:69], v[62:63], v[66:67] op_sel:[1,1] op_sel_hi:[0,1]
	v_pk_fma_f32 v[70:71], v[62:63], v[66:67], v[68:69] op_sel_hi:[1,0,1]
	v_pk_fma_f32 v[62:63], v[62:63], v[66:67], v[68:69] neg_lo:[0,0,1] neg_hi:[0,0,1]
	s_delay_alu instid0(VALU_DEP_2)
	v_mov_b32_e32 v63, v71
	scratch_store_b64 off, v[62:63], off offset:216
.LBB92_550:
	s_wait_xcnt 0x0
	s_or_b32 exec_lo, exec_lo, s4
	scratch_load_b64 v[62:63], off, off offset:224
	s_mov_b32 s4, exec_lo
                                        ; implicit-def: $vgpr86
                                        ; implicit-def: $sgpr7
	s_wait_loadcnt 0x0
	ds_store_b64 v1, v[62:63]
	s_wait_storecnt_dscnt 0x0
	s_barrier_signal -1
	s_barrier_wait -1
	s_wait_xcnt 0x0
	v_cmpx_ne_u32_e32 28, v0
	s_cbranch_execz .LBB92_560
; %bb.551:
	v_cmp_ne_u32_e32 vcc_lo, 1, v64
	s_cbranch_vccnz .LBB92_553
; %bb.552:
	scratch_load_b64 v[64:65], v59, off
	ds_load_b64 v[66:67], v1
	s_wait_loadcnt_dscnt 0x0
	v_dual_mul_f32 v59, v67, v65 :: v_dual_mul_f32 v63, v66, v65
	s_delay_alu instid0(VALU_DEP_1) | instskip(NEXT) | instid1(VALU_DEP_2)
	v_fma_f32 v62, v66, v64, -v59
	v_fmac_f32_e32 v63, v67, v64
	s_cbranch_execz .LBB92_554
	s_branch .LBB92_555
.LBB92_553:
                                        ; implicit-def: $vgpr63
.LBB92_554:
	ds_load_b64 v[62:63], v1
.LBB92_555:
	s_and_saveexec_b32 s5, s0
	s_cbranch_execz .LBB92_559
; %bb.556:
	v_add_nc_u32_e32 v1, 0xf8, v58
	v_add3_u32 v58, 0, v58, 8
	s_mov_b32 s0, 0
.LBB92_557:                             ; =>This Inner Loop Header: Depth=1
	scratch_load_b64 v[64:65], v58, off
	ds_load_b64 v[66:67], v1
	v_dual_add_nc_u32 v0, 1, v0 :: v_dual_add_nc_u32 v1, 8, v1
	s_delay_alu instid0(VALU_DEP_1) | instskip(SKIP_3) | instid1(VALU_DEP_1)
	v_cmp_lt_u32_e32 vcc_lo, 26, v0
	s_or_b32 s0, vcc_lo, s0
	s_wait_loadcnt_dscnt 0x0
	v_dual_mul_f32 v59, v67, v65 :: v_dual_mul_f32 v65, v66, v65
	v_dual_fma_f32 v59, v66, v64, -v59 :: v_dual_fmac_f32 v65, v67, v64
	s_delay_alu instid0(VALU_DEP_1) | instskip(NEXT) | instid1(VALU_DEP_2)
	v_dual_add_nc_u32 v58, 8, v58 :: v_dual_add_f32 v62, v62, v59
	v_add_f32_e32 v63, v63, v65
	s_and_not1_b32 exec_lo, exec_lo, s0
	s_cbranch_execnz .LBB92_557
; %bb.558:
	s_or_b32 exec_lo, exec_lo, s0
.LBB92_559:
	s_delay_alu instid0(SALU_CYCLE_1)
	s_or_b32 exec_lo, exec_lo, s5
	v_mov_b32_e32 v0, 0
	s_movk_i32 s7, 0xe4
	s_or_b32 s1, s1, exec_lo
	ds_load_b64 v[0:1], v0 offset:224
	s_wait_dscnt 0x0
	v_dual_mul_f32 v58, v63, v1 :: v_dual_mul_f32 v86, v62, v1
	s_delay_alu instid0(VALU_DEP_1) | instskip(NEXT) | instid1(VALU_DEP_2)
	v_fma_f32 v1, v62, v0, -v58
	v_fmac_f32_e32 v86, v63, v0
	scratch_store_b32 off, v1, off offset:224
.LBB92_560:
	s_wait_xcnt 0x0
	s_or_b32 exec_lo, exec_lo, s4
.LBB92_561:
	v_lshl_add_u64 v[84:85], v[6:7], 3, s[2:3]
	v_lshl_add_u64 v[82:83], v[8:9], 3, s[2:3]
	v_lshl_add_u64 v[80:81], v[10:11], 3, s[2:3]
	v_lshl_add_u64 v[78:79], v[12:13], 3, s[2:3]
	v_lshl_add_u64 v[76:77], v[14:15], 3, s[2:3]
	v_lshl_add_u64 v[74:75], v[16:17], 3, s[2:3]
	v_lshl_add_u64 v[72:73], v[18:19], 3, s[2:3]
	v_lshl_add_u64 v[70:71], v[20:21], 3, s[2:3]
	v_lshl_add_u64 v[68:69], v[22:23], 3, s[2:3]
	v_lshl_add_u64 v[66:67], v[24:25], 3, s[2:3]
	v_lshl_add_u64 v[64:65], v[26:27], 3, s[2:3]
	v_lshl_add_u64 v[62:63], v[28:29], 3, s[2:3]
	v_lshl_add_u64 v[58:59], v[30:31], 3, s[2:3]
	v_lshl_add_u64 v[30:31], v[32:33], 3, s[2:3]
	v_lshl_add_u64 v[28:29], v[34:35], 3, s[2:3]
	v_lshl_add_u64 v[26:27], v[36:37], 3, s[2:3]
	v_lshl_add_u64 v[24:25], v[38:39], 3, s[2:3]
	v_lshl_add_u64 v[22:23], v[40:41], 3, s[2:3]
	v_lshl_add_u64 v[20:21], v[42:43], 3, s[2:3]
	v_lshl_add_u64 v[18:19], v[44:45], 3, s[2:3]
	v_lshl_add_u64 v[16:17], v[46:47], 3, s[2:3]
	v_lshl_add_u64 v[14:15], v[48:49], 3, s[2:3]
	v_lshl_add_u64 v[12:13], v[50:51], 3, s[2:3]
	v_lshl_add_u64 v[10:11], v[52:53], 3, s[2:3]
	v_lshl_add_u64 v[8:9], v[54:55], 3, s[2:3]
	v_lshl_add_u64 v[6:7], v[56:57], 3, s[2:3]
	v_lshl_add_u64 v[0:1], v[60:61], 3, s[2:3]
	s_and_saveexec_b32 s0, s1
	s_cbranch_execz .LBB92_563
; %bb.562:
	scratch_store_b32 off, v86, s7
.LBB92_563:
	s_wait_xcnt 0x0
	s_or_b32 exec_lo, exec_lo, s0
	scratch_load_b64 v[32:33], off, off
	s_wait_loadcnt 0x0
	flat_store_b64 v[2:3], v[32:33]
	scratch_load_b64 v[2:3], off, off offset:8
	s_wait_loadcnt 0x0
	flat_store_b64 v[4:5], v[2:3]
	scratch_load_b64 v[2:3], off, off offset:16
	;; [unrolled: 3-line block ×28, first 2 shown]
	s_wait_loadcnt 0x0
	flat_store_b64 v[0:1], v[2:3]
.LBB92_564:
	s_sendmsg sendmsg(MSG_DEALLOC_VGPRS)
	s_endpgm
	.section	.rodata,"a",@progbits
	.p2align	6, 0x0
	.amdhsa_kernel _ZN9rocsolver6v33100L18trti2_kernel_smallILi29E19rocblas_complex_numIfEPKPS3_EEv13rocblas_fill_17rocblas_diagonal_T1_iil
		.amdhsa_group_segment_fixed_size 472
		.amdhsa_private_segment_fixed_size 240
		.amdhsa_kernarg_size 32
		.amdhsa_user_sgpr_count 2
		.amdhsa_user_sgpr_dispatch_ptr 0
		.amdhsa_user_sgpr_queue_ptr 0
		.amdhsa_user_sgpr_kernarg_segment_ptr 1
		.amdhsa_user_sgpr_dispatch_id 0
		.amdhsa_user_sgpr_kernarg_preload_length 0
		.amdhsa_user_sgpr_kernarg_preload_offset 0
		.amdhsa_user_sgpr_private_segment_size 0
		.amdhsa_wavefront_size32 1
		.amdhsa_uses_dynamic_stack 0
		.amdhsa_enable_private_segment 1
		.amdhsa_system_sgpr_workgroup_id_x 1
		.amdhsa_system_sgpr_workgroup_id_y 0
		.amdhsa_system_sgpr_workgroup_id_z 0
		.amdhsa_system_sgpr_workgroup_info 0
		.amdhsa_system_vgpr_workitem_id 0
		.amdhsa_next_free_vgpr 87
		.amdhsa_next_free_sgpr 35
		.amdhsa_named_barrier_count 0
		.amdhsa_reserve_vcc 1
		.amdhsa_float_round_mode_32 0
		.amdhsa_float_round_mode_16_64 0
		.amdhsa_float_denorm_mode_32 3
		.amdhsa_float_denorm_mode_16_64 3
		.amdhsa_fp16_overflow 0
		.amdhsa_memory_ordered 1
		.amdhsa_forward_progress 1
		.amdhsa_inst_pref_size 175
		.amdhsa_round_robin_scheduling 0
		.amdhsa_exception_fp_ieee_invalid_op 0
		.amdhsa_exception_fp_denorm_src 0
		.amdhsa_exception_fp_ieee_div_zero 0
		.amdhsa_exception_fp_ieee_overflow 0
		.amdhsa_exception_fp_ieee_underflow 0
		.amdhsa_exception_fp_ieee_inexact 0
		.amdhsa_exception_int_div_zero 0
	.end_amdhsa_kernel
	.section	.text._ZN9rocsolver6v33100L18trti2_kernel_smallILi29E19rocblas_complex_numIfEPKPS3_EEv13rocblas_fill_17rocblas_diagonal_T1_iil,"axG",@progbits,_ZN9rocsolver6v33100L18trti2_kernel_smallILi29E19rocblas_complex_numIfEPKPS3_EEv13rocblas_fill_17rocblas_diagonal_T1_iil,comdat
.Lfunc_end92:
	.size	_ZN9rocsolver6v33100L18trti2_kernel_smallILi29E19rocblas_complex_numIfEPKPS3_EEv13rocblas_fill_17rocblas_diagonal_T1_iil, .Lfunc_end92-_ZN9rocsolver6v33100L18trti2_kernel_smallILi29E19rocblas_complex_numIfEPKPS3_EEv13rocblas_fill_17rocblas_diagonal_T1_iil
                                        ; -- End function
	.set _ZN9rocsolver6v33100L18trti2_kernel_smallILi29E19rocblas_complex_numIfEPKPS3_EEv13rocblas_fill_17rocblas_diagonal_T1_iil.num_vgpr, 87
	.set _ZN9rocsolver6v33100L18trti2_kernel_smallILi29E19rocblas_complex_numIfEPKPS3_EEv13rocblas_fill_17rocblas_diagonal_T1_iil.num_agpr, 0
	.set _ZN9rocsolver6v33100L18trti2_kernel_smallILi29E19rocblas_complex_numIfEPKPS3_EEv13rocblas_fill_17rocblas_diagonal_T1_iil.numbered_sgpr, 35
	.set _ZN9rocsolver6v33100L18trti2_kernel_smallILi29E19rocblas_complex_numIfEPKPS3_EEv13rocblas_fill_17rocblas_diagonal_T1_iil.num_named_barrier, 0
	.set _ZN9rocsolver6v33100L18trti2_kernel_smallILi29E19rocblas_complex_numIfEPKPS3_EEv13rocblas_fill_17rocblas_diagonal_T1_iil.private_seg_size, 240
	.set _ZN9rocsolver6v33100L18trti2_kernel_smallILi29E19rocblas_complex_numIfEPKPS3_EEv13rocblas_fill_17rocblas_diagonal_T1_iil.uses_vcc, 1
	.set _ZN9rocsolver6v33100L18trti2_kernel_smallILi29E19rocblas_complex_numIfEPKPS3_EEv13rocblas_fill_17rocblas_diagonal_T1_iil.uses_flat_scratch, 0
	.set _ZN9rocsolver6v33100L18trti2_kernel_smallILi29E19rocblas_complex_numIfEPKPS3_EEv13rocblas_fill_17rocblas_diagonal_T1_iil.has_dyn_sized_stack, 0
	.set _ZN9rocsolver6v33100L18trti2_kernel_smallILi29E19rocblas_complex_numIfEPKPS3_EEv13rocblas_fill_17rocblas_diagonal_T1_iil.has_recursion, 0
	.set _ZN9rocsolver6v33100L18trti2_kernel_smallILi29E19rocblas_complex_numIfEPKPS3_EEv13rocblas_fill_17rocblas_diagonal_T1_iil.has_indirect_call, 0
	.section	.AMDGPU.csdata,"",@progbits
; Kernel info:
; codeLenInByte = 22276
; TotalNumSgprs: 37
; NumVgprs: 87
; ScratchSize: 240
; MemoryBound: 0
; FloatMode: 240
; IeeeMode: 1
; LDSByteSize: 472 bytes/workgroup (compile time only)
; SGPRBlocks: 0
; VGPRBlocks: 5
; NumSGPRsForWavesPerEU: 37
; NumVGPRsForWavesPerEU: 87
; NamedBarCnt: 0
; Occupancy: 10
; WaveLimiterHint : 1
; COMPUTE_PGM_RSRC2:SCRATCH_EN: 1
; COMPUTE_PGM_RSRC2:USER_SGPR: 2
; COMPUTE_PGM_RSRC2:TRAP_HANDLER: 0
; COMPUTE_PGM_RSRC2:TGID_X_EN: 1
; COMPUTE_PGM_RSRC2:TGID_Y_EN: 0
; COMPUTE_PGM_RSRC2:TGID_Z_EN: 0
; COMPUTE_PGM_RSRC2:TIDIG_COMP_CNT: 0
	.section	.text._ZN9rocsolver6v33100L18trti2_kernel_smallILi30E19rocblas_complex_numIfEPKPS3_EEv13rocblas_fill_17rocblas_diagonal_T1_iil,"axG",@progbits,_ZN9rocsolver6v33100L18trti2_kernel_smallILi30E19rocblas_complex_numIfEPKPS3_EEv13rocblas_fill_17rocblas_diagonal_T1_iil,comdat
	.globl	_ZN9rocsolver6v33100L18trti2_kernel_smallILi30E19rocblas_complex_numIfEPKPS3_EEv13rocblas_fill_17rocblas_diagonal_T1_iil ; -- Begin function _ZN9rocsolver6v33100L18trti2_kernel_smallILi30E19rocblas_complex_numIfEPKPS3_EEv13rocblas_fill_17rocblas_diagonal_T1_iil
	.p2align	8
	.type	_ZN9rocsolver6v33100L18trti2_kernel_smallILi30E19rocblas_complex_numIfEPKPS3_EEv13rocblas_fill_17rocblas_diagonal_T1_iil,@function
_ZN9rocsolver6v33100L18trti2_kernel_smallILi30E19rocblas_complex_numIfEPKPS3_EEv13rocblas_fill_17rocblas_diagonal_T1_iil: ; @_ZN9rocsolver6v33100L18trti2_kernel_smallILi30E19rocblas_complex_numIfEPKPS3_EEv13rocblas_fill_17rocblas_diagonal_T1_iil
; %bb.0:
	s_mov_b32 s2, exec_lo
	v_cmpx_gt_u32_e32 30, v0
	s_cbranch_execz .LBB93_584
; %bb.1:
	s_clause 0x1
	s_load_b64 s[2:3], s[0:1], 0x10
	s_load_b128 s[4:7], s[0:1], 0x0
	s_wait_xcnt 0x0
	s_bfe_u32 s0, ttmp6, 0x4000c
	s_and_b32 s1, ttmp6, 15
	s_add_co_i32 s0, s0, 1
	s_getreg_b32 s8, hwreg(HW_REG_IB_STS2, 6, 4)
	s_mul_i32 s0, ttmp9, s0
	v_dual_mov_b32 v59, 0 :: v_dual_lshlrev_b32 v58, 3, v0
	s_add_co_i32 s0, s1, s0
	s_wait_kmcnt 0x0
	s_ashr_i32 s1, s2, 31
	s_cmp_eq_u32 s8, 0
	s_cselect_b32 s8, ttmp9, s0
	s_mov_b32 s0, s2
	s_ashr_i32 s9, s8, 31
	s_lshl_b64 s[0:1], s[0:1], 3
	s_lshl_b64 s[8:9], s[8:9], 3
	s_delay_alu instid0(SALU_CYCLE_1)
	s_add_nc_u64 s[6:7], s[6:7], s[8:9]
	s_load_b64 s[6:7], s[6:7], 0x0
	s_wait_kmcnt 0x0
	s_add_nc_u64 s[6:7], s[6:7], s[0:1]
	s_mov_b32 s0, s3
	flat_load_b64 v[6:7], v0, s[6:7] scale_offset
	v_add_nc_u64_e32 v[2:3], s[6:7], v[58:59]
	s_ashr_i32 s1, s3, 31
	s_cmp_lg_u32 s5, 0x84
	s_delay_alu instid0(VALU_DEP_1)
	v_lshl_add_u64 v[4:5], s[0:1], 3, v[2:3]
	s_mov_b32 s0, -1
	s_wait_loadcnt_dscnt 0x0
	scratch_store_b64 off, v[6:7], off
	flat_load_b64 v[8:9], v[4:5]
	s_wait_xcnt 0x1
	v_add3_u32 v6, s3, s3, v0
	s_wait_loadcnt_dscnt 0x0
	scratch_store_b64 off, v[8:9], off offset:8
	flat_load_b64 v[10:11], v6, s[6:7] scale_offset
	s_wait_xcnt 0x1
	v_add_nc_u32_e32 v8, s3, v6
	s_wait_loadcnt_dscnt 0x0
	scratch_store_b64 off, v[10:11], off offset:16
	flat_load_b64 v[12:13], v8, s[6:7] scale_offset
	s_wait_xcnt 0x1
	v_add_nc_u32_e32 v10, s3, v8
	;; [unrolled: 5-line block ×27, first 2 shown]
	s_cselect_b32 s3, -1, 0
	s_delay_alu instid0(SALU_CYCLE_1)
	s_and_b32 vcc_lo, exec_lo, s3
	s_wait_loadcnt_dscnt 0x0
	scratch_store_b64 off, v[64:65], off offset:224
	flat_load_b64 v[64:65], v62, s[6:7] scale_offset
	s_wait_loadcnt_dscnt 0x0
	scratch_store_b64 off, v[64:65], off offset:232
	s_cbranch_vccz .LBB93_7
; %bb.2:
	scratch_load_b64 v[64:65], v0, off scale_offset
                                        ; implicit-def: $vgpr69
                                        ; implicit-def: $vgpr66
	s_wait_loadcnt 0x0
	v_cmp_ngt_f32_e64 s0, |v64|, |v65|
	s_wait_xcnt 0x0
	s_and_saveexec_b32 s1, s0
	s_delay_alu instid0(SALU_CYCLE_1)
	s_xor_b32 s0, exec_lo, s1
	s_cbranch_execz .LBB93_4
; %bb.3:
	v_div_scale_f32 v1, null, v65, v65, v64
	v_div_scale_f32 v11, vcc_lo, v64, v65, v64
	s_delay_alu instid0(VALU_DEP_2) | instskip(SKIP_1) | instid1(TRANS32_DEP_1)
	v_rcp_f32_e32 v7, v1
	v_nop
	v_fma_f32 v9, -v1, v7, 1.0
	s_delay_alu instid0(VALU_DEP_1) | instskip(NEXT) | instid1(VALU_DEP_1)
	v_fmac_f32_e32 v7, v9, v7
	v_mul_f32_e32 v9, v11, v7
	s_delay_alu instid0(VALU_DEP_1) | instskip(NEXT) | instid1(VALU_DEP_1)
	v_fma_f32 v13, -v1, v9, v11
	v_fmac_f32_e32 v9, v13, v7
	s_delay_alu instid0(VALU_DEP_1) | instskip(NEXT) | instid1(VALU_DEP_1)
	v_fma_f32 v1, -v1, v9, v11
	v_div_fmas_f32 v1, v1, v7, v9
	s_delay_alu instid0(VALU_DEP_1) | instskip(NEXT) | instid1(VALU_DEP_1)
	v_div_fixup_f32 v1, v1, v65, v64
	v_fmac_f32_e32 v65, v64, v1
	s_delay_alu instid0(VALU_DEP_1) | instskip(NEXT) | instid1(VALU_DEP_1)
	v_div_scale_f32 v7, null, v65, v65, -1.0
	v_rcp_f32_e32 v9, v7
	v_nop
	s_delay_alu instid0(TRANS32_DEP_1) | instskip(NEXT) | instid1(VALU_DEP_1)
	v_fma_f32 v11, -v7, v9, 1.0
	v_fmac_f32_e32 v9, v11, v9
	v_div_scale_f32 v11, vcc_lo, -1.0, v65, -1.0
	s_delay_alu instid0(VALU_DEP_1) | instskip(NEXT) | instid1(VALU_DEP_1)
	v_mul_f32_e32 v13, v11, v9
	v_fma_f32 v15, -v7, v13, v11
	s_delay_alu instid0(VALU_DEP_1) | instskip(NEXT) | instid1(VALU_DEP_1)
	v_fmac_f32_e32 v13, v15, v9
	v_fma_f32 v7, -v7, v13, v11
	s_delay_alu instid0(VALU_DEP_1) | instskip(NEXT) | instid1(VALU_DEP_1)
	v_div_fmas_f32 v7, v7, v9, v13
	v_div_fixup_f32 v69, v7, v65, -1.0
                                        ; implicit-def: $vgpr64_vgpr65
	s_delay_alu instid0(VALU_DEP_1) | instskip(NEXT) | instid1(VALU_DEP_1)
	v_mul_f32_e32 v66, v1, v69
	v_xor_b32_e32 v68, 0x80000000, v66
.LBB93_4:
	s_or_saveexec_b32 s0, s0
	v_lshl_add_u32 v1, v0, 3, 0
	s_xor_b32 exec_lo, exec_lo, s0
	s_cbranch_execz .LBB93_6
; %bb.5:
	v_div_scale_f32 v7, null, v64, v64, v65
	v_div_scale_f32 v13, vcc_lo, v65, v64, v65
	s_delay_alu instid0(VALU_DEP_2) | instskip(SKIP_1) | instid1(TRANS32_DEP_1)
	v_rcp_f32_e32 v9, v7
	v_nop
	v_fma_f32 v11, -v7, v9, 1.0
	s_delay_alu instid0(VALU_DEP_1) | instskip(NEXT) | instid1(VALU_DEP_1)
	v_fmac_f32_e32 v9, v11, v9
	v_mul_f32_e32 v11, v13, v9
	s_delay_alu instid0(VALU_DEP_1) | instskip(NEXT) | instid1(VALU_DEP_1)
	v_fma_f32 v15, -v7, v11, v13
	v_fmac_f32_e32 v11, v15, v9
	s_delay_alu instid0(VALU_DEP_1) | instskip(NEXT) | instid1(VALU_DEP_1)
	v_fma_f32 v7, -v7, v11, v13
	v_div_fmas_f32 v7, v7, v9, v11
	s_delay_alu instid0(VALU_DEP_1) | instskip(NEXT) | instid1(VALU_DEP_1)
	v_div_fixup_f32 v7, v7, v64, v65
	v_fmac_f32_e32 v64, v65, v7
	s_delay_alu instid0(VALU_DEP_1) | instskip(SKIP_1) | instid1(VALU_DEP_2)
	v_div_scale_f32 v9, null, v64, v64, 1.0
	v_div_scale_f32 v15, vcc_lo, 1.0, v64, 1.0
	v_rcp_f32_e32 v11, v9
	v_nop
	s_delay_alu instid0(TRANS32_DEP_1) | instskip(NEXT) | instid1(VALU_DEP_1)
	v_fma_f32 v13, -v9, v11, 1.0
	v_fmac_f32_e32 v11, v13, v11
	s_delay_alu instid0(VALU_DEP_1) | instskip(NEXT) | instid1(VALU_DEP_1)
	v_mul_f32_e32 v13, v15, v11
	v_fma_f32 v17, -v9, v13, v15
	s_delay_alu instid0(VALU_DEP_1) | instskip(NEXT) | instid1(VALU_DEP_1)
	v_fmac_f32_e32 v13, v17, v11
	v_fma_f32 v9, -v9, v13, v15
	s_delay_alu instid0(VALU_DEP_1) | instskip(NEXT) | instid1(VALU_DEP_1)
	v_div_fmas_f32 v9, v9, v11, v13
	v_div_fixup_f32 v68, v9, v64, 1.0
	s_delay_alu instid0(VALU_DEP_1)
	v_xor_b32_e32 v66, 0x80000000, v68
	v_mul_f32_e64 v69, v7, -v68
.LBB93_6:
	s_or_b32 exec_lo, exec_lo, s0
	s_delay_alu instid0(VALU_DEP_1)
	v_xor_b32_e32 v67, 0x80000000, v69
	s_mov_b32 s0, 0
	scratch_store_b64 v1, v[68:69], off
	ds_store_b64 v58, v[66:67]
.LBB93_7:
	s_and_b32 vcc_lo, exec_lo, s0
	s_cbranch_vccz .LBB93_9
; %bb.8:
	s_mov_b64 s[0:1], 0xbf800000
	s_wait_xcnt 0x0
	v_mov_b64_e32 v[64:65], s[0:1]
	ds_store_b64 v58, v[64:65]
.LBB93_9:
	v_dual_ashrrev_i32 v7, 31, v6 :: v_dual_ashrrev_i32 v9, 31, v8
	v_dual_ashrrev_i32 v11, 31, v10 :: v_dual_ashrrev_i32 v13, 31, v12
	;; [unrolled: 1-line block ×14, first 2 shown]
	s_wait_xcnt 0x0
	v_add_nc_u32_e32 v1, 0xf0, v58
	v_mov_b32_e32 v59, v58
	s_cmp_eq_u32 s4, 0x79
	s_cbranch_scc1 .LBB93_13
; %bb.10:
	scratch_load_b64 v[64:65], off, off offset:224
	v_cmp_eq_u32_e64 s0, 29, v0
	s_movk_i32 s1, 0x48
	s_movk_i32 s14, 0x50
	;; [unrolled: 1-line block ×19, first 2 shown]
	s_wait_loadcnt 0x0
	ds_store_b64 v1, v[64:65]
	s_wait_storecnt_dscnt 0x0
	s_barrier_signal -1
	s_barrier_wait -1
	s_wait_xcnt 0x0
	s_and_saveexec_b32 s2, s0
	s_cbranch_execz .LBB93_17
; %bb.11:
	s_and_b32 vcc_lo, exec_lo, s3
	s_cbranch_vccz .LBB93_14
; %bb.12:
	scratch_load_b64 v[64:65], v59, off
	ds_load_b64 v[66:67], v1
	s_wait_loadcnt_dscnt 0x0
	v_pk_mul_f32 v[68:69], v[66:67], v[64:65] op_sel:[1,1] op_sel_hi:[0,1]
	v_pk_mul_f32 v[70:71], v[66:67], v[64:65] op_sel_hi:[1,0]
	s_delay_alu instid0(VALU_DEP_2) | instskip(NEXT) | instid1(VALU_DEP_2)
	v_pk_fma_f32 v[64:65], v[66:67], v[64:65], v[68:69] op_sel_hi:[1,0,1]
	v_sub_f32_e32 v64, v70, v68
	s_cbranch_execz .LBB93_15
	s_branch .LBB93_16
.LBB93_13:
	s_mov_b32 s1, 0
                                        ; implicit-def: $vgpr88
                                        ; implicit-def: $sgpr5
	s_cbranch_execnz .LBB93_296
	s_branch .LBB93_581
.LBB93_14:
                                        ; implicit-def: $vgpr65
.LBB93_15:
	ds_load_b64 v[64:65], v1
.LBB93_16:
	s_wait_dscnt 0x0
	v_dual_mov_b32 v66, 0 :: v_dual_mov_b32 v68, v65
	v_mov_b32_e32 v69, v64
	ds_load_b64 v[66:67], v66 offset:224
	s_wait_dscnt 0x0
	v_pk_mul_f32 v[68:69], v[68:69], v[66:67] op_sel:[0,1]
	s_delay_alu instid0(VALU_DEP_1) | instskip(SKIP_1) | instid1(VALU_DEP_2)
	v_pk_fma_f32 v[70:71], v[64:65], v[66:67], v[68:69] op_sel_hi:[1,0,1]
	v_pk_fma_f32 v[64:65], v[64:65], v[66:67], v[68:69] neg_lo:[0,0,1] neg_hi:[0,0,1]
	v_mov_b32_e32 v65, v71
	scratch_store_b64 off, v[64:65], off offset:224
.LBB93_17:
	s_wait_xcnt 0x0
	s_or_b32 exec_lo, exec_lo, s2
	scratch_load_b64 v[64:65], off, off offset:216
	s_mov_b32 s13, s1
	v_cmp_lt_u32_e64 s1, 27, v0
	s_or_b32 s4, 0, 8
	s_mov_b32 s5, 16
	s_mov_b32 s8, 24
	;; [unrolled: 1-line block ×7, first 2 shown]
	s_wait_loadcnt 0x0
	ds_store_b64 v1, v[64:65]
	s_wait_storecnt_dscnt 0x0
	s_barrier_signal -1
	s_barrier_wait -1
	s_wait_xcnt 0x0
	s_and_saveexec_b32 s33, s1
	s_cbranch_execz .LBB93_25
; %bb.18:
	s_and_not1_b32 vcc_lo, exec_lo, s3
	s_cbranch_vccnz .LBB93_20
; %bb.19:
	scratch_load_b64 v[64:65], v59, off
	ds_load_b64 v[66:67], v1
	s_wait_loadcnt_dscnt 0x0
	v_pk_mul_f32 v[68:69], v[66:67], v[64:65] op_sel:[1,1] op_sel_hi:[0,1]
	s_delay_alu instid0(VALU_DEP_1) | instskip(SKIP_1) | instid1(VALU_DEP_2)
	v_pk_fma_f32 v[70:71], v[66:67], v[64:65], v[68:69] op_sel_hi:[1,0,1]
	v_pk_fma_f32 v[64:65], v[66:67], v[64:65], v[68:69] neg_lo:[0,0,1] neg_hi:[0,0,1]
	v_mov_b32_e32 v65, v71
	s_cbranch_execz .LBB93_21
	s_branch .LBB93_22
.LBB93_20:
                                        ; implicit-def: $vgpr64_vgpr65
.LBB93_21:
	ds_load_b64 v[64:65], v1
.LBB93_22:
	s_and_saveexec_b32 s34, s0
	s_cbranch_execz .LBB93_24
; %bb.23:
	scratch_load_b64 v[66:67], off, off offset:224
	v_mov_b32_e32 v68, 0
	ds_load_b64 v[68:69], v68 offset:464
	s_wait_loadcnt_dscnt 0x0
	v_pk_mul_f32 v[70:71], v[68:69], v[66:67] op_sel:[1,1] op_sel_hi:[0,1]
	s_delay_alu instid0(VALU_DEP_1) | instskip(SKIP_1) | instid1(VALU_DEP_2)
	v_pk_fma_f32 v[72:73], v[68:69], v[66:67], v[70:71] op_sel_hi:[1,0,1]
	v_pk_fma_f32 v[66:67], v[68:69], v[66:67], v[70:71] neg_lo:[0,0,1] neg_hi:[0,0,1]
	v_mov_b32_e32 v67, v73
	s_delay_alu instid0(VALU_DEP_1)
	v_pk_add_f32 v[64:65], v[64:65], v[66:67]
.LBB93_24:
	s_or_b32 exec_lo, exec_lo, s34
	v_mov_b32_e32 v66, 0
	ds_load_b64 v[66:67], v66 offset:216
	s_wait_dscnt 0x0
	v_pk_mul_f32 v[68:69], v[64:65], v[66:67] op_sel:[1,1] op_sel_hi:[0,1]
	s_delay_alu instid0(VALU_DEP_1) | instskip(SKIP_1) | instid1(VALU_DEP_2)
	v_pk_fma_f32 v[70:71], v[64:65], v[66:67], v[68:69] op_sel_hi:[1,0,1]
	v_pk_fma_f32 v[64:65], v[64:65], v[66:67], v[68:69] neg_lo:[0,0,1] neg_hi:[0,0,1]
	v_mov_b32_e32 v65, v71
	scratch_store_b64 off, v[64:65], off offset:216
.LBB93_25:
	s_wait_xcnt 0x0
	s_or_b32 exec_lo, exec_lo, s33
	scratch_load_b64 v[64:65], off, off offset:208
	v_cmp_lt_u32_e64 s0, 26, v0
	s_wait_loadcnt 0x0
	ds_store_b64 v1, v[64:65]
	s_wait_storecnt_dscnt 0x0
	s_barrier_signal -1
	s_barrier_wait -1
	s_wait_xcnt 0x0
	s_and_saveexec_b32 s33, s0
	s_cbranch_execz .LBB93_35
; %bb.26:
	s_and_not1_b32 vcc_lo, exec_lo, s3
	s_cbranch_vccnz .LBB93_28
; %bb.27:
	scratch_load_b64 v[64:65], v59, off
	ds_load_b64 v[66:67], v1
	s_wait_loadcnt_dscnt 0x0
	v_pk_mul_f32 v[68:69], v[66:67], v[64:65] op_sel:[1,1] op_sel_hi:[0,1]
	s_delay_alu instid0(VALU_DEP_1) | instskip(SKIP_1) | instid1(VALU_DEP_2)
	v_pk_fma_f32 v[70:71], v[66:67], v[64:65], v[68:69] op_sel_hi:[1,0,1]
	v_pk_fma_f32 v[64:65], v[66:67], v[64:65], v[68:69] neg_lo:[0,0,1] neg_hi:[0,0,1]
	v_mov_b32_e32 v65, v71
	s_cbranch_execz .LBB93_29
	s_branch .LBB93_30
.LBB93_28:
                                        ; implicit-def: $vgpr64_vgpr65
.LBB93_29:
	ds_load_b64 v[64:65], v1
.LBB93_30:
	s_and_saveexec_b32 s34, s1
	s_cbranch_execz .LBB93_34
; %bb.31:
	v_subrev_nc_u32_e32 v66, 27, v0
	s_movk_i32 s35, 0x1c8
	s_mov_b32 s1, 0
.LBB93_32:                              ; =>This Inner Loop Header: Depth=1
	scratch_load_b64 v[68:69], off, s31
	v_dual_mov_b32 v67, s35 :: v_dual_add_nc_u32 v66, -1, v66
	s_add_co_i32 s35, s35, 8
	s_wait_xcnt 0x0
	s_add_co_i32 s31, s31, 8
	ds_load_b64 v[70:71], v67
	v_cmp_eq_u32_e32 vcc_lo, 0, v66
	s_or_b32 s1, vcc_lo, s1
	s_wait_loadcnt_dscnt 0x0
	v_pk_mul_f32 v[72:73], v[70:71], v[68:69] op_sel:[1,1] op_sel_hi:[0,1]
	s_delay_alu instid0(VALU_DEP_1) | instskip(SKIP_1) | instid1(VALU_DEP_2)
	v_pk_fma_f32 v[74:75], v[70:71], v[68:69], v[72:73] op_sel_hi:[1,0,1]
	v_pk_fma_f32 v[68:69], v[70:71], v[68:69], v[72:73] neg_lo:[0,0,1] neg_hi:[0,0,1]
	v_mov_b32_e32 v69, v75
	s_delay_alu instid0(VALU_DEP_1)
	v_pk_add_f32 v[64:65], v[64:65], v[68:69]
	s_and_not1_b32 exec_lo, exec_lo, s1
	s_cbranch_execnz .LBB93_32
; %bb.33:
	s_or_b32 exec_lo, exec_lo, s1
.LBB93_34:
	s_delay_alu instid0(SALU_CYCLE_1) | instskip(SKIP_4) | instid1(VALU_DEP_1)
	s_or_b32 exec_lo, exec_lo, s34
	v_mov_b32_e32 v66, 0
	ds_load_b64 v[66:67], v66 offset:208
	s_wait_dscnt 0x0
	v_pk_mul_f32 v[68:69], v[64:65], v[66:67] op_sel:[1,1] op_sel_hi:[0,1]
	v_pk_fma_f32 v[70:71], v[64:65], v[66:67], v[68:69] op_sel_hi:[1,0,1]
	v_pk_fma_f32 v[64:65], v[64:65], v[66:67], v[68:69] neg_lo:[0,0,1] neg_hi:[0,0,1]
	s_delay_alu instid0(VALU_DEP_2)
	v_mov_b32_e32 v65, v71
	scratch_store_b64 off, v[64:65], off offset:208
.LBB93_35:
	s_wait_xcnt 0x0
	s_or_b32 exec_lo, exec_lo, s33
	scratch_load_b64 v[64:65], off, off offset:200
	v_cmp_lt_u32_e64 s1, 25, v0
	s_wait_loadcnt 0x0
	ds_store_b64 v1, v[64:65]
	s_wait_storecnt_dscnt 0x0
	s_barrier_signal -1
	s_barrier_wait -1
	s_wait_xcnt 0x0
	s_and_saveexec_b32 s31, s1
	s_cbranch_execz .LBB93_45
; %bb.36:
	s_and_not1_b32 vcc_lo, exec_lo, s3
	s_cbranch_vccnz .LBB93_38
; %bb.37:
	scratch_load_b64 v[64:65], v59, off
	ds_load_b64 v[66:67], v1
	s_wait_loadcnt_dscnt 0x0
	v_pk_mul_f32 v[68:69], v[66:67], v[64:65] op_sel:[1,1] op_sel_hi:[0,1]
	s_delay_alu instid0(VALU_DEP_1) | instskip(SKIP_1) | instid1(VALU_DEP_2)
	v_pk_fma_f32 v[70:71], v[66:67], v[64:65], v[68:69] op_sel_hi:[1,0,1]
	v_pk_fma_f32 v[64:65], v[66:67], v[64:65], v[68:69] neg_lo:[0,0,1] neg_hi:[0,0,1]
	v_mov_b32_e32 v65, v71
	s_cbranch_execz .LBB93_39
	s_branch .LBB93_40
.LBB93_38:
                                        ; implicit-def: $vgpr64_vgpr65
.LBB93_39:
	ds_load_b64 v[64:65], v1
.LBB93_40:
	s_and_saveexec_b32 s33, s0
	s_cbranch_execz .LBB93_44
; %bb.41:
	v_subrev_nc_u32_e32 v66, 26, v0
	s_movk_i32 s34, 0x1c0
	s_mov_b32 s0, 0
.LBB93_42:                              ; =>This Inner Loop Header: Depth=1
	scratch_load_b64 v[68:69], off, s30
	v_dual_mov_b32 v67, s34 :: v_dual_add_nc_u32 v66, -1, v66
	s_add_co_i32 s34, s34, 8
	s_wait_xcnt 0x0
	s_add_co_i32 s30, s30, 8
	ds_load_b64 v[70:71], v67
	v_cmp_eq_u32_e32 vcc_lo, 0, v66
	s_or_b32 s0, vcc_lo, s0
	s_wait_loadcnt_dscnt 0x0
	v_pk_mul_f32 v[72:73], v[70:71], v[68:69] op_sel:[1,1] op_sel_hi:[0,1]
	s_delay_alu instid0(VALU_DEP_1) | instskip(SKIP_1) | instid1(VALU_DEP_2)
	v_pk_fma_f32 v[74:75], v[70:71], v[68:69], v[72:73] op_sel_hi:[1,0,1]
	v_pk_fma_f32 v[68:69], v[70:71], v[68:69], v[72:73] neg_lo:[0,0,1] neg_hi:[0,0,1]
	v_mov_b32_e32 v69, v75
	s_delay_alu instid0(VALU_DEP_1)
	v_pk_add_f32 v[64:65], v[64:65], v[68:69]
	s_and_not1_b32 exec_lo, exec_lo, s0
	s_cbranch_execnz .LBB93_42
; %bb.43:
	s_or_b32 exec_lo, exec_lo, s0
.LBB93_44:
	s_delay_alu instid0(SALU_CYCLE_1) | instskip(SKIP_4) | instid1(VALU_DEP_1)
	s_or_b32 exec_lo, exec_lo, s33
	v_mov_b32_e32 v66, 0
	ds_load_b64 v[66:67], v66 offset:200
	s_wait_dscnt 0x0
	v_pk_mul_f32 v[68:69], v[64:65], v[66:67] op_sel:[1,1] op_sel_hi:[0,1]
	v_pk_fma_f32 v[70:71], v[64:65], v[66:67], v[68:69] op_sel_hi:[1,0,1]
	v_pk_fma_f32 v[64:65], v[64:65], v[66:67], v[68:69] neg_lo:[0,0,1] neg_hi:[0,0,1]
	s_delay_alu instid0(VALU_DEP_2)
	v_mov_b32_e32 v65, v71
	scratch_store_b64 off, v[64:65], off offset:200
.LBB93_45:
	s_wait_xcnt 0x0
	s_or_b32 exec_lo, exec_lo, s31
	scratch_load_b64 v[64:65], off, off offset:192
	v_cmp_lt_u32_e64 s0, 24, v0
	s_wait_loadcnt 0x0
	ds_store_b64 v1, v[64:65]
	s_wait_storecnt_dscnt 0x0
	s_barrier_signal -1
	s_barrier_wait -1
	s_wait_xcnt 0x0
	s_and_saveexec_b32 s30, s0
	s_cbranch_execz .LBB93_55
; %bb.46:
	s_and_not1_b32 vcc_lo, exec_lo, s3
	s_cbranch_vccnz .LBB93_48
; %bb.47:
	scratch_load_b64 v[64:65], v59, off
	ds_load_b64 v[66:67], v1
	s_wait_loadcnt_dscnt 0x0
	v_pk_mul_f32 v[68:69], v[66:67], v[64:65] op_sel:[1,1] op_sel_hi:[0,1]
	s_delay_alu instid0(VALU_DEP_1) | instskip(SKIP_1) | instid1(VALU_DEP_2)
	v_pk_fma_f32 v[70:71], v[66:67], v[64:65], v[68:69] op_sel_hi:[1,0,1]
	v_pk_fma_f32 v[64:65], v[66:67], v[64:65], v[68:69] neg_lo:[0,0,1] neg_hi:[0,0,1]
	v_mov_b32_e32 v65, v71
	s_cbranch_execz .LBB93_49
	s_branch .LBB93_50
.LBB93_48:
                                        ; implicit-def: $vgpr64_vgpr65
.LBB93_49:
	ds_load_b64 v[64:65], v1
.LBB93_50:
	s_and_saveexec_b32 s31, s1
	s_cbranch_execz .LBB93_54
; %bb.51:
	v_subrev_nc_u32_e32 v66, 25, v0
	s_movk_i32 s33, 0x1b8
	s_mov_b32 s1, 0
.LBB93_52:                              ; =>This Inner Loop Header: Depth=1
	scratch_load_b64 v[68:69], off, s29
	v_dual_mov_b32 v67, s33 :: v_dual_add_nc_u32 v66, -1, v66
	s_add_co_i32 s33, s33, 8
	s_wait_xcnt 0x0
	s_add_co_i32 s29, s29, 8
	ds_load_b64 v[70:71], v67
	v_cmp_eq_u32_e32 vcc_lo, 0, v66
	s_or_b32 s1, vcc_lo, s1
	s_wait_loadcnt_dscnt 0x0
	v_pk_mul_f32 v[72:73], v[70:71], v[68:69] op_sel:[1,1] op_sel_hi:[0,1]
	s_delay_alu instid0(VALU_DEP_1) | instskip(SKIP_1) | instid1(VALU_DEP_2)
	v_pk_fma_f32 v[74:75], v[70:71], v[68:69], v[72:73] op_sel_hi:[1,0,1]
	v_pk_fma_f32 v[68:69], v[70:71], v[68:69], v[72:73] neg_lo:[0,0,1] neg_hi:[0,0,1]
	v_mov_b32_e32 v69, v75
	s_delay_alu instid0(VALU_DEP_1)
	v_pk_add_f32 v[64:65], v[64:65], v[68:69]
	s_and_not1_b32 exec_lo, exec_lo, s1
	s_cbranch_execnz .LBB93_52
; %bb.53:
	s_or_b32 exec_lo, exec_lo, s1
.LBB93_54:
	s_delay_alu instid0(SALU_CYCLE_1) | instskip(SKIP_4) | instid1(VALU_DEP_1)
	s_or_b32 exec_lo, exec_lo, s31
	v_mov_b32_e32 v66, 0
	ds_load_b64 v[66:67], v66 offset:192
	s_wait_dscnt 0x0
	v_pk_mul_f32 v[68:69], v[64:65], v[66:67] op_sel:[1,1] op_sel_hi:[0,1]
	v_pk_fma_f32 v[70:71], v[64:65], v[66:67], v[68:69] op_sel_hi:[1,0,1]
	v_pk_fma_f32 v[64:65], v[64:65], v[66:67], v[68:69] neg_lo:[0,0,1] neg_hi:[0,0,1]
	s_delay_alu instid0(VALU_DEP_2)
	v_mov_b32_e32 v65, v71
	scratch_store_b64 off, v[64:65], off offset:192
.LBB93_55:
	s_wait_xcnt 0x0
	s_or_b32 exec_lo, exec_lo, s30
	scratch_load_b64 v[64:65], off, off offset:184
	v_cmp_lt_u32_e64 s1, 23, v0
	s_wait_loadcnt 0x0
	ds_store_b64 v1, v[64:65]
	s_wait_storecnt_dscnt 0x0
	s_barrier_signal -1
	s_barrier_wait -1
	s_wait_xcnt 0x0
	s_and_saveexec_b32 s29, s1
	s_cbranch_execz .LBB93_65
; %bb.56:
	s_and_not1_b32 vcc_lo, exec_lo, s3
	s_cbranch_vccnz .LBB93_58
; %bb.57:
	scratch_load_b64 v[64:65], v59, off
	ds_load_b64 v[66:67], v1
	s_wait_loadcnt_dscnt 0x0
	v_pk_mul_f32 v[68:69], v[66:67], v[64:65] op_sel:[1,1] op_sel_hi:[0,1]
	s_delay_alu instid0(VALU_DEP_1) | instskip(SKIP_1) | instid1(VALU_DEP_2)
	v_pk_fma_f32 v[70:71], v[66:67], v[64:65], v[68:69] op_sel_hi:[1,0,1]
	v_pk_fma_f32 v[64:65], v[66:67], v[64:65], v[68:69] neg_lo:[0,0,1] neg_hi:[0,0,1]
	v_mov_b32_e32 v65, v71
	s_cbranch_execz .LBB93_59
	s_branch .LBB93_60
.LBB93_58:
                                        ; implicit-def: $vgpr64_vgpr65
.LBB93_59:
	ds_load_b64 v[64:65], v1
.LBB93_60:
	s_and_saveexec_b32 s30, s0
	s_cbranch_execz .LBB93_64
; %bb.61:
	v_subrev_nc_u32_e32 v66, 24, v0
	s_movk_i32 s31, 0x1b0
	s_mov_b32 s0, 0
.LBB93_62:                              ; =>This Inner Loop Header: Depth=1
	scratch_load_b64 v[68:69], off, s28
	v_dual_mov_b32 v67, s31 :: v_dual_add_nc_u32 v66, -1, v66
	s_add_co_i32 s31, s31, 8
	s_wait_xcnt 0x0
	s_add_co_i32 s28, s28, 8
	ds_load_b64 v[70:71], v67
	v_cmp_eq_u32_e32 vcc_lo, 0, v66
	s_or_b32 s0, vcc_lo, s0
	s_wait_loadcnt_dscnt 0x0
	v_pk_mul_f32 v[72:73], v[70:71], v[68:69] op_sel:[1,1] op_sel_hi:[0,1]
	s_delay_alu instid0(VALU_DEP_1) | instskip(SKIP_1) | instid1(VALU_DEP_2)
	v_pk_fma_f32 v[74:75], v[70:71], v[68:69], v[72:73] op_sel_hi:[1,0,1]
	v_pk_fma_f32 v[68:69], v[70:71], v[68:69], v[72:73] neg_lo:[0,0,1] neg_hi:[0,0,1]
	v_mov_b32_e32 v69, v75
	s_delay_alu instid0(VALU_DEP_1)
	v_pk_add_f32 v[64:65], v[64:65], v[68:69]
	s_and_not1_b32 exec_lo, exec_lo, s0
	s_cbranch_execnz .LBB93_62
; %bb.63:
	s_or_b32 exec_lo, exec_lo, s0
.LBB93_64:
	s_delay_alu instid0(SALU_CYCLE_1) | instskip(SKIP_4) | instid1(VALU_DEP_1)
	s_or_b32 exec_lo, exec_lo, s30
	v_mov_b32_e32 v66, 0
	ds_load_b64 v[66:67], v66 offset:184
	s_wait_dscnt 0x0
	v_pk_mul_f32 v[68:69], v[64:65], v[66:67] op_sel:[1,1] op_sel_hi:[0,1]
	v_pk_fma_f32 v[70:71], v[64:65], v[66:67], v[68:69] op_sel_hi:[1,0,1]
	v_pk_fma_f32 v[64:65], v[64:65], v[66:67], v[68:69] neg_lo:[0,0,1] neg_hi:[0,0,1]
	s_delay_alu instid0(VALU_DEP_2)
	v_mov_b32_e32 v65, v71
	scratch_store_b64 off, v[64:65], off offset:184
.LBB93_65:
	s_wait_xcnt 0x0
	s_or_b32 exec_lo, exec_lo, s29
	scratch_load_b64 v[64:65], off, off offset:176
	v_cmp_lt_u32_e64 s0, 22, v0
	s_wait_loadcnt 0x0
	ds_store_b64 v1, v[64:65]
	s_wait_storecnt_dscnt 0x0
	s_barrier_signal -1
	s_barrier_wait -1
	s_wait_xcnt 0x0
	s_and_saveexec_b32 s28, s0
	s_cbranch_execz .LBB93_75
; %bb.66:
	s_and_not1_b32 vcc_lo, exec_lo, s3
	s_cbranch_vccnz .LBB93_68
; %bb.67:
	scratch_load_b64 v[64:65], v59, off
	ds_load_b64 v[66:67], v1
	s_wait_loadcnt_dscnt 0x0
	v_pk_mul_f32 v[68:69], v[66:67], v[64:65] op_sel:[1,1] op_sel_hi:[0,1]
	s_delay_alu instid0(VALU_DEP_1) | instskip(SKIP_1) | instid1(VALU_DEP_2)
	v_pk_fma_f32 v[70:71], v[66:67], v[64:65], v[68:69] op_sel_hi:[1,0,1]
	v_pk_fma_f32 v[64:65], v[66:67], v[64:65], v[68:69] neg_lo:[0,0,1] neg_hi:[0,0,1]
	v_mov_b32_e32 v65, v71
	s_cbranch_execz .LBB93_69
	s_branch .LBB93_70
.LBB93_68:
                                        ; implicit-def: $vgpr64_vgpr65
.LBB93_69:
	ds_load_b64 v[64:65], v1
.LBB93_70:
	s_and_saveexec_b32 s29, s1
	s_cbranch_execz .LBB93_74
; %bb.71:
	v_subrev_nc_u32_e32 v66, 23, v0
	s_movk_i32 s30, 0x1a8
	s_mov_b32 s1, 0
.LBB93_72:                              ; =>This Inner Loop Header: Depth=1
	scratch_load_b64 v[68:69], off, s27
	v_dual_mov_b32 v67, s30 :: v_dual_add_nc_u32 v66, -1, v66
	s_add_co_i32 s30, s30, 8
	s_wait_xcnt 0x0
	s_add_co_i32 s27, s27, 8
	ds_load_b64 v[70:71], v67
	v_cmp_eq_u32_e32 vcc_lo, 0, v66
	s_or_b32 s1, vcc_lo, s1
	s_wait_loadcnt_dscnt 0x0
	v_pk_mul_f32 v[72:73], v[70:71], v[68:69] op_sel:[1,1] op_sel_hi:[0,1]
	s_delay_alu instid0(VALU_DEP_1) | instskip(SKIP_1) | instid1(VALU_DEP_2)
	v_pk_fma_f32 v[74:75], v[70:71], v[68:69], v[72:73] op_sel_hi:[1,0,1]
	v_pk_fma_f32 v[68:69], v[70:71], v[68:69], v[72:73] neg_lo:[0,0,1] neg_hi:[0,0,1]
	v_mov_b32_e32 v69, v75
	s_delay_alu instid0(VALU_DEP_1)
	v_pk_add_f32 v[64:65], v[64:65], v[68:69]
	s_and_not1_b32 exec_lo, exec_lo, s1
	s_cbranch_execnz .LBB93_72
; %bb.73:
	s_or_b32 exec_lo, exec_lo, s1
.LBB93_74:
	s_delay_alu instid0(SALU_CYCLE_1) | instskip(SKIP_4) | instid1(VALU_DEP_1)
	s_or_b32 exec_lo, exec_lo, s29
	v_mov_b32_e32 v66, 0
	ds_load_b64 v[66:67], v66 offset:176
	s_wait_dscnt 0x0
	v_pk_mul_f32 v[68:69], v[64:65], v[66:67] op_sel:[1,1] op_sel_hi:[0,1]
	v_pk_fma_f32 v[70:71], v[64:65], v[66:67], v[68:69] op_sel_hi:[1,0,1]
	v_pk_fma_f32 v[64:65], v[64:65], v[66:67], v[68:69] neg_lo:[0,0,1] neg_hi:[0,0,1]
	s_delay_alu instid0(VALU_DEP_2)
	v_mov_b32_e32 v65, v71
	scratch_store_b64 off, v[64:65], off offset:176
.LBB93_75:
	s_wait_xcnt 0x0
	s_or_b32 exec_lo, exec_lo, s28
	scratch_load_b64 v[64:65], off, off offset:168
	v_cmp_lt_u32_e64 s1, 21, v0
	s_wait_loadcnt 0x0
	ds_store_b64 v1, v[64:65]
	s_wait_storecnt_dscnt 0x0
	s_barrier_signal -1
	s_barrier_wait -1
	s_wait_xcnt 0x0
	s_and_saveexec_b32 s27, s1
	s_cbranch_execz .LBB93_85
; %bb.76:
	s_and_not1_b32 vcc_lo, exec_lo, s3
	s_cbranch_vccnz .LBB93_78
; %bb.77:
	scratch_load_b64 v[64:65], v59, off
	ds_load_b64 v[66:67], v1
	s_wait_loadcnt_dscnt 0x0
	v_pk_mul_f32 v[68:69], v[66:67], v[64:65] op_sel:[1,1] op_sel_hi:[0,1]
	s_delay_alu instid0(VALU_DEP_1) | instskip(SKIP_1) | instid1(VALU_DEP_2)
	v_pk_fma_f32 v[70:71], v[66:67], v[64:65], v[68:69] op_sel_hi:[1,0,1]
	v_pk_fma_f32 v[64:65], v[66:67], v[64:65], v[68:69] neg_lo:[0,0,1] neg_hi:[0,0,1]
	v_mov_b32_e32 v65, v71
	s_cbranch_execz .LBB93_79
	s_branch .LBB93_80
.LBB93_78:
                                        ; implicit-def: $vgpr64_vgpr65
.LBB93_79:
	ds_load_b64 v[64:65], v1
.LBB93_80:
	s_and_saveexec_b32 s28, s0
	s_cbranch_execz .LBB93_84
; %bb.81:
	v_subrev_nc_u32_e32 v66, 22, v0
	s_movk_i32 s29, 0x1a0
	s_mov_b32 s0, 0
.LBB93_82:                              ; =>This Inner Loop Header: Depth=1
	scratch_load_b64 v[68:69], off, s26
	v_dual_mov_b32 v67, s29 :: v_dual_add_nc_u32 v66, -1, v66
	s_add_co_i32 s29, s29, 8
	s_wait_xcnt 0x0
	s_add_co_i32 s26, s26, 8
	ds_load_b64 v[70:71], v67
	v_cmp_eq_u32_e32 vcc_lo, 0, v66
	s_or_b32 s0, vcc_lo, s0
	s_wait_loadcnt_dscnt 0x0
	v_pk_mul_f32 v[72:73], v[70:71], v[68:69] op_sel:[1,1] op_sel_hi:[0,1]
	s_delay_alu instid0(VALU_DEP_1) | instskip(SKIP_1) | instid1(VALU_DEP_2)
	v_pk_fma_f32 v[74:75], v[70:71], v[68:69], v[72:73] op_sel_hi:[1,0,1]
	v_pk_fma_f32 v[68:69], v[70:71], v[68:69], v[72:73] neg_lo:[0,0,1] neg_hi:[0,0,1]
	v_mov_b32_e32 v69, v75
	s_delay_alu instid0(VALU_DEP_1)
	v_pk_add_f32 v[64:65], v[64:65], v[68:69]
	s_and_not1_b32 exec_lo, exec_lo, s0
	s_cbranch_execnz .LBB93_82
; %bb.83:
	s_or_b32 exec_lo, exec_lo, s0
.LBB93_84:
	s_delay_alu instid0(SALU_CYCLE_1) | instskip(SKIP_4) | instid1(VALU_DEP_1)
	s_or_b32 exec_lo, exec_lo, s28
	v_mov_b32_e32 v66, 0
	ds_load_b64 v[66:67], v66 offset:168
	s_wait_dscnt 0x0
	v_pk_mul_f32 v[68:69], v[64:65], v[66:67] op_sel:[1,1] op_sel_hi:[0,1]
	v_pk_fma_f32 v[70:71], v[64:65], v[66:67], v[68:69] op_sel_hi:[1,0,1]
	v_pk_fma_f32 v[64:65], v[64:65], v[66:67], v[68:69] neg_lo:[0,0,1] neg_hi:[0,0,1]
	s_delay_alu instid0(VALU_DEP_2)
	v_mov_b32_e32 v65, v71
	scratch_store_b64 off, v[64:65], off offset:168
.LBB93_85:
	s_wait_xcnt 0x0
	s_or_b32 exec_lo, exec_lo, s27
	scratch_load_b64 v[64:65], off, off offset:160
	v_cmp_lt_u32_e64 s0, 20, v0
	s_wait_loadcnt 0x0
	ds_store_b64 v1, v[64:65]
	s_wait_storecnt_dscnt 0x0
	s_barrier_signal -1
	s_barrier_wait -1
	s_wait_xcnt 0x0
	s_and_saveexec_b32 s26, s0
	s_cbranch_execz .LBB93_95
; %bb.86:
	s_and_not1_b32 vcc_lo, exec_lo, s3
	s_cbranch_vccnz .LBB93_88
; %bb.87:
	scratch_load_b64 v[64:65], v59, off
	ds_load_b64 v[66:67], v1
	s_wait_loadcnt_dscnt 0x0
	v_pk_mul_f32 v[68:69], v[66:67], v[64:65] op_sel:[1,1] op_sel_hi:[0,1]
	s_delay_alu instid0(VALU_DEP_1) | instskip(SKIP_1) | instid1(VALU_DEP_2)
	v_pk_fma_f32 v[70:71], v[66:67], v[64:65], v[68:69] op_sel_hi:[1,0,1]
	v_pk_fma_f32 v[64:65], v[66:67], v[64:65], v[68:69] neg_lo:[0,0,1] neg_hi:[0,0,1]
	v_mov_b32_e32 v65, v71
	s_cbranch_execz .LBB93_89
	s_branch .LBB93_90
.LBB93_88:
                                        ; implicit-def: $vgpr64_vgpr65
.LBB93_89:
	ds_load_b64 v[64:65], v1
.LBB93_90:
	s_and_saveexec_b32 s27, s1
	s_cbranch_execz .LBB93_94
; %bb.91:
	v_subrev_nc_u32_e32 v66, 21, v0
	s_movk_i32 s28, 0x198
	s_mov_b32 s1, 0
.LBB93_92:                              ; =>This Inner Loop Header: Depth=1
	scratch_load_b64 v[68:69], off, s25
	v_dual_mov_b32 v67, s28 :: v_dual_add_nc_u32 v66, -1, v66
	s_add_co_i32 s28, s28, 8
	s_wait_xcnt 0x0
	s_add_co_i32 s25, s25, 8
	ds_load_b64 v[70:71], v67
	v_cmp_eq_u32_e32 vcc_lo, 0, v66
	s_or_b32 s1, vcc_lo, s1
	s_wait_loadcnt_dscnt 0x0
	v_pk_mul_f32 v[72:73], v[70:71], v[68:69] op_sel:[1,1] op_sel_hi:[0,1]
	s_delay_alu instid0(VALU_DEP_1) | instskip(SKIP_1) | instid1(VALU_DEP_2)
	v_pk_fma_f32 v[74:75], v[70:71], v[68:69], v[72:73] op_sel_hi:[1,0,1]
	v_pk_fma_f32 v[68:69], v[70:71], v[68:69], v[72:73] neg_lo:[0,0,1] neg_hi:[0,0,1]
	v_mov_b32_e32 v69, v75
	s_delay_alu instid0(VALU_DEP_1)
	v_pk_add_f32 v[64:65], v[64:65], v[68:69]
	s_and_not1_b32 exec_lo, exec_lo, s1
	s_cbranch_execnz .LBB93_92
; %bb.93:
	s_or_b32 exec_lo, exec_lo, s1
.LBB93_94:
	s_delay_alu instid0(SALU_CYCLE_1) | instskip(SKIP_4) | instid1(VALU_DEP_1)
	s_or_b32 exec_lo, exec_lo, s27
	v_mov_b32_e32 v66, 0
	ds_load_b64 v[66:67], v66 offset:160
	s_wait_dscnt 0x0
	v_pk_mul_f32 v[68:69], v[64:65], v[66:67] op_sel:[1,1] op_sel_hi:[0,1]
	v_pk_fma_f32 v[70:71], v[64:65], v[66:67], v[68:69] op_sel_hi:[1,0,1]
	v_pk_fma_f32 v[64:65], v[64:65], v[66:67], v[68:69] neg_lo:[0,0,1] neg_hi:[0,0,1]
	s_delay_alu instid0(VALU_DEP_2)
	v_mov_b32_e32 v65, v71
	scratch_store_b64 off, v[64:65], off offset:160
.LBB93_95:
	s_wait_xcnt 0x0
	s_or_b32 exec_lo, exec_lo, s26
	scratch_load_b64 v[64:65], off, off offset:152
	v_cmp_lt_u32_e64 s1, 19, v0
	s_wait_loadcnt 0x0
	ds_store_b64 v1, v[64:65]
	s_wait_storecnt_dscnt 0x0
	s_barrier_signal -1
	s_barrier_wait -1
	s_wait_xcnt 0x0
	s_and_saveexec_b32 s25, s1
	s_cbranch_execz .LBB93_105
; %bb.96:
	s_and_not1_b32 vcc_lo, exec_lo, s3
	s_cbranch_vccnz .LBB93_98
; %bb.97:
	scratch_load_b64 v[64:65], v59, off
	ds_load_b64 v[66:67], v1
	s_wait_loadcnt_dscnt 0x0
	v_pk_mul_f32 v[68:69], v[66:67], v[64:65] op_sel:[1,1] op_sel_hi:[0,1]
	s_delay_alu instid0(VALU_DEP_1) | instskip(SKIP_1) | instid1(VALU_DEP_2)
	v_pk_fma_f32 v[70:71], v[66:67], v[64:65], v[68:69] op_sel_hi:[1,0,1]
	v_pk_fma_f32 v[64:65], v[66:67], v[64:65], v[68:69] neg_lo:[0,0,1] neg_hi:[0,0,1]
	v_mov_b32_e32 v65, v71
	s_cbranch_execz .LBB93_99
	s_branch .LBB93_100
.LBB93_98:
                                        ; implicit-def: $vgpr64_vgpr65
.LBB93_99:
	ds_load_b64 v[64:65], v1
.LBB93_100:
	s_and_saveexec_b32 s26, s0
	s_cbranch_execz .LBB93_104
; %bb.101:
	v_subrev_nc_u32_e32 v66, 20, v0
	s_movk_i32 s27, 0x190
	s_mov_b32 s0, 0
.LBB93_102:                             ; =>This Inner Loop Header: Depth=1
	scratch_load_b64 v[68:69], off, s24
	v_dual_mov_b32 v67, s27 :: v_dual_add_nc_u32 v66, -1, v66
	s_add_co_i32 s27, s27, 8
	s_wait_xcnt 0x0
	s_add_co_i32 s24, s24, 8
	ds_load_b64 v[70:71], v67
	v_cmp_eq_u32_e32 vcc_lo, 0, v66
	s_or_b32 s0, vcc_lo, s0
	s_wait_loadcnt_dscnt 0x0
	v_pk_mul_f32 v[72:73], v[70:71], v[68:69] op_sel:[1,1] op_sel_hi:[0,1]
	s_delay_alu instid0(VALU_DEP_1) | instskip(SKIP_1) | instid1(VALU_DEP_2)
	v_pk_fma_f32 v[74:75], v[70:71], v[68:69], v[72:73] op_sel_hi:[1,0,1]
	v_pk_fma_f32 v[68:69], v[70:71], v[68:69], v[72:73] neg_lo:[0,0,1] neg_hi:[0,0,1]
	v_mov_b32_e32 v69, v75
	s_delay_alu instid0(VALU_DEP_1)
	v_pk_add_f32 v[64:65], v[64:65], v[68:69]
	s_and_not1_b32 exec_lo, exec_lo, s0
	s_cbranch_execnz .LBB93_102
; %bb.103:
	s_or_b32 exec_lo, exec_lo, s0
.LBB93_104:
	s_delay_alu instid0(SALU_CYCLE_1) | instskip(SKIP_4) | instid1(VALU_DEP_1)
	s_or_b32 exec_lo, exec_lo, s26
	v_mov_b32_e32 v66, 0
	ds_load_b64 v[66:67], v66 offset:152
	s_wait_dscnt 0x0
	v_pk_mul_f32 v[68:69], v[64:65], v[66:67] op_sel:[1,1] op_sel_hi:[0,1]
	v_pk_fma_f32 v[70:71], v[64:65], v[66:67], v[68:69] op_sel_hi:[1,0,1]
	v_pk_fma_f32 v[64:65], v[64:65], v[66:67], v[68:69] neg_lo:[0,0,1] neg_hi:[0,0,1]
	s_delay_alu instid0(VALU_DEP_2)
	v_mov_b32_e32 v65, v71
	scratch_store_b64 off, v[64:65], off offset:152
.LBB93_105:
	s_wait_xcnt 0x0
	s_or_b32 exec_lo, exec_lo, s25
	scratch_load_b64 v[64:65], off, off offset:144
	v_cmp_lt_u32_e64 s0, 18, v0
	s_wait_loadcnt 0x0
	ds_store_b64 v1, v[64:65]
	s_wait_storecnt_dscnt 0x0
	s_barrier_signal -1
	s_barrier_wait -1
	s_wait_xcnt 0x0
	s_and_saveexec_b32 s24, s0
	s_cbranch_execz .LBB93_115
; %bb.106:
	s_and_not1_b32 vcc_lo, exec_lo, s3
	s_cbranch_vccnz .LBB93_108
; %bb.107:
	scratch_load_b64 v[64:65], v59, off
	ds_load_b64 v[66:67], v1
	s_wait_loadcnt_dscnt 0x0
	v_pk_mul_f32 v[68:69], v[66:67], v[64:65] op_sel:[1,1] op_sel_hi:[0,1]
	s_delay_alu instid0(VALU_DEP_1) | instskip(SKIP_1) | instid1(VALU_DEP_2)
	v_pk_fma_f32 v[70:71], v[66:67], v[64:65], v[68:69] op_sel_hi:[1,0,1]
	v_pk_fma_f32 v[64:65], v[66:67], v[64:65], v[68:69] neg_lo:[0,0,1] neg_hi:[0,0,1]
	v_mov_b32_e32 v65, v71
	s_cbranch_execz .LBB93_109
	s_branch .LBB93_110
.LBB93_108:
                                        ; implicit-def: $vgpr64_vgpr65
.LBB93_109:
	ds_load_b64 v[64:65], v1
.LBB93_110:
	s_and_saveexec_b32 s25, s1
	s_cbranch_execz .LBB93_114
; %bb.111:
	v_subrev_nc_u32_e32 v66, 19, v0
	s_movk_i32 s26, 0x188
	s_mov_b32 s1, 0
.LBB93_112:                             ; =>This Inner Loop Header: Depth=1
	scratch_load_b64 v[68:69], off, s23
	v_dual_mov_b32 v67, s26 :: v_dual_add_nc_u32 v66, -1, v66
	s_add_co_i32 s26, s26, 8
	s_wait_xcnt 0x0
	s_add_co_i32 s23, s23, 8
	ds_load_b64 v[70:71], v67
	v_cmp_eq_u32_e32 vcc_lo, 0, v66
	s_or_b32 s1, vcc_lo, s1
	s_wait_loadcnt_dscnt 0x0
	v_pk_mul_f32 v[72:73], v[70:71], v[68:69] op_sel:[1,1] op_sel_hi:[0,1]
	s_delay_alu instid0(VALU_DEP_1) | instskip(SKIP_1) | instid1(VALU_DEP_2)
	v_pk_fma_f32 v[74:75], v[70:71], v[68:69], v[72:73] op_sel_hi:[1,0,1]
	v_pk_fma_f32 v[68:69], v[70:71], v[68:69], v[72:73] neg_lo:[0,0,1] neg_hi:[0,0,1]
	v_mov_b32_e32 v69, v75
	s_delay_alu instid0(VALU_DEP_1)
	v_pk_add_f32 v[64:65], v[64:65], v[68:69]
	s_and_not1_b32 exec_lo, exec_lo, s1
	s_cbranch_execnz .LBB93_112
; %bb.113:
	s_or_b32 exec_lo, exec_lo, s1
.LBB93_114:
	s_delay_alu instid0(SALU_CYCLE_1) | instskip(SKIP_4) | instid1(VALU_DEP_1)
	s_or_b32 exec_lo, exec_lo, s25
	v_mov_b32_e32 v66, 0
	ds_load_b64 v[66:67], v66 offset:144
	s_wait_dscnt 0x0
	v_pk_mul_f32 v[68:69], v[64:65], v[66:67] op_sel:[1,1] op_sel_hi:[0,1]
	v_pk_fma_f32 v[70:71], v[64:65], v[66:67], v[68:69] op_sel_hi:[1,0,1]
	v_pk_fma_f32 v[64:65], v[64:65], v[66:67], v[68:69] neg_lo:[0,0,1] neg_hi:[0,0,1]
	s_delay_alu instid0(VALU_DEP_2)
	v_mov_b32_e32 v65, v71
	scratch_store_b64 off, v[64:65], off offset:144
.LBB93_115:
	s_wait_xcnt 0x0
	s_or_b32 exec_lo, exec_lo, s24
	scratch_load_b64 v[64:65], off, off offset:136
	v_cmp_lt_u32_e64 s1, 17, v0
	s_wait_loadcnt 0x0
	ds_store_b64 v1, v[64:65]
	s_wait_storecnt_dscnt 0x0
	s_barrier_signal -1
	s_barrier_wait -1
	s_wait_xcnt 0x0
	s_and_saveexec_b32 s23, s1
	s_cbranch_execz .LBB93_125
; %bb.116:
	s_and_not1_b32 vcc_lo, exec_lo, s3
	s_cbranch_vccnz .LBB93_118
; %bb.117:
	scratch_load_b64 v[64:65], v59, off
	ds_load_b64 v[66:67], v1
	s_wait_loadcnt_dscnt 0x0
	v_pk_mul_f32 v[68:69], v[66:67], v[64:65] op_sel:[1,1] op_sel_hi:[0,1]
	s_delay_alu instid0(VALU_DEP_1) | instskip(SKIP_1) | instid1(VALU_DEP_2)
	v_pk_fma_f32 v[70:71], v[66:67], v[64:65], v[68:69] op_sel_hi:[1,0,1]
	v_pk_fma_f32 v[64:65], v[66:67], v[64:65], v[68:69] neg_lo:[0,0,1] neg_hi:[0,0,1]
	v_mov_b32_e32 v65, v71
	s_cbranch_execz .LBB93_119
	s_branch .LBB93_120
.LBB93_118:
                                        ; implicit-def: $vgpr64_vgpr65
.LBB93_119:
	ds_load_b64 v[64:65], v1
.LBB93_120:
	s_and_saveexec_b32 s24, s0
	s_cbranch_execz .LBB93_124
; %bb.121:
	v_subrev_nc_u32_e32 v66, 18, v0
	s_movk_i32 s25, 0x180
	s_mov_b32 s0, 0
.LBB93_122:                             ; =>This Inner Loop Header: Depth=1
	scratch_load_b64 v[68:69], off, s22
	v_dual_mov_b32 v67, s25 :: v_dual_add_nc_u32 v66, -1, v66
	s_add_co_i32 s25, s25, 8
	s_wait_xcnt 0x0
	s_add_co_i32 s22, s22, 8
	ds_load_b64 v[70:71], v67
	v_cmp_eq_u32_e32 vcc_lo, 0, v66
	s_or_b32 s0, vcc_lo, s0
	s_wait_loadcnt_dscnt 0x0
	v_pk_mul_f32 v[72:73], v[70:71], v[68:69] op_sel:[1,1] op_sel_hi:[0,1]
	s_delay_alu instid0(VALU_DEP_1) | instskip(SKIP_1) | instid1(VALU_DEP_2)
	v_pk_fma_f32 v[74:75], v[70:71], v[68:69], v[72:73] op_sel_hi:[1,0,1]
	v_pk_fma_f32 v[68:69], v[70:71], v[68:69], v[72:73] neg_lo:[0,0,1] neg_hi:[0,0,1]
	v_mov_b32_e32 v69, v75
	s_delay_alu instid0(VALU_DEP_1)
	v_pk_add_f32 v[64:65], v[64:65], v[68:69]
	s_and_not1_b32 exec_lo, exec_lo, s0
	s_cbranch_execnz .LBB93_122
; %bb.123:
	s_or_b32 exec_lo, exec_lo, s0
.LBB93_124:
	s_delay_alu instid0(SALU_CYCLE_1) | instskip(SKIP_4) | instid1(VALU_DEP_1)
	s_or_b32 exec_lo, exec_lo, s24
	v_mov_b32_e32 v66, 0
	ds_load_b64 v[66:67], v66 offset:136
	s_wait_dscnt 0x0
	v_pk_mul_f32 v[68:69], v[64:65], v[66:67] op_sel:[1,1] op_sel_hi:[0,1]
	v_pk_fma_f32 v[70:71], v[64:65], v[66:67], v[68:69] op_sel_hi:[1,0,1]
	v_pk_fma_f32 v[64:65], v[64:65], v[66:67], v[68:69] neg_lo:[0,0,1] neg_hi:[0,0,1]
	s_delay_alu instid0(VALU_DEP_2)
	v_mov_b32_e32 v65, v71
	scratch_store_b64 off, v[64:65], off offset:136
.LBB93_125:
	s_wait_xcnt 0x0
	s_or_b32 exec_lo, exec_lo, s23
	scratch_load_b64 v[64:65], off, off offset:128
	v_cmp_lt_u32_e64 s0, 16, v0
	s_wait_loadcnt 0x0
	ds_store_b64 v1, v[64:65]
	s_wait_storecnt_dscnt 0x0
	s_barrier_signal -1
	s_barrier_wait -1
	s_wait_xcnt 0x0
	s_and_saveexec_b32 s22, s0
	s_cbranch_execz .LBB93_135
; %bb.126:
	s_and_not1_b32 vcc_lo, exec_lo, s3
	s_cbranch_vccnz .LBB93_128
; %bb.127:
	scratch_load_b64 v[64:65], v59, off
	ds_load_b64 v[66:67], v1
	s_wait_loadcnt_dscnt 0x0
	v_pk_mul_f32 v[68:69], v[66:67], v[64:65] op_sel:[1,1] op_sel_hi:[0,1]
	s_delay_alu instid0(VALU_DEP_1) | instskip(SKIP_1) | instid1(VALU_DEP_2)
	v_pk_fma_f32 v[70:71], v[66:67], v[64:65], v[68:69] op_sel_hi:[1,0,1]
	v_pk_fma_f32 v[64:65], v[66:67], v[64:65], v[68:69] neg_lo:[0,0,1] neg_hi:[0,0,1]
	v_mov_b32_e32 v65, v71
	s_cbranch_execz .LBB93_129
	s_branch .LBB93_130
.LBB93_128:
                                        ; implicit-def: $vgpr64_vgpr65
.LBB93_129:
	ds_load_b64 v[64:65], v1
.LBB93_130:
	s_and_saveexec_b32 s23, s1
	s_cbranch_execz .LBB93_134
; %bb.131:
	v_subrev_nc_u32_e32 v66, 17, v0
	s_movk_i32 s24, 0x178
	s_mov_b32 s1, 0
.LBB93_132:                             ; =>This Inner Loop Header: Depth=1
	scratch_load_b64 v[68:69], off, s21
	v_dual_mov_b32 v67, s24 :: v_dual_add_nc_u32 v66, -1, v66
	s_add_co_i32 s24, s24, 8
	s_wait_xcnt 0x0
	s_add_co_i32 s21, s21, 8
	ds_load_b64 v[70:71], v67
	v_cmp_eq_u32_e32 vcc_lo, 0, v66
	s_or_b32 s1, vcc_lo, s1
	s_wait_loadcnt_dscnt 0x0
	v_pk_mul_f32 v[72:73], v[70:71], v[68:69] op_sel:[1,1] op_sel_hi:[0,1]
	s_delay_alu instid0(VALU_DEP_1) | instskip(SKIP_1) | instid1(VALU_DEP_2)
	v_pk_fma_f32 v[74:75], v[70:71], v[68:69], v[72:73] op_sel_hi:[1,0,1]
	v_pk_fma_f32 v[68:69], v[70:71], v[68:69], v[72:73] neg_lo:[0,0,1] neg_hi:[0,0,1]
	v_mov_b32_e32 v69, v75
	s_delay_alu instid0(VALU_DEP_1)
	v_pk_add_f32 v[64:65], v[64:65], v[68:69]
	s_and_not1_b32 exec_lo, exec_lo, s1
	s_cbranch_execnz .LBB93_132
; %bb.133:
	s_or_b32 exec_lo, exec_lo, s1
.LBB93_134:
	s_delay_alu instid0(SALU_CYCLE_1) | instskip(SKIP_4) | instid1(VALU_DEP_1)
	s_or_b32 exec_lo, exec_lo, s23
	v_mov_b32_e32 v66, 0
	ds_load_b64 v[66:67], v66 offset:128
	s_wait_dscnt 0x0
	v_pk_mul_f32 v[68:69], v[64:65], v[66:67] op_sel:[1,1] op_sel_hi:[0,1]
	v_pk_fma_f32 v[70:71], v[64:65], v[66:67], v[68:69] op_sel_hi:[1,0,1]
	v_pk_fma_f32 v[64:65], v[64:65], v[66:67], v[68:69] neg_lo:[0,0,1] neg_hi:[0,0,1]
	s_delay_alu instid0(VALU_DEP_2)
	v_mov_b32_e32 v65, v71
	scratch_store_b64 off, v[64:65], off offset:128
.LBB93_135:
	s_wait_xcnt 0x0
	s_or_b32 exec_lo, exec_lo, s22
	scratch_load_b64 v[64:65], off, off offset:120
	v_cmp_lt_u32_e64 s1, 15, v0
	s_wait_loadcnt 0x0
	ds_store_b64 v1, v[64:65]
	s_wait_storecnt_dscnt 0x0
	s_barrier_signal -1
	s_barrier_wait -1
	s_wait_xcnt 0x0
	s_and_saveexec_b32 s21, s1
	s_cbranch_execz .LBB93_145
; %bb.136:
	s_and_not1_b32 vcc_lo, exec_lo, s3
	s_cbranch_vccnz .LBB93_138
; %bb.137:
	scratch_load_b64 v[64:65], v59, off
	ds_load_b64 v[66:67], v1
	s_wait_loadcnt_dscnt 0x0
	v_pk_mul_f32 v[68:69], v[66:67], v[64:65] op_sel:[1,1] op_sel_hi:[0,1]
	s_delay_alu instid0(VALU_DEP_1) | instskip(SKIP_1) | instid1(VALU_DEP_2)
	v_pk_fma_f32 v[70:71], v[66:67], v[64:65], v[68:69] op_sel_hi:[1,0,1]
	v_pk_fma_f32 v[64:65], v[66:67], v[64:65], v[68:69] neg_lo:[0,0,1] neg_hi:[0,0,1]
	v_mov_b32_e32 v65, v71
	s_cbranch_execz .LBB93_139
	s_branch .LBB93_140
.LBB93_138:
                                        ; implicit-def: $vgpr64_vgpr65
.LBB93_139:
	ds_load_b64 v[64:65], v1
.LBB93_140:
	s_and_saveexec_b32 s22, s0
	s_cbranch_execz .LBB93_144
; %bb.141:
	v_add_nc_u32_e32 v66, -16, v0
	s_movk_i32 s23, 0x170
	s_mov_b32 s0, 0
.LBB93_142:                             ; =>This Inner Loop Header: Depth=1
	scratch_load_b64 v[68:69], off, s20
	v_dual_mov_b32 v67, s23 :: v_dual_add_nc_u32 v66, -1, v66
	s_add_co_i32 s23, s23, 8
	s_wait_xcnt 0x0
	s_add_co_i32 s20, s20, 8
	ds_load_b64 v[70:71], v67
	v_cmp_eq_u32_e32 vcc_lo, 0, v66
	s_or_b32 s0, vcc_lo, s0
	s_wait_loadcnt_dscnt 0x0
	v_pk_mul_f32 v[72:73], v[70:71], v[68:69] op_sel:[1,1] op_sel_hi:[0,1]
	s_delay_alu instid0(VALU_DEP_1) | instskip(SKIP_1) | instid1(VALU_DEP_2)
	v_pk_fma_f32 v[74:75], v[70:71], v[68:69], v[72:73] op_sel_hi:[1,0,1]
	v_pk_fma_f32 v[68:69], v[70:71], v[68:69], v[72:73] neg_lo:[0,0,1] neg_hi:[0,0,1]
	v_mov_b32_e32 v69, v75
	s_delay_alu instid0(VALU_DEP_1)
	v_pk_add_f32 v[64:65], v[64:65], v[68:69]
	s_and_not1_b32 exec_lo, exec_lo, s0
	s_cbranch_execnz .LBB93_142
; %bb.143:
	s_or_b32 exec_lo, exec_lo, s0
.LBB93_144:
	s_delay_alu instid0(SALU_CYCLE_1) | instskip(SKIP_4) | instid1(VALU_DEP_1)
	s_or_b32 exec_lo, exec_lo, s22
	v_mov_b32_e32 v66, 0
	ds_load_b64 v[66:67], v66 offset:120
	s_wait_dscnt 0x0
	v_pk_mul_f32 v[68:69], v[64:65], v[66:67] op_sel:[1,1] op_sel_hi:[0,1]
	v_pk_fma_f32 v[70:71], v[64:65], v[66:67], v[68:69] op_sel_hi:[1,0,1]
	v_pk_fma_f32 v[64:65], v[64:65], v[66:67], v[68:69] neg_lo:[0,0,1] neg_hi:[0,0,1]
	s_delay_alu instid0(VALU_DEP_2)
	v_mov_b32_e32 v65, v71
	scratch_store_b64 off, v[64:65], off offset:120
.LBB93_145:
	s_wait_xcnt 0x0
	s_or_b32 exec_lo, exec_lo, s21
	scratch_load_b64 v[64:65], off, off offset:112
	v_cmp_lt_u32_e64 s0, 14, v0
	s_wait_loadcnt 0x0
	ds_store_b64 v1, v[64:65]
	s_wait_storecnt_dscnt 0x0
	s_barrier_signal -1
	s_barrier_wait -1
	s_wait_xcnt 0x0
	s_and_saveexec_b32 s20, s0
	s_cbranch_execz .LBB93_155
; %bb.146:
	s_and_not1_b32 vcc_lo, exec_lo, s3
	s_cbranch_vccnz .LBB93_148
; %bb.147:
	scratch_load_b64 v[64:65], v59, off
	ds_load_b64 v[66:67], v1
	s_wait_loadcnt_dscnt 0x0
	v_pk_mul_f32 v[68:69], v[66:67], v[64:65] op_sel:[1,1] op_sel_hi:[0,1]
	s_delay_alu instid0(VALU_DEP_1) | instskip(SKIP_1) | instid1(VALU_DEP_2)
	v_pk_fma_f32 v[70:71], v[66:67], v[64:65], v[68:69] op_sel_hi:[1,0,1]
	v_pk_fma_f32 v[64:65], v[66:67], v[64:65], v[68:69] neg_lo:[0,0,1] neg_hi:[0,0,1]
	v_mov_b32_e32 v65, v71
	s_cbranch_execz .LBB93_149
	s_branch .LBB93_150
.LBB93_148:
                                        ; implicit-def: $vgpr64_vgpr65
.LBB93_149:
	ds_load_b64 v[64:65], v1
.LBB93_150:
	s_and_saveexec_b32 s21, s1
	s_cbranch_execz .LBB93_154
; %bb.151:
	v_add_nc_u32_e32 v66, -15, v0
	s_movk_i32 s22, 0x168
	s_mov_b32 s1, 0
.LBB93_152:                             ; =>This Inner Loop Header: Depth=1
	scratch_load_b64 v[68:69], off, s19
	v_dual_mov_b32 v67, s22 :: v_dual_add_nc_u32 v66, -1, v66
	s_add_co_i32 s22, s22, 8
	s_wait_xcnt 0x0
	s_add_co_i32 s19, s19, 8
	ds_load_b64 v[70:71], v67
	v_cmp_eq_u32_e32 vcc_lo, 0, v66
	s_or_b32 s1, vcc_lo, s1
	s_wait_loadcnt_dscnt 0x0
	v_pk_mul_f32 v[72:73], v[70:71], v[68:69] op_sel:[1,1] op_sel_hi:[0,1]
	s_delay_alu instid0(VALU_DEP_1) | instskip(SKIP_1) | instid1(VALU_DEP_2)
	v_pk_fma_f32 v[74:75], v[70:71], v[68:69], v[72:73] op_sel_hi:[1,0,1]
	v_pk_fma_f32 v[68:69], v[70:71], v[68:69], v[72:73] neg_lo:[0,0,1] neg_hi:[0,0,1]
	v_mov_b32_e32 v69, v75
	s_delay_alu instid0(VALU_DEP_1)
	v_pk_add_f32 v[64:65], v[64:65], v[68:69]
	s_and_not1_b32 exec_lo, exec_lo, s1
	s_cbranch_execnz .LBB93_152
; %bb.153:
	s_or_b32 exec_lo, exec_lo, s1
.LBB93_154:
	s_delay_alu instid0(SALU_CYCLE_1) | instskip(SKIP_4) | instid1(VALU_DEP_1)
	s_or_b32 exec_lo, exec_lo, s21
	v_mov_b32_e32 v66, 0
	ds_load_b64 v[66:67], v66 offset:112
	s_wait_dscnt 0x0
	v_pk_mul_f32 v[68:69], v[64:65], v[66:67] op_sel:[1,1] op_sel_hi:[0,1]
	v_pk_fma_f32 v[70:71], v[64:65], v[66:67], v[68:69] op_sel_hi:[1,0,1]
	v_pk_fma_f32 v[64:65], v[64:65], v[66:67], v[68:69] neg_lo:[0,0,1] neg_hi:[0,0,1]
	s_delay_alu instid0(VALU_DEP_2)
	v_mov_b32_e32 v65, v71
	scratch_store_b64 off, v[64:65], off offset:112
.LBB93_155:
	s_wait_xcnt 0x0
	s_or_b32 exec_lo, exec_lo, s20
	scratch_load_b64 v[64:65], off, off offset:104
	v_cmp_lt_u32_e64 s1, 13, v0
	s_wait_loadcnt 0x0
	ds_store_b64 v1, v[64:65]
	s_wait_storecnt_dscnt 0x0
	s_barrier_signal -1
	s_barrier_wait -1
	s_wait_xcnt 0x0
	s_and_saveexec_b32 s19, s1
	s_cbranch_execz .LBB93_165
; %bb.156:
	s_and_not1_b32 vcc_lo, exec_lo, s3
	s_cbranch_vccnz .LBB93_158
; %bb.157:
	scratch_load_b64 v[64:65], v59, off
	ds_load_b64 v[66:67], v1
	s_wait_loadcnt_dscnt 0x0
	v_pk_mul_f32 v[68:69], v[66:67], v[64:65] op_sel:[1,1] op_sel_hi:[0,1]
	s_delay_alu instid0(VALU_DEP_1) | instskip(SKIP_1) | instid1(VALU_DEP_2)
	v_pk_fma_f32 v[70:71], v[66:67], v[64:65], v[68:69] op_sel_hi:[1,0,1]
	v_pk_fma_f32 v[64:65], v[66:67], v[64:65], v[68:69] neg_lo:[0,0,1] neg_hi:[0,0,1]
	v_mov_b32_e32 v65, v71
	s_cbranch_execz .LBB93_159
	s_branch .LBB93_160
.LBB93_158:
                                        ; implicit-def: $vgpr64_vgpr65
.LBB93_159:
	ds_load_b64 v[64:65], v1
.LBB93_160:
	s_and_saveexec_b32 s20, s0
	s_cbranch_execz .LBB93_164
; %bb.161:
	v_add_nc_u32_e32 v66, -14, v0
	s_movk_i32 s21, 0x160
	s_mov_b32 s0, 0
.LBB93_162:                             ; =>This Inner Loop Header: Depth=1
	scratch_load_b64 v[68:69], off, s18
	v_dual_mov_b32 v67, s21 :: v_dual_add_nc_u32 v66, -1, v66
	s_add_co_i32 s21, s21, 8
	s_wait_xcnt 0x0
	s_add_co_i32 s18, s18, 8
	ds_load_b64 v[70:71], v67
	v_cmp_eq_u32_e32 vcc_lo, 0, v66
	s_or_b32 s0, vcc_lo, s0
	s_wait_loadcnt_dscnt 0x0
	v_pk_mul_f32 v[72:73], v[70:71], v[68:69] op_sel:[1,1] op_sel_hi:[0,1]
	s_delay_alu instid0(VALU_DEP_1) | instskip(SKIP_1) | instid1(VALU_DEP_2)
	v_pk_fma_f32 v[74:75], v[70:71], v[68:69], v[72:73] op_sel_hi:[1,0,1]
	v_pk_fma_f32 v[68:69], v[70:71], v[68:69], v[72:73] neg_lo:[0,0,1] neg_hi:[0,0,1]
	v_mov_b32_e32 v69, v75
	s_delay_alu instid0(VALU_DEP_1)
	v_pk_add_f32 v[64:65], v[64:65], v[68:69]
	s_and_not1_b32 exec_lo, exec_lo, s0
	s_cbranch_execnz .LBB93_162
; %bb.163:
	s_or_b32 exec_lo, exec_lo, s0
.LBB93_164:
	s_delay_alu instid0(SALU_CYCLE_1) | instskip(SKIP_4) | instid1(VALU_DEP_1)
	s_or_b32 exec_lo, exec_lo, s20
	v_mov_b32_e32 v66, 0
	ds_load_b64 v[66:67], v66 offset:104
	s_wait_dscnt 0x0
	v_pk_mul_f32 v[68:69], v[64:65], v[66:67] op_sel:[1,1] op_sel_hi:[0,1]
	v_pk_fma_f32 v[70:71], v[64:65], v[66:67], v[68:69] op_sel_hi:[1,0,1]
	v_pk_fma_f32 v[64:65], v[64:65], v[66:67], v[68:69] neg_lo:[0,0,1] neg_hi:[0,0,1]
	s_delay_alu instid0(VALU_DEP_2)
	v_mov_b32_e32 v65, v71
	scratch_store_b64 off, v[64:65], off offset:104
.LBB93_165:
	s_wait_xcnt 0x0
	s_or_b32 exec_lo, exec_lo, s19
	scratch_load_b64 v[64:65], off, off offset:96
	v_cmp_lt_u32_e64 s0, 12, v0
	s_wait_loadcnt 0x0
	ds_store_b64 v1, v[64:65]
	s_wait_storecnt_dscnt 0x0
	s_barrier_signal -1
	s_barrier_wait -1
	s_wait_xcnt 0x0
	s_and_saveexec_b32 s18, s0
	s_cbranch_execz .LBB93_175
; %bb.166:
	s_and_not1_b32 vcc_lo, exec_lo, s3
	s_cbranch_vccnz .LBB93_168
; %bb.167:
	scratch_load_b64 v[64:65], v59, off
	ds_load_b64 v[66:67], v1
	s_wait_loadcnt_dscnt 0x0
	v_pk_mul_f32 v[68:69], v[66:67], v[64:65] op_sel:[1,1] op_sel_hi:[0,1]
	s_delay_alu instid0(VALU_DEP_1) | instskip(SKIP_1) | instid1(VALU_DEP_2)
	v_pk_fma_f32 v[70:71], v[66:67], v[64:65], v[68:69] op_sel_hi:[1,0,1]
	v_pk_fma_f32 v[64:65], v[66:67], v[64:65], v[68:69] neg_lo:[0,0,1] neg_hi:[0,0,1]
	v_mov_b32_e32 v65, v71
	s_cbranch_execz .LBB93_169
	s_branch .LBB93_170
.LBB93_168:
                                        ; implicit-def: $vgpr64_vgpr65
.LBB93_169:
	ds_load_b64 v[64:65], v1
.LBB93_170:
	s_and_saveexec_b32 s19, s1
	s_cbranch_execz .LBB93_174
; %bb.171:
	v_add_nc_u32_e32 v66, -13, v0
	s_movk_i32 s20, 0x158
	s_mov_b32 s1, 0
.LBB93_172:                             ; =>This Inner Loop Header: Depth=1
	scratch_load_b64 v[68:69], off, s17
	v_dual_mov_b32 v67, s20 :: v_dual_add_nc_u32 v66, -1, v66
	s_add_co_i32 s20, s20, 8
	s_wait_xcnt 0x0
	s_add_co_i32 s17, s17, 8
	ds_load_b64 v[70:71], v67
	v_cmp_eq_u32_e32 vcc_lo, 0, v66
	s_or_b32 s1, vcc_lo, s1
	s_wait_loadcnt_dscnt 0x0
	v_pk_mul_f32 v[72:73], v[70:71], v[68:69] op_sel:[1,1] op_sel_hi:[0,1]
	s_delay_alu instid0(VALU_DEP_1) | instskip(SKIP_1) | instid1(VALU_DEP_2)
	v_pk_fma_f32 v[74:75], v[70:71], v[68:69], v[72:73] op_sel_hi:[1,0,1]
	v_pk_fma_f32 v[68:69], v[70:71], v[68:69], v[72:73] neg_lo:[0,0,1] neg_hi:[0,0,1]
	v_mov_b32_e32 v69, v75
	s_delay_alu instid0(VALU_DEP_1)
	v_pk_add_f32 v[64:65], v[64:65], v[68:69]
	s_and_not1_b32 exec_lo, exec_lo, s1
	s_cbranch_execnz .LBB93_172
; %bb.173:
	s_or_b32 exec_lo, exec_lo, s1
.LBB93_174:
	s_delay_alu instid0(SALU_CYCLE_1) | instskip(SKIP_4) | instid1(VALU_DEP_1)
	s_or_b32 exec_lo, exec_lo, s19
	v_mov_b32_e32 v66, 0
	ds_load_b64 v[66:67], v66 offset:96
	s_wait_dscnt 0x0
	v_pk_mul_f32 v[68:69], v[64:65], v[66:67] op_sel:[1,1] op_sel_hi:[0,1]
	v_pk_fma_f32 v[70:71], v[64:65], v[66:67], v[68:69] op_sel_hi:[1,0,1]
	v_pk_fma_f32 v[64:65], v[64:65], v[66:67], v[68:69] neg_lo:[0,0,1] neg_hi:[0,0,1]
	s_delay_alu instid0(VALU_DEP_2)
	v_mov_b32_e32 v65, v71
	scratch_store_b64 off, v[64:65], off offset:96
.LBB93_175:
	s_wait_xcnt 0x0
	s_or_b32 exec_lo, exec_lo, s18
	scratch_load_b64 v[64:65], off, off offset:88
	v_cmp_lt_u32_e64 s1, 11, v0
	s_wait_loadcnt 0x0
	ds_store_b64 v1, v[64:65]
	s_wait_storecnt_dscnt 0x0
	s_barrier_signal -1
	s_barrier_wait -1
	s_wait_xcnt 0x0
	s_and_saveexec_b32 s17, s1
	s_cbranch_execz .LBB93_185
; %bb.176:
	s_and_not1_b32 vcc_lo, exec_lo, s3
	s_cbranch_vccnz .LBB93_178
; %bb.177:
	scratch_load_b64 v[64:65], v59, off
	ds_load_b64 v[66:67], v1
	s_wait_loadcnt_dscnt 0x0
	v_pk_mul_f32 v[68:69], v[66:67], v[64:65] op_sel:[1,1] op_sel_hi:[0,1]
	s_delay_alu instid0(VALU_DEP_1) | instskip(SKIP_1) | instid1(VALU_DEP_2)
	v_pk_fma_f32 v[70:71], v[66:67], v[64:65], v[68:69] op_sel_hi:[1,0,1]
	v_pk_fma_f32 v[64:65], v[66:67], v[64:65], v[68:69] neg_lo:[0,0,1] neg_hi:[0,0,1]
	v_mov_b32_e32 v65, v71
	s_cbranch_execz .LBB93_179
	s_branch .LBB93_180
.LBB93_178:
                                        ; implicit-def: $vgpr64_vgpr65
.LBB93_179:
	ds_load_b64 v[64:65], v1
.LBB93_180:
	s_and_saveexec_b32 s18, s0
	s_cbranch_execz .LBB93_184
; %bb.181:
	v_add_nc_u32_e32 v66, -12, v0
	s_movk_i32 s19, 0x150
	s_mov_b32 s0, 0
.LBB93_182:                             ; =>This Inner Loop Header: Depth=1
	scratch_load_b64 v[68:69], off, s16
	v_dual_mov_b32 v67, s19 :: v_dual_add_nc_u32 v66, -1, v66
	s_add_co_i32 s19, s19, 8
	s_wait_xcnt 0x0
	s_add_co_i32 s16, s16, 8
	ds_load_b64 v[70:71], v67
	v_cmp_eq_u32_e32 vcc_lo, 0, v66
	s_or_b32 s0, vcc_lo, s0
	s_wait_loadcnt_dscnt 0x0
	v_pk_mul_f32 v[72:73], v[70:71], v[68:69] op_sel:[1,1] op_sel_hi:[0,1]
	s_delay_alu instid0(VALU_DEP_1) | instskip(SKIP_1) | instid1(VALU_DEP_2)
	v_pk_fma_f32 v[74:75], v[70:71], v[68:69], v[72:73] op_sel_hi:[1,0,1]
	v_pk_fma_f32 v[68:69], v[70:71], v[68:69], v[72:73] neg_lo:[0,0,1] neg_hi:[0,0,1]
	v_mov_b32_e32 v69, v75
	s_delay_alu instid0(VALU_DEP_1)
	v_pk_add_f32 v[64:65], v[64:65], v[68:69]
	s_and_not1_b32 exec_lo, exec_lo, s0
	s_cbranch_execnz .LBB93_182
; %bb.183:
	s_or_b32 exec_lo, exec_lo, s0
.LBB93_184:
	s_delay_alu instid0(SALU_CYCLE_1) | instskip(SKIP_4) | instid1(VALU_DEP_1)
	s_or_b32 exec_lo, exec_lo, s18
	v_mov_b32_e32 v66, 0
	ds_load_b64 v[66:67], v66 offset:88
	s_wait_dscnt 0x0
	v_pk_mul_f32 v[68:69], v[64:65], v[66:67] op_sel:[1,1] op_sel_hi:[0,1]
	v_pk_fma_f32 v[70:71], v[64:65], v[66:67], v[68:69] op_sel_hi:[1,0,1]
	v_pk_fma_f32 v[64:65], v[64:65], v[66:67], v[68:69] neg_lo:[0,0,1] neg_hi:[0,0,1]
	s_delay_alu instid0(VALU_DEP_2)
	v_mov_b32_e32 v65, v71
	scratch_store_b64 off, v[64:65], off offset:88
.LBB93_185:
	s_wait_xcnt 0x0
	s_or_b32 exec_lo, exec_lo, s17
	scratch_load_b64 v[64:65], off, off offset:80
	v_cmp_lt_u32_e64 s0, 10, v0
	s_wait_loadcnt 0x0
	ds_store_b64 v1, v[64:65]
	s_wait_storecnt_dscnt 0x0
	s_barrier_signal -1
	s_barrier_wait -1
	s_wait_xcnt 0x0
	s_and_saveexec_b32 s16, s0
	s_cbranch_execz .LBB93_195
; %bb.186:
	s_and_not1_b32 vcc_lo, exec_lo, s3
	s_cbranch_vccnz .LBB93_188
; %bb.187:
	scratch_load_b64 v[64:65], v59, off
	ds_load_b64 v[66:67], v1
	s_wait_loadcnt_dscnt 0x0
	v_pk_mul_f32 v[68:69], v[66:67], v[64:65] op_sel:[1,1] op_sel_hi:[0,1]
	s_delay_alu instid0(VALU_DEP_1) | instskip(SKIP_1) | instid1(VALU_DEP_2)
	v_pk_fma_f32 v[70:71], v[66:67], v[64:65], v[68:69] op_sel_hi:[1,0,1]
	v_pk_fma_f32 v[64:65], v[66:67], v[64:65], v[68:69] neg_lo:[0,0,1] neg_hi:[0,0,1]
	v_mov_b32_e32 v65, v71
	s_cbranch_execz .LBB93_189
	s_branch .LBB93_190
.LBB93_188:
                                        ; implicit-def: $vgpr64_vgpr65
.LBB93_189:
	ds_load_b64 v[64:65], v1
.LBB93_190:
	s_and_saveexec_b32 s17, s1
	s_cbranch_execz .LBB93_194
; %bb.191:
	v_add_nc_u32_e32 v66, -11, v0
	s_movk_i32 s18, 0x148
	s_mov_b32 s1, 0
.LBB93_192:                             ; =>This Inner Loop Header: Depth=1
	scratch_load_b64 v[68:69], off, s15
	v_dual_mov_b32 v67, s18 :: v_dual_add_nc_u32 v66, -1, v66
	s_add_co_i32 s18, s18, 8
	s_wait_xcnt 0x0
	s_add_co_i32 s15, s15, 8
	ds_load_b64 v[70:71], v67
	v_cmp_eq_u32_e32 vcc_lo, 0, v66
	s_or_b32 s1, vcc_lo, s1
	s_wait_loadcnt_dscnt 0x0
	v_pk_mul_f32 v[72:73], v[70:71], v[68:69] op_sel:[1,1] op_sel_hi:[0,1]
	s_delay_alu instid0(VALU_DEP_1) | instskip(SKIP_1) | instid1(VALU_DEP_2)
	v_pk_fma_f32 v[74:75], v[70:71], v[68:69], v[72:73] op_sel_hi:[1,0,1]
	v_pk_fma_f32 v[68:69], v[70:71], v[68:69], v[72:73] neg_lo:[0,0,1] neg_hi:[0,0,1]
	v_mov_b32_e32 v69, v75
	s_delay_alu instid0(VALU_DEP_1)
	v_pk_add_f32 v[64:65], v[64:65], v[68:69]
	s_and_not1_b32 exec_lo, exec_lo, s1
	s_cbranch_execnz .LBB93_192
; %bb.193:
	s_or_b32 exec_lo, exec_lo, s1
.LBB93_194:
	s_delay_alu instid0(SALU_CYCLE_1) | instskip(SKIP_4) | instid1(VALU_DEP_1)
	s_or_b32 exec_lo, exec_lo, s17
	v_mov_b32_e32 v66, 0
	ds_load_b64 v[66:67], v66 offset:80
	s_wait_dscnt 0x0
	v_pk_mul_f32 v[68:69], v[64:65], v[66:67] op_sel:[1,1] op_sel_hi:[0,1]
	v_pk_fma_f32 v[70:71], v[64:65], v[66:67], v[68:69] op_sel_hi:[1,0,1]
	v_pk_fma_f32 v[64:65], v[64:65], v[66:67], v[68:69] neg_lo:[0,0,1] neg_hi:[0,0,1]
	s_delay_alu instid0(VALU_DEP_2)
	v_mov_b32_e32 v65, v71
	scratch_store_b64 off, v[64:65], off offset:80
.LBB93_195:
	s_wait_xcnt 0x0
	s_or_b32 exec_lo, exec_lo, s16
	scratch_load_b64 v[64:65], off, off offset:72
	v_cmp_lt_u32_e64 s1, 9, v0
	s_wait_loadcnt 0x0
	ds_store_b64 v1, v[64:65]
	s_wait_storecnt_dscnt 0x0
	s_barrier_signal -1
	s_barrier_wait -1
	s_wait_xcnt 0x0
	s_and_saveexec_b32 s15, s1
	s_cbranch_execz .LBB93_205
; %bb.196:
	s_and_not1_b32 vcc_lo, exec_lo, s3
	s_cbranch_vccnz .LBB93_198
; %bb.197:
	scratch_load_b64 v[64:65], v59, off
	ds_load_b64 v[66:67], v1
	s_wait_loadcnt_dscnt 0x0
	v_pk_mul_f32 v[68:69], v[66:67], v[64:65] op_sel:[1,1] op_sel_hi:[0,1]
	s_delay_alu instid0(VALU_DEP_1) | instskip(SKIP_1) | instid1(VALU_DEP_2)
	v_pk_fma_f32 v[70:71], v[66:67], v[64:65], v[68:69] op_sel_hi:[1,0,1]
	v_pk_fma_f32 v[64:65], v[66:67], v[64:65], v[68:69] neg_lo:[0,0,1] neg_hi:[0,0,1]
	v_mov_b32_e32 v65, v71
	s_cbranch_execz .LBB93_199
	s_branch .LBB93_200
.LBB93_198:
                                        ; implicit-def: $vgpr64_vgpr65
.LBB93_199:
	ds_load_b64 v[64:65], v1
.LBB93_200:
	s_and_saveexec_b32 s16, s0
	s_cbranch_execz .LBB93_204
; %bb.201:
	v_add_nc_u32_e32 v66, -10, v0
	s_movk_i32 s17, 0x140
	s_mov_b32 s0, 0
.LBB93_202:                             ; =>This Inner Loop Header: Depth=1
	scratch_load_b64 v[68:69], off, s14
	v_dual_mov_b32 v67, s17 :: v_dual_add_nc_u32 v66, -1, v66
	s_add_co_i32 s17, s17, 8
	s_wait_xcnt 0x0
	s_add_co_i32 s14, s14, 8
	ds_load_b64 v[70:71], v67
	v_cmp_eq_u32_e32 vcc_lo, 0, v66
	s_or_b32 s0, vcc_lo, s0
	s_wait_loadcnt_dscnt 0x0
	v_pk_mul_f32 v[72:73], v[70:71], v[68:69] op_sel:[1,1] op_sel_hi:[0,1]
	s_delay_alu instid0(VALU_DEP_1) | instskip(SKIP_1) | instid1(VALU_DEP_2)
	v_pk_fma_f32 v[74:75], v[70:71], v[68:69], v[72:73] op_sel_hi:[1,0,1]
	v_pk_fma_f32 v[68:69], v[70:71], v[68:69], v[72:73] neg_lo:[0,0,1] neg_hi:[0,0,1]
	v_mov_b32_e32 v69, v75
	s_delay_alu instid0(VALU_DEP_1)
	v_pk_add_f32 v[64:65], v[64:65], v[68:69]
	s_and_not1_b32 exec_lo, exec_lo, s0
	s_cbranch_execnz .LBB93_202
; %bb.203:
	s_or_b32 exec_lo, exec_lo, s0
.LBB93_204:
	s_delay_alu instid0(SALU_CYCLE_1) | instskip(SKIP_4) | instid1(VALU_DEP_1)
	s_or_b32 exec_lo, exec_lo, s16
	v_mov_b32_e32 v66, 0
	ds_load_b64 v[66:67], v66 offset:72
	s_wait_dscnt 0x0
	v_pk_mul_f32 v[68:69], v[64:65], v[66:67] op_sel:[1,1] op_sel_hi:[0,1]
	v_pk_fma_f32 v[70:71], v[64:65], v[66:67], v[68:69] op_sel_hi:[1,0,1]
	v_pk_fma_f32 v[64:65], v[64:65], v[66:67], v[68:69] neg_lo:[0,0,1] neg_hi:[0,0,1]
	s_delay_alu instid0(VALU_DEP_2)
	v_mov_b32_e32 v65, v71
	scratch_store_b64 off, v[64:65], off offset:72
.LBB93_205:
	s_wait_xcnt 0x0
	s_or_b32 exec_lo, exec_lo, s15
	scratch_load_b64 v[64:65], off, off offset:64
	v_cmp_lt_u32_e64 s0, 8, v0
	s_wait_loadcnt 0x0
	ds_store_b64 v1, v[64:65]
	s_wait_storecnt_dscnt 0x0
	s_barrier_signal -1
	s_barrier_wait -1
	s_wait_xcnt 0x0
	s_and_saveexec_b32 s14, s0
	s_cbranch_execz .LBB93_215
; %bb.206:
	s_and_not1_b32 vcc_lo, exec_lo, s3
	s_cbranch_vccnz .LBB93_208
; %bb.207:
	scratch_load_b64 v[64:65], v59, off
	ds_load_b64 v[66:67], v1
	s_wait_loadcnt_dscnt 0x0
	v_pk_mul_f32 v[68:69], v[66:67], v[64:65] op_sel:[1,1] op_sel_hi:[0,1]
	s_delay_alu instid0(VALU_DEP_1) | instskip(SKIP_1) | instid1(VALU_DEP_2)
	v_pk_fma_f32 v[70:71], v[66:67], v[64:65], v[68:69] op_sel_hi:[1,0,1]
	v_pk_fma_f32 v[64:65], v[66:67], v[64:65], v[68:69] neg_lo:[0,0,1] neg_hi:[0,0,1]
	v_mov_b32_e32 v65, v71
	s_cbranch_execz .LBB93_209
	s_branch .LBB93_210
.LBB93_208:
                                        ; implicit-def: $vgpr64_vgpr65
.LBB93_209:
	ds_load_b64 v[64:65], v1
.LBB93_210:
	s_and_saveexec_b32 s15, s1
	s_cbranch_execz .LBB93_214
; %bb.211:
	v_add_nc_u32_e32 v66, -9, v0
	s_movk_i32 s16, 0x138
	s_mov_b32 s1, 0
.LBB93_212:                             ; =>This Inner Loop Header: Depth=1
	scratch_load_b64 v[68:69], off, s13
	v_dual_mov_b32 v67, s16 :: v_dual_add_nc_u32 v66, -1, v66
	s_add_co_i32 s16, s16, 8
	s_wait_xcnt 0x0
	s_add_co_i32 s13, s13, 8
	ds_load_b64 v[70:71], v67
	v_cmp_eq_u32_e32 vcc_lo, 0, v66
	s_or_b32 s1, vcc_lo, s1
	s_wait_loadcnt_dscnt 0x0
	v_pk_mul_f32 v[72:73], v[70:71], v[68:69] op_sel:[1,1] op_sel_hi:[0,1]
	s_delay_alu instid0(VALU_DEP_1) | instskip(SKIP_1) | instid1(VALU_DEP_2)
	v_pk_fma_f32 v[74:75], v[70:71], v[68:69], v[72:73] op_sel_hi:[1,0,1]
	v_pk_fma_f32 v[68:69], v[70:71], v[68:69], v[72:73] neg_lo:[0,0,1] neg_hi:[0,0,1]
	v_mov_b32_e32 v69, v75
	s_delay_alu instid0(VALU_DEP_1)
	v_pk_add_f32 v[64:65], v[64:65], v[68:69]
	s_and_not1_b32 exec_lo, exec_lo, s1
	s_cbranch_execnz .LBB93_212
; %bb.213:
	s_or_b32 exec_lo, exec_lo, s1
.LBB93_214:
	s_delay_alu instid0(SALU_CYCLE_1) | instskip(SKIP_4) | instid1(VALU_DEP_1)
	s_or_b32 exec_lo, exec_lo, s15
	v_mov_b32_e32 v66, 0
	ds_load_b64 v[66:67], v66 offset:64
	s_wait_dscnt 0x0
	v_pk_mul_f32 v[68:69], v[64:65], v[66:67] op_sel:[1,1] op_sel_hi:[0,1]
	v_pk_fma_f32 v[70:71], v[64:65], v[66:67], v[68:69] op_sel_hi:[1,0,1]
	v_pk_fma_f32 v[64:65], v[64:65], v[66:67], v[68:69] neg_lo:[0,0,1] neg_hi:[0,0,1]
	s_delay_alu instid0(VALU_DEP_2)
	v_mov_b32_e32 v65, v71
	scratch_store_b64 off, v[64:65], off offset:64
.LBB93_215:
	s_wait_xcnt 0x0
	s_or_b32 exec_lo, exec_lo, s14
	scratch_load_b64 v[64:65], off, off offset:56
	v_cmp_lt_u32_e64 s1, 7, v0
	s_wait_loadcnt 0x0
	ds_store_b64 v1, v[64:65]
	s_wait_storecnt_dscnt 0x0
	s_barrier_signal -1
	s_barrier_wait -1
	s_wait_xcnt 0x0
	s_and_saveexec_b32 s13, s1
	s_cbranch_execz .LBB93_225
; %bb.216:
	s_and_not1_b32 vcc_lo, exec_lo, s3
	s_cbranch_vccnz .LBB93_218
; %bb.217:
	scratch_load_b64 v[64:65], v59, off
	ds_load_b64 v[66:67], v1
	s_wait_loadcnt_dscnt 0x0
	v_pk_mul_f32 v[68:69], v[66:67], v[64:65] op_sel:[1,1] op_sel_hi:[0,1]
	s_delay_alu instid0(VALU_DEP_1) | instskip(SKIP_1) | instid1(VALU_DEP_2)
	v_pk_fma_f32 v[70:71], v[66:67], v[64:65], v[68:69] op_sel_hi:[1,0,1]
	v_pk_fma_f32 v[64:65], v[66:67], v[64:65], v[68:69] neg_lo:[0,0,1] neg_hi:[0,0,1]
	v_mov_b32_e32 v65, v71
	s_cbranch_execz .LBB93_219
	s_branch .LBB93_220
.LBB93_218:
                                        ; implicit-def: $vgpr64_vgpr65
.LBB93_219:
	ds_load_b64 v[64:65], v1
.LBB93_220:
	s_and_saveexec_b32 s14, s0
	s_cbranch_execz .LBB93_224
; %bb.221:
	v_add_nc_u32_e32 v66, -8, v0
	s_movk_i32 s15, 0x130
	s_mov_b32 s0, 0
.LBB93_222:                             ; =>This Inner Loop Header: Depth=1
	scratch_load_b64 v[68:69], off, s12
	v_dual_mov_b32 v67, s15 :: v_dual_add_nc_u32 v66, -1, v66
	s_add_co_i32 s15, s15, 8
	s_wait_xcnt 0x0
	s_add_co_i32 s12, s12, 8
	ds_load_b64 v[70:71], v67
	v_cmp_eq_u32_e32 vcc_lo, 0, v66
	s_or_b32 s0, vcc_lo, s0
	s_wait_loadcnt_dscnt 0x0
	v_pk_mul_f32 v[72:73], v[70:71], v[68:69] op_sel:[1,1] op_sel_hi:[0,1]
	s_delay_alu instid0(VALU_DEP_1) | instskip(SKIP_1) | instid1(VALU_DEP_2)
	v_pk_fma_f32 v[74:75], v[70:71], v[68:69], v[72:73] op_sel_hi:[1,0,1]
	v_pk_fma_f32 v[68:69], v[70:71], v[68:69], v[72:73] neg_lo:[0,0,1] neg_hi:[0,0,1]
	v_mov_b32_e32 v69, v75
	s_delay_alu instid0(VALU_DEP_1)
	v_pk_add_f32 v[64:65], v[64:65], v[68:69]
	s_and_not1_b32 exec_lo, exec_lo, s0
	s_cbranch_execnz .LBB93_222
; %bb.223:
	s_or_b32 exec_lo, exec_lo, s0
.LBB93_224:
	s_delay_alu instid0(SALU_CYCLE_1) | instskip(SKIP_4) | instid1(VALU_DEP_1)
	s_or_b32 exec_lo, exec_lo, s14
	v_mov_b32_e32 v66, 0
	ds_load_b64 v[66:67], v66 offset:56
	s_wait_dscnt 0x0
	v_pk_mul_f32 v[68:69], v[64:65], v[66:67] op_sel:[1,1] op_sel_hi:[0,1]
	v_pk_fma_f32 v[70:71], v[64:65], v[66:67], v[68:69] op_sel_hi:[1,0,1]
	v_pk_fma_f32 v[64:65], v[64:65], v[66:67], v[68:69] neg_lo:[0,0,1] neg_hi:[0,0,1]
	s_delay_alu instid0(VALU_DEP_2)
	v_mov_b32_e32 v65, v71
	scratch_store_b64 off, v[64:65], off offset:56
.LBB93_225:
	s_wait_xcnt 0x0
	s_or_b32 exec_lo, exec_lo, s13
	scratch_load_b64 v[64:65], off, off offset:48
	v_cmp_lt_u32_e64 s0, 6, v0
	s_wait_loadcnt 0x0
	ds_store_b64 v1, v[64:65]
	s_wait_storecnt_dscnt 0x0
	s_barrier_signal -1
	s_barrier_wait -1
	s_wait_xcnt 0x0
	s_and_saveexec_b32 s12, s0
	s_cbranch_execz .LBB93_235
; %bb.226:
	s_and_not1_b32 vcc_lo, exec_lo, s3
	s_cbranch_vccnz .LBB93_228
; %bb.227:
	scratch_load_b64 v[64:65], v59, off
	ds_load_b64 v[66:67], v1
	s_wait_loadcnt_dscnt 0x0
	v_pk_mul_f32 v[68:69], v[66:67], v[64:65] op_sel:[1,1] op_sel_hi:[0,1]
	s_delay_alu instid0(VALU_DEP_1) | instskip(SKIP_1) | instid1(VALU_DEP_2)
	v_pk_fma_f32 v[70:71], v[66:67], v[64:65], v[68:69] op_sel_hi:[1,0,1]
	v_pk_fma_f32 v[64:65], v[66:67], v[64:65], v[68:69] neg_lo:[0,0,1] neg_hi:[0,0,1]
	v_mov_b32_e32 v65, v71
	s_cbranch_execz .LBB93_229
	s_branch .LBB93_230
.LBB93_228:
                                        ; implicit-def: $vgpr64_vgpr65
.LBB93_229:
	ds_load_b64 v[64:65], v1
.LBB93_230:
	s_and_saveexec_b32 s13, s1
	s_cbranch_execz .LBB93_234
; %bb.231:
	v_add_nc_u32_e32 v66, -7, v0
	s_movk_i32 s14, 0x128
	s_mov_b32 s1, 0
.LBB93_232:                             ; =>This Inner Loop Header: Depth=1
	scratch_load_b64 v[68:69], off, s11
	v_dual_mov_b32 v67, s14 :: v_dual_add_nc_u32 v66, -1, v66
	s_add_co_i32 s14, s14, 8
	s_wait_xcnt 0x0
	s_add_co_i32 s11, s11, 8
	ds_load_b64 v[70:71], v67
	v_cmp_eq_u32_e32 vcc_lo, 0, v66
	s_or_b32 s1, vcc_lo, s1
	s_wait_loadcnt_dscnt 0x0
	v_pk_mul_f32 v[72:73], v[70:71], v[68:69] op_sel:[1,1] op_sel_hi:[0,1]
	s_delay_alu instid0(VALU_DEP_1) | instskip(SKIP_1) | instid1(VALU_DEP_2)
	v_pk_fma_f32 v[74:75], v[70:71], v[68:69], v[72:73] op_sel_hi:[1,0,1]
	v_pk_fma_f32 v[68:69], v[70:71], v[68:69], v[72:73] neg_lo:[0,0,1] neg_hi:[0,0,1]
	v_mov_b32_e32 v69, v75
	s_delay_alu instid0(VALU_DEP_1)
	v_pk_add_f32 v[64:65], v[64:65], v[68:69]
	s_and_not1_b32 exec_lo, exec_lo, s1
	s_cbranch_execnz .LBB93_232
; %bb.233:
	s_or_b32 exec_lo, exec_lo, s1
.LBB93_234:
	s_delay_alu instid0(SALU_CYCLE_1) | instskip(SKIP_4) | instid1(VALU_DEP_1)
	s_or_b32 exec_lo, exec_lo, s13
	v_mov_b32_e32 v66, 0
	ds_load_b64 v[66:67], v66 offset:48
	s_wait_dscnt 0x0
	v_pk_mul_f32 v[68:69], v[64:65], v[66:67] op_sel:[1,1] op_sel_hi:[0,1]
	v_pk_fma_f32 v[70:71], v[64:65], v[66:67], v[68:69] op_sel_hi:[1,0,1]
	v_pk_fma_f32 v[64:65], v[64:65], v[66:67], v[68:69] neg_lo:[0,0,1] neg_hi:[0,0,1]
	s_delay_alu instid0(VALU_DEP_2)
	v_mov_b32_e32 v65, v71
	scratch_store_b64 off, v[64:65], off offset:48
.LBB93_235:
	s_wait_xcnt 0x0
	s_or_b32 exec_lo, exec_lo, s12
	scratch_load_b64 v[64:65], off, off offset:40
	v_cmp_lt_u32_e64 s1, 5, v0
	s_wait_loadcnt 0x0
	ds_store_b64 v1, v[64:65]
	s_wait_storecnt_dscnt 0x0
	s_barrier_signal -1
	s_barrier_wait -1
	s_wait_xcnt 0x0
	s_and_saveexec_b32 s11, s1
	s_cbranch_execz .LBB93_245
; %bb.236:
	s_and_not1_b32 vcc_lo, exec_lo, s3
	s_cbranch_vccnz .LBB93_238
; %bb.237:
	scratch_load_b64 v[64:65], v59, off
	ds_load_b64 v[66:67], v1
	s_wait_loadcnt_dscnt 0x0
	v_pk_mul_f32 v[68:69], v[66:67], v[64:65] op_sel:[1,1] op_sel_hi:[0,1]
	s_delay_alu instid0(VALU_DEP_1) | instskip(SKIP_1) | instid1(VALU_DEP_2)
	v_pk_fma_f32 v[70:71], v[66:67], v[64:65], v[68:69] op_sel_hi:[1,0,1]
	v_pk_fma_f32 v[64:65], v[66:67], v[64:65], v[68:69] neg_lo:[0,0,1] neg_hi:[0,0,1]
	v_mov_b32_e32 v65, v71
	s_cbranch_execz .LBB93_239
	s_branch .LBB93_240
.LBB93_238:
                                        ; implicit-def: $vgpr64_vgpr65
.LBB93_239:
	ds_load_b64 v[64:65], v1
.LBB93_240:
	s_and_saveexec_b32 s12, s0
	s_cbranch_execz .LBB93_244
; %bb.241:
	v_add_nc_u32_e32 v66, -6, v0
	s_movk_i32 s13, 0x120
	s_mov_b32 s0, 0
.LBB93_242:                             ; =>This Inner Loop Header: Depth=1
	scratch_load_b64 v[68:69], off, s10
	v_dual_mov_b32 v67, s13 :: v_dual_add_nc_u32 v66, -1, v66
	s_add_co_i32 s13, s13, 8
	s_wait_xcnt 0x0
	s_add_co_i32 s10, s10, 8
	ds_load_b64 v[70:71], v67
	v_cmp_eq_u32_e32 vcc_lo, 0, v66
	s_or_b32 s0, vcc_lo, s0
	s_wait_loadcnt_dscnt 0x0
	v_pk_mul_f32 v[72:73], v[70:71], v[68:69] op_sel:[1,1] op_sel_hi:[0,1]
	s_delay_alu instid0(VALU_DEP_1) | instskip(SKIP_1) | instid1(VALU_DEP_2)
	v_pk_fma_f32 v[74:75], v[70:71], v[68:69], v[72:73] op_sel_hi:[1,0,1]
	v_pk_fma_f32 v[68:69], v[70:71], v[68:69], v[72:73] neg_lo:[0,0,1] neg_hi:[0,0,1]
	v_mov_b32_e32 v69, v75
	s_delay_alu instid0(VALU_DEP_1)
	v_pk_add_f32 v[64:65], v[64:65], v[68:69]
	s_and_not1_b32 exec_lo, exec_lo, s0
	s_cbranch_execnz .LBB93_242
; %bb.243:
	s_or_b32 exec_lo, exec_lo, s0
.LBB93_244:
	s_delay_alu instid0(SALU_CYCLE_1) | instskip(SKIP_4) | instid1(VALU_DEP_1)
	s_or_b32 exec_lo, exec_lo, s12
	v_mov_b32_e32 v66, 0
	ds_load_b64 v[66:67], v66 offset:40
	s_wait_dscnt 0x0
	v_pk_mul_f32 v[68:69], v[64:65], v[66:67] op_sel:[1,1] op_sel_hi:[0,1]
	v_pk_fma_f32 v[70:71], v[64:65], v[66:67], v[68:69] op_sel_hi:[1,0,1]
	v_pk_fma_f32 v[64:65], v[64:65], v[66:67], v[68:69] neg_lo:[0,0,1] neg_hi:[0,0,1]
	s_delay_alu instid0(VALU_DEP_2)
	v_mov_b32_e32 v65, v71
	scratch_store_b64 off, v[64:65], off offset:40
.LBB93_245:
	s_wait_xcnt 0x0
	s_or_b32 exec_lo, exec_lo, s11
	scratch_load_b64 v[64:65], off, off offset:32
	v_cmp_lt_u32_e64 s0, 4, v0
	s_wait_loadcnt 0x0
	ds_store_b64 v1, v[64:65]
	s_wait_storecnt_dscnt 0x0
	s_barrier_signal -1
	s_barrier_wait -1
	s_wait_xcnt 0x0
	s_and_saveexec_b32 s10, s0
	s_cbranch_execz .LBB93_255
; %bb.246:
	s_and_not1_b32 vcc_lo, exec_lo, s3
	s_cbranch_vccnz .LBB93_248
; %bb.247:
	scratch_load_b64 v[64:65], v59, off
	ds_load_b64 v[66:67], v1
	s_wait_loadcnt_dscnt 0x0
	v_pk_mul_f32 v[68:69], v[66:67], v[64:65] op_sel:[1,1] op_sel_hi:[0,1]
	s_delay_alu instid0(VALU_DEP_1) | instskip(SKIP_1) | instid1(VALU_DEP_2)
	v_pk_fma_f32 v[70:71], v[66:67], v[64:65], v[68:69] op_sel_hi:[1,0,1]
	v_pk_fma_f32 v[64:65], v[66:67], v[64:65], v[68:69] neg_lo:[0,0,1] neg_hi:[0,0,1]
	v_mov_b32_e32 v65, v71
	s_cbranch_execz .LBB93_249
	s_branch .LBB93_250
.LBB93_248:
                                        ; implicit-def: $vgpr64_vgpr65
.LBB93_249:
	ds_load_b64 v[64:65], v1
.LBB93_250:
	s_and_saveexec_b32 s11, s1
	s_cbranch_execz .LBB93_254
; %bb.251:
	v_add_nc_u32_e32 v66, -5, v0
	s_movk_i32 s12, 0x118
	s_mov_b32 s1, 0
.LBB93_252:                             ; =>This Inner Loop Header: Depth=1
	scratch_load_b64 v[68:69], off, s9
	v_dual_mov_b32 v67, s12 :: v_dual_add_nc_u32 v66, -1, v66
	s_add_co_i32 s12, s12, 8
	s_wait_xcnt 0x0
	s_add_co_i32 s9, s9, 8
	ds_load_b64 v[70:71], v67
	v_cmp_eq_u32_e32 vcc_lo, 0, v66
	s_or_b32 s1, vcc_lo, s1
	s_wait_loadcnt_dscnt 0x0
	v_pk_mul_f32 v[72:73], v[70:71], v[68:69] op_sel:[1,1] op_sel_hi:[0,1]
	s_delay_alu instid0(VALU_DEP_1) | instskip(SKIP_1) | instid1(VALU_DEP_2)
	v_pk_fma_f32 v[74:75], v[70:71], v[68:69], v[72:73] op_sel_hi:[1,0,1]
	v_pk_fma_f32 v[68:69], v[70:71], v[68:69], v[72:73] neg_lo:[0,0,1] neg_hi:[0,0,1]
	v_mov_b32_e32 v69, v75
	s_delay_alu instid0(VALU_DEP_1)
	v_pk_add_f32 v[64:65], v[64:65], v[68:69]
	s_and_not1_b32 exec_lo, exec_lo, s1
	s_cbranch_execnz .LBB93_252
; %bb.253:
	s_or_b32 exec_lo, exec_lo, s1
.LBB93_254:
	s_delay_alu instid0(SALU_CYCLE_1) | instskip(SKIP_4) | instid1(VALU_DEP_1)
	s_or_b32 exec_lo, exec_lo, s11
	v_mov_b32_e32 v66, 0
	ds_load_b64 v[66:67], v66 offset:32
	s_wait_dscnt 0x0
	v_pk_mul_f32 v[68:69], v[64:65], v[66:67] op_sel:[1,1] op_sel_hi:[0,1]
	v_pk_fma_f32 v[70:71], v[64:65], v[66:67], v[68:69] op_sel_hi:[1,0,1]
	v_pk_fma_f32 v[64:65], v[64:65], v[66:67], v[68:69] neg_lo:[0,0,1] neg_hi:[0,0,1]
	s_delay_alu instid0(VALU_DEP_2)
	v_mov_b32_e32 v65, v71
	scratch_store_b64 off, v[64:65], off offset:32
.LBB93_255:
	s_wait_xcnt 0x0
	s_or_b32 exec_lo, exec_lo, s10
	scratch_load_b64 v[64:65], off, off offset:24
	v_cmp_lt_u32_e64 s1, 3, v0
	s_wait_loadcnt 0x0
	ds_store_b64 v1, v[64:65]
	s_wait_storecnt_dscnt 0x0
	s_barrier_signal -1
	s_barrier_wait -1
	s_wait_xcnt 0x0
	s_and_saveexec_b32 s9, s1
	s_cbranch_execz .LBB93_265
; %bb.256:
	s_and_not1_b32 vcc_lo, exec_lo, s3
	s_cbranch_vccnz .LBB93_258
; %bb.257:
	scratch_load_b64 v[64:65], v59, off
	ds_load_b64 v[66:67], v1
	s_wait_loadcnt_dscnt 0x0
	v_pk_mul_f32 v[68:69], v[66:67], v[64:65] op_sel:[1,1] op_sel_hi:[0,1]
	s_delay_alu instid0(VALU_DEP_1) | instskip(SKIP_1) | instid1(VALU_DEP_2)
	v_pk_fma_f32 v[70:71], v[66:67], v[64:65], v[68:69] op_sel_hi:[1,0,1]
	v_pk_fma_f32 v[64:65], v[66:67], v[64:65], v[68:69] neg_lo:[0,0,1] neg_hi:[0,0,1]
	v_mov_b32_e32 v65, v71
	s_cbranch_execz .LBB93_259
	s_branch .LBB93_260
.LBB93_258:
                                        ; implicit-def: $vgpr64_vgpr65
.LBB93_259:
	ds_load_b64 v[64:65], v1
.LBB93_260:
	s_and_saveexec_b32 s10, s0
	s_cbranch_execz .LBB93_264
; %bb.261:
	v_add_nc_u32_e32 v66, -4, v0
	s_movk_i32 s11, 0x110
	s_mov_b32 s0, 0
.LBB93_262:                             ; =>This Inner Loop Header: Depth=1
	scratch_load_b64 v[68:69], off, s2
	v_dual_mov_b32 v67, s11 :: v_dual_add_nc_u32 v66, -1, v66
	s_add_co_i32 s11, s11, 8
	s_wait_xcnt 0x0
	s_add_co_i32 s2, s2, 8
	ds_load_b64 v[70:71], v67
	v_cmp_eq_u32_e32 vcc_lo, 0, v66
	s_or_b32 s0, vcc_lo, s0
	s_wait_loadcnt_dscnt 0x0
	v_pk_mul_f32 v[72:73], v[70:71], v[68:69] op_sel:[1,1] op_sel_hi:[0,1]
	s_delay_alu instid0(VALU_DEP_1) | instskip(SKIP_1) | instid1(VALU_DEP_2)
	v_pk_fma_f32 v[74:75], v[70:71], v[68:69], v[72:73] op_sel_hi:[1,0,1]
	v_pk_fma_f32 v[68:69], v[70:71], v[68:69], v[72:73] neg_lo:[0,0,1] neg_hi:[0,0,1]
	v_mov_b32_e32 v69, v75
	s_delay_alu instid0(VALU_DEP_1)
	v_pk_add_f32 v[64:65], v[64:65], v[68:69]
	s_and_not1_b32 exec_lo, exec_lo, s0
	s_cbranch_execnz .LBB93_262
; %bb.263:
	s_or_b32 exec_lo, exec_lo, s0
.LBB93_264:
	s_delay_alu instid0(SALU_CYCLE_1) | instskip(SKIP_4) | instid1(VALU_DEP_1)
	s_or_b32 exec_lo, exec_lo, s10
	v_mov_b32_e32 v66, 0
	ds_load_b64 v[66:67], v66 offset:24
	s_wait_dscnt 0x0
	v_pk_mul_f32 v[68:69], v[64:65], v[66:67] op_sel:[1,1] op_sel_hi:[0,1]
	v_pk_fma_f32 v[70:71], v[64:65], v[66:67], v[68:69] op_sel_hi:[1,0,1]
	v_pk_fma_f32 v[64:65], v[64:65], v[66:67], v[68:69] neg_lo:[0,0,1] neg_hi:[0,0,1]
	s_delay_alu instid0(VALU_DEP_2)
	v_mov_b32_e32 v65, v71
	scratch_store_b64 off, v[64:65], off offset:24
.LBB93_265:
	s_wait_xcnt 0x0
	s_or_b32 exec_lo, exec_lo, s9
	scratch_load_b64 v[64:65], off, off offset:16
	v_cmp_lt_u32_e64 s2, 2, v0
	s_wait_loadcnt 0x0
	ds_store_b64 v1, v[64:65]
	s_wait_storecnt_dscnt 0x0
	s_barrier_signal -1
	s_barrier_wait -1
	s_wait_xcnt 0x0
	s_and_saveexec_b32 s0, s2
	s_cbranch_execz .LBB93_275
; %bb.266:
	s_and_not1_b32 vcc_lo, exec_lo, s3
	s_cbranch_vccnz .LBB93_268
; %bb.267:
	scratch_load_b64 v[64:65], v59, off
	ds_load_b64 v[66:67], v1
	s_wait_loadcnt_dscnt 0x0
	v_pk_mul_f32 v[68:69], v[66:67], v[64:65] op_sel:[1,1] op_sel_hi:[0,1]
	s_delay_alu instid0(VALU_DEP_1) | instskip(SKIP_1) | instid1(VALU_DEP_2)
	v_pk_fma_f32 v[70:71], v[66:67], v[64:65], v[68:69] op_sel_hi:[1,0,1]
	v_pk_fma_f32 v[64:65], v[66:67], v[64:65], v[68:69] neg_lo:[0,0,1] neg_hi:[0,0,1]
	v_mov_b32_e32 v65, v71
	s_cbranch_execz .LBB93_269
	s_branch .LBB93_270
.LBB93_268:
                                        ; implicit-def: $vgpr64_vgpr65
.LBB93_269:
	ds_load_b64 v[64:65], v1
.LBB93_270:
	s_and_saveexec_b32 s9, s1
	s_cbranch_execz .LBB93_274
; %bb.271:
	v_add_nc_u32_e32 v66, -3, v0
	s_movk_i32 s10, 0x108
	s_mov_b32 s1, 0
.LBB93_272:                             ; =>This Inner Loop Header: Depth=1
	scratch_load_b64 v[68:69], off, s8
	v_dual_mov_b32 v67, s10 :: v_dual_add_nc_u32 v66, -1, v66
	s_add_co_i32 s10, s10, 8
	s_wait_xcnt 0x0
	s_add_co_i32 s8, s8, 8
	ds_load_b64 v[70:71], v67
	v_cmp_eq_u32_e32 vcc_lo, 0, v66
	s_or_b32 s1, vcc_lo, s1
	s_wait_loadcnt_dscnt 0x0
	v_pk_mul_f32 v[72:73], v[70:71], v[68:69] op_sel:[1,1] op_sel_hi:[0,1]
	s_delay_alu instid0(VALU_DEP_1) | instskip(SKIP_1) | instid1(VALU_DEP_2)
	v_pk_fma_f32 v[74:75], v[70:71], v[68:69], v[72:73] op_sel_hi:[1,0,1]
	v_pk_fma_f32 v[68:69], v[70:71], v[68:69], v[72:73] neg_lo:[0,0,1] neg_hi:[0,0,1]
	v_mov_b32_e32 v69, v75
	s_delay_alu instid0(VALU_DEP_1)
	v_pk_add_f32 v[64:65], v[64:65], v[68:69]
	s_and_not1_b32 exec_lo, exec_lo, s1
	s_cbranch_execnz .LBB93_272
; %bb.273:
	s_or_b32 exec_lo, exec_lo, s1
.LBB93_274:
	s_delay_alu instid0(SALU_CYCLE_1) | instskip(SKIP_4) | instid1(VALU_DEP_1)
	s_or_b32 exec_lo, exec_lo, s9
	v_mov_b32_e32 v66, 0
	ds_load_b64 v[66:67], v66 offset:16
	s_wait_dscnt 0x0
	v_pk_mul_f32 v[68:69], v[64:65], v[66:67] op_sel:[1,1] op_sel_hi:[0,1]
	v_pk_fma_f32 v[70:71], v[64:65], v[66:67], v[68:69] op_sel_hi:[1,0,1]
	v_pk_fma_f32 v[64:65], v[64:65], v[66:67], v[68:69] neg_lo:[0,0,1] neg_hi:[0,0,1]
	s_delay_alu instid0(VALU_DEP_2)
	v_mov_b32_e32 v65, v71
	scratch_store_b64 off, v[64:65], off offset:16
.LBB93_275:
	s_wait_xcnt 0x0
	s_or_b32 exec_lo, exec_lo, s0
	scratch_load_b64 v[64:65], off, off offset:8
	v_cmp_lt_u32_e64 s0, 1, v0
	s_wait_loadcnt 0x0
	ds_store_b64 v1, v[64:65]
	s_wait_storecnt_dscnt 0x0
	s_barrier_signal -1
	s_barrier_wait -1
	s_wait_xcnt 0x0
	s_and_saveexec_b32 s1, s0
	s_cbranch_execz .LBB93_285
; %bb.276:
	s_and_not1_b32 vcc_lo, exec_lo, s3
	s_cbranch_vccnz .LBB93_278
; %bb.277:
	scratch_load_b64 v[64:65], v59, off
	ds_load_b64 v[66:67], v1
	s_wait_loadcnt_dscnt 0x0
	v_pk_mul_f32 v[68:69], v[66:67], v[64:65] op_sel:[1,1] op_sel_hi:[0,1]
	s_delay_alu instid0(VALU_DEP_1) | instskip(SKIP_1) | instid1(VALU_DEP_2)
	v_pk_fma_f32 v[70:71], v[66:67], v[64:65], v[68:69] op_sel_hi:[1,0,1]
	v_pk_fma_f32 v[64:65], v[66:67], v[64:65], v[68:69] neg_lo:[0,0,1] neg_hi:[0,0,1]
	v_mov_b32_e32 v65, v71
	s_cbranch_execz .LBB93_279
	s_branch .LBB93_280
.LBB93_278:
                                        ; implicit-def: $vgpr64_vgpr65
.LBB93_279:
	ds_load_b64 v[64:65], v1
.LBB93_280:
	s_and_saveexec_b32 s8, s2
	s_cbranch_execz .LBB93_284
; %bb.281:
	v_add_nc_u32_e32 v66, -2, v0
	s_movk_i32 s9, 0x100
	s_mov_b32 s2, 0
.LBB93_282:                             ; =>This Inner Loop Header: Depth=1
	scratch_load_b64 v[68:69], off, s5
	v_dual_mov_b32 v67, s9 :: v_dual_add_nc_u32 v66, -1, v66
	s_add_co_i32 s9, s9, 8
	s_wait_xcnt 0x0
	s_add_co_i32 s5, s5, 8
	ds_load_b64 v[70:71], v67
	v_cmp_eq_u32_e32 vcc_lo, 0, v66
	s_or_b32 s2, vcc_lo, s2
	s_wait_loadcnt_dscnt 0x0
	v_pk_mul_f32 v[72:73], v[70:71], v[68:69] op_sel:[1,1] op_sel_hi:[0,1]
	s_delay_alu instid0(VALU_DEP_1) | instskip(SKIP_1) | instid1(VALU_DEP_2)
	v_pk_fma_f32 v[74:75], v[70:71], v[68:69], v[72:73] op_sel_hi:[1,0,1]
	v_pk_fma_f32 v[68:69], v[70:71], v[68:69], v[72:73] neg_lo:[0,0,1] neg_hi:[0,0,1]
	v_mov_b32_e32 v69, v75
	s_delay_alu instid0(VALU_DEP_1)
	v_pk_add_f32 v[64:65], v[64:65], v[68:69]
	s_and_not1_b32 exec_lo, exec_lo, s2
	s_cbranch_execnz .LBB93_282
; %bb.283:
	s_or_b32 exec_lo, exec_lo, s2
.LBB93_284:
	s_delay_alu instid0(SALU_CYCLE_1) | instskip(SKIP_4) | instid1(VALU_DEP_1)
	s_or_b32 exec_lo, exec_lo, s8
	v_mov_b32_e32 v66, 0
	ds_load_b64 v[66:67], v66 offset:8
	s_wait_dscnt 0x0
	v_pk_mul_f32 v[68:69], v[64:65], v[66:67] op_sel:[1,1] op_sel_hi:[0,1]
	v_pk_fma_f32 v[70:71], v[64:65], v[66:67], v[68:69] op_sel_hi:[1,0,1]
	v_pk_fma_f32 v[64:65], v[64:65], v[66:67], v[68:69] neg_lo:[0,0,1] neg_hi:[0,0,1]
	s_delay_alu instid0(VALU_DEP_2)
	v_mov_b32_e32 v65, v71
	scratch_store_b64 off, v[64:65], off offset:8
.LBB93_285:
	s_wait_xcnt 0x0
	s_or_b32 exec_lo, exec_lo, s1
	scratch_load_b64 v[64:65], off, off
	s_mov_b32 s2, 0
	s_mov_b32 s1, 0
	s_mov_b32 s8, exec_lo
                                        ; implicit-def: $vgpr88
                                        ; implicit-def: $sgpr5
	s_wait_loadcnt 0x0
	ds_store_b64 v1, v[64:65]
	s_wait_storecnt_dscnt 0x0
	s_barrier_signal -1
	s_barrier_wait -1
	s_wait_xcnt 0x0
	v_cmpx_ne_u32_e32 0, v0
	s_cbranch_execz .LBB93_295
; %bb.286:
	s_and_not1_b32 vcc_lo, exec_lo, s3
	s_cbranch_vccnz .LBB93_288
; %bb.287:
	scratch_load_b64 v[66:67], v59, off
	ds_load_b64 v[68:69], v1
	s_wait_loadcnt_dscnt 0x0
	v_dual_mul_f32 v64, v69, v67 :: v_dual_mul_f32 v65, v68, v67
	s_delay_alu instid0(VALU_DEP_1)
	v_dual_fma_f32 v64, v68, v66, -v64 :: v_dual_fmac_f32 v65, v69, v66
	s_and_not1_b32 vcc_lo, exec_lo, s1
	s_cbranch_vccz .LBB93_289
	s_branch .LBB93_290
.LBB93_288:
                                        ; implicit-def: $vgpr64
.LBB93_289:
	ds_load_b64 v[64:65], v1
.LBB93_290:
	s_and_saveexec_b32 s1, s0
	s_cbranch_execz .LBB93_294
; %bb.291:
	v_add_nc_u32_e32 v66, -1, v0
	s_movk_i32 s5, 0xf8
	s_mov_b32 s0, 0
.LBB93_292:                             ; =>This Inner Loop Header: Depth=1
	scratch_load_b64 v[68:69], off, s4
	v_mov_b32_e32 v67, s5
	s_add_co_i32 s5, s5, 8
	s_wait_xcnt 0x0
	s_add_co_i32 s4, s4, 8
	v_add_nc_u32_e32 v66, -1, v66
	ds_load_b64 v[70:71], v67
	v_cmp_eq_u32_e32 vcc_lo, 0, v66
	s_or_b32 s0, vcc_lo, s0
	s_wait_loadcnt_dscnt 0x0
	v_dual_mul_f32 v67, v71, v69 :: v_dual_mul_f32 v69, v70, v69
	s_delay_alu instid0(VALU_DEP_1) | instskip(NEXT) | instid1(VALU_DEP_1)
	v_dual_fma_f32 v67, v70, v68, -v67 :: v_dual_fmac_f32 v69, v71, v68
	v_dual_add_f32 v64, v64, v67 :: v_dual_add_f32 v65, v65, v69
	s_and_not1_b32 exec_lo, exec_lo, s0
	s_cbranch_execnz .LBB93_292
; %bb.293:
	s_or_b32 exec_lo, exec_lo, s0
.LBB93_294:
	s_delay_alu instid0(SALU_CYCLE_1)
	s_or_b32 exec_lo, exec_lo, s1
	v_mov_b32_e32 v66, 0
	s_mov_b32 s1, exec_lo
	s_or_b32 s5, 0, 4
	ds_load_b64 v[66:67], v66
	s_wait_dscnt 0x0
	v_dual_mul_f32 v68, v65, v67 :: v_dual_mul_f32 v88, v64, v67
	s_delay_alu instid0(VALU_DEP_1) | instskip(NEXT) | instid1(VALU_DEP_2)
	v_fma_f32 v64, v64, v66, -v68
	v_fmac_f32_e32 v88, v65, v66
	scratch_store_b32 off, v64, off
.LBB93_295:
	s_wait_xcnt 0x0
	s_or_b32 exec_lo, exec_lo, s8
	s_delay_alu instid0(SALU_CYCLE_1)
	s_and_b32 vcc_lo, exec_lo, s2
	s_cbranch_vccz .LBB93_581
.LBB93_296:
	scratch_load_b64 v[64:65], off, off offset:8
	v_cmp_eq_u32_e64 s0, 0, v0
	s_wait_loadcnt 0x0
	ds_store_b64 v1, v[64:65]
	s_wait_storecnt_dscnt 0x0
	s_barrier_signal -1
	s_barrier_wait -1
	s_wait_xcnt 0x0
	s_and_saveexec_b32 s2, s0
	s_cbranch_execz .LBB93_302
; %bb.297:
	s_and_b32 vcc_lo, exec_lo, s3
	s_cbranch_vccz .LBB93_299
; %bb.298:
	scratch_load_b64 v[64:65], v59, off
	ds_load_b64 v[66:67], v1
	s_wait_loadcnt_dscnt 0x0
	v_pk_mul_f32 v[68:69], v[66:67], v[64:65] op_sel:[1,1] op_sel_hi:[0,1]
	v_pk_mul_f32 v[70:71], v[66:67], v[64:65] op_sel_hi:[1,0]
	s_delay_alu instid0(VALU_DEP_2) | instskip(NEXT) | instid1(VALU_DEP_2)
	v_pk_fma_f32 v[64:65], v[66:67], v[64:65], v[68:69] op_sel_hi:[1,0,1]
	v_sub_f32_e32 v64, v70, v68
	s_cbranch_execz .LBB93_300
	s_branch .LBB93_301
.LBB93_299:
                                        ; implicit-def: $vgpr65
.LBB93_300:
	ds_load_b64 v[64:65], v1
.LBB93_301:
	s_wait_dscnt 0x0
	v_dual_mov_b32 v66, 0 :: v_dual_mov_b32 v68, v65
	v_mov_b32_e32 v69, v64
	ds_load_b64 v[66:67], v66 offset:8
	s_wait_dscnt 0x0
	v_pk_mul_f32 v[68:69], v[68:69], v[66:67] op_sel:[0,1]
	s_delay_alu instid0(VALU_DEP_1) | instskip(SKIP_1) | instid1(VALU_DEP_2)
	v_pk_fma_f32 v[70:71], v[64:65], v[66:67], v[68:69] op_sel_hi:[1,0,1]
	v_pk_fma_f32 v[64:65], v[64:65], v[66:67], v[68:69] neg_lo:[0,0,1] neg_hi:[0,0,1]
	v_mov_b32_e32 v65, v71
	scratch_store_b64 off, v[64:65], off offset:8
.LBB93_302:
	s_wait_xcnt 0x0
	s_or_b32 exec_lo, exec_lo, s2
	scratch_load_b64 v[64:65], off, off offset:16
	v_cndmask_b32_e64 v66, 0, 1, s3
	s_mov_b32 s2, exec_lo
	s_wait_loadcnt 0x0
	ds_store_b64 v1, v[64:65]
	s_wait_storecnt_dscnt 0x0
	s_barrier_signal -1
	s_barrier_wait -1
	s_wait_xcnt 0x0
	v_cmpx_gt_u32_e32 2, v0
	s_cbranch_execz .LBB93_310
; %bb.303:
	s_and_not1_b32 vcc_lo, exec_lo, s3
	s_cbranch_vccnz .LBB93_305
; %bb.304:
	scratch_load_b64 v[64:65], v59, off
	ds_load_b64 v[68:69], v1
	s_wait_loadcnt_dscnt 0x0
	v_pk_mul_f32 v[70:71], v[68:69], v[64:65] op_sel:[1,1] op_sel_hi:[0,1]
	s_delay_alu instid0(VALU_DEP_1) | instskip(SKIP_1) | instid1(VALU_DEP_2)
	v_pk_fma_f32 v[72:73], v[68:69], v[64:65], v[70:71] op_sel_hi:[1,0,1]
	v_pk_fma_f32 v[64:65], v[68:69], v[64:65], v[70:71] neg_lo:[0,0,1] neg_hi:[0,0,1]
	v_mov_b32_e32 v65, v73
	s_cbranch_execz .LBB93_306
	s_branch .LBB93_307
.LBB93_305:
                                        ; implicit-def: $vgpr64_vgpr65
.LBB93_306:
	ds_load_b64 v[64:65], v1
.LBB93_307:
	s_and_saveexec_b32 s3, s0
	s_cbranch_execz .LBB93_309
; %bb.308:
	scratch_load_b64 v[68:69], off, off offset:8
	v_mov_b32_e32 v67, 0
	ds_load_b64 v[70:71], v67 offset:248
	s_wait_loadcnt_dscnt 0x0
	v_pk_mul_f32 v[72:73], v[70:71], v[68:69] op_sel:[1,1] op_sel_hi:[0,1]
	s_delay_alu instid0(VALU_DEP_1) | instskip(SKIP_1) | instid1(VALU_DEP_2)
	v_pk_fma_f32 v[74:75], v[70:71], v[68:69], v[72:73] op_sel_hi:[1,0,1]
	v_pk_fma_f32 v[68:69], v[70:71], v[68:69], v[72:73] neg_lo:[0,0,1] neg_hi:[0,0,1]
	v_mov_b32_e32 v69, v75
	s_delay_alu instid0(VALU_DEP_1)
	v_pk_add_f32 v[64:65], v[64:65], v[68:69]
.LBB93_309:
	s_or_b32 exec_lo, exec_lo, s3
	v_mov_b32_e32 v67, 0
	ds_load_b64 v[68:69], v67 offset:16
	s_wait_dscnt 0x0
	v_pk_mul_f32 v[70:71], v[64:65], v[68:69] op_sel:[1,1] op_sel_hi:[0,1]
	s_delay_alu instid0(VALU_DEP_1) | instskip(SKIP_1) | instid1(VALU_DEP_2)
	v_pk_fma_f32 v[72:73], v[64:65], v[68:69], v[70:71] op_sel_hi:[1,0,1]
	v_pk_fma_f32 v[64:65], v[64:65], v[68:69], v[70:71] neg_lo:[0,0,1] neg_hi:[0,0,1]
	v_mov_b32_e32 v65, v73
	scratch_store_b64 off, v[64:65], off offset:16
.LBB93_310:
	s_wait_xcnt 0x0
	s_or_b32 exec_lo, exec_lo, s2
	scratch_load_b64 v[64:65], off, off offset:24
	s_mov_b32 s2, exec_lo
	s_wait_loadcnt 0x0
	ds_store_b64 v1, v[64:65]
	s_wait_storecnt_dscnt 0x0
	s_barrier_signal -1
	s_barrier_wait -1
	s_wait_xcnt 0x0
	v_cmpx_gt_u32_e32 3, v0
	s_cbranch_execz .LBB93_320
; %bb.311:
	v_cmp_ne_u32_e32 vcc_lo, 1, v66
	s_cbranch_vccnz .LBB93_313
; %bb.312:
	scratch_load_b64 v[64:65], v59, off
	ds_load_b64 v[68:69], v1
	s_wait_loadcnt_dscnt 0x0
	v_pk_mul_f32 v[70:71], v[68:69], v[64:65] op_sel:[1,1] op_sel_hi:[0,1]
	s_delay_alu instid0(VALU_DEP_1) | instskip(SKIP_1) | instid1(VALU_DEP_2)
	v_pk_fma_f32 v[72:73], v[68:69], v[64:65], v[70:71] op_sel_hi:[1,0,1]
	v_pk_fma_f32 v[64:65], v[68:69], v[64:65], v[70:71] neg_lo:[0,0,1] neg_hi:[0,0,1]
	v_mov_b32_e32 v65, v73
	s_cbranch_execz .LBB93_314
	s_branch .LBB93_315
.LBB93_313:
                                        ; implicit-def: $vgpr64_vgpr65
.LBB93_314:
	ds_load_b64 v[64:65], v1
.LBB93_315:
	s_mov_b32 s3, exec_lo
	v_cmpx_ne_u32_e32 2, v0
	s_cbranch_execz .LBB93_319
; %bb.316:
	scratch_load_b64 v[68:69], v59, off offset:8
	ds_load_b64 v[70:71], v1 offset:8
	s_wait_loadcnt_dscnt 0x0
	v_pk_mul_f32 v[72:73], v[70:71], v[68:69] op_sel:[1,1] op_sel_hi:[0,1]
	s_delay_alu instid0(VALU_DEP_1) | instskip(SKIP_1) | instid1(VALU_DEP_2)
	v_pk_fma_f32 v[74:75], v[70:71], v[68:69], v[72:73] op_sel_hi:[1,0,1]
	v_pk_fma_f32 v[68:69], v[70:71], v[68:69], v[72:73] neg_lo:[0,0,1] neg_hi:[0,0,1]
	v_mov_b32_e32 v69, v75
	s_delay_alu instid0(VALU_DEP_1)
	v_pk_add_f32 v[64:65], v[64:65], v[68:69]
	s_and_saveexec_b32 s4, s0
	s_cbranch_execz .LBB93_318
; %bb.317:
	scratch_load_b64 v[68:69], off, off offset:16
	v_mov_b32_e32 v67, 0
	ds_load_b64 v[70:71], v67 offset:256
	s_wait_loadcnt_dscnt 0x0
	v_pk_mul_f32 v[72:73], v[70:71], v[68:69] op_sel:[1,1] op_sel_hi:[0,1]
	s_delay_alu instid0(VALU_DEP_1) | instskip(SKIP_1) | instid1(VALU_DEP_2)
	v_pk_fma_f32 v[74:75], v[70:71], v[68:69], v[72:73] op_sel_hi:[1,0,1]
	v_pk_fma_f32 v[68:69], v[70:71], v[68:69], v[72:73] neg_lo:[0,0,1] neg_hi:[0,0,1]
	v_mov_b32_e32 v69, v75
	s_delay_alu instid0(VALU_DEP_1)
	v_pk_add_f32 v[64:65], v[64:65], v[68:69]
.LBB93_318:
	s_or_b32 exec_lo, exec_lo, s4
.LBB93_319:
	s_delay_alu instid0(SALU_CYCLE_1) | instskip(SKIP_4) | instid1(VALU_DEP_1)
	s_or_b32 exec_lo, exec_lo, s3
	v_mov_b32_e32 v67, 0
	ds_load_b64 v[68:69], v67 offset:24
	s_wait_dscnt 0x0
	v_pk_mul_f32 v[70:71], v[64:65], v[68:69] op_sel:[1,1] op_sel_hi:[0,1]
	v_pk_fma_f32 v[72:73], v[64:65], v[68:69], v[70:71] op_sel_hi:[1,0,1]
	v_pk_fma_f32 v[64:65], v[64:65], v[68:69], v[70:71] neg_lo:[0,0,1] neg_hi:[0,0,1]
	s_delay_alu instid0(VALU_DEP_2)
	v_mov_b32_e32 v65, v73
	scratch_store_b64 off, v[64:65], off offset:24
.LBB93_320:
	s_wait_xcnt 0x0
	s_or_b32 exec_lo, exec_lo, s2
	scratch_load_b64 v[64:65], off, off offset:32
	s_mov_b32 s0, exec_lo
	s_wait_loadcnt 0x0
	ds_store_b64 v1, v[64:65]
	s_wait_storecnt_dscnt 0x0
	s_barrier_signal -1
	s_barrier_wait -1
	s_wait_xcnt 0x0
	v_cmpx_gt_u32_e32 4, v0
	s_cbranch_execz .LBB93_330
; %bb.321:
	v_cmp_ne_u32_e32 vcc_lo, 1, v66
	s_cbranch_vccnz .LBB93_323
; %bb.322:
	scratch_load_b64 v[64:65], v59, off
	ds_load_b64 v[68:69], v1
	s_wait_loadcnt_dscnt 0x0
	v_pk_mul_f32 v[70:71], v[68:69], v[64:65] op_sel:[1,1] op_sel_hi:[0,1]
	s_delay_alu instid0(VALU_DEP_1) | instskip(SKIP_1) | instid1(VALU_DEP_2)
	v_pk_fma_f32 v[72:73], v[68:69], v[64:65], v[70:71] op_sel_hi:[1,0,1]
	v_pk_fma_f32 v[64:65], v[68:69], v[64:65], v[70:71] neg_lo:[0,0,1] neg_hi:[0,0,1]
	v_mov_b32_e32 v65, v73
	s_cbranch_execz .LBB93_324
	s_branch .LBB93_325
.LBB93_323:
                                        ; implicit-def: $vgpr64_vgpr65
.LBB93_324:
	ds_load_b64 v[64:65], v1
.LBB93_325:
	s_mov_b32 s2, exec_lo
	v_cmpx_ne_u32_e32 3, v0
	s_cbranch_execz .LBB93_329
; %bb.326:
	v_add_nc_u32_e32 v67, 0xf8, v58
	v_add3_u32 v68, 0, v58, 8
	v_mov_b32_e32 v69, v0
	s_mov_b32 s3, 0
.LBB93_327:                             ; =>This Inner Loop Header: Depth=1
	scratch_load_b64 v[70:71], v68, off
	ds_load_b64 v[72:73], v67
	s_wait_xcnt 0x0
	v_dual_add_nc_u32 v67, 8, v67 :: v_dual_add_nc_u32 v68, 8, v68
	s_wait_loadcnt_dscnt 0x0
	v_pk_mul_f32 v[74:75], v[72:73], v[70:71] op_sel:[1,1] op_sel_hi:[0,1]
	s_delay_alu instid0(VALU_DEP_1) | instskip(SKIP_2) | instid1(VALU_DEP_3)
	v_pk_fma_f32 v[76:77], v[72:73], v[70:71], v[74:75] op_sel_hi:[1,0,1]
	v_add_nc_u32_e32 v69, 1, v69
	v_pk_fma_f32 v[70:71], v[72:73], v[70:71], v[74:75] neg_lo:[0,0,1] neg_hi:[0,0,1]
	v_mov_b32_e32 v71, v77
	s_delay_alu instid0(VALU_DEP_3) | instskip(NEXT) | instid1(VALU_DEP_2)
	v_cmp_lt_u32_e32 vcc_lo, 2, v69
	v_pk_add_f32 v[64:65], v[64:65], v[70:71]
	s_or_b32 s3, vcc_lo, s3
	s_delay_alu instid0(SALU_CYCLE_1)
	s_and_not1_b32 exec_lo, exec_lo, s3
	s_cbranch_execnz .LBB93_327
; %bb.328:
	s_or_b32 exec_lo, exec_lo, s3
.LBB93_329:
	s_delay_alu instid0(SALU_CYCLE_1) | instskip(SKIP_4) | instid1(VALU_DEP_1)
	s_or_b32 exec_lo, exec_lo, s2
	v_mov_b32_e32 v67, 0
	ds_load_b64 v[68:69], v67 offset:32
	s_wait_dscnt 0x0
	v_pk_mul_f32 v[70:71], v[64:65], v[68:69] op_sel:[1,1] op_sel_hi:[0,1]
	v_pk_fma_f32 v[72:73], v[64:65], v[68:69], v[70:71] op_sel_hi:[1,0,1]
	v_pk_fma_f32 v[64:65], v[64:65], v[68:69], v[70:71] neg_lo:[0,0,1] neg_hi:[0,0,1]
	s_delay_alu instid0(VALU_DEP_2)
	v_mov_b32_e32 v65, v73
	scratch_store_b64 off, v[64:65], off offset:32
.LBB93_330:
	s_wait_xcnt 0x0
	s_or_b32 exec_lo, exec_lo, s0
	scratch_load_b64 v[64:65], off, off offset:40
	s_mov_b32 s0, exec_lo
	s_wait_loadcnt 0x0
	ds_store_b64 v1, v[64:65]
	s_wait_storecnt_dscnt 0x0
	s_barrier_signal -1
	s_barrier_wait -1
	s_wait_xcnt 0x0
	v_cmpx_gt_u32_e32 5, v0
	s_cbranch_execz .LBB93_340
; %bb.331:
	v_cmp_ne_u32_e32 vcc_lo, 1, v66
	s_cbranch_vccnz .LBB93_333
; %bb.332:
	scratch_load_b64 v[64:65], v59, off
	ds_load_b64 v[68:69], v1
	s_wait_loadcnt_dscnt 0x0
	v_pk_mul_f32 v[70:71], v[68:69], v[64:65] op_sel:[1,1] op_sel_hi:[0,1]
	s_delay_alu instid0(VALU_DEP_1) | instskip(SKIP_1) | instid1(VALU_DEP_2)
	v_pk_fma_f32 v[72:73], v[68:69], v[64:65], v[70:71] op_sel_hi:[1,0,1]
	v_pk_fma_f32 v[64:65], v[68:69], v[64:65], v[70:71] neg_lo:[0,0,1] neg_hi:[0,0,1]
	v_mov_b32_e32 v65, v73
	s_cbranch_execz .LBB93_334
	s_branch .LBB93_335
.LBB93_333:
                                        ; implicit-def: $vgpr64_vgpr65
.LBB93_334:
	ds_load_b64 v[64:65], v1
.LBB93_335:
	s_mov_b32 s2, exec_lo
	v_cmpx_ne_u32_e32 4, v0
	s_cbranch_execz .LBB93_339
; %bb.336:
	v_add_nc_u32_e32 v67, 0xf8, v58
	v_add3_u32 v68, 0, v58, 8
	v_mov_b32_e32 v69, v0
	s_mov_b32 s3, 0
.LBB93_337:                             ; =>This Inner Loop Header: Depth=1
	scratch_load_b64 v[70:71], v68, off
	ds_load_b64 v[72:73], v67
	s_wait_xcnt 0x0
	v_dual_add_nc_u32 v67, 8, v67 :: v_dual_add_nc_u32 v68, 8, v68
	s_wait_loadcnt_dscnt 0x0
	v_pk_mul_f32 v[74:75], v[72:73], v[70:71] op_sel:[1,1] op_sel_hi:[0,1]
	s_delay_alu instid0(VALU_DEP_1) | instskip(SKIP_2) | instid1(VALU_DEP_3)
	v_pk_fma_f32 v[76:77], v[72:73], v[70:71], v[74:75] op_sel_hi:[1,0,1]
	v_add_nc_u32_e32 v69, 1, v69
	v_pk_fma_f32 v[70:71], v[72:73], v[70:71], v[74:75] neg_lo:[0,0,1] neg_hi:[0,0,1]
	v_mov_b32_e32 v71, v77
	s_delay_alu instid0(VALU_DEP_3) | instskip(NEXT) | instid1(VALU_DEP_2)
	v_cmp_lt_u32_e32 vcc_lo, 3, v69
	v_pk_add_f32 v[64:65], v[64:65], v[70:71]
	s_or_b32 s3, vcc_lo, s3
	s_delay_alu instid0(SALU_CYCLE_1)
	s_and_not1_b32 exec_lo, exec_lo, s3
	s_cbranch_execnz .LBB93_337
; %bb.338:
	s_or_b32 exec_lo, exec_lo, s3
.LBB93_339:
	s_delay_alu instid0(SALU_CYCLE_1) | instskip(SKIP_4) | instid1(VALU_DEP_1)
	s_or_b32 exec_lo, exec_lo, s2
	v_mov_b32_e32 v67, 0
	ds_load_b64 v[68:69], v67 offset:40
	s_wait_dscnt 0x0
	v_pk_mul_f32 v[70:71], v[64:65], v[68:69] op_sel:[1,1] op_sel_hi:[0,1]
	v_pk_fma_f32 v[72:73], v[64:65], v[68:69], v[70:71] op_sel_hi:[1,0,1]
	v_pk_fma_f32 v[64:65], v[64:65], v[68:69], v[70:71] neg_lo:[0,0,1] neg_hi:[0,0,1]
	s_delay_alu instid0(VALU_DEP_2)
	v_mov_b32_e32 v65, v73
	scratch_store_b64 off, v[64:65], off offset:40
.LBB93_340:
	s_wait_xcnt 0x0
	s_or_b32 exec_lo, exec_lo, s0
	scratch_load_b64 v[64:65], off, off offset:48
	s_mov_b32 s0, exec_lo
	s_wait_loadcnt 0x0
	ds_store_b64 v1, v[64:65]
	s_wait_storecnt_dscnt 0x0
	s_barrier_signal -1
	s_barrier_wait -1
	s_wait_xcnt 0x0
	v_cmpx_gt_u32_e32 6, v0
	s_cbranch_execz .LBB93_350
; %bb.341:
	v_cmp_ne_u32_e32 vcc_lo, 1, v66
	s_cbranch_vccnz .LBB93_343
; %bb.342:
	scratch_load_b64 v[64:65], v59, off
	ds_load_b64 v[68:69], v1
	s_wait_loadcnt_dscnt 0x0
	v_pk_mul_f32 v[70:71], v[68:69], v[64:65] op_sel:[1,1] op_sel_hi:[0,1]
	s_delay_alu instid0(VALU_DEP_1) | instskip(SKIP_1) | instid1(VALU_DEP_2)
	v_pk_fma_f32 v[72:73], v[68:69], v[64:65], v[70:71] op_sel_hi:[1,0,1]
	v_pk_fma_f32 v[64:65], v[68:69], v[64:65], v[70:71] neg_lo:[0,0,1] neg_hi:[0,0,1]
	v_mov_b32_e32 v65, v73
	s_cbranch_execz .LBB93_344
	s_branch .LBB93_345
.LBB93_343:
                                        ; implicit-def: $vgpr64_vgpr65
.LBB93_344:
	ds_load_b64 v[64:65], v1
.LBB93_345:
	s_mov_b32 s2, exec_lo
	v_cmpx_ne_u32_e32 5, v0
	s_cbranch_execz .LBB93_349
; %bb.346:
	v_add_nc_u32_e32 v67, 0xf8, v58
	v_add3_u32 v68, 0, v58, 8
	v_mov_b32_e32 v69, v0
	s_mov_b32 s3, 0
.LBB93_347:                             ; =>This Inner Loop Header: Depth=1
	scratch_load_b64 v[70:71], v68, off
	ds_load_b64 v[72:73], v67
	s_wait_xcnt 0x0
	v_dual_add_nc_u32 v67, 8, v67 :: v_dual_add_nc_u32 v68, 8, v68
	s_wait_loadcnt_dscnt 0x0
	v_pk_mul_f32 v[74:75], v[72:73], v[70:71] op_sel:[1,1] op_sel_hi:[0,1]
	s_delay_alu instid0(VALU_DEP_1) | instskip(SKIP_2) | instid1(VALU_DEP_3)
	v_pk_fma_f32 v[76:77], v[72:73], v[70:71], v[74:75] op_sel_hi:[1,0,1]
	v_add_nc_u32_e32 v69, 1, v69
	v_pk_fma_f32 v[70:71], v[72:73], v[70:71], v[74:75] neg_lo:[0,0,1] neg_hi:[0,0,1]
	v_mov_b32_e32 v71, v77
	s_delay_alu instid0(VALU_DEP_3) | instskip(NEXT) | instid1(VALU_DEP_2)
	v_cmp_lt_u32_e32 vcc_lo, 4, v69
	v_pk_add_f32 v[64:65], v[64:65], v[70:71]
	s_or_b32 s3, vcc_lo, s3
	s_delay_alu instid0(SALU_CYCLE_1)
	s_and_not1_b32 exec_lo, exec_lo, s3
	s_cbranch_execnz .LBB93_347
; %bb.348:
	s_or_b32 exec_lo, exec_lo, s3
.LBB93_349:
	s_delay_alu instid0(SALU_CYCLE_1) | instskip(SKIP_4) | instid1(VALU_DEP_1)
	s_or_b32 exec_lo, exec_lo, s2
	v_mov_b32_e32 v67, 0
	ds_load_b64 v[68:69], v67 offset:48
	s_wait_dscnt 0x0
	v_pk_mul_f32 v[70:71], v[64:65], v[68:69] op_sel:[1,1] op_sel_hi:[0,1]
	v_pk_fma_f32 v[72:73], v[64:65], v[68:69], v[70:71] op_sel_hi:[1,0,1]
	v_pk_fma_f32 v[64:65], v[64:65], v[68:69], v[70:71] neg_lo:[0,0,1] neg_hi:[0,0,1]
	s_delay_alu instid0(VALU_DEP_2)
	v_mov_b32_e32 v65, v73
	scratch_store_b64 off, v[64:65], off offset:48
.LBB93_350:
	s_wait_xcnt 0x0
	s_or_b32 exec_lo, exec_lo, s0
	scratch_load_b64 v[64:65], off, off offset:56
	s_mov_b32 s0, exec_lo
	s_wait_loadcnt 0x0
	ds_store_b64 v1, v[64:65]
	s_wait_storecnt_dscnt 0x0
	s_barrier_signal -1
	s_barrier_wait -1
	s_wait_xcnt 0x0
	v_cmpx_gt_u32_e32 7, v0
	s_cbranch_execz .LBB93_360
; %bb.351:
	v_cmp_ne_u32_e32 vcc_lo, 1, v66
	s_cbranch_vccnz .LBB93_353
; %bb.352:
	scratch_load_b64 v[64:65], v59, off
	ds_load_b64 v[68:69], v1
	s_wait_loadcnt_dscnt 0x0
	v_pk_mul_f32 v[70:71], v[68:69], v[64:65] op_sel:[1,1] op_sel_hi:[0,1]
	s_delay_alu instid0(VALU_DEP_1) | instskip(SKIP_1) | instid1(VALU_DEP_2)
	v_pk_fma_f32 v[72:73], v[68:69], v[64:65], v[70:71] op_sel_hi:[1,0,1]
	v_pk_fma_f32 v[64:65], v[68:69], v[64:65], v[70:71] neg_lo:[0,0,1] neg_hi:[0,0,1]
	v_mov_b32_e32 v65, v73
	s_cbranch_execz .LBB93_354
	s_branch .LBB93_355
.LBB93_353:
                                        ; implicit-def: $vgpr64_vgpr65
.LBB93_354:
	ds_load_b64 v[64:65], v1
.LBB93_355:
	s_mov_b32 s2, exec_lo
	v_cmpx_ne_u32_e32 6, v0
	s_cbranch_execz .LBB93_359
; %bb.356:
	v_add_nc_u32_e32 v67, 0xf8, v58
	v_add3_u32 v68, 0, v58, 8
	v_mov_b32_e32 v69, v0
	s_mov_b32 s3, 0
.LBB93_357:                             ; =>This Inner Loop Header: Depth=1
	scratch_load_b64 v[70:71], v68, off
	ds_load_b64 v[72:73], v67
	s_wait_xcnt 0x0
	v_dual_add_nc_u32 v67, 8, v67 :: v_dual_add_nc_u32 v68, 8, v68
	s_wait_loadcnt_dscnt 0x0
	v_pk_mul_f32 v[74:75], v[72:73], v[70:71] op_sel:[1,1] op_sel_hi:[0,1]
	s_delay_alu instid0(VALU_DEP_1) | instskip(SKIP_2) | instid1(VALU_DEP_3)
	v_pk_fma_f32 v[76:77], v[72:73], v[70:71], v[74:75] op_sel_hi:[1,0,1]
	v_add_nc_u32_e32 v69, 1, v69
	v_pk_fma_f32 v[70:71], v[72:73], v[70:71], v[74:75] neg_lo:[0,0,1] neg_hi:[0,0,1]
	v_mov_b32_e32 v71, v77
	s_delay_alu instid0(VALU_DEP_3) | instskip(NEXT) | instid1(VALU_DEP_2)
	v_cmp_lt_u32_e32 vcc_lo, 5, v69
	v_pk_add_f32 v[64:65], v[64:65], v[70:71]
	s_or_b32 s3, vcc_lo, s3
	s_delay_alu instid0(SALU_CYCLE_1)
	s_and_not1_b32 exec_lo, exec_lo, s3
	s_cbranch_execnz .LBB93_357
; %bb.358:
	s_or_b32 exec_lo, exec_lo, s3
.LBB93_359:
	s_delay_alu instid0(SALU_CYCLE_1) | instskip(SKIP_4) | instid1(VALU_DEP_1)
	s_or_b32 exec_lo, exec_lo, s2
	v_mov_b32_e32 v67, 0
	ds_load_b64 v[68:69], v67 offset:56
	s_wait_dscnt 0x0
	v_pk_mul_f32 v[70:71], v[64:65], v[68:69] op_sel:[1,1] op_sel_hi:[0,1]
	v_pk_fma_f32 v[72:73], v[64:65], v[68:69], v[70:71] op_sel_hi:[1,0,1]
	v_pk_fma_f32 v[64:65], v[64:65], v[68:69], v[70:71] neg_lo:[0,0,1] neg_hi:[0,0,1]
	s_delay_alu instid0(VALU_DEP_2)
	v_mov_b32_e32 v65, v73
	scratch_store_b64 off, v[64:65], off offset:56
.LBB93_360:
	s_wait_xcnt 0x0
	s_or_b32 exec_lo, exec_lo, s0
	scratch_load_b64 v[64:65], off, off offset:64
	s_mov_b32 s0, exec_lo
	s_wait_loadcnt 0x0
	ds_store_b64 v1, v[64:65]
	s_wait_storecnt_dscnt 0x0
	s_barrier_signal -1
	s_barrier_wait -1
	s_wait_xcnt 0x0
	v_cmpx_gt_u32_e32 8, v0
	s_cbranch_execz .LBB93_370
; %bb.361:
	v_cmp_ne_u32_e32 vcc_lo, 1, v66
	s_cbranch_vccnz .LBB93_363
; %bb.362:
	scratch_load_b64 v[64:65], v59, off
	ds_load_b64 v[68:69], v1
	s_wait_loadcnt_dscnt 0x0
	v_pk_mul_f32 v[70:71], v[68:69], v[64:65] op_sel:[1,1] op_sel_hi:[0,1]
	s_delay_alu instid0(VALU_DEP_1) | instskip(SKIP_1) | instid1(VALU_DEP_2)
	v_pk_fma_f32 v[72:73], v[68:69], v[64:65], v[70:71] op_sel_hi:[1,0,1]
	v_pk_fma_f32 v[64:65], v[68:69], v[64:65], v[70:71] neg_lo:[0,0,1] neg_hi:[0,0,1]
	v_mov_b32_e32 v65, v73
	s_cbranch_execz .LBB93_364
	s_branch .LBB93_365
.LBB93_363:
                                        ; implicit-def: $vgpr64_vgpr65
.LBB93_364:
	ds_load_b64 v[64:65], v1
.LBB93_365:
	s_mov_b32 s2, exec_lo
	v_cmpx_ne_u32_e32 7, v0
	s_cbranch_execz .LBB93_369
; %bb.366:
	v_add_nc_u32_e32 v67, 0xf8, v58
	v_add3_u32 v68, 0, v58, 8
	v_mov_b32_e32 v69, v0
	s_mov_b32 s3, 0
.LBB93_367:                             ; =>This Inner Loop Header: Depth=1
	scratch_load_b64 v[70:71], v68, off
	ds_load_b64 v[72:73], v67
	s_wait_xcnt 0x0
	v_dual_add_nc_u32 v67, 8, v67 :: v_dual_add_nc_u32 v68, 8, v68
	s_wait_loadcnt_dscnt 0x0
	v_pk_mul_f32 v[74:75], v[72:73], v[70:71] op_sel:[1,1] op_sel_hi:[0,1]
	s_delay_alu instid0(VALU_DEP_1) | instskip(SKIP_2) | instid1(VALU_DEP_3)
	v_pk_fma_f32 v[76:77], v[72:73], v[70:71], v[74:75] op_sel_hi:[1,0,1]
	v_add_nc_u32_e32 v69, 1, v69
	v_pk_fma_f32 v[70:71], v[72:73], v[70:71], v[74:75] neg_lo:[0,0,1] neg_hi:[0,0,1]
	v_mov_b32_e32 v71, v77
	s_delay_alu instid0(VALU_DEP_3) | instskip(NEXT) | instid1(VALU_DEP_2)
	v_cmp_lt_u32_e32 vcc_lo, 6, v69
	v_pk_add_f32 v[64:65], v[64:65], v[70:71]
	s_or_b32 s3, vcc_lo, s3
	s_delay_alu instid0(SALU_CYCLE_1)
	s_and_not1_b32 exec_lo, exec_lo, s3
	s_cbranch_execnz .LBB93_367
; %bb.368:
	s_or_b32 exec_lo, exec_lo, s3
.LBB93_369:
	s_delay_alu instid0(SALU_CYCLE_1) | instskip(SKIP_4) | instid1(VALU_DEP_1)
	s_or_b32 exec_lo, exec_lo, s2
	v_mov_b32_e32 v67, 0
	ds_load_b64 v[68:69], v67 offset:64
	s_wait_dscnt 0x0
	v_pk_mul_f32 v[70:71], v[64:65], v[68:69] op_sel:[1,1] op_sel_hi:[0,1]
	v_pk_fma_f32 v[72:73], v[64:65], v[68:69], v[70:71] op_sel_hi:[1,0,1]
	v_pk_fma_f32 v[64:65], v[64:65], v[68:69], v[70:71] neg_lo:[0,0,1] neg_hi:[0,0,1]
	s_delay_alu instid0(VALU_DEP_2)
	v_mov_b32_e32 v65, v73
	scratch_store_b64 off, v[64:65], off offset:64
.LBB93_370:
	s_wait_xcnt 0x0
	s_or_b32 exec_lo, exec_lo, s0
	scratch_load_b64 v[64:65], off, off offset:72
	s_mov_b32 s0, exec_lo
	s_wait_loadcnt 0x0
	ds_store_b64 v1, v[64:65]
	s_wait_storecnt_dscnt 0x0
	s_barrier_signal -1
	s_barrier_wait -1
	s_wait_xcnt 0x0
	v_cmpx_gt_u32_e32 9, v0
	s_cbranch_execz .LBB93_380
; %bb.371:
	v_cmp_ne_u32_e32 vcc_lo, 1, v66
	s_cbranch_vccnz .LBB93_373
; %bb.372:
	scratch_load_b64 v[64:65], v59, off
	ds_load_b64 v[68:69], v1
	s_wait_loadcnt_dscnt 0x0
	v_pk_mul_f32 v[70:71], v[68:69], v[64:65] op_sel:[1,1] op_sel_hi:[0,1]
	s_delay_alu instid0(VALU_DEP_1) | instskip(SKIP_1) | instid1(VALU_DEP_2)
	v_pk_fma_f32 v[72:73], v[68:69], v[64:65], v[70:71] op_sel_hi:[1,0,1]
	v_pk_fma_f32 v[64:65], v[68:69], v[64:65], v[70:71] neg_lo:[0,0,1] neg_hi:[0,0,1]
	v_mov_b32_e32 v65, v73
	s_cbranch_execz .LBB93_374
	s_branch .LBB93_375
.LBB93_373:
                                        ; implicit-def: $vgpr64_vgpr65
.LBB93_374:
	ds_load_b64 v[64:65], v1
.LBB93_375:
	s_mov_b32 s2, exec_lo
	v_cmpx_ne_u32_e32 8, v0
	s_cbranch_execz .LBB93_379
; %bb.376:
	v_add_nc_u32_e32 v67, 0xf8, v58
	v_add3_u32 v68, 0, v58, 8
	v_mov_b32_e32 v69, v0
	s_mov_b32 s3, 0
.LBB93_377:                             ; =>This Inner Loop Header: Depth=1
	scratch_load_b64 v[70:71], v68, off
	ds_load_b64 v[72:73], v67
	s_wait_xcnt 0x0
	v_dual_add_nc_u32 v67, 8, v67 :: v_dual_add_nc_u32 v68, 8, v68
	s_wait_loadcnt_dscnt 0x0
	v_pk_mul_f32 v[74:75], v[72:73], v[70:71] op_sel:[1,1] op_sel_hi:[0,1]
	s_delay_alu instid0(VALU_DEP_1) | instskip(SKIP_2) | instid1(VALU_DEP_3)
	v_pk_fma_f32 v[76:77], v[72:73], v[70:71], v[74:75] op_sel_hi:[1,0,1]
	v_add_nc_u32_e32 v69, 1, v69
	v_pk_fma_f32 v[70:71], v[72:73], v[70:71], v[74:75] neg_lo:[0,0,1] neg_hi:[0,0,1]
	v_mov_b32_e32 v71, v77
	s_delay_alu instid0(VALU_DEP_3) | instskip(NEXT) | instid1(VALU_DEP_2)
	v_cmp_lt_u32_e32 vcc_lo, 7, v69
	v_pk_add_f32 v[64:65], v[64:65], v[70:71]
	s_or_b32 s3, vcc_lo, s3
	s_delay_alu instid0(SALU_CYCLE_1)
	s_and_not1_b32 exec_lo, exec_lo, s3
	s_cbranch_execnz .LBB93_377
; %bb.378:
	s_or_b32 exec_lo, exec_lo, s3
.LBB93_379:
	s_delay_alu instid0(SALU_CYCLE_1) | instskip(SKIP_4) | instid1(VALU_DEP_1)
	s_or_b32 exec_lo, exec_lo, s2
	v_mov_b32_e32 v67, 0
	ds_load_b64 v[68:69], v67 offset:72
	s_wait_dscnt 0x0
	v_pk_mul_f32 v[70:71], v[64:65], v[68:69] op_sel:[1,1] op_sel_hi:[0,1]
	v_pk_fma_f32 v[72:73], v[64:65], v[68:69], v[70:71] op_sel_hi:[1,0,1]
	v_pk_fma_f32 v[64:65], v[64:65], v[68:69], v[70:71] neg_lo:[0,0,1] neg_hi:[0,0,1]
	s_delay_alu instid0(VALU_DEP_2)
	v_mov_b32_e32 v65, v73
	scratch_store_b64 off, v[64:65], off offset:72
.LBB93_380:
	s_wait_xcnt 0x0
	s_or_b32 exec_lo, exec_lo, s0
	scratch_load_b64 v[64:65], off, off offset:80
	s_mov_b32 s0, exec_lo
	s_wait_loadcnt 0x0
	ds_store_b64 v1, v[64:65]
	s_wait_storecnt_dscnt 0x0
	s_barrier_signal -1
	s_barrier_wait -1
	s_wait_xcnt 0x0
	v_cmpx_gt_u32_e32 10, v0
	s_cbranch_execz .LBB93_390
; %bb.381:
	v_cmp_ne_u32_e32 vcc_lo, 1, v66
	s_cbranch_vccnz .LBB93_383
; %bb.382:
	scratch_load_b64 v[64:65], v59, off
	ds_load_b64 v[68:69], v1
	s_wait_loadcnt_dscnt 0x0
	v_pk_mul_f32 v[70:71], v[68:69], v[64:65] op_sel:[1,1] op_sel_hi:[0,1]
	s_delay_alu instid0(VALU_DEP_1) | instskip(SKIP_1) | instid1(VALU_DEP_2)
	v_pk_fma_f32 v[72:73], v[68:69], v[64:65], v[70:71] op_sel_hi:[1,0,1]
	v_pk_fma_f32 v[64:65], v[68:69], v[64:65], v[70:71] neg_lo:[0,0,1] neg_hi:[0,0,1]
	v_mov_b32_e32 v65, v73
	s_cbranch_execz .LBB93_384
	s_branch .LBB93_385
.LBB93_383:
                                        ; implicit-def: $vgpr64_vgpr65
.LBB93_384:
	ds_load_b64 v[64:65], v1
.LBB93_385:
	s_mov_b32 s2, exec_lo
	v_cmpx_ne_u32_e32 9, v0
	s_cbranch_execz .LBB93_389
; %bb.386:
	v_add_nc_u32_e32 v67, 0xf8, v58
	v_add3_u32 v68, 0, v58, 8
	v_mov_b32_e32 v69, v0
	s_mov_b32 s3, 0
.LBB93_387:                             ; =>This Inner Loop Header: Depth=1
	scratch_load_b64 v[70:71], v68, off
	ds_load_b64 v[72:73], v67
	s_wait_xcnt 0x0
	v_dual_add_nc_u32 v67, 8, v67 :: v_dual_add_nc_u32 v68, 8, v68
	s_wait_loadcnt_dscnt 0x0
	v_pk_mul_f32 v[74:75], v[72:73], v[70:71] op_sel:[1,1] op_sel_hi:[0,1]
	s_delay_alu instid0(VALU_DEP_1) | instskip(SKIP_2) | instid1(VALU_DEP_3)
	v_pk_fma_f32 v[76:77], v[72:73], v[70:71], v[74:75] op_sel_hi:[1,0,1]
	v_add_nc_u32_e32 v69, 1, v69
	v_pk_fma_f32 v[70:71], v[72:73], v[70:71], v[74:75] neg_lo:[0,0,1] neg_hi:[0,0,1]
	v_mov_b32_e32 v71, v77
	s_delay_alu instid0(VALU_DEP_3) | instskip(NEXT) | instid1(VALU_DEP_2)
	v_cmp_lt_u32_e32 vcc_lo, 8, v69
	v_pk_add_f32 v[64:65], v[64:65], v[70:71]
	s_or_b32 s3, vcc_lo, s3
	s_delay_alu instid0(SALU_CYCLE_1)
	s_and_not1_b32 exec_lo, exec_lo, s3
	s_cbranch_execnz .LBB93_387
; %bb.388:
	s_or_b32 exec_lo, exec_lo, s3
.LBB93_389:
	s_delay_alu instid0(SALU_CYCLE_1) | instskip(SKIP_4) | instid1(VALU_DEP_1)
	s_or_b32 exec_lo, exec_lo, s2
	v_mov_b32_e32 v67, 0
	ds_load_b64 v[68:69], v67 offset:80
	s_wait_dscnt 0x0
	v_pk_mul_f32 v[70:71], v[64:65], v[68:69] op_sel:[1,1] op_sel_hi:[0,1]
	v_pk_fma_f32 v[72:73], v[64:65], v[68:69], v[70:71] op_sel_hi:[1,0,1]
	v_pk_fma_f32 v[64:65], v[64:65], v[68:69], v[70:71] neg_lo:[0,0,1] neg_hi:[0,0,1]
	s_delay_alu instid0(VALU_DEP_2)
	v_mov_b32_e32 v65, v73
	scratch_store_b64 off, v[64:65], off offset:80
.LBB93_390:
	s_wait_xcnt 0x0
	s_or_b32 exec_lo, exec_lo, s0
	scratch_load_b64 v[64:65], off, off offset:88
	s_mov_b32 s0, exec_lo
	s_wait_loadcnt 0x0
	ds_store_b64 v1, v[64:65]
	s_wait_storecnt_dscnt 0x0
	s_barrier_signal -1
	s_barrier_wait -1
	s_wait_xcnt 0x0
	v_cmpx_gt_u32_e32 11, v0
	s_cbranch_execz .LBB93_400
; %bb.391:
	v_cmp_ne_u32_e32 vcc_lo, 1, v66
	s_cbranch_vccnz .LBB93_393
; %bb.392:
	scratch_load_b64 v[64:65], v59, off
	ds_load_b64 v[68:69], v1
	s_wait_loadcnt_dscnt 0x0
	v_pk_mul_f32 v[70:71], v[68:69], v[64:65] op_sel:[1,1] op_sel_hi:[0,1]
	s_delay_alu instid0(VALU_DEP_1) | instskip(SKIP_1) | instid1(VALU_DEP_2)
	v_pk_fma_f32 v[72:73], v[68:69], v[64:65], v[70:71] op_sel_hi:[1,0,1]
	v_pk_fma_f32 v[64:65], v[68:69], v[64:65], v[70:71] neg_lo:[0,0,1] neg_hi:[0,0,1]
	v_mov_b32_e32 v65, v73
	s_cbranch_execz .LBB93_394
	s_branch .LBB93_395
.LBB93_393:
                                        ; implicit-def: $vgpr64_vgpr65
.LBB93_394:
	ds_load_b64 v[64:65], v1
.LBB93_395:
	s_mov_b32 s2, exec_lo
	v_cmpx_ne_u32_e32 10, v0
	s_cbranch_execz .LBB93_399
; %bb.396:
	v_add_nc_u32_e32 v67, 0xf8, v58
	v_add3_u32 v68, 0, v58, 8
	v_mov_b32_e32 v69, v0
	s_mov_b32 s3, 0
.LBB93_397:                             ; =>This Inner Loop Header: Depth=1
	scratch_load_b64 v[70:71], v68, off
	ds_load_b64 v[72:73], v67
	s_wait_xcnt 0x0
	v_dual_add_nc_u32 v67, 8, v67 :: v_dual_add_nc_u32 v68, 8, v68
	s_wait_loadcnt_dscnt 0x0
	v_pk_mul_f32 v[74:75], v[72:73], v[70:71] op_sel:[1,1] op_sel_hi:[0,1]
	s_delay_alu instid0(VALU_DEP_1) | instskip(SKIP_2) | instid1(VALU_DEP_3)
	v_pk_fma_f32 v[76:77], v[72:73], v[70:71], v[74:75] op_sel_hi:[1,0,1]
	v_add_nc_u32_e32 v69, 1, v69
	v_pk_fma_f32 v[70:71], v[72:73], v[70:71], v[74:75] neg_lo:[0,0,1] neg_hi:[0,0,1]
	v_mov_b32_e32 v71, v77
	s_delay_alu instid0(VALU_DEP_3) | instskip(NEXT) | instid1(VALU_DEP_2)
	v_cmp_lt_u32_e32 vcc_lo, 9, v69
	v_pk_add_f32 v[64:65], v[64:65], v[70:71]
	s_or_b32 s3, vcc_lo, s3
	s_delay_alu instid0(SALU_CYCLE_1)
	s_and_not1_b32 exec_lo, exec_lo, s3
	s_cbranch_execnz .LBB93_397
; %bb.398:
	s_or_b32 exec_lo, exec_lo, s3
.LBB93_399:
	s_delay_alu instid0(SALU_CYCLE_1) | instskip(SKIP_4) | instid1(VALU_DEP_1)
	s_or_b32 exec_lo, exec_lo, s2
	v_mov_b32_e32 v67, 0
	ds_load_b64 v[68:69], v67 offset:88
	s_wait_dscnt 0x0
	v_pk_mul_f32 v[70:71], v[64:65], v[68:69] op_sel:[1,1] op_sel_hi:[0,1]
	v_pk_fma_f32 v[72:73], v[64:65], v[68:69], v[70:71] op_sel_hi:[1,0,1]
	v_pk_fma_f32 v[64:65], v[64:65], v[68:69], v[70:71] neg_lo:[0,0,1] neg_hi:[0,0,1]
	s_delay_alu instid0(VALU_DEP_2)
	v_mov_b32_e32 v65, v73
	scratch_store_b64 off, v[64:65], off offset:88
.LBB93_400:
	s_wait_xcnt 0x0
	s_or_b32 exec_lo, exec_lo, s0
	scratch_load_b64 v[64:65], off, off offset:96
	s_mov_b32 s0, exec_lo
	s_wait_loadcnt 0x0
	ds_store_b64 v1, v[64:65]
	s_wait_storecnt_dscnt 0x0
	s_barrier_signal -1
	s_barrier_wait -1
	s_wait_xcnt 0x0
	v_cmpx_gt_u32_e32 12, v0
	s_cbranch_execz .LBB93_410
; %bb.401:
	v_cmp_ne_u32_e32 vcc_lo, 1, v66
	s_cbranch_vccnz .LBB93_403
; %bb.402:
	scratch_load_b64 v[64:65], v59, off
	ds_load_b64 v[68:69], v1
	s_wait_loadcnt_dscnt 0x0
	v_pk_mul_f32 v[70:71], v[68:69], v[64:65] op_sel:[1,1] op_sel_hi:[0,1]
	s_delay_alu instid0(VALU_DEP_1) | instskip(SKIP_1) | instid1(VALU_DEP_2)
	v_pk_fma_f32 v[72:73], v[68:69], v[64:65], v[70:71] op_sel_hi:[1,0,1]
	v_pk_fma_f32 v[64:65], v[68:69], v[64:65], v[70:71] neg_lo:[0,0,1] neg_hi:[0,0,1]
	v_mov_b32_e32 v65, v73
	s_cbranch_execz .LBB93_404
	s_branch .LBB93_405
.LBB93_403:
                                        ; implicit-def: $vgpr64_vgpr65
.LBB93_404:
	ds_load_b64 v[64:65], v1
.LBB93_405:
	s_mov_b32 s2, exec_lo
	v_cmpx_ne_u32_e32 11, v0
	s_cbranch_execz .LBB93_409
; %bb.406:
	v_add_nc_u32_e32 v67, 0xf8, v58
	v_add3_u32 v68, 0, v58, 8
	v_mov_b32_e32 v69, v0
	s_mov_b32 s3, 0
.LBB93_407:                             ; =>This Inner Loop Header: Depth=1
	scratch_load_b64 v[70:71], v68, off
	ds_load_b64 v[72:73], v67
	s_wait_xcnt 0x0
	v_dual_add_nc_u32 v67, 8, v67 :: v_dual_add_nc_u32 v68, 8, v68
	s_wait_loadcnt_dscnt 0x0
	v_pk_mul_f32 v[74:75], v[72:73], v[70:71] op_sel:[1,1] op_sel_hi:[0,1]
	s_delay_alu instid0(VALU_DEP_1) | instskip(SKIP_2) | instid1(VALU_DEP_3)
	v_pk_fma_f32 v[76:77], v[72:73], v[70:71], v[74:75] op_sel_hi:[1,0,1]
	v_add_nc_u32_e32 v69, 1, v69
	v_pk_fma_f32 v[70:71], v[72:73], v[70:71], v[74:75] neg_lo:[0,0,1] neg_hi:[0,0,1]
	v_mov_b32_e32 v71, v77
	s_delay_alu instid0(VALU_DEP_3) | instskip(NEXT) | instid1(VALU_DEP_2)
	v_cmp_lt_u32_e32 vcc_lo, 10, v69
	v_pk_add_f32 v[64:65], v[64:65], v[70:71]
	s_or_b32 s3, vcc_lo, s3
	s_delay_alu instid0(SALU_CYCLE_1)
	s_and_not1_b32 exec_lo, exec_lo, s3
	s_cbranch_execnz .LBB93_407
; %bb.408:
	s_or_b32 exec_lo, exec_lo, s3
.LBB93_409:
	s_delay_alu instid0(SALU_CYCLE_1) | instskip(SKIP_4) | instid1(VALU_DEP_1)
	s_or_b32 exec_lo, exec_lo, s2
	v_mov_b32_e32 v67, 0
	ds_load_b64 v[68:69], v67 offset:96
	s_wait_dscnt 0x0
	v_pk_mul_f32 v[70:71], v[64:65], v[68:69] op_sel:[1,1] op_sel_hi:[0,1]
	v_pk_fma_f32 v[72:73], v[64:65], v[68:69], v[70:71] op_sel_hi:[1,0,1]
	v_pk_fma_f32 v[64:65], v[64:65], v[68:69], v[70:71] neg_lo:[0,0,1] neg_hi:[0,0,1]
	s_delay_alu instid0(VALU_DEP_2)
	v_mov_b32_e32 v65, v73
	scratch_store_b64 off, v[64:65], off offset:96
.LBB93_410:
	s_wait_xcnt 0x0
	s_or_b32 exec_lo, exec_lo, s0
	scratch_load_b64 v[64:65], off, off offset:104
	s_mov_b32 s0, exec_lo
	s_wait_loadcnt 0x0
	ds_store_b64 v1, v[64:65]
	s_wait_storecnt_dscnt 0x0
	s_barrier_signal -1
	s_barrier_wait -1
	s_wait_xcnt 0x0
	v_cmpx_gt_u32_e32 13, v0
	s_cbranch_execz .LBB93_420
; %bb.411:
	v_cmp_ne_u32_e32 vcc_lo, 1, v66
	s_cbranch_vccnz .LBB93_413
; %bb.412:
	scratch_load_b64 v[64:65], v59, off
	ds_load_b64 v[68:69], v1
	s_wait_loadcnt_dscnt 0x0
	v_pk_mul_f32 v[70:71], v[68:69], v[64:65] op_sel:[1,1] op_sel_hi:[0,1]
	s_delay_alu instid0(VALU_DEP_1) | instskip(SKIP_1) | instid1(VALU_DEP_2)
	v_pk_fma_f32 v[72:73], v[68:69], v[64:65], v[70:71] op_sel_hi:[1,0,1]
	v_pk_fma_f32 v[64:65], v[68:69], v[64:65], v[70:71] neg_lo:[0,0,1] neg_hi:[0,0,1]
	v_mov_b32_e32 v65, v73
	s_cbranch_execz .LBB93_414
	s_branch .LBB93_415
.LBB93_413:
                                        ; implicit-def: $vgpr64_vgpr65
.LBB93_414:
	ds_load_b64 v[64:65], v1
.LBB93_415:
	s_mov_b32 s2, exec_lo
	v_cmpx_ne_u32_e32 12, v0
	s_cbranch_execz .LBB93_419
; %bb.416:
	v_add_nc_u32_e32 v67, 0xf8, v58
	v_add3_u32 v68, 0, v58, 8
	v_mov_b32_e32 v69, v0
	s_mov_b32 s3, 0
.LBB93_417:                             ; =>This Inner Loop Header: Depth=1
	scratch_load_b64 v[70:71], v68, off
	ds_load_b64 v[72:73], v67
	s_wait_xcnt 0x0
	v_dual_add_nc_u32 v67, 8, v67 :: v_dual_add_nc_u32 v68, 8, v68
	s_wait_loadcnt_dscnt 0x0
	v_pk_mul_f32 v[74:75], v[72:73], v[70:71] op_sel:[1,1] op_sel_hi:[0,1]
	s_delay_alu instid0(VALU_DEP_1) | instskip(SKIP_2) | instid1(VALU_DEP_3)
	v_pk_fma_f32 v[76:77], v[72:73], v[70:71], v[74:75] op_sel_hi:[1,0,1]
	v_add_nc_u32_e32 v69, 1, v69
	v_pk_fma_f32 v[70:71], v[72:73], v[70:71], v[74:75] neg_lo:[0,0,1] neg_hi:[0,0,1]
	v_mov_b32_e32 v71, v77
	s_delay_alu instid0(VALU_DEP_3) | instskip(NEXT) | instid1(VALU_DEP_2)
	v_cmp_lt_u32_e32 vcc_lo, 11, v69
	v_pk_add_f32 v[64:65], v[64:65], v[70:71]
	s_or_b32 s3, vcc_lo, s3
	s_delay_alu instid0(SALU_CYCLE_1)
	s_and_not1_b32 exec_lo, exec_lo, s3
	s_cbranch_execnz .LBB93_417
; %bb.418:
	s_or_b32 exec_lo, exec_lo, s3
.LBB93_419:
	s_delay_alu instid0(SALU_CYCLE_1) | instskip(SKIP_4) | instid1(VALU_DEP_1)
	s_or_b32 exec_lo, exec_lo, s2
	v_mov_b32_e32 v67, 0
	ds_load_b64 v[68:69], v67 offset:104
	s_wait_dscnt 0x0
	v_pk_mul_f32 v[70:71], v[64:65], v[68:69] op_sel:[1,1] op_sel_hi:[0,1]
	v_pk_fma_f32 v[72:73], v[64:65], v[68:69], v[70:71] op_sel_hi:[1,0,1]
	v_pk_fma_f32 v[64:65], v[64:65], v[68:69], v[70:71] neg_lo:[0,0,1] neg_hi:[0,0,1]
	s_delay_alu instid0(VALU_DEP_2)
	v_mov_b32_e32 v65, v73
	scratch_store_b64 off, v[64:65], off offset:104
.LBB93_420:
	s_wait_xcnt 0x0
	s_or_b32 exec_lo, exec_lo, s0
	scratch_load_b64 v[64:65], off, off offset:112
	s_mov_b32 s0, exec_lo
	s_wait_loadcnt 0x0
	ds_store_b64 v1, v[64:65]
	s_wait_storecnt_dscnt 0x0
	s_barrier_signal -1
	s_barrier_wait -1
	s_wait_xcnt 0x0
	v_cmpx_gt_u32_e32 14, v0
	s_cbranch_execz .LBB93_430
; %bb.421:
	v_cmp_ne_u32_e32 vcc_lo, 1, v66
	s_cbranch_vccnz .LBB93_423
; %bb.422:
	scratch_load_b64 v[64:65], v59, off
	ds_load_b64 v[68:69], v1
	s_wait_loadcnt_dscnt 0x0
	v_pk_mul_f32 v[70:71], v[68:69], v[64:65] op_sel:[1,1] op_sel_hi:[0,1]
	s_delay_alu instid0(VALU_DEP_1) | instskip(SKIP_1) | instid1(VALU_DEP_2)
	v_pk_fma_f32 v[72:73], v[68:69], v[64:65], v[70:71] op_sel_hi:[1,0,1]
	v_pk_fma_f32 v[64:65], v[68:69], v[64:65], v[70:71] neg_lo:[0,0,1] neg_hi:[0,0,1]
	v_mov_b32_e32 v65, v73
	s_cbranch_execz .LBB93_424
	s_branch .LBB93_425
.LBB93_423:
                                        ; implicit-def: $vgpr64_vgpr65
.LBB93_424:
	ds_load_b64 v[64:65], v1
.LBB93_425:
	s_mov_b32 s2, exec_lo
	v_cmpx_ne_u32_e32 13, v0
	s_cbranch_execz .LBB93_429
; %bb.426:
	v_add_nc_u32_e32 v67, 0xf8, v58
	v_add3_u32 v68, 0, v58, 8
	v_mov_b32_e32 v69, v0
	s_mov_b32 s3, 0
.LBB93_427:                             ; =>This Inner Loop Header: Depth=1
	scratch_load_b64 v[70:71], v68, off
	ds_load_b64 v[72:73], v67
	s_wait_xcnt 0x0
	v_dual_add_nc_u32 v67, 8, v67 :: v_dual_add_nc_u32 v68, 8, v68
	s_wait_loadcnt_dscnt 0x0
	v_pk_mul_f32 v[74:75], v[72:73], v[70:71] op_sel:[1,1] op_sel_hi:[0,1]
	s_delay_alu instid0(VALU_DEP_1) | instskip(SKIP_2) | instid1(VALU_DEP_3)
	v_pk_fma_f32 v[76:77], v[72:73], v[70:71], v[74:75] op_sel_hi:[1,0,1]
	v_add_nc_u32_e32 v69, 1, v69
	v_pk_fma_f32 v[70:71], v[72:73], v[70:71], v[74:75] neg_lo:[0,0,1] neg_hi:[0,0,1]
	v_mov_b32_e32 v71, v77
	s_delay_alu instid0(VALU_DEP_3) | instskip(NEXT) | instid1(VALU_DEP_2)
	v_cmp_lt_u32_e32 vcc_lo, 12, v69
	v_pk_add_f32 v[64:65], v[64:65], v[70:71]
	s_or_b32 s3, vcc_lo, s3
	s_delay_alu instid0(SALU_CYCLE_1)
	s_and_not1_b32 exec_lo, exec_lo, s3
	s_cbranch_execnz .LBB93_427
; %bb.428:
	s_or_b32 exec_lo, exec_lo, s3
.LBB93_429:
	s_delay_alu instid0(SALU_CYCLE_1) | instskip(SKIP_4) | instid1(VALU_DEP_1)
	s_or_b32 exec_lo, exec_lo, s2
	v_mov_b32_e32 v67, 0
	ds_load_b64 v[68:69], v67 offset:112
	s_wait_dscnt 0x0
	v_pk_mul_f32 v[70:71], v[64:65], v[68:69] op_sel:[1,1] op_sel_hi:[0,1]
	v_pk_fma_f32 v[72:73], v[64:65], v[68:69], v[70:71] op_sel_hi:[1,0,1]
	v_pk_fma_f32 v[64:65], v[64:65], v[68:69], v[70:71] neg_lo:[0,0,1] neg_hi:[0,0,1]
	s_delay_alu instid0(VALU_DEP_2)
	v_mov_b32_e32 v65, v73
	scratch_store_b64 off, v[64:65], off offset:112
.LBB93_430:
	s_wait_xcnt 0x0
	s_or_b32 exec_lo, exec_lo, s0
	scratch_load_b64 v[64:65], off, off offset:120
	s_mov_b32 s0, exec_lo
	s_wait_loadcnt 0x0
	ds_store_b64 v1, v[64:65]
	s_wait_storecnt_dscnt 0x0
	s_barrier_signal -1
	s_barrier_wait -1
	s_wait_xcnt 0x0
	v_cmpx_gt_u32_e32 15, v0
	s_cbranch_execz .LBB93_440
; %bb.431:
	v_cmp_ne_u32_e32 vcc_lo, 1, v66
	s_cbranch_vccnz .LBB93_433
; %bb.432:
	scratch_load_b64 v[64:65], v59, off
	ds_load_b64 v[68:69], v1
	s_wait_loadcnt_dscnt 0x0
	v_pk_mul_f32 v[70:71], v[68:69], v[64:65] op_sel:[1,1] op_sel_hi:[0,1]
	s_delay_alu instid0(VALU_DEP_1) | instskip(SKIP_1) | instid1(VALU_DEP_2)
	v_pk_fma_f32 v[72:73], v[68:69], v[64:65], v[70:71] op_sel_hi:[1,0,1]
	v_pk_fma_f32 v[64:65], v[68:69], v[64:65], v[70:71] neg_lo:[0,0,1] neg_hi:[0,0,1]
	v_mov_b32_e32 v65, v73
	s_cbranch_execz .LBB93_434
	s_branch .LBB93_435
.LBB93_433:
                                        ; implicit-def: $vgpr64_vgpr65
.LBB93_434:
	ds_load_b64 v[64:65], v1
.LBB93_435:
	s_mov_b32 s2, exec_lo
	v_cmpx_ne_u32_e32 14, v0
	s_cbranch_execz .LBB93_439
; %bb.436:
	v_add_nc_u32_e32 v67, 0xf8, v58
	v_add3_u32 v68, 0, v58, 8
	v_mov_b32_e32 v69, v0
	s_mov_b32 s3, 0
.LBB93_437:                             ; =>This Inner Loop Header: Depth=1
	scratch_load_b64 v[70:71], v68, off
	ds_load_b64 v[72:73], v67
	s_wait_xcnt 0x0
	v_dual_add_nc_u32 v67, 8, v67 :: v_dual_add_nc_u32 v68, 8, v68
	s_wait_loadcnt_dscnt 0x0
	v_pk_mul_f32 v[74:75], v[72:73], v[70:71] op_sel:[1,1] op_sel_hi:[0,1]
	s_delay_alu instid0(VALU_DEP_1) | instskip(SKIP_2) | instid1(VALU_DEP_3)
	v_pk_fma_f32 v[76:77], v[72:73], v[70:71], v[74:75] op_sel_hi:[1,0,1]
	v_add_nc_u32_e32 v69, 1, v69
	v_pk_fma_f32 v[70:71], v[72:73], v[70:71], v[74:75] neg_lo:[0,0,1] neg_hi:[0,0,1]
	v_mov_b32_e32 v71, v77
	s_delay_alu instid0(VALU_DEP_3) | instskip(NEXT) | instid1(VALU_DEP_2)
	v_cmp_lt_u32_e32 vcc_lo, 13, v69
	v_pk_add_f32 v[64:65], v[64:65], v[70:71]
	s_or_b32 s3, vcc_lo, s3
	s_delay_alu instid0(SALU_CYCLE_1)
	s_and_not1_b32 exec_lo, exec_lo, s3
	s_cbranch_execnz .LBB93_437
; %bb.438:
	s_or_b32 exec_lo, exec_lo, s3
.LBB93_439:
	s_delay_alu instid0(SALU_CYCLE_1) | instskip(SKIP_4) | instid1(VALU_DEP_1)
	s_or_b32 exec_lo, exec_lo, s2
	v_mov_b32_e32 v67, 0
	ds_load_b64 v[68:69], v67 offset:120
	s_wait_dscnt 0x0
	v_pk_mul_f32 v[70:71], v[64:65], v[68:69] op_sel:[1,1] op_sel_hi:[0,1]
	v_pk_fma_f32 v[72:73], v[64:65], v[68:69], v[70:71] op_sel_hi:[1,0,1]
	v_pk_fma_f32 v[64:65], v[64:65], v[68:69], v[70:71] neg_lo:[0,0,1] neg_hi:[0,0,1]
	s_delay_alu instid0(VALU_DEP_2)
	v_mov_b32_e32 v65, v73
	scratch_store_b64 off, v[64:65], off offset:120
.LBB93_440:
	s_wait_xcnt 0x0
	s_or_b32 exec_lo, exec_lo, s0
	scratch_load_b64 v[64:65], off, off offset:128
	s_mov_b32 s0, exec_lo
	s_wait_loadcnt 0x0
	ds_store_b64 v1, v[64:65]
	s_wait_storecnt_dscnt 0x0
	s_barrier_signal -1
	s_barrier_wait -1
	s_wait_xcnt 0x0
	v_cmpx_gt_u32_e32 16, v0
	s_cbranch_execz .LBB93_450
; %bb.441:
	v_cmp_ne_u32_e32 vcc_lo, 1, v66
	s_cbranch_vccnz .LBB93_443
; %bb.442:
	scratch_load_b64 v[64:65], v59, off
	ds_load_b64 v[68:69], v1
	s_wait_loadcnt_dscnt 0x0
	v_pk_mul_f32 v[70:71], v[68:69], v[64:65] op_sel:[1,1] op_sel_hi:[0,1]
	s_delay_alu instid0(VALU_DEP_1) | instskip(SKIP_1) | instid1(VALU_DEP_2)
	v_pk_fma_f32 v[72:73], v[68:69], v[64:65], v[70:71] op_sel_hi:[1,0,1]
	v_pk_fma_f32 v[64:65], v[68:69], v[64:65], v[70:71] neg_lo:[0,0,1] neg_hi:[0,0,1]
	v_mov_b32_e32 v65, v73
	s_cbranch_execz .LBB93_444
	s_branch .LBB93_445
.LBB93_443:
                                        ; implicit-def: $vgpr64_vgpr65
.LBB93_444:
	ds_load_b64 v[64:65], v1
.LBB93_445:
	s_mov_b32 s2, exec_lo
	v_cmpx_ne_u32_e32 15, v0
	s_cbranch_execz .LBB93_449
; %bb.446:
	v_add_nc_u32_e32 v67, 0xf8, v58
	v_add3_u32 v68, 0, v58, 8
	v_mov_b32_e32 v69, v0
	s_mov_b32 s3, 0
.LBB93_447:                             ; =>This Inner Loop Header: Depth=1
	scratch_load_b64 v[70:71], v68, off
	ds_load_b64 v[72:73], v67
	s_wait_xcnt 0x0
	v_dual_add_nc_u32 v67, 8, v67 :: v_dual_add_nc_u32 v68, 8, v68
	s_wait_loadcnt_dscnt 0x0
	v_pk_mul_f32 v[74:75], v[72:73], v[70:71] op_sel:[1,1] op_sel_hi:[0,1]
	s_delay_alu instid0(VALU_DEP_1) | instskip(SKIP_2) | instid1(VALU_DEP_3)
	v_pk_fma_f32 v[76:77], v[72:73], v[70:71], v[74:75] op_sel_hi:[1,0,1]
	v_add_nc_u32_e32 v69, 1, v69
	v_pk_fma_f32 v[70:71], v[72:73], v[70:71], v[74:75] neg_lo:[0,0,1] neg_hi:[0,0,1]
	v_mov_b32_e32 v71, v77
	s_delay_alu instid0(VALU_DEP_3) | instskip(NEXT) | instid1(VALU_DEP_2)
	v_cmp_lt_u32_e32 vcc_lo, 14, v69
	v_pk_add_f32 v[64:65], v[64:65], v[70:71]
	s_or_b32 s3, vcc_lo, s3
	s_delay_alu instid0(SALU_CYCLE_1)
	s_and_not1_b32 exec_lo, exec_lo, s3
	s_cbranch_execnz .LBB93_447
; %bb.448:
	s_or_b32 exec_lo, exec_lo, s3
.LBB93_449:
	s_delay_alu instid0(SALU_CYCLE_1) | instskip(SKIP_4) | instid1(VALU_DEP_1)
	s_or_b32 exec_lo, exec_lo, s2
	v_mov_b32_e32 v67, 0
	ds_load_b64 v[68:69], v67 offset:128
	s_wait_dscnt 0x0
	v_pk_mul_f32 v[70:71], v[64:65], v[68:69] op_sel:[1,1] op_sel_hi:[0,1]
	v_pk_fma_f32 v[72:73], v[64:65], v[68:69], v[70:71] op_sel_hi:[1,0,1]
	v_pk_fma_f32 v[64:65], v[64:65], v[68:69], v[70:71] neg_lo:[0,0,1] neg_hi:[0,0,1]
	s_delay_alu instid0(VALU_DEP_2)
	v_mov_b32_e32 v65, v73
	scratch_store_b64 off, v[64:65], off offset:128
.LBB93_450:
	s_wait_xcnt 0x0
	s_or_b32 exec_lo, exec_lo, s0
	scratch_load_b64 v[64:65], off, off offset:136
	s_mov_b32 s0, exec_lo
	s_wait_loadcnt 0x0
	ds_store_b64 v1, v[64:65]
	s_wait_storecnt_dscnt 0x0
	s_barrier_signal -1
	s_barrier_wait -1
	s_wait_xcnt 0x0
	v_cmpx_gt_u32_e32 17, v0
	s_cbranch_execz .LBB93_460
; %bb.451:
	v_cmp_ne_u32_e32 vcc_lo, 1, v66
	s_cbranch_vccnz .LBB93_453
; %bb.452:
	scratch_load_b64 v[64:65], v59, off
	ds_load_b64 v[68:69], v1
	s_wait_loadcnt_dscnt 0x0
	v_pk_mul_f32 v[70:71], v[68:69], v[64:65] op_sel:[1,1] op_sel_hi:[0,1]
	s_delay_alu instid0(VALU_DEP_1) | instskip(SKIP_1) | instid1(VALU_DEP_2)
	v_pk_fma_f32 v[72:73], v[68:69], v[64:65], v[70:71] op_sel_hi:[1,0,1]
	v_pk_fma_f32 v[64:65], v[68:69], v[64:65], v[70:71] neg_lo:[0,0,1] neg_hi:[0,0,1]
	v_mov_b32_e32 v65, v73
	s_cbranch_execz .LBB93_454
	s_branch .LBB93_455
.LBB93_453:
                                        ; implicit-def: $vgpr64_vgpr65
.LBB93_454:
	ds_load_b64 v[64:65], v1
.LBB93_455:
	s_mov_b32 s2, exec_lo
	v_cmpx_ne_u32_e32 16, v0
	s_cbranch_execz .LBB93_459
; %bb.456:
	v_add_nc_u32_e32 v67, 0xf8, v58
	v_add3_u32 v68, 0, v58, 8
	v_mov_b32_e32 v69, v0
	s_mov_b32 s3, 0
.LBB93_457:                             ; =>This Inner Loop Header: Depth=1
	scratch_load_b64 v[70:71], v68, off
	ds_load_b64 v[72:73], v67
	s_wait_xcnt 0x0
	v_dual_add_nc_u32 v67, 8, v67 :: v_dual_add_nc_u32 v68, 8, v68
	s_wait_loadcnt_dscnt 0x0
	v_pk_mul_f32 v[74:75], v[72:73], v[70:71] op_sel:[1,1] op_sel_hi:[0,1]
	s_delay_alu instid0(VALU_DEP_1) | instskip(SKIP_2) | instid1(VALU_DEP_3)
	v_pk_fma_f32 v[76:77], v[72:73], v[70:71], v[74:75] op_sel_hi:[1,0,1]
	v_add_nc_u32_e32 v69, 1, v69
	v_pk_fma_f32 v[70:71], v[72:73], v[70:71], v[74:75] neg_lo:[0,0,1] neg_hi:[0,0,1]
	v_mov_b32_e32 v71, v77
	s_delay_alu instid0(VALU_DEP_3) | instskip(NEXT) | instid1(VALU_DEP_2)
	v_cmp_lt_u32_e32 vcc_lo, 15, v69
	v_pk_add_f32 v[64:65], v[64:65], v[70:71]
	s_or_b32 s3, vcc_lo, s3
	s_delay_alu instid0(SALU_CYCLE_1)
	s_and_not1_b32 exec_lo, exec_lo, s3
	s_cbranch_execnz .LBB93_457
; %bb.458:
	s_or_b32 exec_lo, exec_lo, s3
.LBB93_459:
	s_delay_alu instid0(SALU_CYCLE_1) | instskip(SKIP_4) | instid1(VALU_DEP_1)
	s_or_b32 exec_lo, exec_lo, s2
	v_mov_b32_e32 v67, 0
	ds_load_b64 v[68:69], v67 offset:136
	s_wait_dscnt 0x0
	v_pk_mul_f32 v[70:71], v[64:65], v[68:69] op_sel:[1,1] op_sel_hi:[0,1]
	v_pk_fma_f32 v[72:73], v[64:65], v[68:69], v[70:71] op_sel_hi:[1,0,1]
	v_pk_fma_f32 v[64:65], v[64:65], v[68:69], v[70:71] neg_lo:[0,0,1] neg_hi:[0,0,1]
	s_delay_alu instid0(VALU_DEP_2)
	v_mov_b32_e32 v65, v73
	scratch_store_b64 off, v[64:65], off offset:136
.LBB93_460:
	s_wait_xcnt 0x0
	s_or_b32 exec_lo, exec_lo, s0
	scratch_load_b64 v[64:65], off, off offset:144
	s_mov_b32 s0, exec_lo
	s_wait_loadcnt 0x0
	ds_store_b64 v1, v[64:65]
	s_wait_storecnt_dscnt 0x0
	s_barrier_signal -1
	s_barrier_wait -1
	s_wait_xcnt 0x0
	v_cmpx_gt_u32_e32 18, v0
	s_cbranch_execz .LBB93_470
; %bb.461:
	v_cmp_ne_u32_e32 vcc_lo, 1, v66
	s_cbranch_vccnz .LBB93_463
; %bb.462:
	scratch_load_b64 v[64:65], v59, off
	ds_load_b64 v[68:69], v1
	s_wait_loadcnt_dscnt 0x0
	v_pk_mul_f32 v[70:71], v[68:69], v[64:65] op_sel:[1,1] op_sel_hi:[0,1]
	s_delay_alu instid0(VALU_DEP_1) | instskip(SKIP_1) | instid1(VALU_DEP_2)
	v_pk_fma_f32 v[72:73], v[68:69], v[64:65], v[70:71] op_sel_hi:[1,0,1]
	v_pk_fma_f32 v[64:65], v[68:69], v[64:65], v[70:71] neg_lo:[0,0,1] neg_hi:[0,0,1]
	v_mov_b32_e32 v65, v73
	s_cbranch_execz .LBB93_464
	s_branch .LBB93_465
.LBB93_463:
                                        ; implicit-def: $vgpr64_vgpr65
.LBB93_464:
	ds_load_b64 v[64:65], v1
.LBB93_465:
	s_mov_b32 s2, exec_lo
	v_cmpx_ne_u32_e32 17, v0
	s_cbranch_execz .LBB93_469
; %bb.466:
	v_add_nc_u32_e32 v67, 0xf8, v58
	v_add3_u32 v68, 0, v58, 8
	v_mov_b32_e32 v69, v0
	s_mov_b32 s3, 0
.LBB93_467:                             ; =>This Inner Loop Header: Depth=1
	scratch_load_b64 v[70:71], v68, off
	ds_load_b64 v[72:73], v67
	s_wait_xcnt 0x0
	v_dual_add_nc_u32 v67, 8, v67 :: v_dual_add_nc_u32 v68, 8, v68
	s_wait_loadcnt_dscnt 0x0
	v_pk_mul_f32 v[74:75], v[72:73], v[70:71] op_sel:[1,1] op_sel_hi:[0,1]
	s_delay_alu instid0(VALU_DEP_1) | instskip(SKIP_2) | instid1(VALU_DEP_3)
	v_pk_fma_f32 v[76:77], v[72:73], v[70:71], v[74:75] op_sel_hi:[1,0,1]
	v_add_nc_u32_e32 v69, 1, v69
	v_pk_fma_f32 v[70:71], v[72:73], v[70:71], v[74:75] neg_lo:[0,0,1] neg_hi:[0,0,1]
	v_mov_b32_e32 v71, v77
	s_delay_alu instid0(VALU_DEP_3) | instskip(NEXT) | instid1(VALU_DEP_2)
	v_cmp_lt_u32_e32 vcc_lo, 16, v69
	v_pk_add_f32 v[64:65], v[64:65], v[70:71]
	s_or_b32 s3, vcc_lo, s3
	s_delay_alu instid0(SALU_CYCLE_1)
	s_and_not1_b32 exec_lo, exec_lo, s3
	s_cbranch_execnz .LBB93_467
; %bb.468:
	s_or_b32 exec_lo, exec_lo, s3
.LBB93_469:
	s_delay_alu instid0(SALU_CYCLE_1) | instskip(SKIP_4) | instid1(VALU_DEP_1)
	s_or_b32 exec_lo, exec_lo, s2
	v_mov_b32_e32 v67, 0
	ds_load_b64 v[68:69], v67 offset:144
	s_wait_dscnt 0x0
	v_pk_mul_f32 v[70:71], v[64:65], v[68:69] op_sel:[1,1] op_sel_hi:[0,1]
	v_pk_fma_f32 v[72:73], v[64:65], v[68:69], v[70:71] op_sel_hi:[1,0,1]
	v_pk_fma_f32 v[64:65], v[64:65], v[68:69], v[70:71] neg_lo:[0,0,1] neg_hi:[0,0,1]
	s_delay_alu instid0(VALU_DEP_2)
	v_mov_b32_e32 v65, v73
	scratch_store_b64 off, v[64:65], off offset:144
.LBB93_470:
	s_wait_xcnt 0x0
	s_or_b32 exec_lo, exec_lo, s0
	scratch_load_b64 v[64:65], off, off offset:152
	s_mov_b32 s0, exec_lo
	s_wait_loadcnt 0x0
	ds_store_b64 v1, v[64:65]
	s_wait_storecnt_dscnt 0x0
	s_barrier_signal -1
	s_barrier_wait -1
	s_wait_xcnt 0x0
	v_cmpx_gt_u32_e32 19, v0
	s_cbranch_execz .LBB93_480
; %bb.471:
	v_cmp_ne_u32_e32 vcc_lo, 1, v66
	s_cbranch_vccnz .LBB93_473
; %bb.472:
	scratch_load_b64 v[64:65], v59, off
	ds_load_b64 v[68:69], v1
	s_wait_loadcnt_dscnt 0x0
	v_pk_mul_f32 v[70:71], v[68:69], v[64:65] op_sel:[1,1] op_sel_hi:[0,1]
	s_delay_alu instid0(VALU_DEP_1) | instskip(SKIP_1) | instid1(VALU_DEP_2)
	v_pk_fma_f32 v[72:73], v[68:69], v[64:65], v[70:71] op_sel_hi:[1,0,1]
	v_pk_fma_f32 v[64:65], v[68:69], v[64:65], v[70:71] neg_lo:[0,0,1] neg_hi:[0,0,1]
	v_mov_b32_e32 v65, v73
	s_cbranch_execz .LBB93_474
	s_branch .LBB93_475
.LBB93_473:
                                        ; implicit-def: $vgpr64_vgpr65
.LBB93_474:
	ds_load_b64 v[64:65], v1
.LBB93_475:
	s_mov_b32 s2, exec_lo
	v_cmpx_ne_u32_e32 18, v0
	s_cbranch_execz .LBB93_479
; %bb.476:
	v_add_nc_u32_e32 v67, 0xf8, v58
	v_add3_u32 v68, 0, v58, 8
	v_mov_b32_e32 v69, v0
	s_mov_b32 s3, 0
.LBB93_477:                             ; =>This Inner Loop Header: Depth=1
	scratch_load_b64 v[70:71], v68, off
	ds_load_b64 v[72:73], v67
	s_wait_xcnt 0x0
	v_dual_add_nc_u32 v67, 8, v67 :: v_dual_add_nc_u32 v68, 8, v68
	s_wait_loadcnt_dscnt 0x0
	v_pk_mul_f32 v[74:75], v[72:73], v[70:71] op_sel:[1,1] op_sel_hi:[0,1]
	s_delay_alu instid0(VALU_DEP_1) | instskip(SKIP_2) | instid1(VALU_DEP_3)
	v_pk_fma_f32 v[76:77], v[72:73], v[70:71], v[74:75] op_sel_hi:[1,0,1]
	v_add_nc_u32_e32 v69, 1, v69
	v_pk_fma_f32 v[70:71], v[72:73], v[70:71], v[74:75] neg_lo:[0,0,1] neg_hi:[0,0,1]
	v_mov_b32_e32 v71, v77
	s_delay_alu instid0(VALU_DEP_3) | instskip(NEXT) | instid1(VALU_DEP_2)
	v_cmp_lt_u32_e32 vcc_lo, 17, v69
	v_pk_add_f32 v[64:65], v[64:65], v[70:71]
	s_or_b32 s3, vcc_lo, s3
	s_delay_alu instid0(SALU_CYCLE_1)
	s_and_not1_b32 exec_lo, exec_lo, s3
	s_cbranch_execnz .LBB93_477
; %bb.478:
	s_or_b32 exec_lo, exec_lo, s3
.LBB93_479:
	s_delay_alu instid0(SALU_CYCLE_1) | instskip(SKIP_4) | instid1(VALU_DEP_1)
	s_or_b32 exec_lo, exec_lo, s2
	v_mov_b32_e32 v67, 0
	ds_load_b64 v[68:69], v67 offset:152
	s_wait_dscnt 0x0
	v_pk_mul_f32 v[70:71], v[64:65], v[68:69] op_sel:[1,1] op_sel_hi:[0,1]
	v_pk_fma_f32 v[72:73], v[64:65], v[68:69], v[70:71] op_sel_hi:[1,0,1]
	v_pk_fma_f32 v[64:65], v[64:65], v[68:69], v[70:71] neg_lo:[0,0,1] neg_hi:[0,0,1]
	s_delay_alu instid0(VALU_DEP_2)
	v_mov_b32_e32 v65, v73
	scratch_store_b64 off, v[64:65], off offset:152
.LBB93_480:
	s_wait_xcnt 0x0
	s_or_b32 exec_lo, exec_lo, s0
	scratch_load_b64 v[64:65], off, off offset:160
	s_mov_b32 s0, exec_lo
	s_wait_loadcnt 0x0
	ds_store_b64 v1, v[64:65]
	s_wait_storecnt_dscnt 0x0
	s_barrier_signal -1
	s_barrier_wait -1
	s_wait_xcnt 0x0
	v_cmpx_gt_u32_e32 20, v0
	s_cbranch_execz .LBB93_490
; %bb.481:
	v_cmp_ne_u32_e32 vcc_lo, 1, v66
	s_cbranch_vccnz .LBB93_483
; %bb.482:
	scratch_load_b64 v[64:65], v59, off
	ds_load_b64 v[68:69], v1
	s_wait_loadcnt_dscnt 0x0
	v_pk_mul_f32 v[70:71], v[68:69], v[64:65] op_sel:[1,1] op_sel_hi:[0,1]
	s_delay_alu instid0(VALU_DEP_1) | instskip(SKIP_1) | instid1(VALU_DEP_2)
	v_pk_fma_f32 v[72:73], v[68:69], v[64:65], v[70:71] op_sel_hi:[1,0,1]
	v_pk_fma_f32 v[64:65], v[68:69], v[64:65], v[70:71] neg_lo:[0,0,1] neg_hi:[0,0,1]
	v_mov_b32_e32 v65, v73
	s_cbranch_execz .LBB93_484
	s_branch .LBB93_485
.LBB93_483:
                                        ; implicit-def: $vgpr64_vgpr65
.LBB93_484:
	ds_load_b64 v[64:65], v1
.LBB93_485:
	s_mov_b32 s2, exec_lo
	v_cmpx_ne_u32_e32 19, v0
	s_cbranch_execz .LBB93_489
; %bb.486:
	v_add_nc_u32_e32 v67, 0xf8, v58
	v_add3_u32 v68, 0, v58, 8
	v_mov_b32_e32 v69, v0
	s_mov_b32 s3, 0
.LBB93_487:                             ; =>This Inner Loop Header: Depth=1
	scratch_load_b64 v[70:71], v68, off
	ds_load_b64 v[72:73], v67
	s_wait_xcnt 0x0
	v_dual_add_nc_u32 v67, 8, v67 :: v_dual_add_nc_u32 v68, 8, v68
	s_wait_loadcnt_dscnt 0x0
	v_pk_mul_f32 v[74:75], v[72:73], v[70:71] op_sel:[1,1] op_sel_hi:[0,1]
	s_delay_alu instid0(VALU_DEP_1) | instskip(SKIP_2) | instid1(VALU_DEP_3)
	v_pk_fma_f32 v[76:77], v[72:73], v[70:71], v[74:75] op_sel_hi:[1,0,1]
	v_add_nc_u32_e32 v69, 1, v69
	v_pk_fma_f32 v[70:71], v[72:73], v[70:71], v[74:75] neg_lo:[0,0,1] neg_hi:[0,0,1]
	v_mov_b32_e32 v71, v77
	s_delay_alu instid0(VALU_DEP_3) | instskip(NEXT) | instid1(VALU_DEP_2)
	v_cmp_lt_u32_e32 vcc_lo, 18, v69
	v_pk_add_f32 v[64:65], v[64:65], v[70:71]
	s_or_b32 s3, vcc_lo, s3
	s_delay_alu instid0(SALU_CYCLE_1)
	s_and_not1_b32 exec_lo, exec_lo, s3
	s_cbranch_execnz .LBB93_487
; %bb.488:
	s_or_b32 exec_lo, exec_lo, s3
.LBB93_489:
	s_delay_alu instid0(SALU_CYCLE_1) | instskip(SKIP_4) | instid1(VALU_DEP_1)
	s_or_b32 exec_lo, exec_lo, s2
	v_mov_b32_e32 v67, 0
	ds_load_b64 v[68:69], v67 offset:160
	s_wait_dscnt 0x0
	v_pk_mul_f32 v[70:71], v[64:65], v[68:69] op_sel:[1,1] op_sel_hi:[0,1]
	v_pk_fma_f32 v[72:73], v[64:65], v[68:69], v[70:71] op_sel_hi:[1,0,1]
	v_pk_fma_f32 v[64:65], v[64:65], v[68:69], v[70:71] neg_lo:[0,0,1] neg_hi:[0,0,1]
	s_delay_alu instid0(VALU_DEP_2)
	v_mov_b32_e32 v65, v73
	scratch_store_b64 off, v[64:65], off offset:160
.LBB93_490:
	s_wait_xcnt 0x0
	s_or_b32 exec_lo, exec_lo, s0
	scratch_load_b64 v[64:65], off, off offset:168
	s_mov_b32 s0, exec_lo
	s_wait_loadcnt 0x0
	ds_store_b64 v1, v[64:65]
	s_wait_storecnt_dscnt 0x0
	s_barrier_signal -1
	s_barrier_wait -1
	s_wait_xcnt 0x0
	v_cmpx_gt_u32_e32 21, v0
	s_cbranch_execz .LBB93_500
; %bb.491:
	v_cmp_ne_u32_e32 vcc_lo, 1, v66
	s_cbranch_vccnz .LBB93_493
; %bb.492:
	scratch_load_b64 v[64:65], v59, off
	ds_load_b64 v[68:69], v1
	s_wait_loadcnt_dscnt 0x0
	v_pk_mul_f32 v[70:71], v[68:69], v[64:65] op_sel:[1,1] op_sel_hi:[0,1]
	s_delay_alu instid0(VALU_DEP_1) | instskip(SKIP_1) | instid1(VALU_DEP_2)
	v_pk_fma_f32 v[72:73], v[68:69], v[64:65], v[70:71] op_sel_hi:[1,0,1]
	v_pk_fma_f32 v[64:65], v[68:69], v[64:65], v[70:71] neg_lo:[0,0,1] neg_hi:[0,0,1]
	v_mov_b32_e32 v65, v73
	s_cbranch_execz .LBB93_494
	s_branch .LBB93_495
.LBB93_493:
                                        ; implicit-def: $vgpr64_vgpr65
.LBB93_494:
	ds_load_b64 v[64:65], v1
.LBB93_495:
	s_mov_b32 s2, exec_lo
	v_cmpx_ne_u32_e32 20, v0
	s_cbranch_execz .LBB93_499
; %bb.496:
	v_add_nc_u32_e32 v67, 0xf8, v58
	v_add3_u32 v68, 0, v58, 8
	v_mov_b32_e32 v69, v0
	s_mov_b32 s3, 0
.LBB93_497:                             ; =>This Inner Loop Header: Depth=1
	scratch_load_b64 v[70:71], v68, off
	ds_load_b64 v[72:73], v67
	s_wait_xcnt 0x0
	v_dual_add_nc_u32 v67, 8, v67 :: v_dual_add_nc_u32 v68, 8, v68
	s_wait_loadcnt_dscnt 0x0
	v_pk_mul_f32 v[74:75], v[72:73], v[70:71] op_sel:[1,1] op_sel_hi:[0,1]
	s_delay_alu instid0(VALU_DEP_1) | instskip(SKIP_2) | instid1(VALU_DEP_3)
	v_pk_fma_f32 v[76:77], v[72:73], v[70:71], v[74:75] op_sel_hi:[1,0,1]
	v_add_nc_u32_e32 v69, 1, v69
	v_pk_fma_f32 v[70:71], v[72:73], v[70:71], v[74:75] neg_lo:[0,0,1] neg_hi:[0,0,1]
	v_mov_b32_e32 v71, v77
	s_delay_alu instid0(VALU_DEP_3) | instskip(NEXT) | instid1(VALU_DEP_2)
	v_cmp_lt_u32_e32 vcc_lo, 19, v69
	v_pk_add_f32 v[64:65], v[64:65], v[70:71]
	s_or_b32 s3, vcc_lo, s3
	s_delay_alu instid0(SALU_CYCLE_1)
	s_and_not1_b32 exec_lo, exec_lo, s3
	s_cbranch_execnz .LBB93_497
; %bb.498:
	s_or_b32 exec_lo, exec_lo, s3
.LBB93_499:
	s_delay_alu instid0(SALU_CYCLE_1) | instskip(SKIP_4) | instid1(VALU_DEP_1)
	s_or_b32 exec_lo, exec_lo, s2
	v_mov_b32_e32 v67, 0
	ds_load_b64 v[68:69], v67 offset:168
	s_wait_dscnt 0x0
	v_pk_mul_f32 v[70:71], v[64:65], v[68:69] op_sel:[1,1] op_sel_hi:[0,1]
	v_pk_fma_f32 v[72:73], v[64:65], v[68:69], v[70:71] op_sel_hi:[1,0,1]
	v_pk_fma_f32 v[64:65], v[64:65], v[68:69], v[70:71] neg_lo:[0,0,1] neg_hi:[0,0,1]
	s_delay_alu instid0(VALU_DEP_2)
	v_mov_b32_e32 v65, v73
	scratch_store_b64 off, v[64:65], off offset:168
.LBB93_500:
	s_wait_xcnt 0x0
	s_or_b32 exec_lo, exec_lo, s0
	scratch_load_b64 v[64:65], off, off offset:176
	s_mov_b32 s0, exec_lo
	s_wait_loadcnt 0x0
	ds_store_b64 v1, v[64:65]
	s_wait_storecnt_dscnt 0x0
	s_barrier_signal -1
	s_barrier_wait -1
	s_wait_xcnt 0x0
	v_cmpx_gt_u32_e32 22, v0
	s_cbranch_execz .LBB93_510
; %bb.501:
	v_cmp_ne_u32_e32 vcc_lo, 1, v66
	s_cbranch_vccnz .LBB93_503
; %bb.502:
	scratch_load_b64 v[64:65], v59, off
	ds_load_b64 v[68:69], v1
	s_wait_loadcnt_dscnt 0x0
	v_pk_mul_f32 v[70:71], v[68:69], v[64:65] op_sel:[1,1] op_sel_hi:[0,1]
	s_delay_alu instid0(VALU_DEP_1) | instskip(SKIP_1) | instid1(VALU_DEP_2)
	v_pk_fma_f32 v[72:73], v[68:69], v[64:65], v[70:71] op_sel_hi:[1,0,1]
	v_pk_fma_f32 v[64:65], v[68:69], v[64:65], v[70:71] neg_lo:[0,0,1] neg_hi:[0,0,1]
	v_mov_b32_e32 v65, v73
	s_cbranch_execz .LBB93_504
	s_branch .LBB93_505
.LBB93_503:
                                        ; implicit-def: $vgpr64_vgpr65
.LBB93_504:
	ds_load_b64 v[64:65], v1
.LBB93_505:
	s_mov_b32 s2, exec_lo
	v_cmpx_ne_u32_e32 21, v0
	s_cbranch_execz .LBB93_509
; %bb.506:
	v_add_nc_u32_e32 v67, 0xf8, v58
	v_add3_u32 v68, 0, v58, 8
	v_mov_b32_e32 v69, v0
	s_mov_b32 s3, 0
.LBB93_507:                             ; =>This Inner Loop Header: Depth=1
	scratch_load_b64 v[70:71], v68, off
	ds_load_b64 v[72:73], v67
	s_wait_xcnt 0x0
	v_dual_add_nc_u32 v67, 8, v67 :: v_dual_add_nc_u32 v68, 8, v68
	s_wait_loadcnt_dscnt 0x0
	v_pk_mul_f32 v[74:75], v[72:73], v[70:71] op_sel:[1,1] op_sel_hi:[0,1]
	s_delay_alu instid0(VALU_DEP_1) | instskip(SKIP_2) | instid1(VALU_DEP_3)
	v_pk_fma_f32 v[76:77], v[72:73], v[70:71], v[74:75] op_sel_hi:[1,0,1]
	v_add_nc_u32_e32 v69, 1, v69
	v_pk_fma_f32 v[70:71], v[72:73], v[70:71], v[74:75] neg_lo:[0,0,1] neg_hi:[0,0,1]
	v_mov_b32_e32 v71, v77
	s_delay_alu instid0(VALU_DEP_3) | instskip(NEXT) | instid1(VALU_DEP_2)
	v_cmp_lt_u32_e32 vcc_lo, 20, v69
	v_pk_add_f32 v[64:65], v[64:65], v[70:71]
	s_or_b32 s3, vcc_lo, s3
	s_delay_alu instid0(SALU_CYCLE_1)
	s_and_not1_b32 exec_lo, exec_lo, s3
	s_cbranch_execnz .LBB93_507
; %bb.508:
	s_or_b32 exec_lo, exec_lo, s3
.LBB93_509:
	s_delay_alu instid0(SALU_CYCLE_1) | instskip(SKIP_4) | instid1(VALU_DEP_1)
	s_or_b32 exec_lo, exec_lo, s2
	v_mov_b32_e32 v67, 0
	ds_load_b64 v[68:69], v67 offset:176
	s_wait_dscnt 0x0
	v_pk_mul_f32 v[70:71], v[64:65], v[68:69] op_sel:[1,1] op_sel_hi:[0,1]
	v_pk_fma_f32 v[72:73], v[64:65], v[68:69], v[70:71] op_sel_hi:[1,0,1]
	v_pk_fma_f32 v[64:65], v[64:65], v[68:69], v[70:71] neg_lo:[0,0,1] neg_hi:[0,0,1]
	s_delay_alu instid0(VALU_DEP_2)
	v_mov_b32_e32 v65, v73
	scratch_store_b64 off, v[64:65], off offset:176
.LBB93_510:
	s_wait_xcnt 0x0
	s_or_b32 exec_lo, exec_lo, s0
	scratch_load_b64 v[64:65], off, off offset:184
	s_mov_b32 s0, exec_lo
	s_wait_loadcnt 0x0
	ds_store_b64 v1, v[64:65]
	s_wait_storecnt_dscnt 0x0
	s_barrier_signal -1
	s_barrier_wait -1
	s_wait_xcnt 0x0
	v_cmpx_gt_u32_e32 23, v0
	s_cbranch_execz .LBB93_520
; %bb.511:
	v_cmp_ne_u32_e32 vcc_lo, 1, v66
	s_cbranch_vccnz .LBB93_513
; %bb.512:
	scratch_load_b64 v[64:65], v59, off
	ds_load_b64 v[68:69], v1
	s_wait_loadcnt_dscnt 0x0
	v_pk_mul_f32 v[70:71], v[68:69], v[64:65] op_sel:[1,1] op_sel_hi:[0,1]
	s_delay_alu instid0(VALU_DEP_1) | instskip(SKIP_1) | instid1(VALU_DEP_2)
	v_pk_fma_f32 v[72:73], v[68:69], v[64:65], v[70:71] op_sel_hi:[1,0,1]
	v_pk_fma_f32 v[64:65], v[68:69], v[64:65], v[70:71] neg_lo:[0,0,1] neg_hi:[0,0,1]
	v_mov_b32_e32 v65, v73
	s_cbranch_execz .LBB93_514
	s_branch .LBB93_515
.LBB93_513:
                                        ; implicit-def: $vgpr64_vgpr65
.LBB93_514:
	ds_load_b64 v[64:65], v1
.LBB93_515:
	s_mov_b32 s2, exec_lo
	v_cmpx_ne_u32_e32 22, v0
	s_cbranch_execz .LBB93_519
; %bb.516:
	v_add_nc_u32_e32 v67, 0xf8, v58
	v_add3_u32 v68, 0, v58, 8
	v_mov_b32_e32 v69, v0
	s_mov_b32 s3, 0
.LBB93_517:                             ; =>This Inner Loop Header: Depth=1
	scratch_load_b64 v[70:71], v68, off
	ds_load_b64 v[72:73], v67
	s_wait_xcnt 0x0
	v_dual_add_nc_u32 v67, 8, v67 :: v_dual_add_nc_u32 v68, 8, v68
	s_wait_loadcnt_dscnt 0x0
	v_pk_mul_f32 v[74:75], v[72:73], v[70:71] op_sel:[1,1] op_sel_hi:[0,1]
	s_delay_alu instid0(VALU_DEP_1) | instskip(SKIP_2) | instid1(VALU_DEP_3)
	v_pk_fma_f32 v[76:77], v[72:73], v[70:71], v[74:75] op_sel_hi:[1,0,1]
	v_add_nc_u32_e32 v69, 1, v69
	v_pk_fma_f32 v[70:71], v[72:73], v[70:71], v[74:75] neg_lo:[0,0,1] neg_hi:[0,0,1]
	v_mov_b32_e32 v71, v77
	s_delay_alu instid0(VALU_DEP_3) | instskip(NEXT) | instid1(VALU_DEP_2)
	v_cmp_lt_u32_e32 vcc_lo, 21, v69
	v_pk_add_f32 v[64:65], v[64:65], v[70:71]
	s_or_b32 s3, vcc_lo, s3
	s_delay_alu instid0(SALU_CYCLE_1)
	s_and_not1_b32 exec_lo, exec_lo, s3
	s_cbranch_execnz .LBB93_517
; %bb.518:
	s_or_b32 exec_lo, exec_lo, s3
.LBB93_519:
	s_delay_alu instid0(SALU_CYCLE_1) | instskip(SKIP_4) | instid1(VALU_DEP_1)
	s_or_b32 exec_lo, exec_lo, s2
	v_mov_b32_e32 v67, 0
	ds_load_b64 v[68:69], v67 offset:184
	s_wait_dscnt 0x0
	v_pk_mul_f32 v[70:71], v[64:65], v[68:69] op_sel:[1,1] op_sel_hi:[0,1]
	v_pk_fma_f32 v[72:73], v[64:65], v[68:69], v[70:71] op_sel_hi:[1,0,1]
	v_pk_fma_f32 v[64:65], v[64:65], v[68:69], v[70:71] neg_lo:[0,0,1] neg_hi:[0,0,1]
	s_delay_alu instid0(VALU_DEP_2)
	v_mov_b32_e32 v65, v73
	scratch_store_b64 off, v[64:65], off offset:184
.LBB93_520:
	s_wait_xcnt 0x0
	s_or_b32 exec_lo, exec_lo, s0
	scratch_load_b64 v[64:65], off, off offset:192
	s_mov_b32 s0, exec_lo
	s_wait_loadcnt 0x0
	ds_store_b64 v1, v[64:65]
	s_wait_storecnt_dscnt 0x0
	s_barrier_signal -1
	s_barrier_wait -1
	s_wait_xcnt 0x0
	v_cmpx_gt_u32_e32 24, v0
	s_cbranch_execz .LBB93_530
; %bb.521:
	v_cmp_ne_u32_e32 vcc_lo, 1, v66
	s_cbranch_vccnz .LBB93_523
; %bb.522:
	scratch_load_b64 v[64:65], v59, off
	ds_load_b64 v[68:69], v1
	s_wait_loadcnt_dscnt 0x0
	v_pk_mul_f32 v[70:71], v[68:69], v[64:65] op_sel:[1,1] op_sel_hi:[0,1]
	s_delay_alu instid0(VALU_DEP_1) | instskip(SKIP_1) | instid1(VALU_DEP_2)
	v_pk_fma_f32 v[72:73], v[68:69], v[64:65], v[70:71] op_sel_hi:[1,0,1]
	v_pk_fma_f32 v[64:65], v[68:69], v[64:65], v[70:71] neg_lo:[0,0,1] neg_hi:[0,0,1]
	v_mov_b32_e32 v65, v73
	s_cbranch_execz .LBB93_524
	s_branch .LBB93_525
.LBB93_523:
                                        ; implicit-def: $vgpr64_vgpr65
.LBB93_524:
	ds_load_b64 v[64:65], v1
.LBB93_525:
	s_mov_b32 s2, exec_lo
	v_cmpx_ne_u32_e32 23, v0
	s_cbranch_execz .LBB93_529
; %bb.526:
	v_add_nc_u32_e32 v67, 0xf8, v58
	v_add3_u32 v68, 0, v58, 8
	v_mov_b32_e32 v69, v0
	s_mov_b32 s3, 0
.LBB93_527:                             ; =>This Inner Loop Header: Depth=1
	scratch_load_b64 v[70:71], v68, off
	ds_load_b64 v[72:73], v67
	s_wait_xcnt 0x0
	v_dual_add_nc_u32 v67, 8, v67 :: v_dual_add_nc_u32 v68, 8, v68
	s_wait_loadcnt_dscnt 0x0
	v_pk_mul_f32 v[74:75], v[72:73], v[70:71] op_sel:[1,1] op_sel_hi:[0,1]
	s_delay_alu instid0(VALU_DEP_1) | instskip(SKIP_2) | instid1(VALU_DEP_3)
	v_pk_fma_f32 v[76:77], v[72:73], v[70:71], v[74:75] op_sel_hi:[1,0,1]
	v_add_nc_u32_e32 v69, 1, v69
	v_pk_fma_f32 v[70:71], v[72:73], v[70:71], v[74:75] neg_lo:[0,0,1] neg_hi:[0,0,1]
	v_mov_b32_e32 v71, v77
	s_delay_alu instid0(VALU_DEP_3) | instskip(NEXT) | instid1(VALU_DEP_2)
	v_cmp_lt_u32_e32 vcc_lo, 22, v69
	v_pk_add_f32 v[64:65], v[64:65], v[70:71]
	s_or_b32 s3, vcc_lo, s3
	s_delay_alu instid0(SALU_CYCLE_1)
	s_and_not1_b32 exec_lo, exec_lo, s3
	s_cbranch_execnz .LBB93_527
; %bb.528:
	s_or_b32 exec_lo, exec_lo, s3
.LBB93_529:
	s_delay_alu instid0(SALU_CYCLE_1) | instskip(SKIP_4) | instid1(VALU_DEP_1)
	s_or_b32 exec_lo, exec_lo, s2
	v_mov_b32_e32 v67, 0
	ds_load_b64 v[68:69], v67 offset:192
	s_wait_dscnt 0x0
	v_pk_mul_f32 v[70:71], v[64:65], v[68:69] op_sel:[1,1] op_sel_hi:[0,1]
	v_pk_fma_f32 v[72:73], v[64:65], v[68:69], v[70:71] op_sel_hi:[1,0,1]
	v_pk_fma_f32 v[64:65], v[64:65], v[68:69], v[70:71] neg_lo:[0,0,1] neg_hi:[0,0,1]
	s_delay_alu instid0(VALU_DEP_2)
	v_mov_b32_e32 v65, v73
	scratch_store_b64 off, v[64:65], off offset:192
.LBB93_530:
	s_wait_xcnt 0x0
	s_or_b32 exec_lo, exec_lo, s0
	scratch_load_b64 v[64:65], off, off offset:200
	s_mov_b32 s0, exec_lo
	s_wait_loadcnt 0x0
	ds_store_b64 v1, v[64:65]
	s_wait_storecnt_dscnt 0x0
	s_barrier_signal -1
	s_barrier_wait -1
	s_wait_xcnt 0x0
	v_cmpx_gt_u32_e32 25, v0
	s_cbranch_execz .LBB93_540
; %bb.531:
	v_cmp_ne_u32_e32 vcc_lo, 1, v66
	s_cbranch_vccnz .LBB93_533
; %bb.532:
	scratch_load_b64 v[64:65], v59, off
	ds_load_b64 v[68:69], v1
	s_wait_loadcnt_dscnt 0x0
	v_pk_mul_f32 v[70:71], v[68:69], v[64:65] op_sel:[1,1] op_sel_hi:[0,1]
	s_delay_alu instid0(VALU_DEP_1) | instskip(SKIP_1) | instid1(VALU_DEP_2)
	v_pk_fma_f32 v[72:73], v[68:69], v[64:65], v[70:71] op_sel_hi:[1,0,1]
	v_pk_fma_f32 v[64:65], v[68:69], v[64:65], v[70:71] neg_lo:[0,0,1] neg_hi:[0,0,1]
	v_mov_b32_e32 v65, v73
	s_cbranch_execz .LBB93_534
	s_branch .LBB93_535
.LBB93_533:
                                        ; implicit-def: $vgpr64_vgpr65
.LBB93_534:
	ds_load_b64 v[64:65], v1
.LBB93_535:
	s_mov_b32 s2, exec_lo
	v_cmpx_ne_u32_e32 24, v0
	s_cbranch_execz .LBB93_539
; %bb.536:
	v_add_nc_u32_e32 v67, 0xf8, v58
	v_add3_u32 v68, 0, v58, 8
	v_mov_b32_e32 v69, v0
	s_mov_b32 s3, 0
.LBB93_537:                             ; =>This Inner Loop Header: Depth=1
	scratch_load_b64 v[70:71], v68, off
	ds_load_b64 v[72:73], v67
	s_wait_xcnt 0x0
	v_dual_add_nc_u32 v67, 8, v67 :: v_dual_add_nc_u32 v68, 8, v68
	s_wait_loadcnt_dscnt 0x0
	v_pk_mul_f32 v[74:75], v[72:73], v[70:71] op_sel:[1,1] op_sel_hi:[0,1]
	s_delay_alu instid0(VALU_DEP_1) | instskip(SKIP_2) | instid1(VALU_DEP_3)
	v_pk_fma_f32 v[76:77], v[72:73], v[70:71], v[74:75] op_sel_hi:[1,0,1]
	v_add_nc_u32_e32 v69, 1, v69
	v_pk_fma_f32 v[70:71], v[72:73], v[70:71], v[74:75] neg_lo:[0,0,1] neg_hi:[0,0,1]
	v_mov_b32_e32 v71, v77
	s_delay_alu instid0(VALU_DEP_3) | instskip(NEXT) | instid1(VALU_DEP_2)
	v_cmp_lt_u32_e32 vcc_lo, 23, v69
	v_pk_add_f32 v[64:65], v[64:65], v[70:71]
	s_or_b32 s3, vcc_lo, s3
	s_delay_alu instid0(SALU_CYCLE_1)
	s_and_not1_b32 exec_lo, exec_lo, s3
	s_cbranch_execnz .LBB93_537
; %bb.538:
	s_or_b32 exec_lo, exec_lo, s3
.LBB93_539:
	s_delay_alu instid0(SALU_CYCLE_1) | instskip(SKIP_4) | instid1(VALU_DEP_1)
	s_or_b32 exec_lo, exec_lo, s2
	v_mov_b32_e32 v67, 0
	ds_load_b64 v[68:69], v67 offset:200
	s_wait_dscnt 0x0
	v_pk_mul_f32 v[70:71], v[64:65], v[68:69] op_sel:[1,1] op_sel_hi:[0,1]
	v_pk_fma_f32 v[72:73], v[64:65], v[68:69], v[70:71] op_sel_hi:[1,0,1]
	v_pk_fma_f32 v[64:65], v[64:65], v[68:69], v[70:71] neg_lo:[0,0,1] neg_hi:[0,0,1]
	s_delay_alu instid0(VALU_DEP_2)
	v_mov_b32_e32 v65, v73
	scratch_store_b64 off, v[64:65], off offset:200
.LBB93_540:
	s_wait_xcnt 0x0
	s_or_b32 exec_lo, exec_lo, s0
	scratch_load_b64 v[64:65], off, off offset:208
	s_mov_b32 s0, exec_lo
	s_wait_loadcnt 0x0
	ds_store_b64 v1, v[64:65]
	s_wait_storecnt_dscnt 0x0
	s_barrier_signal -1
	s_barrier_wait -1
	s_wait_xcnt 0x0
	v_cmpx_gt_u32_e32 26, v0
	s_cbranch_execz .LBB93_550
; %bb.541:
	v_cmp_ne_u32_e32 vcc_lo, 1, v66
	s_cbranch_vccnz .LBB93_543
; %bb.542:
	scratch_load_b64 v[64:65], v59, off
	ds_load_b64 v[68:69], v1
	s_wait_loadcnt_dscnt 0x0
	v_pk_mul_f32 v[70:71], v[68:69], v[64:65] op_sel:[1,1] op_sel_hi:[0,1]
	s_delay_alu instid0(VALU_DEP_1) | instskip(SKIP_1) | instid1(VALU_DEP_2)
	v_pk_fma_f32 v[72:73], v[68:69], v[64:65], v[70:71] op_sel_hi:[1,0,1]
	v_pk_fma_f32 v[64:65], v[68:69], v[64:65], v[70:71] neg_lo:[0,0,1] neg_hi:[0,0,1]
	v_mov_b32_e32 v65, v73
	s_cbranch_execz .LBB93_544
	s_branch .LBB93_545
.LBB93_543:
                                        ; implicit-def: $vgpr64_vgpr65
.LBB93_544:
	ds_load_b64 v[64:65], v1
.LBB93_545:
	s_mov_b32 s2, exec_lo
	v_cmpx_ne_u32_e32 25, v0
	s_cbranch_execz .LBB93_549
; %bb.546:
	v_add_nc_u32_e32 v67, 0xf8, v58
	v_add3_u32 v68, 0, v58, 8
	v_mov_b32_e32 v69, v0
	s_mov_b32 s3, 0
.LBB93_547:                             ; =>This Inner Loop Header: Depth=1
	scratch_load_b64 v[70:71], v68, off
	ds_load_b64 v[72:73], v67
	s_wait_xcnt 0x0
	v_dual_add_nc_u32 v67, 8, v67 :: v_dual_add_nc_u32 v68, 8, v68
	s_wait_loadcnt_dscnt 0x0
	v_pk_mul_f32 v[74:75], v[72:73], v[70:71] op_sel:[1,1] op_sel_hi:[0,1]
	s_delay_alu instid0(VALU_DEP_1) | instskip(SKIP_2) | instid1(VALU_DEP_3)
	v_pk_fma_f32 v[76:77], v[72:73], v[70:71], v[74:75] op_sel_hi:[1,0,1]
	v_add_nc_u32_e32 v69, 1, v69
	v_pk_fma_f32 v[70:71], v[72:73], v[70:71], v[74:75] neg_lo:[0,0,1] neg_hi:[0,0,1]
	v_mov_b32_e32 v71, v77
	s_delay_alu instid0(VALU_DEP_3) | instskip(NEXT) | instid1(VALU_DEP_2)
	v_cmp_lt_u32_e32 vcc_lo, 24, v69
	v_pk_add_f32 v[64:65], v[64:65], v[70:71]
	s_or_b32 s3, vcc_lo, s3
	s_delay_alu instid0(SALU_CYCLE_1)
	s_and_not1_b32 exec_lo, exec_lo, s3
	s_cbranch_execnz .LBB93_547
; %bb.548:
	s_or_b32 exec_lo, exec_lo, s3
.LBB93_549:
	s_delay_alu instid0(SALU_CYCLE_1) | instskip(SKIP_4) | instid1(VALU_DEP_1)
	s_or_b32 exec_lo, exec_lo, s2
	v_mov_b32_e32 v67, 0
	ds_load_b64 v[68:69], v67 offset:208
	s_wait_dscnt 0x0
	v_pk_mul_f32 v[70:71], v[64:65], v[68:69] op_sel:[1,1] op_sel_hi:[0,1]
	v_pk_fma_f32 v[72:73], v[64:65], v[68:69], v[70:71] op_sel_hi:[1,0,1]
	v_pk_fma_f32 v[64:65], v[64:65], v[68:69], v[70:71] neg_lo:[0,0,1] neg_hi:[0,0,1]
	s_delay_alu instid0(VALU_DEP_2)
	v_mov_b32_e32 v65, v73
	scratch_store_b64 off, v[64:65], off offset:208
.LBB93_550:
	s_wait_xcnt 0x0
	s_or_b32 exec_lo, exec_lo, s0
	scratch_load_b64 v[64:65], off, off offset:216
	s_mov_b32 s0, exec_lo
	s_wait_loadcnt 0x0
	ds_store_b64 v1, v[64:65]
	s_wait_storecnt_dscnt 0x0
	s_barrier_signal -1
	s_barrier_wait -1
	s_wait_xcnt 0x0
	v_cmpx_gt_u32_e32 27, v0
	s_cbranch_execz .LBB93_560
; %bb.551:
	v_cmp_ne_u32_e32 vcc_lo, 1, v66
	s_cbranch_vccnz .LBB93_553
; %bb.552:
	scratch_load_b64 v[64:65], v59, off
	ds_load_b64 v[68:69], v1
	s_wait_loadcnt_dscnt 0x0
	v_pk_mul_f32 v[70:71], v[68:69], v[64:65] op_sel:[1,1] op_sel_hi:[0,1]
	s_delay_alu instid0(VALU_DEP_1) | instskip(SKIP_1) | instid1(VALU_DEP_2)
	v_pk_fma_f32 v[72:73], v[68:69], v[64:65], v[70:71] op_sel_hi:[1,0,1]
	v_pk_fma_f32 v[64:65], v[68:69], v[64:65], v[70:71] neg_lo:[0,0,1] neg_hi:[0,0,1]
	v_mov_b32_e32 v65, v73
	s_cbranch_execz .LBB93_554
	s_branch .LBB93_555
.LBB93_553:
                                        ; implicit-def: $vgpr64_vgpr65
.LBB93_554:
	ds_load_b64 v[64:65], v1
.LBB93_555:
	s_mov_b32 s2, exec_lo
	v_cmpx_ne_u32_e32 26, v0
	s_cbranch_execz .LBB93_559
; %bb.556:
	v_add_nc_u32_e32 v67, 0xf8, v58
	v_add3_u32 v68, 0, v58, 8
	v_mov_b32_e32 v69, v0
	s_mov_b32 s3, 0
.LBB93_557:                             ; =>This Inner Loop Header: Depth=1
	scratch_load_b64 v[70:71], v68, off
	ds_load_b64 v[72:73], v67
	s_wait_xcnt 0x0
	v_dual_add_nc_u32 v67, 8, v67 :: v_dual_add_nc_u32 v68, 8, v68
	s_wait_loadcnt_dscnt 0x0
	v_pk_mul_f32 v[74:75], v[72:73], v[70:71] op_sel:[1,1] op_sel_hi:[0,1]
	s_delay_alu instid0(VALU_DEP_1) | instskip(SKIP_2) | instid1(VALU_DEP_3)
	v_pk_fma_f32 v[76:77], v[72:73], v[70:71], v[74:75] op_sel_hi:[1,0,1]
	v_add_nc_u32_e32 v69, 1, v69
	v_pk_fma_f32 v[70:71], v[72:73], v[70:71], v[74:75] neg_lo:[0,0,1] neg_hi:[0,0,1]
	v_mov_b32_e32 v71, v77
	s_delay_alu instid0(VALU_DEP_3) | instskip(NEXT) | instid1(VALU_DEP_2)
	v_cmp_lt_u32_e32 vcc_lo, 25, v69
	v_pk_add_f32 v[64:65], v[64:65], v[70:71]
	s_or_b32 s3, vcc_lo, s3
	s_delay_alu instid0(SALU_CYCLE_1)
	s_and_not1_b32 exec_lo, exec_lo, s3
	s_cbranch_execnz .LBB93_557
; %bb.558:
	s_or_b32 exec_lo, exec_lo, s3
.LBB93_559:
	s_delay_alu instid0(SALU_CYCLE_1) | instskip(SKIP_4) | instid1(VALU_DEP_1)
	s_or_b32 exec_lo, exec_lo, s2
	v_mov_b32_e32 v67, 0
	ds_load_b64 v[68:69], v67 offset:216
	s_wait_dscnt 0x0
	v_pk_mul_f32 v[70:71], v[64:65], v[68:69] op_sel:[1,1] op_sel_hi:[0,1]
	v_pk_fma_f32 v[72:73], v[64:65], v[68:69], v[70:71] op_sel_hi:[1,0,1]
	v_pk_fma_f32 v[64:65], v[64:65], v[68:69], v[70:71] neg_lo:[0,0,1] neg_hi:[0,0,1]
	s_delay_alu instid0(VALU_DEP_2)
	v_mov_b32_e32 v65, v73
	scratch_store_b64 off, v[64:65], off offset:216
.LBB93_560:
	s_wait_xcnt 0x0
	s_or_b32 exec_lo, exec_lo, s0
	scratch_load_b64 v[64:65], off, off offset:224
	v_cmp_gt_u32_e64 s0, 28, v0
	s_wait_loadcnt 0x0
	ds_store_b64 v1, v[64:65]
	s_wait_storecnt_dscnt 0x0
	s_barrier_signal -1
	s_barrier_wait -1
	s_wait_xcnt 0x0
	s_and_saveexec_b32 s2, s0
	s_cbranch_execz .LBB93_570
; %bb.561:
	v_cmp_ne_u32_e32 vcc_lo, 1, v66
	s_cbranch_vccnz .LBB93_563
; %bb.562:
	scratch_load_b64 v[64:65], v59, off
	ds_load_b64 v[68:69], v1
	s_wait_loadcnt_dscnt 0x0
	v_pk_mul_f32 v[70:71], v[68:69], v[64:65] op_sel:[1,1] op_sel_hi:[0,1]
	s_delay_alu instid0(VALU_DEP_1) | instskip(SKIP_1) | instid1(VALU_DEP_2)
	v_pk_fma_f32 v[72:73], v[68:69], v[64:65], v[70:71] op_sel_hi:[1,0,1]
	v_pk_fma_f32 v[64:65], v[68:69], v[64:65], v[70:71] neg_lo:[0,0,1] neg_hi:[0,0,1]
	v_mov_b32_e32 v65, v73
	s_cbranch_execz .LBB93_564
	s_branch .LBB93_565
.LBB93_563:
                                        ; implicit-def: $vgpr64_vgpr65
.LBB93_564:
	ds_load_b64 v[64:65], v1
.LBB93_565:
	s_mov_b32 s3, exec_lo
	v_cmpx_ne_u32_e32 27, v0
	s_cbranch_execz .LBB93_569
; %bb.566:
	v_add_nc_u32_e32 v67, 0xf8, v58
	v_add3_u32 v68, 0, v58, 8
	v_mov_b32_e32 v69, v0
	s_mov_b32 s4, 0
.LBB93_567:                             ; =>This Inner Loop Header: Depth=1
	scratch_load_b64 v[70:71], v68, off
	ds_load_b64 v[72:73], v67
	s_wait_xcnt 0x0
	v_dual_add_nc_u32 v67, 8, v67 :: v_dual_add_nc_u32 v68, 8, v68
	s_wait_loadcnt_dscnt 0x0
	v_pk_mul_f32 v[74:75], v[72:73], v[70:71] op_sel:[1,1] op_sel_hi:[0,1]
	s_delay_alu instid0(VALU_DEP_1) | instskip(SKIP_2) | instid1(VALU_DEP_3)
	v_pk_fma_f32 v[76:77], v[72:73], v[70:71], v[74:75] op_sel_hi:[1,0,1]
	v_add_nc_u32_e32 v69, 1, v69
	v_pk_fma_f32 v[70:71], v[72:73], v[70:71], v[74:75] neg_lo:[0,0,1] neg_hi:[0,0,1]
	v_mov_b32_e32 v71, v77
	s_delay_alu instid0(VALU_DEP_3) | instskip(NEXT) | instid1(VALU_DEP_2)
	v_cmp_lt_u32_e32 vcc_lo, 26, v69
	v_pk_add_f32 v[64:65], v[64:65], v[70:71]
	s_or_b32 s4, vcc_lo, s4
	s_delay_alu instid0(SALU_CYCLE_1)
	s_and_not1_b32 exec_lo, exec_lo, s4
	s_cbranch_execnz .LBB93_567
; %bb.568:
	s_or_b32 exec_lo, exec_lo, s4
.LBB93_569:
	s_delay_alu instid0(SALU_CYCLE_1) | instskip(SKIP_4) | instid1(VALU_DEP_1)
	s_or_b32 exec_lo, exec_lo, s3
	v_mov_b32_e32 v67, 0
	ds_load_b64 v[68:69], v67 offset:224
	s_wait_dscnt 0x0
	v_pk_mul_f32 v[70:71], v[64:65], v[68:69] op_sel:[1,1] op_sel_hi:[0,1]
	v_pk_fma_f32 v[72:73], v[64:65], v[68:69], v[70:71] op_sel_hi:[1,0,1]
	v_pk_fma_f32 v[64:65], v[64:65], v[68:69], v[70:71] neg_lo:[0,0,1] neg_hi:[0,0,1]
	s_delay_alu instid0(VALU_DEP_2)
	v_mov_b32_e32 v65, v73
	scratch_store_b64 off, v[64:65], off offset:224
.LBB93_570:
	s_wait_xcnt 0x0
	s_or_b32 exec_lo, exec_lo, s2
	scratch_load_b64 v[64:65], off, off offset:232
	s_mov_b32 s2, exec_lo
                                        ; implicit-def: $vgpr88
                                        ; implicit-def: $sgpr5
	s_wait_loadcnt 0x0
	ds_store_b64 v1, v[64:65]
	s_wait_storecnt_dscnt 0x0
	s_barrier_signal -1
	s_barrier_wait -1
	s_wait_xcnt 0x0
	v_cmpx_ne_u32_e32 29, v0
	s_cbranch_execz .LBB93_580
; %bb.571:
	v_cmp_ne_u32_e32 vcc_lo, 1, v66
	s_cbranch_vccnz .LBB93_573
; %bb.572:
	scratch_load_b64 v[66:67], v59, off
	ds_load_b64 v[68:69], v1
	s_wait_loadcnt_dscnt 0x0
	v_dual_mul_f32 v59, v69, v67 :: v_dual_mul_f32 v65, v68, v67
	s_delay_alu instid0(VALU_DEP_1)
	v_dual_fma_f32 v64, v68, v66, -v59 :: v_dual_fmac_f32 v65, v69, v66
	s_cbranch_execz .LBB93_574
	s_branch .LBB93_575
.LBB93_573:
                                        ; implicit-def: $vgpr65
.LBB93_574:
	ds_load_b64 v[64:65], v1
.LBB93_575:
	s_and_saveexec_b32 s3, s0
	s_cbranch_execz .LBB93_579
; %bb.576:
	v_add_nc_u32_e32 v1, 0xf8, v58
	v_add3_u32 v58, 0, v58, 8
	s_mov_b32 s0, 0
.LBB93_577:                             ; =>This Inner Loop Header: Depth=1
	scratch_load_b64 v[66:67], v58, off
	ds_load_b64 v[68:69], v1
	s_wait_loadcnt_dscnt 0x0
	v_dual_add_nc_u32 v1, 8, v1 :: v_dual_mul_f32 v59, v69, v67
	v_dual_mul_f32 v67, v68, v67 :: v_dual_add_nc_u32 v0, 1, v0
	s_delay_alu instid0(VALU_DEP_2) | instskip(NEXT) | instid1(VALU_DEP_2)
	v_fma_f32 v59, v68, v66, -v59
	v_fmac_f32_e32 v67, v69, v66
	s_delay_alu instid0(VALU_DEP_3) | instskip(NEXT) | instid1(VALU_DEP_3)
	v_cmp_lt_u32_e32 vcc_lo, 27, v0
	v_dual_add_nc_u32 v58, 8, v58 :: v_dual_add_f32 v64, v64, v59
	s_delay_alu instid0(VALU_DEP_3) | instskip(SKIP_1) | instid1(SALU_CYCLE_1)
	v_add_f32_e32 v65, v65, v67
	s_or_b32 s0, vcc_lo, s0
	s_and_not1_b32 exec_lo, exec_lo, s0
	s_cbranch_execnz .LBB93_577
; %bb.578:
	s_or_b32 exec_lo, exec_lo, s0
.LBB93_579:
	s_delay_alu instid0(SALU_CYCLE_1)
	s_or_b32 exec_lo, exec_lo, s3
	v_mov_b32_e32 v0, 0
	s_movk_i32 s5, 0xec
	s_or_b32 s1, s1, exec_lo
	ds_load_b64 v[0:1], v0 offset:232
	s_wait_dscnt 0x0
	v_dual_mul_f32 v58, v65, v1 :: v_dual_mul_f32 v88, v64, v1
	s_delay_alu instid0(VALU_DEP_1)
	v_dual_fma_f32 v1, v64, v0, -v58 :: v_dual_fmac_f32 v88, v65, v0
	scratch_store_b32 off, v1, off offset:232
.LBB93_580:
	s_wait_xcnt 0x0
	s_or_b32 exec_lo, exec_lo, s2
.LBB93_581:
	v_lshl_add_u64 v[86:87], v[6:7], 3, s[6:7]
	v_lshl_add_u64 v[84:85], v[8:9], 3, s[6:7]
	;; [unrolled: 1-line block ×28, first 2 shown]
	s_and_saveexec_b32 s0, s1
	s_cbranch_execz .LBB93_583
; %bb.582:
	scratch_store_b32 off, v88, s5
.LBB93_583:
	s_wait_xcnt 0x0
	s_or_b32 exec_lo, exec_lo, s0
	scratch_load_b64 v[34:35], off, off
	s_wait_loadcnt 0x0
	flat_store_b64 v[2:3], v[34:35]
	scratch_load_b64 v[2:3], off, off offset:8
	s_wait_loadcnt 0x0
	flat_store_b64 v[4:5], v[2:3]
	scratch_load_b64 v[2:3], off, off offset:16
	;; [unrolled: 3-line block ×29, first 2 shown]
	s_wait_loadcnt 0x0
	flat_store_b64 v[0:1], v[2:3]
.LBB93_584:
	s_sendmsg sendmsg(MSG_DEALLOC_VGPRS)
	s_endpgm
	.section	.rodata,"a",@progbits
	.p2align	6, 0x0
	.amdhsa_kernel _ZN9rocsolver6v33100L18trti2_kernel_smallILi30E19rocblas_complex_numIfEPKPS3_EEv13rocblas_fill_17rocblas_diagonal_T1_iil
		.amdhsa_group_segment_fixed_size 480
		.amdhsa_private_segment_fixed_size 256
		.amdhsa_kernarg_size 32
		.amdhsa_user_sgpr_count 2
		.amdhsa_user_sgpr_dispatch_ptr 0
		.amdhsa_user_sgpr_queue_ptr 0
		.amdhsa_user_sgpr_kernarg_segment_ptr 1
		.amdhsa_user_sgpr_dispatch_id 0
		.amdhsa_user_sgpr_kernarg_preload_length 0
		.amdhsa_user_sgpr_kernarg_preload_offset 0
		.amdhsa_user_sgpr_private_segment_size 0
		.amdhsa_wavefront_size32 1
		.amdhsa_uses_dynamic_stack 0
		.amdhsa_enable_private_segment 1
		.amdhsa_system_sgpr_workgroup_id_x 1
		.amdhsa_system_sgpr_workgroup_id_y 0
		.amdhsa_system_sgpr_workgroup_id_z 0
		.amdhsa_system_sgpr_workgroup_info 0
		.amdhsa_system_vgpr_workitem_id 0
		.amdhsa_next_free_vgpr 89
		.amdhsa_next_free_sgpr 36
		.amdhsa_named_barrier_count 0
		.amdhsa_reserve_vcc 1
		.amdhsa_float_round_mode_32 0
		.amdhsa_float_round_mode_16_64 0
		.amdhsa_float_denorm_mode_32 3
		.amdhsa_float_denorm_mode_16_64 3
		.amdhsa_fp16_overflow 0
		.amdhsa_memory_ordered 1
		.amdhsa_forward_progress 1
		.amdhsa_inst_pref_size 181
		.amdhsa_round_robin_scheduling 0
		.amdhsa_exception_fp_ieee_invalid_op 0
		.amdhsa_exception_fp_denorm_src 0
		.amdhsa_exception_fp_ieee_div_zero 0
		.amdhsa_exception_fp_ieee_overflow 0
		.amdhsa_exception_fp_ieee_underflow 0
		.amdhsa_exception_fp_ieee_inexact 0
		.amdhsa_exception_int_div_zero 0
	.end_amdhsa_kernel
	.section	.text._ZN9rocsolver6v33100L18trti2_kernel_smallILi30E19rocblas_complex_numIfEPKPS3_EEv13rocblas_fill_17rocblas_diagonal_T1_iil,"axG",@progbits,_ZN9rocsolver6v33100L18trti2_kernel_smallILi30E19rocblas_complex_numIfEPKPS3_EEv13rocblas_fill_17rocblas_diagonal_T1_iil,comdat
.Lfunc_end93:
	.size	_ZN9rocsolver6v33100L18trti2_kernel_smallILi30E19rocblas_complex_numIfEPKPS3_EEv13rocblas_fill_17rocblas_diagonal_T1_iil, .Lfunc_end93-_ZN9rocsolver6v33100L18trti2_kernel_smallILi30E19rocblas_complex_numIfEPKPS3_EEv13rocblas_fill_17rocblas_diagonal_T1_iil
                                        ; -- End function
	.set _ZN9rocsolver6v33100L18trti2_kernel_smallILi30E19rocblas_complex_numIfEPKPS3_EEv13rocblas_fill_17rocblas_diagonal_T1_iil.num_vgpr, 89
	.set _ZN9rocsolver6v33100L18trti2_kernel_smallILi30E19rocblas_complex_numIfEPKPS3_EEv13rocblas_fill_17rocblas_diagonal_T1_iil.num_agpr, 0
	.set _ZN9rocsolver6v33100L18trti2_kernel_smallILi30E19rocblas_complex_numIfEPKPS3_EEv13rocblas_fill_17rocblas_diagonal_T1_iil.numbered_sgpr, 36
	.set _ZN9rocsolver6v33100L18trti2_kernel_smallILi30E19rocblas_complex_numIfEPKPS3_EEv13rocblas_fill_17rocblas_diagonal_T1_iil.num_named_barrier, 0
	.set _ZN9rocsolver6v33100L18trti2_kernel_smallILi30E19rocblas_complex_numIfEPKPS3_EEv13rocblas_fill_17rocblas_diagonal_T1_iil.private_seg_size, 256
	.set _ZN9rocsolver6v33100L18trti2_kernel_smallILi30E19rocblas_complex_numIfEPKPS3_EEv13rocblas_fill_17rocblas_diagonal_T1_iil.uses_vcc, 1
	.set _ZN9rocsolver6v33100L18trti2_kernel_smallILi30E19rocblas_complex_numIfEPKPS3_EEv13rocblas_fill_17rocblas_diagonal_T1_iil.uses_flat_scratch, 0
	.set _ZN9rocsolver6v33100L18trti2_kernel_smallILi30E19rocblas_complex_numIfEPKPS3_EEv13rocblas_fill_17rocblas_diagonal_T1_iil.has_dyn_sized_stack, 0
	.set _ZN9rocsolver6v33100L18trti2_kernel_smallILi30E19rocblas_complex_numIfEPKPS3_EEv13rocblas_fill_17rocblas_diagonal_T1_iil.has_recursion, 0
	.set _ZN9rocsolver6v33100L18trti2_kernel_smallILi30E19rocblas_complex_numIfEPKPS3_EEv13rocblas_fill_17rocblas_diagonal_T1_iil.has_indirect_call, 0
	.section	.AMDGPU.csdata,"",@progbits
; Kernel info:
; codeLenInByte = 23056
; TotalNumSgprs: 38
; NumVgprs: 89
; ScratchSize: 256
; MemoryBound: 0
; FloatMode: 240
; IeeeMode: 1
; LDSByteSize: 480 bytes/workgroup (compile time only)
; SGPRBlocks: 0
; VGPRBlocks: 5
; NumSGPRsForWavesPerEU: 38
; NumVGPRsForWavesPerEU: 89
; NamedBarCnt: 0
; Occupancy: 10
; WaveLimiterHint : 1
; COMPUTE_PGM_RSRC2:SCRATCH_EN: 1
; COMPUTE_PGM_RSRC2:USER_SGPR: 2
; COMPUTE_PGM_RSRC2:TRAP_HANDLER: 0
; COMPUTE_PGM_RSRC2:TGID_X_EN: 1
; COMPUTE_PGM_RSRC2:TGID_Y_EN: 0
; COMPUTE_PGM_RSRC2:TGID_Z_EN: 0
; COMPUTE_PGM_RSRC2:TIDIG_COMP_CNT: 0
	.section	.text._ZN9rocsolver6v33100L18trti2_kernel_smallILi31E19rocblas_complex_numIfEPKPS3_EEv13rocblas_fill_17rocblas_diagonal_T1_iil,"axG",@progbits,_ZN9rocsolver6v33100L18trti2_kernel_smallILi31E19rocblas_complex_numIfEPKPS3_EEv13rocblas_fill_17rocblas_diagonal_T1_iil,comdat
	.globl	_ZN9rocsolver6v33100L18trti2_kernel_smallILi31E19rocblas_complex_numIfEPKPS3_EEv13rocblas_fill_17rocblas_diagonal_T1_iil ; -- Begin function _ZN9rocsolver6v33100L18trti2_kernel_smallILi31E19rocblas_complex_numIfEPKPS3_EEv13rocblas_fill_17rocblas_diagonal_T1_iil
	.p2align	8
	.type	_ZN9rocsolver6v33100L18trti2_kernel_smallILi31E19rocblas_complex_numIfEPKPS3_EEv13rocblas_fill_17rocblas_diagonal_T1_iil,@function
_ZN9rocsolver6v33100L18trti2_kernel_smallILi31E19rocblas_complex_numIfEPKPS3_EEv13rocblas_fill_17rocblas_diagonal_T1_iil: ; @_ZN9rocsolver6v33100L18trti2_kernel_smallILi31E19rocblas_complex_numIfEPKPS3_EEv13rocblas_fill_17rocblas_diagonal_T1_iil
; %bb.0:
	s_mov_b32 s2, exec_lo
	v_cmpx_gt_u32_e32 31, v0
	s_cbranch_execz .LBB94_604
; %bb.1:
	s_clause 0x1
	s_load_b64 s[8:9], s[0:1], 0x10
	s_load_b128 s[4:7], s[0:1], 0x0
	s_wait_xcnt 0x0
	s_bfe_u32 s0, ttmp6, 0x4000c
	s_and_b32 s1, ttmp6, 15
	s_add_co_i32 s0, s0, 1
	s_getreg_b32 s2, hwreg(HW_REG_IB_STS2, 6, 4)
	s_mul_i32 s0, ttmp9, s0
	v_dual_mov_b32 v59, 0 :: v_dual_lshlrev_b32 v58, 3, v0
	s_add_co_i32 s0, s1, s0
	s_wait_kmcnt 0x0
	s_ashr_i32 s1, s8, 31
	s_cmp_eq_u32 s2, 0
	s_cselect_b32 s2, ttmp9, s0
	s_mov_b32 s0, s8
	s_ashr_i32 s3, s2, 31
	s_lshl_b64 s[0:1], s[0:1], 3
	s_lshl_b64 s[2:3], s[2:3], 3
	s_delay_alu instid0(SALU_CYCLE_1)
	s_add_nc_u64 s[2:3], s[6:7], s[2:3]
	s_load_b64 s[2:3], s[2:3], 0x0
	s_wait_kmcnt 0x0
	s_add_nc_u64 s[2:3], s[2:3], s[0:1]
	s_mov_b32 s0, s9
	flat_load_b64 v[6:7], v0, s[2:3] scale_offset
	v_add_nc_u64_e32 v[2:3], s[2:3], v[58:59]
	s_ashr_i32 s1, s9, 31
	s_cmp_lg_u32 s5, 0x84
	s_cselect_b32 s5, -1, 0
	s_delay_alu instid0(SALU_CYCLE_1) | instskip(NEXT) | instid1(VALU_DEP_1)
	s_and_b32 vcc_lo, exec_lo, s5
	v_lshl_add_u64 v[4:5], s[0:1], 3, v[2:3]
	s_mov_b32 s0, -1
	s_wait_loadcnt_dscnt 0x0
	scratch_store_b64 off, v[6:7], off
	flat_load_b64 v[8:9], v[4:5]
	s_wait_xcnt 0x1
	v_add3_u32 v6, s9, s9, v0
	s_wait_loadcnt_dscnt 0x0
	scratch_store_b64 off, v[8:9], off offset:8
	flat_load_b64 v[10:11], v6, s[2:3] scale_offset
	s_wait_xcnt 0x1
	v_add_nc_u32_e32 v8, s9, v6
	s_wait_loadcnt_dscnt 0x0
	scratch_store_b64 off, v[10:11], off offset:16
	flat_load_b64 v[12:13], v8, s[2:3] scale_offset
	s_wait_xcnt 0x1
	v_add_nc_u32_e32 v10, s9, v8
	;; [unrolled: 5-line block ×28, first 2 shown]
	s_wait_loadcnt_dscnt 0x0
	scratch_store_b64 off, v[66:67], off offset:232
	flat_load_b64 v[66:67], v64, s[2:3] scale_offset
	s_wait_loadcnt_dscnt 0x0
	scratch_store_b64 off, v[66:67], off offset:240
	s_cbranch_vccz .LBB94_7
; %bb.2:
	scratch_load_b64 v[66:67], v0, off scale_offset
                                        ; implicit-def: $vgpr71
                                        ; implicit-def: $vgpr68
	s_wait_loadcnt 0x0
	v_cmp_ngt_f32_e64 s0, |v66|, |v67|
	s_wait_xcnt 0x0
	s_and_saveexec_b32 s1, s0
	s_delay_alu instid0(SALU_CYCLE_1)
	s_xor_b32 s0, exec_lo, s1
	s_cbranch_execz .LBB94_4
; %bb.3:
	v_div_scale_f32 v1, null, v67, v67, v66
	v_div_scale_f32 v11, vcc_lo, v66, v67, v66
	s_delay_alu instid0(VALU_DEP_2) | instskip(SKIP_1) | instid1(TRANS32_DEP_1)
	v_rcp_f32_e32 v7, v1
	v_nop
	v_fma_f32 v9, -v1, v7, 1.0
	s_delay_alu instid0(VALU_DEP_1) | instskip(NEXT) | instid1(VALU_DEP_1)
	v_fmac_f32_e32 v7, v9, v7
	v_mul_f32_e32 v9, v11, v7
	s_delay_alu instid0(VALU_DEP_1) | instskip(NEXT) | instid1(VALU_DEP_1)
	v_fma_f32 v13, -v1, v9, v11
	v_fmac_f32_e32 v9, v13, v7
	s_delay_alu instid0(VALU_DEP_1) | instskip(NEXT) | instid1(VALU_DEP_1)
	v_fma_f32 v1, -v1, v9, v11
	v_div_fmas_f32 v1, v1, v7, v9
	s_delay_alu instid0(VALU_DEP_1) | instskip(NEXT) | instid1(VALU_DEP_1)
	v_div_fixup_f32 v1, v1, v67, v66
	v_fmac_f32_e32 v67, v66, v1
	s_delay_alu instid0(VALU_DEP_1) | instskip(NEXT) | instid1(VALU_DEP_1)
	v_div_scale_f32 v7, null, v67, v67, -1.0
	v_rcp_f32_e32 v9, v7
	v_nop
	s_delay_alu instid0(TRANS32_DEP_1) | instskip(NEXT) | instid1(VALU_DEP_1)
	v_fma_f32 v11, -v7, v9, 1.0
	v_fmac_f32_e32 v9, v11, v9
	v_div_scale_f32 v11, vcc_lo, -1.0, v67, -1.0
	s_delay_alu instid0(VALU_DEP_1) | instskip(NEXT) | instid1(VALU_DEP_1)
	v_mul_f32_e32 v13, v11, v9
	v_fma_f32 v15, -v7, v13, v11
	s_delay_alu instid0(VALU_DEP_1) | instskip(NEXT) | instid1(VALU_DEP_1)
	v_fmac_f32_e32 v13, v15, v9
	v_fma_f32 v7, -v7, v13, v11
	s_delay_alu instid0(VALU_DEP_1) | instskip(NEXT) | instid1(VALU_DEP_1)
	v_div_fmas_f32 v7, v7, v9, v13
	v_div_fixup_f32 v71, v7, v67, -1.0
                                        ; implicit-def: $vgpr66_vgpr67
	s_delay_alu instid0(VALU_DEP_1) | instskip(NEXT) | instid1(VALU_DEP_1)
	v_mul_f32_e32 v68, v1, v71
	v_xor_b32_e32 v70, 0x80000000, v68
.LBB94_4:
	s_or_saveexec_b32 s0, s0
	v_lshl_add_u32 v1, v0, 3, 0
	s_xor_b32 exec_lo, exec_lo, s0
	s_cbranch_execz .LBB94_6
; %bb.5:
	v_div_scale_f32 v7, null, v66, v66, v67
	v_div_scale_f32 v13, vcc_lo, v67, v66, v67
	s_delay_alu instid0(VALU_DEP_2) | instskip(SKIP_1) | instid1(TRANS32_DEP_1)
	v_rcp_f32_e32 v9, v7
	v_nop
	v_fma_f32 v11, -v7, v9, 1.0
	s_delay_alu instid0(VALU_DEP_1) | instskip(NEXT) | instid1(VALU_DEP_1)
	v_fmac_f32_e32 v9, v11, v9
	v_mul_f32_e32 v11, v13, v9
	s_delay_alu instid0(VALU_DEP_1) | instskip(NEXT) | instid1(VALU_DEP_1)
	v_fma_f32 v15, -v7, v11, v13
	v_fmac_f32_e32 v11, v15, v9
	s_delay_alu instid0(VALU_DEP_1) | instskip(NEXT) | instid1(VALU_DEP_1)
	v_fma_f32 v7, -v7, v11, v13
	v_div_fmas_f32 v7, v7, v9, v11
	s_delay_alu instid0(VALU_DEP_1) | instskip(NEXT) | instid1(VALU_DEP_1)
	v_div_fixup_f32 v7, v7, v66, v67
	v_fmac_f32_e32 v66, v67, v7
	s_delay_alu instid0(VALU_DEP_1) | instskip(SKIP_1) | instid1(VALU_DEP_2)
	v_div_scale_f32 v9, null, v66, v66, 1.0
	v_div_scale_f32 v15, vcc_lo, 1.0, v66, 1.0
	v_rcp_f32_e32 v11, v9
	v_nop
	s_delay_alu instid0(TRANS32_DEP_1) | instskip(NEXT) | instid1(VALU_DEP_1)
	v_fma_f32 v13, -v9, v11, 1.0
	v_fmac_f32_e32 v11, v13, v11
	s_delay_alu instid0(VALU_DEP_1) | instskip(NEXT) | instid1(VALU_DEP_1)
	v_mul_f32_e32 v13, v15, v11
	v_fma_f32 v17, -v9, v13, v15
	s_delay_alu instid0(VALU_DEP_1) | instskip(NEXT) | instid1(VALU_DEP_1)
	v_fmac_f32_e32 v13, v17, v11
	v_fma_f32 v9, -v9, v13, v15
	s_delay_alu instid0(VALU_DEP_1) | instskip(NEXT) | instid1(VALU_DEP_1)
	v_div_fmas_f32 v9, v9, v11, v13
	v_div_fixup_f32 v70, v9, v66, 1.0
	s_delay_alu instid0(VALU_DEP_1)
	v_xor_b32_e32 v68, 0x80000000, v70
	v_mul_f32_e64 v71, v7, -v70
.LBB94_6:
	s_or_b32 exec_lo, exec_lo, s0
	s_delay_alu instid0(VALU_DEP_1)
	v_xor_b32_e32 v69, 0x80000000, v71
	s_mov_b32 s0, 0
	scratch_store_b64 v1, v[70:71], off
	ds_store_b64 v58, v[68:69]
.LBB94_7:
	s_and_b32 vcc_lo, exec_lo, s0
	s_cbranch_vccz .LBB94_9
; %bb.8:
	s_mov_b64 s[0:1], 0xbf800000
	s_wait_xcnt 0x0
	v_mov_b64_e32 v[66:67], s[0:1]
	ds_store_b64 v58, v[66:67]
.LBB94_9:
	v_dual_ashrrev_i32 v7, 31, v6 :: v_dual_ashrrev_i32 v9, 31, v8
	v_dual_ashrrev_i32 v11, 31, v10 :: v_dual_ashrrev_i32 v13, 31, v12
	;; [unrolled: 1-line block ×14, first 2 shown]
	v_dual_ashrrev_i32 v65, 31, v64 :: v_dual_mov_b32 v59, v58
	s_wait_xcnt 0x0
	v_add_nc_u32_e32 v1, 0x100, v58
	s_cmp_eq_u32 s4, 0x79
	s_cbranch_scc1 .LBB94_13
; %bb.10:
	scratch_load_b64 v[66:67], off, off offset:232
	v_cmp_eq_u32_e64 s0, 30, v0
	s_movk_i32 s1, 0x48
	s_movk_i32 s14, 0x50
	;; [unrolled: 1-line block ×20, first 2 shown]
	s_wait_loadcnt 0x0
	ds_store_b64 v1, v[66:67]
	s_wait_storecnt_dscnt 0x0
	s_barrier_signal -1
	s_barrier_wait -1
	s_wait_xcnt 0x0
	s_and_saveexec_b32 s4, s0
	s_cbranch_execz .LBB94_17
; %bb.11:
	s_and_b32 vcc_lo, exec_lo, s5
	s_cbranch_vccz .LBB94_14
; %bb.12:
	scratch_load_b64 v[66:67], v59, off
	ds_load_b64 v[68:69], v1
	s_wait_loadcnt_dscnt 0x0
	v_pk_mul_f32 v[70:71], v[68:69], v[66:67] op_sel:[1,1] op_sel_hi:[0,1]
	v_pk_mul_f32 v[72:73], v[68:69], v[66:67] op_sel_hi:[1,0]
	s_delay_alu instid0(VALU_DEP_2) | instskip(NEXT) | instid1(VALU_DEP_2)
	v_pk_fma_f32 v[66:67], v[68:69], v[66:67], v[70:71] op_sel_hi:[1,0,1]
	v_sub_f32_e32 v66, v72, v70
	s_cbranch_execz .LBB94_15
	s_branch .LBB94_16
.LBB94_13:
	s_mov_b32 s1, 0
                                        ; implicit-def: $vgpr92
                                        ; implicit-def: $sgpr7
	s_cbranch_execnz .LBB94_306
	s_branch .LBB94_601
.LBB94_14:
                                        ; implicit-def: $vgpr67
.LBB94_15:
	ds_load_b64 v[66:67], v1
.LBB94_16:
	s_wait_dscnt 0x0
	v_dual_mov_b32 v68, 0 :: v_dual_mov_b32 v70, v67
	v_mov_b32_e32 v71, v66
	ds_load_b64 v[68:69], v68 offset:232
	s_wait_dscnt 0x0
	v_pk_mul_f32 v[70:71], v[70:71], v[68:69] op_sel:[0,1]
	s_delay_alu instid0(VALU_DEP_1) | instskip(SKIP_1) | instid1(VALU_DEP_2)
	v_pk_fma_f32 v[72:73], v[66:67], v[68:69], v[70:71] op_sel_hi:[1,0,1]
	v_pk_fma_f32 v[66:67], v[66:67], v[68:69], v[70:71] neg_lo:[0,0,1] neg_hi:[0,0,1]
	v_mov_b32_e32 v67, v73
	scratch_store_b64 off, v[66:67], off offset:232
.LBB94_17:
	s_wait_xcnt 0x0
	s_or_b32 exec_lo, exec_lo, s4
	scratch_load_b64 v[66:67], off, off offset:224
	s_mov_b32 s13, s1
	v_cmp_lt_u32_e64 s1, 28, v0
	s_or_b32 s4, 0, 8
	s_mov_b32 s6, 16
	s_mov_b32 s7, 24
	;; [unrolled: 1-line block ×7, first 2 shown]
	s_wait_loadcnt 0x0
	ds_store_b64 v1, v[66:67]
	s_wait_storecnt_dscnt 0x0
	s_barrier_signal -1
	s_barrier_wait -1
	s_wait_xcnt 0x0
	s_and_saveexec_b32 s34, s1
	s_cbranch_execz .LBB94_25
; %bb.18:
	s_and_not1_b32 vcc_lo, exec_lo, s5
	s_cbranch_vccnz .LBB94_20
; %bb.19:
	scratch_load_b64 v[66:67], v59, off
	ds_load_b64 v[68:69], v1
	s_wait_loadcnt_dscnt 0x0
	v_pk_mul_f32 v[70:71], v[68:69], v[66:67] op_sel:[1,1] op_sel_hi:[0,1]
	s_delay_alu instid0(VALU_DEP_1) | instskip(SKIP_1) | instid1(VALU_DEP_2)
	v_pk_fma_f32 v[72:73], v[68:69], v[66:67], v[70:71] op_sel_hi:[1,0,1]
	v_pk_fma_f32 v[66:67], v[68:69], v[66:67], v[70:71] neg_lo:[0,0,1] neg_hi:[0,0,1]
	v_mov_b32_e32 v67, v73
	s_cbranch_execz .LBB94_21
	s_branch .LBB94_22
.LBB94_20:
                                        ; implicit-def: $vgpr66_vgpr67
.LBB94_21:
	ds_load_b64 v[66:67], v1
.LBB94_22:
	s_and_saveexec_b32 s35, s0
	s_cbranch_execz .LBB94_24
; %bb.23:
	scratch_load_b64 v[68:69], off, off offset:232
	v_mov_b32_e32 v70, 0
	ds_load_b64 v[70:71], v70 offset:488
	s_wait_loadcnt_dscnt 0x0
	v_pk_mul_f32 v[72:73], v[70:71], v[68:69] op_sel:[1,1] op_sel_hi:[0,1]
	s_delay_alu instid0(VALU_DEP_1) | instskip(SKIP_1) | instid1(VALU_DEP_2)
	v_pk_fma_f32 v[74:75], v[70:71], v[68:69], v[72:73] op_sel_hi:[1,0,1]
	v_pk_fma_f32 v[68:69], v[70:71], v[68:69], v[72:73] neg_lo:[0,0,1] neg_hi:[0,0,1]
	v_mov_b32_e32 v69, v75
	s_delay_alu instid0(VALU_DEP_1)
	v_pk_add_f32 v[66:67], v[66:67], v[68:69]
.LBB94_24:
	s_or_b32 exec_lo, exec_lo, s35
	v_mov_b32_e32 v68, 0
	ds_load_b64 v[68:69], v68 offset:224
	s_wait_dscnt 0x0
	v_pk_mul_f32 v[70:71], v[66:67], v[68:69] op_sel:[1,1] op_sel_hi:[0,1]
	s_delay_alu instid0(VALU_DEP_1) | instskip(SKIP_1) | instid1(VALU_DEP_2)
	v_pk_fma_f32 v[72:73], v[66:67], v[68:69], v[70:71] op_sel_hi:[1,0,1]
	v_pk_fma_f32 v[66:67], v[66:67], v[68:69], v[70:71] neg_lo:[0,0,1] neg_hi:[0,0,1]
	v_mov_b32_e32 v67, v73
	scratch_store_b64 off, v[66:67], off offset:224
.LBB94_25:
	s_wait_xcnt 0x0
	s_or_b32 exec_lo, exec_lo, s34
	scratch_load_b64 v[66:67], off, off offset:216
	v_cmp_lt_u32_e64 s0, 27, v0
	s_wait_loadcnt 0x0
	ds_store_b64 v1, v[66:67]
	s_wait_storecnt_dscnt 0x0
	s_barrier_signal -1
	s_barrier_wait -1
	s_wait_xcnt 0x0
	s_and_saveexec_b32 s34, s0
	s_cbranch_execz .LBB94_35
; %bb.26:
	s_and_not1_b32 vcc_lo, exec_lo, s5
	s_cbranch_vccnz .LBB94_28
; %bb.27:
	scratch_load_b64 v[66:67], v59, off
	ds_load_b64 v[68:69], v1
	s_wait_loadcnt_dscnt 0x0
	v_pk_mul_f32 v[70:71], v[68:69], v[66:67] op_sel:[1,1] op_sel_hi:[0,1]
	s_delay_alu instid0(VALU_DEP_1) | instskip(SKIP_1) | instid1(VALU_DEP_2)
	v_pk_fma_f32 v[72:73], v[68:69], v[66:67], v[70:71] op_sel_hi:[1,0,1]
	v_pk_fma_f32 v[66:67], v[68:69], v[66:67], v[70:71] neg_lo:[0,0,1] neg_hi:[0,0,1]
	v_mov_b32_e32 v67, v73
	s_cbranch_execz .LBB94_29
	s_branch .LBB94_30
.LBB94_28:
                                        ; implicit-def: $vgpr66_vgpr67
.LBB94_29:
	ds_load_b64 v[66:67], v1
.LBB94_30:
	s_and_saveexec_b32 s35, s1
	s_cbranch_execz .LBB94_34
; %bb.31:
	v_subrev_nc_u32_e32 v68, 28, v0
	s_movk_i32 s36, 0x1e0
	s_mov_b32 s1, 0
.LBB94_32:                              ; =>This Inner Loop Header: Depth=1
	scratch_load_b64 v[70:71], off, s33
	v_dual_mov_b32 v69, s36 :: v_dual_add_nc_u32 v68, -1, v68
	s_add_co_i32 s36, s36, 8
	s_wait_xcnt 0x0
	s_add_co_i32 s33, s33, 8
	ds_load_b64 v[72:73], v69
	v_cmp_eq_u32_e32 vcc_lo, 0, v68
	s_or_b32 s1, vcc_lo, s1
	s_wait_loadcnt_dscnt 0x0
	v_pk_mul_f32 v[74:75], v[72:73], v[70:71] op_sel:[1,1] op_sel_hi:[0,1]
	s_delay_alu instid0(VALU_DEP_1) | instskip(SKIP_1) | instid1(VALU_DEP_2)
	v_pk_fma_f32 v[76:77], v[72:73], v[70:71], v[74:75] op_sel_hi:[1,0,1]
	v_pk_fma_f32 v[70:71], v[72:73], v[70:71], v[74:75] neg_lo:[0,0,1] neg_hi:[0,0,1]
	v_mov_b32_e32 v71, v77
	s_delay_alu instid0(VALU_DEP_1)
	v_pk_add_f32 v[66:67], v[66:67], v[70:71]
	s_and_not1_b32 exec_lo, exec_lo, s1
	s_cbranch_execnz .LBB94_32
; %bb.33:
	s_or_b32 exec_lo, exec_lo, s1
.LBB94_34:
	s_delay_alu instid0(SALU_CYCLE_1) | instskip(SKIP_4) | instid1(VALU_DEP_1)
	s_or_b32 exec_lo, exec_lo, s35
	v_mov_b32_e32 v68, 0
	ds_load_b64 v[68:69], v68 offset:216
	s_wait_dscnt 0x0
	v_pk_mul_f32 v[70:71], v[66:67], v[68:69] op_sel:[1,1] op_sel_hi:[0,1]
	v_pk_fma_f32 v[72:73], v[66:67], v[68:69], v[70:71] op_sel_hi:[1,0,1]
	v_pk_fma_f32 v[66:67], v[66:67], v[68:69], v[70:71] neg_lo:[0,0,1] neg_hi:[0,0,1]
	s_delay_alu instid0(VALU_DEP_2)
	v_mov_b32_e32 v67, v73
	scratch_store_b64 off, v[66:67], off offset:216
.LBB94_35:
	s_wait_xcnt 0x0
	s_or_b32 exec_lo, exec_lo, s34
	scratch_load_b64 v[66:67], off, off offset:208
	v_cmp_lt_u32_e64 s1, 26, v0
	s_wait_loadcnt 0x0
	ds_store_b64 v1, v[66:67]
	s_wait_storecnt_dscnt 0x0
	s_barrier_signal -1
	s_barrier_wait -1
	s_wait_xcnt 0x0
	s_and_saveexec_b32 s33, s1
	s_cbranch_execz .LBB94_45
; %bb.36:
	s_and_not1_b32 vcc_lo, exec_lo, s5
	s_cbranch_vccnz .LBB94_38
; %bb.37:
	scratch_load_b64 v[66:67], v59, off
	ds_load_b64 v[68:69], v1
	s_wait_loadcnt_dscnt 0x0
	v_pk_mul_f32 v[70:71], v[68:69], v[66:67] op_sel:[1,1] op_sel_hi:[0,1]
	s_delay_alu instid0(VALU_DEP_1) | instskip(SKIP_1) | instid1(VALU_DEP_2)
	v_pk_fma_f32 v[72:73], v[68:69], v[66:67], v[70:71] op_sel_hi:[1,0,1]
	v_pk_fma_f32 v[66:67], v[68:69], v[66:67], v[70:71] neg_lo:[0,0,1] neg_hi:[0,0,1]
	v_mov_b32_e32 v67, v73
	s_cbranch_execz .LBB94_39
	s_branch .LBB94_40
.LBB94_38:
                                        ; implicit-def: $vgpr66_vgpr67
.LBB94_39:
	ds_load_b64 v[66:67], v1
.LBB94_40:
	s_and_saveexec_b32 s34, s0
	s_cbranch_execz .LBB94_44
; %bb.41:
	v_subrev_nc_u32_e32 v68, 27, v0
	s_movk_i32 s35, 0x1d8
	s_mov_b32 s0, 0
.LBB94_42:                              ; =>This Inner Loop Header: Depth=1
	scratch_load_b64 v[70:71], off, s31
	v_dual_mov_b32 v69, s35 :: v_dual_add_nc_u32 v68, -1, v68
	s_add_co_i32 s35, s35, 8
	s_wait_xcnt 0x0
	s_add_co_i32 s31, s31, 8
	ds_load_b64 v[72:73], v69
	v_cmp_eq_u32_e32 vcc_lo, 0, v68
	s_or_b32 s0, vcc_lo, s0
	s_wait_loadcnt_dscnt 0x0
	v_pk_mul_f32 v[74:75], v[72:73], v[70:71] op_sel:[1,1] op_sel_hi:[0,1]
	s_delay_alu instid0(VALU_DEP_1) | instskip(SKIP_1) | instid1(VALU_DEP_2)
	v_pk_fma_f32 v[76:77], v[72:73], v[70:71], v[74:75] op_sel_hi:[1,0,1]
	v_pk_fma_f32 v[70:71], v[72:73], v[70:71], v[74:75] neg_lo:[0,0,1] neg_hi:[0,0,1]
	v_mov_b32_e32 v71, v77
	s_delay_alu instid0(VALU_DEP_1)
	v_pk_add_f32 v[66:67], v[66:67], v[70:71]
	s_and_not1_b32 exec_lo, exec_lo, s0
	s_cbranch_execnz .LBB94_42
; %bb.43:
	s_or_b32 exec_lo, exec_lo, s0
.LBB94_44:
	s_delay_alu instid0(SALU_CYCLE_1) | instskip(SKIP_4) | instid1(VALU_DEP_1)
	s_or_b32 exec_lo, exec_lo, s34
	v_mov_b32_e32 v68, 0
	ds_load_b64 v[68:69], v68 offset:208
	s_wait_dscnt 0x0
	v_pk_mul_f32 v[70:71], v[66:67], v[68:69] op_sel:[1,1] op_sel_hi:[0,1]
	v_pk_fma_f32 v[72:73], v[66:67], v[68:69], v[70:71] op_sel_hi:[1,0,1]
	v_pk_fma_f32 v[66:67], v[66:67], v[68:69], v[70:71] neg_lo:[0,0,1] neg_hi:[0,0,1]
	s_delay_alu instid0(VALU_DEP_2)
	v_mov_b32_e32 v67, v73
	scratch_store_b64 off, v[66:67], off offset:208
.LBB94_45:
	s_wait_xcnt 0x0
	s_or_b32 exec_lo, exec_lo, s33
	scratch_load_b64 v[66:67], off, off offset:200
	v_cmp_lt_u32_e64 s0, 25, v0
	s_wait_loadcnt 0x0
	ds_store_b64 v1, v[66:67]
	s_wait_storecnt_dscnt 0x0
	s_barrier_signal -1
	s_barrier_wait -1
	s_wait_xcnt 0x0
	s_and_saveexec_b32 s31, s0
	s_cbranch_execz .LBB94_55
; %bb.46:
	s_and_not1_b32 vcc_lo, exec_lo, s5
	s_cbranch_vccnz .LBB94_48
; %bb.47:
	scratch_load_b64 v[66:67], v59, off
	ds_load_b64 v[68:69], v1
	s_wait_loadcnt_dscnt 0x0
	v_pk_mul_f32 v[70:71], v[68:69], v[66:67] op_sel:[1,1] op_sel_hi:[0,1]
	s_delay_alu instid0(VALU_DEP_1) | instskip(SKIP_1) | instid1(VALU_DEP_2)
	v_pk_fma_f32 v[72:73], v[68:69], v[66:67], v[70:71] op_sel_hi:[1,0,1]
	v_pk_fma_f32 v[66:67], v[68:69], v[66:67], v[70:71] neg_lo:[0,0,1] neg_hi:[0,0,1]
	v_mov_b32_e32 v67, v73
	s_cbranch_execz .LBB94_49
	s_branch .LBB94_50
.LBB94_48:
                                        ; implicit-def: $vgpr66_vgpr67
.LBB94_49:
	ds_load_b64 v[66:67], v1
.LBB94_50:
	s_and_saveexec_b32 s33, s1
	s_cbranch_execz .LBB94_54
; %bb.51:
	v_subrev_nc_u32_e32 v68, 26, v0
	s_movk_i32 s34, 0x1d0
	s_mov_b32 s1, 0
.LBB94_52:                              ; =>This Inner Loop Header: Depth=1
	scratch_load_b64 v[70:71], off, s30
	v_dual_mov_b32 v69, s34 :: v_dual_add_nc_u32 v68, -1, v68
	s_add_co_i32 s34, s34, 8
	s_wait_xcnt 0x0
	s_add_co_i32 s30, s30, 8
	ds_load_b64 v[72:73], v69
	v_cmp_eq_u32_e32 vcc_lo, 0, v68
	s_or_b32 s1, vcc_lo, s1
	s_wait_loadcnt_dscnt 0x0
	v_pk_mul_f32 v[74:75], v[72:73], v[70:71] op_sel:[1,1] op_sel_hi:[0,1]
	s_delay_alu instid0(VALU_DEP_1) | instskip(SKIP_1) | instid1(VALU_DEP_2)
	v_pk_fma_f32 v[76:77], v[72:73], v[70:71], v[74:75] op_sel_hi:[1,0,1]
	v_pk_fma_f32 v[70:71], v[72:73], v[70:71], v[74:75] neg_lo:[0,0,1] neg_hi:[0,0,1]
	v_mov_b32_e32 v71, v77
	s_delay_alu instid0(VALU_DEP_1)
	v_pk_add_f32 v[66:67], v[66:67], v[70:71]
	s_and_not1_b32 exec_lo, exec_lo, s1
	s_cbranch_execnz .LBB94_52
; %bb.53:
	s_or_b32 exec_lo, exec_lo, s1
.LBB94_54:
	s_delay_alu instid0(SALU_CYCLE_1) | instskip(SKIP_4) | instid1(VALU_DEP_1)
	s_or_b32 exec_lo, exec_lo, s33
	v_mov_b32_e32 v68, 0
	ds_load_b64 v[68:69], v68 offset:200
	s_wait_dscnt 0x0
	v_pk_mul_f32 v[70:71], v[66:67], v[68:69] op_sel:[1,1] op_sel_hi:[0,1]
	v_pk_fma_f32 v[72:73], v[66:67], v[68:69], v[70:71] op_sel_hi:[1,0,1]
	v_pk_fma_f32 v[66:67], v[66:67], v[68:69], v[70:71] neg_lo:[0,0,1] neg_hi:[0,0,1]
	s_delay_alu instid0(VALU_DEP_2)
	v_mov_b32_e32 v67, v73
	scratch_store_b64 off, v[66:67], off offset:200
.LBB94_55:
	s_wait_xcnt 0x0
	s_or_b32 exec_lo, exec_lo, s31
	scratch_load_b64 v[66:67], off, off offset:192
	v_cmp_lt_u32_e64 s1, 24, v0
	s_wait_loadcnt 0x0
	ds_store_b64 v1, v[66:67]
	s_wait_storecnt_dscnt 0x0
	s_barrier_signal -1
	s_barrier_wait -1
	s_wait_xcnt 0x0
	s_and_saveexec_b32 s30, s1
	s_cbranch_execz .LBB94_65
; %bb.56:
	s_and_not1_b32 vcc_lo, exec_lo, s5
	s_cbranch_vccnz .LBB94_58
; %bb.57:
	scratch_load_b64 v[66:67], v59, off
	ds_load_b64 v[68:69], v1
	s_wait_loadcnt_dscnt 0x0
	v_pk_mul_f32 v[70:71], v[68:69], v[66:67] op_sel:[1,1] op_sel_hi:[0,1]
	s_delay_alu instid0(VALU_DEP_1) | instskip(SKIP_1) | instid1(VALU_DEP_2)
	v_pk_fma_f32 v[72:73], v[68:69], v[66:67], v[70:71] op_sel_hi:[1,0,1]
	v_pk_fma_f32 v[66:67], v[68:69], v[66:67], v[70:71] neg_lo:[0,0,1] neg_hi:[0,0,1]
	v_mov_b32_e32 v67, v73
	s_cbranch_execz .LBB94_59
	s_branch .LBB94_60
.LBB94_58:
                                        ; implicit-def: $vgpr66_vgpr67
.LBB94_59:
	ds_load_b64 v[66:67], v1
.LBB94_60:
	s_and_saveexec_b32 s31, s0
	s_cbranch_execz .LBB94_64
; %bb.61:
	v_subrev_nc_u32_e32 v68, 25, v0
	s_movk_i32 s33, 0x1c8
	s_mov_b32 s0, 0
.LBB94_62:                              ; =>This Inner Loop Header: Depth=1
	scratch_load_b64 v[70:71], off, s29
	v_dual_mov_b32 v69, s33 :: v_dual_add_nc_u32 v68, -1, v68
	s_add_co_i32 s33, s33, 8
	s_wait_xcnt 0x0
	s_add_co_i32 s29, s29, 8
	ds_load_b64 v[72:73], v69
	v_cmp_eq_u32_e32 vcc_lo, 0, v68
	s_or_b32 s0, vcc_lo, s0
	s_wait_loadcnt_dscnt 0x0
	v_pk_mul_f32 v[74:75], v[72:73], v[70:71] op_sel:[1,1] op_sel_hi:[0,1]
	s_delay_alu instid0(VALU_DEP_1) | instskip(SKIP_1) | instid1(VALU_DEP_2)
	v_pk_fma_f32 v[76:77], v[72:73], v[70:71], v[74:75] op_sel_hi:[1,0,1]
	v_pk_fma_f32 v[70:71], v[72:73], v[70:71], v[74:75] neg_lo:[0,0,1] neg_hi:[0,0,1]
	v_mov_b32_e32 v71, v77
	s_delay_alu instid0(VALU_DEP_1)
	v_pk_add_f32 v[66:67], v[66:67], v[70:71]
	s_and_not1_b32 exec_lo, exec_lo, s0
	s_cbranch_execnz .LBB94_62
; %bb.63:
	s_or_b32 exec_lo, exec_lo, s0
.LBB94_64:
	s_delay_alu instid0(SALU_CYCLE_1) | instskip(SKIP_4) | instid1(VALU_DEP_1)
	s_or_b32 exec_lo, exec_lo, s31
	v_mov_b32_e32 v68, 0
	ds_load_b64 v[68:69], v68 offset:192
	s_wait_dscnt 0x0
	v_pk_mul_f32 v[70:71], v[66:67], v[68:69] op_sel:[1,1] op_sel_hi:[0,1]
	v_pk_fma_f32 v[72:73], v[66:67], v[68:69], v[70:71] op_sel_hi:[1,0,1]
	v_pk_fma_f32 v[66:67], v[66:67], v[68:69], v[70:71] neg_lo:[0,0,1] neg_hi:[0,0,1]
	s_delay_alu instid0(VALU_DEP_2)
	v_mov_b32_e32 v67, v73
	scratch_store_b64 off, v[66:67], off offset:192
.LBB94_65:
	s_wait_xcnt 0x0
	s_or_b32 exec_lo, exec_lo, s30
	scratch_load_b64 v[66:67], off, off offset:184
	v_cmp_lt_u32_e64 s0, 23, v0
	s_wait_loadcnt 0x0
	ds_store_b64 v1, v[66:67]
	s_wait_storecnt_dscnt 0x0
	s_barrier_signal -1
	s_barrier_wait -1
	s_wait_xcnt 0x0
	s_and_saveexec_b32 s29, s0
	s_cbranch_execz .LBB94_75
; %bb.66:
	s_and_not1_b32 vcc_lo, exec_lo, s5
	s_cbranch_vccnz .LBB94_68
; %bb.67:
	scratch_load_b64 v[66:67], v59, off
	ds_load_b64 v[68:69], v1
	s_wait_loadcnt_dscnt 0x0
	v_pk_mul_f32 v[70:71], v[68:69], v[66:67] op_sel:[1,1] op_sel_hi:[0,1]
	s_delay_alu instid0(VALU_DEP_1) | instskip(SKIP_1) | instid1(VALU_DEP_2)
	v_pk_fma_f32 v[72:73], v[68:69], v[66:67], v[70:71] op_sel_hi:[1,0,1]
	v_pk_fma_f32 v[66:67], v[68:69], v[66:67], v[70:71] neg_lo:[0,0,1] neg_hi:[0,0,1]
	v_mov_b32_e32 v67, v73
	s_cbranch_execz .LBB94_69
	s_branch .LBB94_70
.LBB94_68:
                                        ; implicit-def: $vgpr66_vgpr67
.LBB94_69:
	ds_load_b64 v[66:67], v1
.LBB94_70:
	s_and_saveexec_b32 s30, s1
	s_cbranch_execz .LBB94_74
; %bb.71:
	v_subrev_nc_u32_e32 v68, 24, v0
	s_movk_i32 s31, 0x1c0
	s_mov_b32 s1, 0
.LBB94_72:                              ; =>This Inner Loop Header: Depth=1
	scratch_load_b64 v[70:71], off, s28
	v_dual_mov_b32 v69, s31 :: v_dual_add_nc_u32 v68, -1, v68
	s_add_co_i32 s31, s31, 8
	s_wait_xcnt 0x0
	s_add_co_i32 s28, s28, 8
	ds_load_b64 v[72:73], v69
	v_cmp_eq_u32_e32 vcc_lo, 0, v68
	s_or_b32 s1, vcc_lo, s1
	s_wait_loadcnt_dscnt 0x0
	v_pk_mul_f32 v[74:75], v[72:73], v[70:71] op_sel:[1,1] op_sel_hi:[0,1]
	s_delay_alu instid0(VALU_DEP_1) | instskip(SKIP_1) | instid1(VALU_DEP_2)
	v_pk_fma_f32 v[76:77], v[72:73], v[70:71], v[74:75] op_sel_hi:[1,0,1]
	v_pk_fma_f32 v[70:71], v[72:73], v[70:71], v[74:75] neg_lo:[0,0,1] neg_hi:[0,0,1]
	v_mov_b32_e32 v71, v77
	s_delay_alu instid0(VALU_DEP_1)
	v_pk_add_f32 v[66:67], v[66:67], v[70:71]
	s_and_not1_b32 exec_lo, exec_lo, s1
	s_cbranch_execnz .LBB94_72
; %bb.73:
	s_or_b32 exec_lo, exec_lo, s1
.LBB94_74:
	s_delay_alu instid0(SALU_CYCLE_1) | instskip(SKIP_4) | instid1(VALU_DEP_1)
	s_or_b32 exec_lo, exec_lo, s30
	v_mov_b32_e32 v68, 0
	ds_load_b64 v[68:69], v68 offset:184
	s_wait_dscnt 0x0
	v_pk_mul_f32 v[70:71], v[66:67], v[68:69] op_sel:[1,1] op_sel_hi:[0,1]
	v_pk_fma_f32 v[72:73], v[66:67], v[68:69], v[70:71] op_sel_hi:[1,0,1]
	v_pk_fma_f32 v[66:67], v[66:67], v[68:69], v[70:71] neg_lo:[0,0,1] neg_hi:[0,0,1]
	s_delay_alu instid0(VALU_DEP_2)
	v_mov_b32_e32 v67, v73
	scratch_store_b64 off, v[66:67], off offset:184
.LBB94_75:
	s_wait_xcnt 0x0
	s_or_b32 exec_lo, exec_lo, s29
	scratch_load_b64 v[66:67], off, off offset:176
	v_cmp_lt_u32_e64 s1, 22, v0
	s_wait_loadcnt 0x0
	ds_store_b64 v1, v[66:67]
	s_wait_storecnt_dscnt 0x0
	s_barrier_signal -1
	s_barrier_wait -1
	s_wait_xcnt 0x0
	s_and_saveexec_b32 s28, s1
	s_cbranch_execz .LBB94_85
; %bb.76:
	s_and_not1_b32 vcc_lo, exec_lo, s5
	s_cbranch_vccnz .LBB94_78
; %bb.77:
	scratch_load_b64 v[66:67], v59, off
	ds_load_b64 v[68:69], v1
	s_wait_loadcnt_dscnt 0x0
	v_pk_mul_f32 v[70:71], v[68:69], v[66:67] op_sel:[1,1] op_sel_hi:[0,1]
	s_delay_alu instid0(VALU_DEP_1) | instskip(SKIP_1) | instid1(VALU_DEP_2)
	v_pk_fma_f32 v[72:73], v[68:69], v[66:67], v[70:71] op_sel_hi:[1,0,1]
	v_pk_fma_f32 v[66:67], v[68:69], v[66:67], v[70:71] neg_lo:[0,0,1] neg_hi:[0,0,1]
	v_mov_b32_e32 v67, v73
	s_cbranch_execz .LBB94_79
	s_branch .LBB94_80
.LBB94_78:
                                        ; implicit-def: $vgpr66_vgpr67
.LBB94_79:
	ds_load_b64 v[66:67], v1
.LBB94_80:
	s_and_saveexec_b32 s29, s0
	s_cbranch_execz .LBB94_84
; %bb.81:
	v_subrev_nc_u32_e32 v68, 23, v0
	s_movk_i32 s30, 0x1b8
	s_mov_b32 s0, 0
.LBB94_82:                              ; =>This Inner Loop Header: Depth=1
	scratch_load_b64 v[70:71], off, s27
	v_dual_mov_b32 v69, s30 :: v_dual_add_nc_u32 v68, -1, v68
	s_add_co_i32 s30, s30, 8
	s_wait_xcnt 0x0
	s_add_co_i32 s27, s27, 8
	ds_load_b64 v[72:73], v69
	v_cmp_eq_u32_e32 vcc_lo, 0, v68
	s_or_b32 s0, vcc_lo, s0
	s_wait_loadcnt_dscnt 0x0
	v_pk_mul_f32 v[74:75], v[72:73], v[70:71] op_sel:[1,1] op_sel_hi:[0,1]
	s_delay_alu instid0(VALU_DEP_1) | instskip(SKIP_1) | instid1(VALU_DEP_2)
	v_pk_fma_f32 v[76:77], v[72:73], v[70:71], v[74:75] op_sel_hi:[1,0,1]
	v_pk_fma_f32 v[70:71], v[72:73], v[70:71], v[74:75] neg_lo:[0,0,1] neg_hi:[0,0,1]
	v_mov_b32_e32 v71, v77
	s_delay_alu instid0(VALU_DEP_1)
	v_pk_add_f32 v[66:67], v[66:67], v[70:71]
	s_and_not1_b32 exec_lo, exec_lo, s0
	s_cbranch_execnz .LBB94_82
; %bb.83:
	s_or_b32 exec_lo, exec_lo, s0
.LBB94_84:
	s_delay_alu instid0(SALU_CYCLE_1) | instskip(SKIP_4) | instid1(VALU_DEP_1)
	s_or_b32 exec_lo, exec_lo, s29
	v_mov_b32_e32 v68, 0
	ds_load_b64 v[68:69], v68 offset:176
	s_wait_dscnt 0x0
	v_pk_mul_f32 v[70:71], v[66:67], v[68:69] op_sel:[1,1] op_sel_hi:[0,1]
	v_pk_fma_f32 v[72:73], v[66:67], v[68:69], v[70:71] op_sel_hi:[1,0,1]
	v_pk_fma_f32 v[66:67], v[66:67], v[68:69], v[70:71] neg_lo:[0,0,1] neg_hi:[0,0,1]
	s_delay_alu instid0(VALU_DEP_2)
	v_mov_b32_e32 v67, v73
	scratch_store_b64 off, v[66:67], off offset:176
.LBB94_85:
	s_wait_xcnt 0x0
	s_or_b32 exec_lo, exec_lo, s28
	scratch_load_b64 v[66:67], off, off offset:168
	v_cmp_lt_u32_e64 s0, 21, v0
	s_wait_loadcnt 0x0
	ds_store_b64 v1, v[66:67]
	s_wait_storecnt_dscnt 0x0
	s_barrier_signal -1
	s_barrier_wait -1
	s_wait_xcnt 0x0
	s_and_saveexec_b32 s27, s0
	s_cbranch_execz .LBB94_95
; %bb.86:
	s_and_not1_b32 vcc_lo, exec_lo, s5
	s_cbranch_vccnz .LBB94_88
; %bb.87:
	scratch_load_b64 v[66:67], v59, off
	ds_load_b64 v[68:69], v1
	s_wait_loadcnt_dscnt 0x0
	v_pk_mul_f32 v[70:71], v[68:69], v[66:67] op_sel:[1,1] op_sel_hi:[0,1]
	s_delay_alu instid0(VALU_DEP_1) | instskip(SKIP_1) | instid1(VALU_DEP_2)
	v_pk_fma_f32 v[72:73], v[68:69], v[66:67], v[70:71] op_sel_hi:[1,0,1]
	v_pk_fma_f32 v[66:67], v[68:69], v[66:67], v[70:71] neg_lo:[0,0,1] neg_hi:[0,0,1]
	v_mov_b32_e32 v67, v73
	s_cbranch_execz .LBB94_89
	s_branch .LBB94_90
.LBB94_88:
                                        ; implicit-def: $vgpr66_vgpr67
.LBB94_89:
	ds_load_b64 v[66:67], v1
.LBB94_90:
	s_and_saveexec_b32 s28, s1
	s_cbranch_execz .LBB94_94
; %bb.91:
	v_subrev_nc_u32_e32 v68, 22, v0
	s_movk_i32 s29, 0x1b0
	s_mov_b32 s1, 0
.LBB94_92:                              ; =>This Inner Loop Header: Depth=1
	scratch_load_b64 v[70:71], off, s26
	v_dual_mov_b32 v69, s29 :: v_dual_add_nc_u32 v68, -1, v68
	s_add_co_i32 s29, s29, 8
	s_wait_xcnt 0x0
	s_add_co_i32 s26, s26, 8
	ds_load_b64 v[72:73], v69
	v_cmp_eq_u32_e32 vcc_lo, 0, v68
	s_or_b32 s1, vcc_lo, s1
	s_wait_loadcnt_dscnt 0x0
	v_pk_mul_f32 v[74:75], v[72:73], v[70:71] op_sel:[1,1] op_sel_hi:[0,1]
	s_delay_alu instid0(VALU_DEP_1) | instskip(SKIP_1) | instid1(VALU_DEP_2)
	v_pk_fma_f32 v[76:77], v[72:73], v[70:71], v[74:75] op_sel_hi:[1,0,1]
	v_pk_fma_f32 v[70:71], v[72:73], v[70:71], v[74:75] neg_lo:[0,0,1] neg_hi:[0,0,1]
	v_mov_b32_e32 v71, v77
	s_delay_alu instid0(VALU_DEP_1)
	v_pk_add_f32 v[66:67], v[66:67], v[70:71]
	s_and_not1_b32 exec_lo, exec_lo, s1
	s_cbranch_execnz .LBB94_92
; %bb.93:
	s_or_b32 exec_lo, exec_lo, s1
.LBB94_94:
	s_delay_alu instid0(SALU_CYCLE_1) | instskip(SKIP_4) | instid1(VALU_DEP_1)
	s_or_b32 exec_lo, exec_lo, s28
	v_mov_b32_e32 v68, 0
	ds_load_b64 v[68:69], v68 offset:168
	s_wait_dscnt 0x0
	v_pk_mul_f32 v[70:71], v[66:67], v[68:69] op_sel:[1,1] op_sel_hi:[0,1]
	v_pk_fma_f32 v[72:73], v[66:67], v[68:69], v[70:71] op_sel_hi:[1,0,1]
	v_pk_fma_f32 v[66:67], v[66:67], v[68:69], v[70:71] neg_lo:[0,0,1] neg_hi:[0,0,1]
	s_delay_alu instid0(VALU_DEP_2)
	v_mov_b32_e32 v67, v73
	scratch_store_b64 off, v[66:67], off offset:168
.LBB94_95:
	s_wait_xcnt 0x0
	s_or_b32 exec_lo, exec_lo, s27
	scratch_load_b64 v[66:67], off, off offset:160
	v_cmp_lt_u32_e64 s1, 20, v0
	s_wait_loadcnt 0x0
	ds_store_b64 v1, v[66:67]
	s_wait_storecnt_dscnt 0x0
	s_barrier_signal -1
	s_barrier_wait -1
	s_wait_xcnt 0x0
	s_and_saveexec_b32 s26, s1
	s_cbranch_execz .LBB94_105
; %bb.96:
	s_and_not1_b32 vcc_lo, exec_lo, s5
	s_cbranch_vccnz .LBB94_98
; %bb.97:
	scratch_load_b64 v[66:67], v59, off
	ds_load_b64 v[68:69], v1
	s_wait_loadcnt_dscnt 0x0
	v_pk_mul_f32 v[70:71], v[68:69], v[66:67] op_sel:[1,1] op_sel_hi:[0,1]
	s_delay_alu instid0(VALU_DEP_1) | instskip(SKIP_1) | instid1(VALU_DEP_2)
	v_pk_fma_f32 v[72:73], v[68:69], v[66:67], v[70:71] op_sel_hi:[1,0,1]
	v_pk_fma_f32 v[66:67], v[68:69], v[66:67], v[70:71] neg_lo:[0,0,1] neg_hi:[0,0,1]
	v_mov_b32_e32 v67, v73
	s_cbranch_execz .LBB94_99
	s_branch .LBB94_100
.LBB94_98:
                                        ; implicit-def: $vgpr66_vgpr67
.LBB94_99:
	ds_load_b64 v[66:67], v1
.LBB94_100:
	s_and_saveexec_b32 s27, s0
	s_cbranch_execz .LBB94_104
; %bb.101:
	v_subrev_nc_u32_e32 v68, 21, v0
	s_movk_i32 s28, 0x1a8
	s_mov_b32 s0, 0
.LBB94_102:                             ; =>This Inner Loop Header: Depth=1
	scratch_load_b64 v[70:71], off, s25
	v_dual_mov_b32 v69, s28 :: v_dual_add_nc_u32 v68, -1, v68
	s_add_co_i32 s28, s28, 8
	s_wait_xcnt 0x0
	s_add_co_i32 s25, s25, 8
	ds_load_b64 v[72:73], v69
	v_cmp_eq_u32_e32 vcc_lo, 0, v68
	s_or_b32 s0, vcc_lo, s0
	s_wait_loadcnt_dscnt 0x0
	v_pk_mul_f32 v[74:75], v[72:73], v[70:71] op_sel:[1,1] op_sel_hi:[0,1]
	s_delay_alu instid0(VALU_DEP_1) | instskip(SKIP_1) | instid1(VALU_DEP_2)
	v_pk_fma_f32 v[76:77], v[72:73], v[70:71], v[74:75] op_sel_hi:[1,0,1]
	v_pk_fma_f32 v[70:71], v[72:73], v[70:71], v[74:75] neg_lo:[0,0,1] neg_hi:[0,0,1]
	v_mov_b32_e32 v71, v77
	s_delay_alu instid0(VALU_DEP_1)
	v_pk_add_f32 v[66:67], v[66:67], v[70:71]
	s_and_not1_b32 exec_lo, exec_lo, s0
	s_cbranch_execnz .LBB94_102
; %bb.103:
	s_or_b32 exec_lo, exec_lo, s0
.LBB94_104:
	s_delay_alu instid0(SALU_CYCLE_1) | instskip(SKIP_4) | instid1(VALU_DEP_1)
	s_or_b32 exec_lo, exec_lo, s27
	v_mov_b32_e32 v68, 0
	ds_load_b64 v[68:69], v68 offset:160
	s_wait_dscnt 0x0
	v_pk_mul_f32 v[70:71], v[66:67], v[68:69] op_sel:[1,1] op_sel_hi:[0,1]
	v_pk_fma_f32 v[72:73], v[66:67], v[68:69], v[70:71] op_sel_hi:[1,0,1]
	v_pk_fma_f32 v[66:67], v[66:67], v[68:69], v[70:71] neg_lo:[0,0,1] neg_hi:[0,0,1]
	s_delay_alu instid0(VALU_DEP_2)
	v_mov_b32_e32 v67, v73
	scratch_store_b64 off, v[66:67], off offset:160
.LBB94_105:
	s_wait_xcnt 0x0
	s_or_b32 exec_lo, exec_lo, s26
	scratch_load_b64 v[66:67], off, off offset:152
	v_cmp_lt_u32_e64 s0, 19, v0
	s_wait_loadcnt 0x0
	ds_store_b64 v1, v[66:67]
	s_wait_storecnt_dscnt 0x0
	s_barrier_signal -1
	s_barrier_wait -1
	s_wait_xcnt 0x0
	s_and_saveexec_b32 s25, s0
	s_cbranch_execz .LBB94_115
; %bb.106:
	s_and_not1_b32 vcc_lo, exec_lo, s5
	s_cbranch_vccnz .LBB94_108
; %bb.107:
	scratch_load_b64 v[66:67], v59, off
	ds_load_b64 v[68:69], v1
	s_wait_loadcnt_dscnt 0x0
	v_pk_mul_f32 v[70:71], v[68:69], v[66:67] op_sel:[1,1] op_sel_hi:[0,1]
	s_delay_alu instid0(VALU_DEP_1) | instskip(SKIP_1) | instid1(VALU_DEP_2)
	v_pk_fma_f32 v[72:73], v[68:69], v[66:67], v[70:71] op_sel_hi:[1,0,1]
	v_pk_fma_f32 v[66:67], v[68:69], v[66:67], v[70:71] neg_lo:[0,0,1] neg_hi:[0,0,1]
	v_mov_b32_e32 v67, v73
	s_cbranch_execz .LBB94_109
	s_branch .LBB94_110
.LBB94_108:
                                        ; implicit-def: $vgpr66_vgpr67
.LBB94_109:
	ds_load_b64 v[66:67], v1
.LBB94_110:
	s_and_saveexec_b32 s26, s1
	s_cbranch_execz .LBB94_114
; %bb.111:
	v_subrev_nc_u32_e32 v68, 20, v0
	s_movk_i32 s27, 0x1a0
	s_mov_b32 s1, 0
.LBB94_112:                             ; =>This Inner Loop Header: Depth=1
	scratch_load_b64 v[70:71], off, s24
	v_dual_mov_b32 v69, s27 :: v_dual_add_nc_u32 v68, -1, v68
	s_add_co_i32 s27, s27, 8
	s_wait_xcnt 0x0
	s_add_co_i32 s24, s24, 8
	ds_load_b64 v[72:73], v69
	v_cmp_eq_u32_e32 vcc_lo, 0, v68
	s_or_b32 s1, vcc_lo, s1
	s_wait_loadcnt_dscnt 0x0
	v_pk_mul_f32 v[74:75], v[72:73], v[70:71] op_sel:[1,1] op_sel_hi:[0,1]
	s_delay_alu instid0(VALU_DEP_1) | instskip(SKIP_1) | instid1(VALU_DEP_2)
	v_pk_fma_f32 v[76:77], v[72:73], v[70:71], v[74:75] op_sel_hi:[1,0,1]
	v_pk_fma_f32 v[70:71], v[72:73], v[70:71], v[74:75] neg_lo:[0,0,1] neg_hi:[0,0,1]
	v_mov_b32_e32 v71, v77
	s_delay_alu instid0(VALU_DEP_1)
	v_pk_add_f32 v[66:67], v[66:67], v[70:71]
	s_and_not1_b32 exec_lo, exec_lo, s1
	s_cbranch_execnz .LBB94_112
; %bb.113:
	s_or_b32 exec_lo, exec_lo, s1
.LBB94_114:
	s_delay_alu instid0(SALU_CYCLE_1) | instskip(SKIP_4) | instid1(VALU_DEP_1)
	s_or_b32 exec_lo, exec_lo, s26
	v_mov_b32_e32 v68, 0
	ds_load_b64 v[68:69], v68 offset:152
	s_wait_dscnt 0x0
	v_pk_mul_f32 v[70:71], v[66:67], v[68:69] op_sel:[1,1] op_sel_hi:[0,1]
	v_pk_fma_f32 v[72:73], v[66:67], v[68:69], v[70:71] op_sel_hi:[1,0,1]
	v_pk_fma_f32 v[66:67], v[66:67], v[68:69], v[70:71] neg_lo:[0,0,1] neg_hi:[0,0,1]
	s_delay_alu instid0(VALU_DEP_2)
	v_mov_b32_e32 v67, v73
	scratch_store_b64 off, v[66:67], off offset:152
.LBB94_115:
	s_wait_xcnt 0x0
	s_or_b32 exec_lo, exec_lo, s25
	scratch_load_b64 v[66:67], off, off offset:144
	v_cmp_lt_u32_e64 s1, 18, v0
	s_wait_loadcnt 0x0
	ds_store_b64 v1, v[66:67]
	s_wait_storecnt_dscnt 0x0
	s_barrier_signal -1
	s_barrier_wait -1
	s_wait_xcnt 0x0
	s_and_saveexec_b32 s24, s1
	s_cbranch_execz .LBB94_125
; %bb.116:
	s_and_not1_b32 vcc_lo, exec_lo, s5
	s_cbranch_vccnz .LBB94_118
; %bb.117:
	scratch_load_b64 v[66:67], v59, off
	ds_load_b64 v[68:69], v1
	s_wait_loadcnt_dscnt 0x0
	v_pk_mul_f32 v[70:71], v[68:69], v[66:67] op_sel:[1,1] op_sel_hi:[0,1]
	s_delay_alu instid0(VALU_DEP_1) | instskip(SKIP_1) | instid1(VALU_DEP_2)
	v_pk_fma_f32 v[72:73], v[68:69], v[66:67], v[70:71] op_sel_hi:[1,0,1]
	v_pk_fma_f32 v[66:67], v[68:69], v[66:67], v[70:71] neg_lo:[0,0,1] neg_hi:[0,0,1]
	v_mov_b32_e32 v67, v73
	s_cbranch_execz .LBB94_119
	s_branch .LBB94_120
.LBB94_118:
                                        ; implicit-def: $vgpr66_vgpr67
.LBB94_119:
	ds_load_b64 v[66:67], v1
.LBB94_120:
	s_and_saveexec_b32 s25, s0
	s_cbranch_execz .LBB94_124
; %bb.121:
	v_subrev_nc_u32_e32 v68, 19, v0
	s_movk_i32 s26, 0x198
	s_mov_b32 s0, 0
.LBB94_122:                             ; =>This Inner Loop Header: Depth=1
	scratch_load_b64 v[70:71], off, s23
	v_dual_mov_b32 v69, s26 :: v_dual_add_nc_u32 v68, -1, v68
	s_add_co_i32 s26, s26, 8
	s_wait_xcnt 0x0
	s_add_co_i32 s23, s23, 8
	ds_load_b64 v[72:73], v69
	v_cmp_eq_u32_e32 vcc_lo, 0, v68
	s_or_b32 s0, vcc_lo, s0
	s_wait_loadcnt_dscnt 0x0
	v_pk_mul_f32 v[74:75], v[72:73], v[70:71] op_sel:[1,1] op_sel_hi:[0,1]
	s_delay_alu instid0(VALU_DEP_1) | instskip(SKIP_1) | instid1(VALU_DEP_2)
	v_pk_fma_f32 v[76:77], v[72:73], v[70:71], v[74:75] op_sel_hi:[1,0,1]
	v_pk_fma_f32 v[70:71], v[72:73], v[70:71], v[74:75] neg_lo:[0,0,1] neg_hi:[0,0,1]
	v_mov_b32_e32 v71, v77
	s_delay_alu instid0(VALU_DEP_1)
	v_pk_add_f32 v[66:67], v[66:67], v[70:71]
	s_and_not1_b32 exec_lo, exec_lo, s0
	s_cbranch_execnz .LBB94_122
; %bb.123:
	s_or_b32 exec_lo, exec_lo, s0
.LBB94_124:
	s_delay_alu instid0(SALU_CYCLE_1) | instskip(SKIP_4) | instid1(VALU_DEP_1)
	s_or_b32 exec_lo, exec_lo, s25
	v_mov_b32_e32 v68, 0
	ds_load_b64 v[68:69], v68 offset:144
	s_wait_dscnt 0x0
	v_pk_mul_f32 v[70:71], v[66:67], v[68:69] op_sel:[1,1] op_sel_hi:[0,1]
	v_pk_fma_f32 v[72:73], v[66:67], v[68:69], v[70:71] op_sel_hi:[1,0,1]
	v_pk_fma_f32 v[66:67], v[66:67], v[68:69], v[70:71] neg_lo:[0,0,1] neg_hi:[0,0,1]
	s_delay_alu instid0(VALU_DEP_2)
	v_mov_b32_e32 v67, v73
	scratch_store_b64 off, v[66:67], off offset:144
.LBB94_125:
	s_wait_xcnt 0x0
	s_or_b32 exec_lo, exec_lo, s24
	scratch_load_b64 v[66:67], off, off offset:136
	v_cmp_lt_u32_e64 s0, 17, v0
	s_wait_loadcnt 0x0
	ds_store_b64 v1, v[66:67]
	s_wait_storecnt_dscnt 0x0
	s_barrier_signal -1
	s_barrier_wait -1
	s_wait_xcnt 0x0
	s_and_saveexec_b32 s23, s0
	s_cbranch_execz .LBB94_135
; %bb.126:
	s_and_not1_b32 vcc_lo, exec_lo, s5
	s_cbranch_vccnz .LBB94_128
; %bb.127:
	scratch_load_b64 v[66:67], v59, off
	ds_load_b64 v[68:69], v1
	s_wait_loadcnt_dscnt 0x0
	v_pk_mul_f32 v[70:71], v[68:69], v[66:67] op_sel:[1,1] op_sel_hi:[0,1]
	s_delay_alu instid0(VALU_DEP_1) | instskip(SKIP_1) | instid1(VALU_DEP_2)
	v_pk_fma_f32 v[72:73], v[68:69], v[66:67], v[70:71] op_sel_hi:[1,0,1]
	v_pk_fma_f32 v[66:67], v[68:69], v[66:67], v[70:71] neg_lo:[0,0,1] neg_hi:[0,0,1]
	v_mov_b32_e32 v67, v73
	s_cbranch_execz .LBB94_129
	s_branch .LBB94_130
.LBB94_128:
                                        ; implicit-def: $vgpr66_vgpr67
.LBB94_129:
	ds_load_b64 v[66:67], v1
.LBB94_130:
	s_and_saveexec_b32 s24, s1
	s_cbranch_execz .LBB94_134
; %bb.131:
	v_subrev_nc_u32_e32 v68, 18, v0
	s_movk_i32 s25, 0x190
	s_mov_b32 s1, 0
.LBB94_132:                             ; =>This Inner Loop Header: Depth=1
	scratch_load_b64 v[70:71], off, s22
	v_dual_mov_b32 v69, s25 :: v_dual_add_nc_u32 v68, -1, v68
	s_add_co_i32 s25, s25, 8
	s_wait_xcnt 0x0
	s_add_co_i32 s22, s22, 8
	ds_load_b64 v[72:73], v69
	v_cmp_eq_u32_e32 vcc_lo, 0, v68
	s_or_b32 s1, vcc_lo, s1
	s_wait_loadcnt_dscnt 0x0
	v_pk_mul_f32 v[74:75], v[72:73], v[70:71] op_sel:[1,1] op_sel_hi:[0,1]
	s_delay_alu instid0(VALU_DEP_1) | instskip(SKIP_1) | instid1(VALU_DEP_2)
	v_pk_fma_f32 v[76:77], v[72:73], v[70:71], v[74:75] op_sel_hi:[1,0,1]
	v_pk_fma_f32 v[70:71], v[72:73], v[70:71], v[74:75] neg_lo:[0,0,1] neg_hi:[0,0,1]
	v_mov_b32_e32 v71, v77
	s_delay_alu instid0(VALU_DEP_1)
	v_pk_add_f32 v[66:67], v[66:67], v[70:71]
	s_and_not1_b32 exec_lo, exec_lo, s1
	s_cbranch_execnz .LBB94_132
; %bb.133:
	s_or_b32 exec_lo, exec_lo, s1
.LBB94_134:
	s_delay_alu instid0(SALU_CYCLE_1) | instskip(SKIP_4) | instid1(VALU_DEP_1)
	s_or_b32 exec_lo, exec_lo, s24
	v_mov_b32_e32 v68, 0
	ds_load_b64 v[68:69], v68 offset:136
	s_wait_dscnt 0x0
	v_pk_mul_f32 v[70:71], v[66:67], v[68:69] op_sel:[1,1] op_sel_hi:[0,1]
	v_pk_fma_f32 v[72:73], v[66:67], v[68:69], v[70:71] op_sel_hi:[1,0,1]
	v_pk_fma_f32 v[66:67], v[66:67], v[68:69], v[70:71] neg_lo:[0,0,1] neg_hi:[0,0,1]
	s_delay_alu instid0(VALU_DEP_2)
	v_mov_b32_e32 v67, v73
	scratch_store_b64 off, v[66:67], off offset:136
.LBB94_135:
	s_wait_xcnt 0x0
	s_or_b32 exec_lo, exec_lo, s23
	scratch_load_b64 v[66:67], off, off offset:128
	v_cmp_lt_u32_e64 s1, 16, v0
	s_wait_loadcnt 0x0
	ds_store_b64 v1, v[66:67]
	s_wait_storecnt_dscnt 0x0
	s_barrier_signal -1
	s_barrier_wait -1
	s_wait_xcnt 0x0
	s_and_saveexec_b32 s22, s1
	s_cbranch_execz .LBB94_145
; %bb.136:
	s_and_not1_b32 vcc_lo, exec_lo, s5
	s_cbranch_vccnz .LBB94_138
; %bb.137:
	scratch_load_b64 v[66:67], v59, off
	ds_load_b64 v[68:69], v1
	s_wait_loadcnt_dscnt 0x0
	v_pk_mul_f32 v[70:71], v[68:69], v[66:67] op_sel:[1,1] op_sel_hi:[0,1]
	s_delay_alu instid0(VALU_DEP_1) | instskip(SKIP_1) | instid1(VALU_DEP_2)
	v_pk_fma_f32 v[72:73], v[68:69], v[66:67], v[70:71] op_sel_hi:[1,0,1]
	v_pk_fma_f32 v[66:67], v[68:69], v[66:67], v[70:71] neg_lo:[0,0,1] neg_hi:[0,0,1]
	v_mov_b32_e32 v67, v73
	s_cbranch_execz .LBB94_139
	s_branch .LBB94_140
.LBB94_138:
                                        ; implicit-def: $vgpr66_vgpr67
.LBB94_139:
	ds_load_b64 v[66:67], v1
.LBB94_140:
	s_and_saveexec_b32 s23, s0
	s_cbranch_execz .LBB94_144
; %bb.141:
	v_subrev_nc_u32_e32 v68, 17, v0
	s_movk_i32 s24, 0x188
	s_mov_b32 s0, 0
.LBB94_142:                             ; =>This Inner Loop Header: Depth=1
	scratch_load_b64 v[70:71], off, s21
	v_dual_mov_b32 v69, s24 :: v_dual_add_nc_u32 v68, -1, v68
	s_add_co_i32 s24, s24, 8
	s_wait_xcnt 0x0
	s_add_co_i32 s21, s21, 8
	ds_load_b64 v[72:73], v69
	v_cmp_eq_u32_e32 vcc_lo, 0, v68
	s_or_b32 s0, vcc_lo, s0
	s_wait_loadcnt_dscnt 0x0
	v_pk_mul_f32 v[74:75], v[72:73], v[70:71] op_sel:[1,1] op_sel_hi:[0,1]
	s_delay_alu instid0(VALU_DEP_1) | instskip(SKIP_1) | instid1(VALU_DEP_2)
	v_pk_fma_f32 v[76:77], v[72:73], v[70:71], v[74:75] op_sel_hi:[1,0,1]
	v_pk_fma_f32 v[70:71], v[72:73], v[70:71], v[74:75] neg_lo:[0,0,1] neg_hi:[0,0,1]
	v_mov_b32_e32 v71, v77
	s_delay_alu instid0(VALU_DEP_1)
	v_pk_add_f32 v[66:67], v[66:67], v[70:71]
	s_and_not1_b32 exec_lo, exec_lo, s0
	s_cbranch_execnz .LBB94_142
; %bb.143:
	s_or_b32 exec_lo, exec_lo, s0
.LBB94_144:
	s_delay_alu instid0(SALU_CYCLE_1) | instskip(SKIP_4) | instid1(VALU_DEP_1)
	s_or_b32 exec_lo, exec_lo, s23
	v_mov_b32_e32 v68, 0
	ds_load_b64 v[68:69], v68 offset:128
	s_wait_dscnt 0x0
	v_pk_mul_f32 v[70:71], v[66:67], v[68:69] op_sel:[1,1] op_sel_hi:[0,1]
	v_pk_fma_f32 v[72:73], v[66:67], v[68:69], v[70:71] op_sel_hi:[1,0,1]
	v_pk_fma_f32 v[66:67], v[66:67], v[68:69], v[70:71] neg_lo:[0,0,1] neg_hi:[0,0,1]
	s_delay_alu instid0(VALU_DEP_2)
	v_mov_b32_e32 v67, v73
	scratch_store_b64 off, v[66:67], off offset:128
.LBB94_145:
	s_wait_xcnt 0x0
	s_or_b32 exec_lo, exec_lo, s22
	scratch_load_b64 v[66:67], off, off offset:120
	v_cmp_lt_u32_e64 s0, 15, v0
	s_wait_loadcnt 0x0
	ds_store_b64 v1, v[66:67]
	s_wait_storecnt_dscnt 0x0
	s_barrier_signal -1
	s_barrier_wait -1
	s_wait_xcnt 0x0
	s_and_saveexec_b32 s21, s0
	s_cbranch_execz .LBB94_155
; %bb.146:
	s_and_not1_b32 vcc_lo, exec_lo, s5
	s_cbranch_vccnz .LBB94_148
; %bb.147:
	scratch_load_b64 v[66:67], v59, off
	ds_load_b64 v[68:69], v1
	s_wait_loadcnt_dscnt 0x0
	v_pk_mul_f32 v[70:71], v[68:69], v[66:67] op_sel:[1,1] op_sel_hi:[0,1]
	s_delay_alu instid0(VALU_DEP_1) | instskip(SKIP_1) | instid1(VALU_DEP_2)
	v_pk_fma_f32 v[72:73], v[68:69], v[66:67], v[70:71] op_sel_hi:[1,0,1]
	v_pk_fma_f32 v[66:67], v[68:69], v[66:67], v[70:71] neg_lo:[0,0,1] neg_hi:[0,0,1]
	v_mov_b32_e32 v67, v73
	s_cbranch_execz .LBB94_149
	s_branch .LBB94_150
.LBB94_148:
                                        ; implicit-def: $vgpr66_vgpr67
.LBB94_149:
	ds_load_b64 v[66:67], v1
.LBB94_150:
	s_and_saveexec_b32 s22, s1
	s_cbranch_execz .LBB94_154
; %bb.151:
	v_add_nc_u32_e32 v68, -16, v0
	s_movk_i32 s23, 0x180
	s_mov_b32 s1, 0
.LBB94_152:                             ; =>This Inner Loop Header: Depth=1
	scratch_load_b64 v[70:71], off, s20
	v_dual_mov_b32 v69, s23 :: v_dual_add_nc_u32 v68, -1, v68
	s_add_co_i32 s23, s23, 8
	s_wait_xcnt 0x0
	s_add_co_i32 s20, s20, 8
	ds_load_b64 v[72:73], v69
	v_cmp_eq_u32_e32 vcc_lo, 0, v68
	s_or_b32 s1, vcc_lo, s1
	s_wait_loadcnt_dscnt 0x0
	v_pk_mul_f32 v[74:75], v[72:73], v[70:71] op_sel:[1,1] op_sel_hi:[0,1]
	s_delay_alu instid0(VALU_DEP_1) | instskip(SKIP_1) | instid1(VALU_DEP_2)
	v_pk_fma_f32 v[76:77], v[72:73], v[70:71], v[74:75] op_sel_hi:[1,0,1]
	v_pk_fma_f32 v[70:71], v[72:73], v[70:71], v[74:75] neg_lo:[0,0,1] neg_hi:[0,0,1]
	v_mov_b32_e32 v71, v77
	s_delay_alu instid0(VALU_DEP_1)
	v_pk_add_f32 v[66:67], v[66:67], v[70:71]
	s_and_not1_b32 exec_lo, exec_lo, s1
	s_cbranch_execnz .LBB94_152
; %bb.153:
	s_or_b32 exec_lo, exec_lo, s1
.LBB94_154:
	s_delay_alu instid0(SALU_CYCLE_1) | instskip(SKIP_4) | instid1(VALU_DEP_1)
	s_or_b32 exec_lo, exec_lo, s22
	v_mov_b32_e32 v68, 0
	ds_load_b64 v[68:69], v68 offset:120
	s_wait_dscnt 0x0
	v_pk_mul_f32 v[70:71], v[66:67], v[68:69] op_sel:[1,1] op_sel_hi:[0,1]
	v_pk_fma_f32 v[72:73], v[66:67], v[68:69], v[70:71] op_sel_hi:[1,0,1]
	v_pk_fma_f32 v[66:67], v[66:67], v[68:69], v[70:71] neg_lo:[0,0,1] neg_hi:[0,0,1]
	s_delay_alu instid0(VALU_DEP_2)
	v_mov_b32_e32 v67, v73
	scratch_store_b64 off, v[66:67], off offset:120
.LBB94_155:
	s_wait_xcnt 0x0
	s_or_b32 exec_lo, exec_lo, s21
	scratch_load_b64 v[66:67], off, off offset:112
	v_cmp_lt_u32_e64 s1, 14, v0
	s_wait_loadcnt 0x0
	ds_store_b64 v1, v[66:67]
	s_wait_storecnt_dscnt 0x0
	s_barrier_signal -1
	s_barrier_wait -1
	s_wait_xcnt 0x0
	s_and_saveexec_b32 s20, s1
	s_cbranch_execz .LBB94_165
; %bb.156:
	s_and_not1_b32 vcc_lo, exec_lo, s5
	s_cbranch_vccnz .LBB94_158
; %bb.157:
	scratch_load_b64 v[66:67], v59, off
	ds_load_b64 v[68:69], v1
	s_wait_loadcnt_dscnt 0x0
	v_pk_mul_f32 v[70:71], v[68:69], v[66:67] op_sel:[1,1] op_sel_hi:[0,1]
	s_delay_alu instid0(VALU_DEP_1) | instskip(SKIP_1) | instid1(VALU_DEP_2)
	v_pk_fma_f32 v[72:73], v[68:69], v[66:67], v[70:71] op_sel_hi:[1,0,1]
	v_pk_fma_f32 v[66:67], v[68:69], v[66:67], v[70:71] neg_lo:[0,0,1] neg_hi:[0,0,1]
	v_mov_b32_e32 v67, v73
	s_cbranch_execz .LBB94_159
	s_branch .LBB94_160
.LBB94_158:
                                        ; implicit-def: $vgpr66_vgpr67
.LBB94_159:
	ds_load_b64 v[66:67], v1
.LBB94_160:
	s_and_saveexec_b32 s21, s0
	s_cbranch_execz .LBB94_164
; %bb.161:
	v_add_nc_u32_e32 v68, -15, v0
	s_movk_i32 s22, 0x178
	s_mov_b32 s0, 0
.LBB94_162:                             ; =>This Inner Loop Header: Depth=1
	scratch_load_b64 v[70:71], off, s19
	v_dual_mov_b32 v69, s22 :: v_dual_add_nc_u32 v68, -1, v68
	s_add_co_i32 s22, s22, 8
	s_wait_xcnt 0x0
	s_add_co_i32 s19, s19, 8
	ds_load_b64 v[72:73], v69
	v_cmp_eq_u32_e32 vcc_lo, 0, v68
	s_or_b32 s0, vcc_lo, s0
	s_wait_loadcnt_dscnt 0x0
	v_pk_mul_f32 v[74:75], v[72:73], v[70:71] op_sel:[1,1] op_sel_hi:[0,1]
	s_delay_alu instid0(VALU_DEP_1) | instskip(SKIP_1) | instid1(VALU_DEP_2)
	v_pk_fma_f32 v[76:77], v[72:73], v[70:71], v[74:75] op_sel_hi:[1,0,1]
	v_pk_fma_f32 v[70:71], v[72:73], v[70:71], v[74:75] neg_lo:[0,0,1] neg_hi:[0,0,1]
	v_mov_b32_e32 v71, v77
	s_delay_alu instid0(VALU_DEP_1)
	v_pk_add_f32 v[66:67], v[66:67], v[70:71]
	s_and_not1_b32 exec_lo, exec_lo, s0
	s_cbranch_execnz .LBB94_162
; %bb.163:
	s_or_b32 exec_lo, exec_lo, s0
.LBB94_164:
	s_delay_alu instid0(SALU_CYCLE_1) | instskip(SKIP_4) | instid1(VALU_DEP_1)
	s_or_b32 exec_lo, exec_lo, s21
	v_mov_b32_e32 v68, 0
	ds_load_b64 v[68:69], v68 offset:112
	s_wait_dscnt 0x0
	v_pk_mul_f32 v[70:71], v[66:67], v[68:69] op_sel:[1,1] op_sel_hi:[0,1]
	v_pk_fma_f32 v[72:73], v[66:67], v[68:69], v[70:71] op_sel_hi:[1,0,1]
	v_pk_fma_f32 v[66:67], v[66:67], v[68:69], v[70:71] neg_lo:[0,0,1] neg_hi:[0,0,1]
	s_delay_alu instid0(VALU_DEP_2)
	v_mov_b32_e32 v67, v73
	scratch_store_b64 off, v[66:67], off offset:112
.LBB94_165:
	s_wait_xcnt 0x0
	s_or_b32 exec_lo, exec_lo, s20
	scratch_load_b64 v[66:67], off, off offset:104
	v_cmp_lt_u32_e64 s0, 13, v0
	s_wait_loadcnt 0x0
	ds_store_b64 v1, v[66:67]
	s_wait_storecnt_dscnt 0x0
	s_barrier_signal -1
	s_barrier_wait -1
	s_wait_xcnt 0x0
	s_and_saveexec_b32 s19, s0
	s_cbranch_execz .LBB94_175
; %bb.166:
	s_and_not1_b32 vcc_lo, exec_lo, s5
	s_cbranch_vccnz .LBB94_168
; %bb.167:
	scratch_load_b64 v[66:67], v59, off
	ds_load_b64 v[68:69], v1
	s_wait_loadcnt_dscnt 0x0
	v_pk_mul_f32 v[70:71], v[68:69], v[66:67] op_sel:[1,1] op_sel_hi:[0,1]
	s_delay_alu instid0(VALU_DEP_1) | instskip(SKIP_1) | instid1(VALU_DEP_2)
	v_pk_fma_f32 v[72:73], v[68:69], v[66:67], v[70:71] op_sel_hi:[1,0,1]
	v_pk_fma_f32 v[66:67], v[68:69], v[66:67], v[70:71] neg_lo:[0,0,1] neg_hi:[0,0,1]
	v_mov_b32_e32 v67, v73
	s_cbranch_execz .LBB94_169
	s_branch .LBB94_170
.LBB94_168:
                                        ; implicit-def: $vgpr66_vgpr67
.LBB94_169:
	ds_load_b64 v[66:67], v1
.LBB94_170:
	s_and_saveexec_b32 s20, s1
	s_cbranch_execz .LBB94_174
; %bb.171:
	v_add_nc_u32_e32 v68, -14, v0
	s_movk_i32 s21, 0x170
	s_mov_b32 s1, 0
.LBB94_172:                             ; =>This Inner Loop Header: Depth=1
	scratch_load_b64 v[70:71], off, s18
	v_dual_mov_b32 v69, s21 :: v_dual_add_nc_u32 v68, -1, v68
	s_add_co_i32 s21, s21, 8
	s_wait_xcnt 0x0
	s_add_co_i32 s18, s18, 8
	ds_load_b64 v[72:73], v69
	v_cmp_eq_u32_e32 vcc_lo, 0, v68
	s_or_b32 s1, vcc_lo, s1
	s_wait_loadcnt_dscnt 0x0
	v_pk_mul_f32 v[74:75], v[72:73], v[70:71] op_sel:[1,1] op_sel_hi:[0,1]
	s_delay_alu instid0(VALU_DEP_1) | instskip(SKIP_1) | instid1(VALU_DEP_2)
	v_pk_fma_f32 v[76:77], v[72:73], v[70:71], v[74:75] op_sel_hi:[1,0,1]
	v_pk_fma_f32 v[70:71], v[72:73], v[70:71], v[74:75] neg_lo:[0,0,1] neg_hi:[0,0,1]
	v_mov_b32_e32 v71, v77
	s_delay_alu instid0(VALU_DEP_1)
	v_pk_add_f32 v[66:67], v[66:67], v[70:71]
	s_and_not1_b32 exec_lo, exec_lo, s1
	s_cbranch_execnz .LBB94_172
; %bb.173:
	s_or_b32 exec_lo, exec_lo, s1
.LBB94_174:
	s_delay_alu instid0(SALU_CYCLE_1) | instskip(SKIP_4) | instid1(VALU_DEP_1)
	s_or_b32 exec_lo, exec_lo, s20
	v_mov_b32_e32 v68, 0
	ds_load_b64 v[68:69], v68 offset:104
	s_wait_dscnt 0x0
	v_pk_mul_f32 v[70:71], v[66:67], v[68:69] op_sel:[1,1] op_sel_hi:[0,1]
	v_pk_fma_f32 v[72:73], v[66:67], v[68:69], v[70:71] op_sel_hi:[1,0,1]
	v_pk_fma_f32 v[66:67], v[66:67], v[68:69], v[70:71] neg_lo:[0,0,1] neg_hi:[0,0,1]
	s_delay_alu instid0(VALU_DEP_2)
	v_mov_b32_e32 v67, v73
	scratch_store_b64 off, v[66:67], off offset:104
.LBB94_175:
	s_wait_xcnt 0x0
	s_or_b32 exec_lo, exec_lo, s19
	scratch_load_b64 v[66:67], off, off offset:96
	v_cmp_lt_u32_e64 s1, 12, v0
	s_wait_loadcnt 0x0
	ds_store_b64 v1, v[66:67]
	s_wait_storecnt_dscnt 0x0
	s_barrier_signal -1
	s_barrier_wait -1
	s_wait_xcnt 0x0
	s_and_saveexec_b32 s18, s1
	s_cbranch_execz .LBB94_185
; %bb.176:
	s_and_not1_b32 vcc_lo, exec_lo, s5
	s_cbranch_vccnz .LBB94_178
; %bb.177:
	scratch_load_b64 v[66:67], v59, off
	ds_load_b64 v[68:69], v1
	s_wait_loadcnt_dscnt 0x0
	v_pk_mul_f32 v[70:71], v[68:69], v[66:67] op_sel:[1,1] op_sel_hi:[0,1]
	s_delay_alu instid0(VALU_DEP_1) | instskip(SKIP_1) | instid1(VALU_DEP_2)
	v_pk_fma_f32 v[72:73], v[68:69], v[66:67], v[70:71] op_sel_hi:[1,0,1]
	v_pk_fma_f32 v[66:67], v[68:69], v[66:67], v[70:71] neg_lo:[0,0,1] neg_hi:[0,0,1]
	v_mov_b32_e32 v67, v73
	s_cbranch_execz .LBB94_179
	s_branch .LBB94_180
.LBB94_178:
                                        ; implicit-def: $vgpr66_vgpr67
.LBB94_179:
	ds_load_b64 v[66:67], v1
.LBB94_180:
	s_and_saveexec_b32 s19, s0
	s_cbranch_execz .LBB94_184
; %bb.181:
	v_add_nc_u32_e32 v68, -13, v0
	s_movk_i32 s20, 0x168
	s_mov_b32 s0, 0
.LBB94_182:                             ; =>This Inner Loop Header: Depth=1
	scratch_load_b64 v[70:71], off, s17
	v_dual_mov_b32 v69, s20 :: v_dual_add_nc_u32 v68, -1, v68
	s_add_co_i32 s20, s20, 8
	s_wait_xcnt 0x0
	s_add_co_i32 s17, s17, 8
	ds_load_b64 v[72:73], v69
	v_cmp_eq_u32_e32 vcc_lo, 0, v68
	s_or_b32 s0, vcc_lo, s0
	s_wait_loadcnt_dscnt 0x0
	v_pk_mul_f32 v[74:75], v[72:73], v[70:71] op_sel:[1,1] op_sel_hi:[0,1]
	s_delay_alu instid0(VALU_DEP_1) | instskip(SKIP_1) | instid1(VALU_DEP_2)
	v_pk_fma_f32 v[76:77], v[72:73], v[70:71], v[74:75] op_sel_hi:[1,0,1]
	v_pk_fma_f32 v[70:71], v[72:73], v[70:71], v[74:75] neg_lo:[0,0,1] neg_hi:[0,0,1]
	v_mov_b32_e32 v71, v77
	s_delay_alu instid0(VALU_DEP_1)
	v_pk_add_f32 v[66:67], v[66:67], v[70:71]
	s_and_not1_b32 exec_lo, exec_lo, s0
	s_cbranch_execnz .LBB94_182
; %bb.183:
	s_or_b32 exec_lo, exec_lo, s0
.LBB94_184:
	s_delay_alu instid0(SALU_CYCLE_1) | instskip(SKIP_4) | instid1(VALU_DEP_1)
	s_or_b32 exec_lo, exec_lo, s19
	v_mov_b32_e32 v68, 0
	ds_load_b64 v[68:69], v68 offset:96
	s_wait_dscnt 0x0
	v_pk_mul_f32 v[70:71], v[66:67], v[68:69] op_sel:[1,1] op_sel_hi:[0,1]
	v_pk_fma_f32 v[72:73], v[66:67], v[68:69], v[70:71] op_sel_hi:[1,0,1]
	v_pk_fma_f32 v[66:67], v[66:67], v[68:69], v[70:71] neg_lo:[0,0,1] neg_hi:[0,0,1]
	s_delay_alu instid0(VALU_DEP_2)
	v_mov_b32_e32 v67, v73
	scratch_store_b64 off, v[66:67], off offset:96
.LBB94_185:
	s_wait_xcnt 0x0
	s_or_b32 exec_lo, exec_lo, s18
	scratch_load_b64 v[66:67], off, off offset:88
	v_cmp_lt_u32_e64 s0, 11, v0
	s_wait_loadcnt 0x0
	ds_store_b64 v1, v[66:67]
	s_wait_storecnt_dscnt 0x0
	s_barrier_signal -1
	s_barrier_wait -1
	s_wait_xcnt 0x0
	s_and_saveexec_b32 s17, s0
	s_cbranch_execz .LBB94_195
; %bb.186:
	s_and_not1_b32 vcc_lo, exec_lo, s5
	s_cbranch_vccnz .LBB94_188
; %bb.187:
	scratch_load_b64 v[66:67], v59, off
	ds_load_b64 v[68:69], v1
	s_wait_loadcnt_dscnt 0x0
	v_pk_mul_f32 v[70:71], v[68:69], v[66:67] op_sel:[1,1] op_sel_hi:[0,1]
	s_delay_alu instid0(VALU_DEP_1) | instskip(SKIP_1) | instid1(VALU_DEP_2)
	v_pk_fma_f32 v[72:73], v[68:69], v[66:67], v[70:71] op_sel_hi:[1,0,1]
	v_pk_fma_f32 v[66:67], v[68:69], v[66:67], v[70:71] neg_lo:[0,0,1] neg_hi:[0,0,1]
	v_mov_b32_e32 v67, v73
	s_cbranch_execz .LBB94_189
	s_branch .LBB94_190
.LBB94_188:
                                        ; implicit-def: $vgpr66_vgpr67
.LBB94_189:
	ds_load_b64 v[66:67], v1
.LBB94_190:
	s_and_saveexec_b32 s18, s1
	s_cbranch_execz .LBB94_194
; %bb.191:
	v_add_nc_u32_e32 v68, -12, v0
	s_movk_i32 s19, 0x160
	s_mov_b32 s1, 0
.LBB94_192:                             ; =>This Inner Loop Header: Depth=1
	scratch_load_b64 v[70:71], off, s16
	v_dual_mov_b32 v69, s19 :: v_dual_add_nc_u32 v68, -1, v68
	s_add_co_i32 s19, s19, 8
	s_wait_xcnt 0x0
	s_add_co_i32 s16, s16, 8
	ds_load_b64 v[72:73], v69
	v_cmp_eq_u32_e32 vcc_lo, 0, v68
	s_or_b32 s1, vcc_lo, s1
	s_wait_loadcnt_dscnt 0x0
	v_pk_mul_f32 v[74:75], v[72:73], v[70:71] op_sel:[1,1] op_sel_hi:[0,1]
	s_delay_alu instid0(VALU_DEP_1) | instskip(SKIP_1) | instid1(VALU_DEP_2)
	v_pk_fma_f32 v[76:77], v[72:73], v[70:71], v[74:75] op_sel_hi:[1,0,1]
	v_pk_fma_f32 v[70:71], v[72:73], v[70:71], v[74:75] neg_lo:[0,0,1] neg_hi:[0,0,1]
	v_mov_b32_e32 v71, v77
	s_delay_alu instid0(VALU_DEP_1)
	v_pk_add_f32 v[66:67], v[66:67], v[70:71]
	s_and_not1_b32 exec_lo, exec_lo, s1
	s_cbranch_execnz .LBB94_192
; %bb.193:
	s_or_b32 exec_lo, exec_lo, s1
.LBB94_194:
	s_delay_alu instid0(SALU_CYCLE_1) | instskip(SKIP_4) | instid1(VALU_DEP_1)
	s_or_b32 exec_lo, exec_lo, s18
	v_mov_b32_e32 v68, 0
	ds_load_b64 v[68:69], v68 offset:88
	s_wait_dscnt 0x0
	v_pk_mul_f32 v[70:71], v[66:67], v[68:69] op_sel:[1,1] op_sel_hi:[0,1]
	v_pk_fma_f32 v[72:73], v[66:67], v[68:69], v[70:71] op_sel_hi:[1,0,1]
	v_pk_fma_f32 v[66:67], v[66:67], v[68:69], v[70:71] neg_lo:[0,0,1] neg_hi:[0,0,1]
	s_delay_alu instid0(VALU_DEP_2)
	v_mov_b32_e32 v67, v73
	scratch_store_b64 off, v[66:67], off offset:88
.LBB94_195:
	s_wait_xcnt 0x0
	s_or_b32 exec_lo, exec_lo, s17
	scratch_load_b64 v[66:67], off, off offset:80
	v_cmp_lt_u32_e64 s1, 10, v0
	s_wait_loadcnt 0x0
	ds_store_b64 v1, v[66:67]
	s_wait_storecnt_dscnt 0x0
	s_barrier_signal -1
	s_barrier_wait -1
	s_wait_xcnt 0x0
	s_and_saveexec_b32 s16, s1
	s_cbranch_execz .LBB94_205
; %bb.196:
	s_and_not1_b32 vcc_lo, exec_lo, s5
	s_cbranch_vccnz .LBB94_198
; %bb.197:
	scratch_load_b64 v[66:67], v59, off
	ds_load_b64 v[68:69], v1
	s_wait_loadcnt_dscnt 0x0
	v_pk_mul_f32 v[70:71], v[68:69], v[66:67] op_sel:[1,1] op_sel_hi:[0,1]
	s_delay_alu instid0(VALU_DEP_1) | instskip(SKIP_1) | instid1(VALU_DEP_2)
	v_pk_fma_f32 v[72:73], v[68:69], v[66:67], v[70:71] op_sel_hi:[1,0,1]
	v_pk_fma_f32 v[66:67], v[68:69], v[66:67], v[70:71] neg_lo:[0,0,1] neg_hi:[0,0,1]
	v_mov_b32_e32 v67, v73
	s_cbranch_execz .LBB94_199
	s_branch .LBB94_200
.LBB94_198:
                                        ; implicit-def: $vgpr66_vgpr67
.LBB94_199:
	ds_load_b64 v[66:67], v1
.LBB94_200:
	s_and_saveexec_b32 s17, s0
	s_cbranch_execz .LBB94_204
; %bb.201:
	v_add_nc_u32_e32 v68, -11, v0
	s_movk_i32 s18, 0x158
	s_mov_b32 s0, 0
.LBB94_202:                             ; =>This Inner Loop Header: Depth=1
	scratch_load_b64 v[70:71], off, s15
	v_dual_mov_b32 v69, s18 :: v_dual_add_nc_u32 v68, -1, v68
	s_add_co_i32 s18, s18, 8
	s_wait_xcnt 0x0
	s_add_co_i32 s15, s15, 8
	ds_load_b64 v[72:73], v69
	v_cmp_eq_u32_e32 vcc_lo, 0, v68
	s_or_b32 s0, vcc_lo, s0
	s_wait_loadcnt_dscnt 0x0
	v_pk_mul_f32 v[74:75], v[72:73], v[70:71] op_sel:[1,1] op_sel_hi:[0,1]
	s_delay_alu instid0(VALU_DEP_1) | instskip(SKIP_1) | instid1(VALU_DEP_2)
	v_pk_fma_f32 v[76:77], v[72:73], v[70:71], v[74:75] op_sel_hi:[1,0,1]
	v_pk_fma_f32 v[70:71], v[72:73], v[70:71], v[74:75] neg_lo:[0,0,1] neg_hi:[0,0,1]
	v_mov_b32_e32 v71, v77
	s_delay_alu instid0(VALU_DEP_1)
	v_pk_add_f32 v[66:67], v[66:67], v[70:71]
	s_and_not1_b32 exec_lo, exec_lo, s0
	s_cbranch_execnz .LBB94_202
; %bb.203:
	s_or_b32 exec_lo, exec_lo, s0
.LBB94_204:
	s_delay_alu instid0(SALU_CYCLE_1) | instskip(SKIP_4) | instid1(VALU_DEP_1)
	s_or_b32 exec_lo, exec_lo, s17
	v_mov_b32_e32 v68, 0
	ds_load_b64 v[68:69], v68 offset:80
	s_wait_dscnt 0x0
	v_pk_mul_f32 v[70:71], v[66:67], v[68:69] op_sel:[1,1] op_sel_hi:[0,1]
	v_pk_fma_f32 v[72:73], v[66:67], v[68:69], v[70:71] op_sel_hi:[1,0,1]
	v_pk_fma_f32 v[66:67], v[66:67], v[68:69], v[70:71] neg_lo:[0,0,1] neg_hi:[0,0,1]
	s_delay_alu instid0(VALU_DEP_2)
	v_mov_b32_e32 v67, v73
	scratch_store_b64 off, v[66:67], off offset:80
.LBB94_205:
	s_wait_xcnt 0x0
	s_or_b32 exec_lo, exec_lo, s16
	scratch_load_b64 v[66:67], off, off offset:72
	v_cmp_lt_u32_e64 s0, 9, v0
	s_wait_loadcnt 0x0
	ds_store_b64 v1, v[66:67]
	s_wait_storecnt_dscnt 0x0
	s_barrier_signal -1
	s_barrier_wait -1
	s_wait_xcnt 0x0
	s_and_saveexec_b32 s15, s0
	s_cbranch_execz .LBB94_215
; %bb.206:
	s_and_not1_b32 vcc_lo, exec_lo, s5
	s_cbranch_vccnz .LBB94_208
; %bb.207:
	scratch_load_b64 v[66:67], v59, off
	ds_load_b64 v[68:69], v1
	s_wait_loadcnt_dscnt 0x0
	v_pk_mul_f32 v[70:71], v[68:69], v[66:67] op_sel:[1,1] op_sel_hi:[0,1]
	s_delay_alu instid0(VALU_DEP_1) | instskip(SKIP_1) | instid1(VALU_DEP_2)
	v_pk_fma_f32 v[72:73], v[68:69], v[66:67], v[70:71] op_sel_hi:[1,0,1]
	v_pk_fma_f32 v[66:67], v[68:69], v[66:67], v[70:71] neg_lo:[0,0,1] neg_hi:[0,0,1]
	v_mov_b32_e32 v67, v73
	s_cbranch_execz .LBB94_209
	s_branch .LBB94_210
.LBB94_208:
                                        ; implicit-def: $vgpr66_vgpr67
.LBB94_209:
	ds_load_b64 v[66:67], v1
.LBB94_210:
	s_and_saveexec_b32 s16, s1
	s_cbranch_execz .LBB94_214
; %bb.211:
	v_add_nc_u32_e32 v68, -10, v0
	s_movk_i32 s17, 0x150
	s_mov_b32 s1, 0
.LBB94_212:                             ; =>This Inner Loop Header: Depth=1
	scratch_load_b64 v[70:71], off, s14
	v_dual_mov_b32 v69, s17 :: v_dual_add_nc_u32 v68, -1, v68
	s_add_co_i32 s17, s17, 8
	s_wait_xcnt 0x0
	s_add_co_i32 s14, s14, 8
	ds_load_b64 v[72:73], v69
	v_cmp_eq_u32_e32 vcc_lo, 0, v68
	s_or_b32 s1, vcc_lo, s1
	s_wait_loadcnt_dscnt 0x0
	v_pk_mul_f32 v[74:75], v[72:73], v[70:71] op_sel:[1,1] op_sel_hi:[0,1]
	s_delay_alu instid0(VALU_DEP_1) | instskip(SKIP_1) | instid1(VALU_DEP_2)
	v_pk_fma_f32 v[76:77], v[72:73], v[70:71], v[74:75] op_sel_hi:[1,0,1]
	v_pk_fma_f32 v[70:71], v[72:73], v[70:71], v[74:75] neg_lo:[0,0,1] neg_hi:[0,0,1]
	v_mov_b32_e32 v71, v77
	s_delay_alu instid0(VALU_DEP_1)
	v_pk_add_f32 v[66:67], v[66:67], v[70:71]
	s_and_not1_b32 exec_lo, exec_lo, s1
	s_cbranch_execnz .LBB94_212
; %bb.213:
	s_or_b32 exec_lo, exec_lo, s1
.LBB94_214:
	s_delay_alu instid0(SALU_CYCLE_1) | instskip(SKIP_4) | instid1(VALU_DEP_1)
	s_or_b32 exec_lo, exec_lo, s16
	v_mov_b32_e32 v68, 0
	ds_load_b64 v[68:69], v68 offset:72
	s_wait_dscnt 0x0
	v_pk_mul_f32 v[70:71], v[66:67], v[68:69] op_sel:[1,1] op_sel_hi:[0,1]
	v_pk_fma_f32 v[72:73], v[66:67], v[68:69], v[70:71] op_sel_hi:[1,0,1]
	v_pk_fma_f32 v[66:67], v[66:67], v[68:69], v[70:71] neg_lo:[0,0,1] neg_hi:[0,0,1]
	s_delay_alu instid0(VALU_DEP_2)
	v_mov_b32_e32 v67, v73
	scratch_store_b64 off, v[66:67], off offset:72
.LBB94_215:
	s_wait_xcnt 0x0
	s_or_b32 exec_lo, exec_lo, s15
	scratch_load_b64 v[66:67], off, off offset:64
	v_cmp_lt_u32_e64 s1, 8, v0
	s_wait_loadcnt 0x0
	ds_store_b64 v1, v[66:67]
	s_wait_storecnt_dscnt 0x0
	s_barrier_signal -1
	s_barrier_wait -1
	s_wait_xcnt 0x0
	s_and_saveexec_b32 s14, s1
	s_cbranch_execz .LBB94_225
; %bb.216:
	s_and_not1_b32 vcc_lo, exec_lo, s5
	s_cbranch_vccnz .LBB94_218
; %bb.217:
	scratch_load_b64 v[66:67], v59, off
	ds_load_b64 v[68:69], v1
	s_wait_loadcnt_dscnt 0x0
	v_pk_mul_f32 v[70:71], v[68:69], v[66:67] op_sel:[1,1] op_sel_hi:[0,1]
	s_delay_alu instid0(VALU_DEP_1) | instskip(SKIP_1) | instid1(VALU_DEP_2)
	v_pk_fma_f32 v[72:73], v[68:69], v[66:67], v[70:71] op_sel_hi:[1,0,1]
	v_pk_fma_f32 v[66:67], v[68:69], v[66:67], v[70:71] neg_lo:[0,0,1] neg_hi:[0,0,1]
	v_mov_b32_e32 v67, v73
	s_cbranch_execz .LBB94_219
	s_branch .LBB94_220
.LBB94_218:
                                        ; implicit-def: $vgpr66_vgpr67
.LBB94_219:
	ds_load_b64 v[66:67], v1
.LBB94_220:
	s_and_saveexec_b32 s15, s0
	s_cbranch_execz .LBB94_224
; %bb.221:
	v_add_nc_u32_e32 v68, -9, v0
	s_movk_i32 s16, 0x148
	s_mov_b32 s0, 0
.LBB94_222:                             ; =>This Inner Loop Header: Depth=1
	scratch_load_b64 v[70:71], off, s13
	v_dual_mov_b32 v69, s16 :: v_dual_add_nc_u32 v68, -1, v68
	s_add_co_i32 s16, s16, 8
	s_wait_xcnt 0x0
	s_add_co_i32 s13, s13, 8
	ds_load_b64 v[72:73], v69
	v_cmp_eq_u32_e32 vcc_lo, 0, v68
	s_or_b32 s0, vcc_lo, s0
	s_wait_loadcnt_dscnt 0x0
	v_pk_mul_f32 v[74:75], v[72:73], v[70:71] op_sel:[1,1] op_sel_hi:[0,1]
	s_delay_alu instid0(VALU_DEP_1) | instskip(SKIP_1) | instid1(VALU_DEP_2)
	v_pk_fma_f32 v[76:77], v[72:73], v[70:71], v[74:75] op_sel_hi:[1,0,1]
	v_pk_fma_f32 v[70:71], v[72:73], v[70:71], v[74:75] neg_lo:[0,0,1] neg_hi:[0,0,1]
	v_mov_b32_e32 v71, v77
	s_delay_alu instid0(VALU_DEP_1)
	v_pk_add_f32 v[66:67], v[66:67], v[70:71]
	s_and_not1_b32 exec_lo, exec_lo, s0
	s_cbranch_execnz .LBB94_222
; %bb.223:
	s_or_b32 exec_lo, exec_lo, s0
.LBB94_224:
	s_delay_alu instid0(SALU_CYCLE_1) | instskip(SKIP_4) | instid1(VALU_DEP_1)
	s_or_b32 exec_lo, exec_lo, s15
	v_mov_b32_e32 v68, 0
	ds_load_b64 v[68:69], v68 offset:64
	s_wait_dscnt 0x0
	v_pk_mul_f32 v[70:71], v[66:67], v[68:69] op_sel:[1,1] op_sel_hi:[0,1]
	v_pk_fma_f32 v[72:73], v[66:67], v[68:69], v[70:71] op_sel_hi:[1,0,1]
	v_pk_fma_f32 v[66:67], v[66:67], v[68:69], v[70:71] neg_lo:[0,0,1] neg_hi:[0,0,1]
	s_delay_alu instid0(VALU_DEP_2)
	v_mov_b32_e32 v67, v73
	scratch_store_b64 off, v[66:67], off offset:64
.LBB94_225:
	s_wait_xcnt 0x0
	s_or_b32 exec_lo, exec_lo, s14
	scratch_load_b64 v[66:67], off, off offset:56
	v_cmp_lt_u32_e64 s0, 7, v0
	s_wait_loadcnt 0x0
	ds_store_b64 v1, v[66:67]
	s_wait_storecnt_dscnt 0x0
	s_barrier_signal -1
	s_barrier_wait -1
	s_wait_xcnt 0x0
	s_and_saveexec_b32 s13, s0
	s_cbranch_execz .LBB94_235
; %bb.226:
	s_and_not1_b32 vcc_lo, exec_lo, s5
	s_cbranch_vccnz .LBB94_228
; %bb.227:
	scratch_load_b64 v[66:67], v59, off
	ds_load_b64 v[68:69], v1
	s_wait_loadcnt_dscnt 0x0
	v_pk_mul_f32 v[70:71], v[68:69], v[66:67] op_sel:[1,1] op_sel_hi:[0,1]
	s_delay_alu instid0(VALU_DEP_1) | instskip(SKIP_1) | instid1(VALU_DEP_2)
	v_pk_fma_f32 v[72:73], v[68:69], v[66:67], v[70:71] op_sel_hi:[1,0,1]
	v_pk_fma_f32 v[66:67], v[68:69], v[66:67], v[70:71] neg_lo:[0,0,1] neg_hi:[0,0,1]
	v_mov_b32_e32 v67, v73
	s_cbranch_execz .LBB94_229
	s_branch .LBB94_230
.LBB94_228:
                                        ; implicit-def: $vgpr66_vgpr67
.LBB94_229:
	ds_load_b64 v[66:67], v1
.LBB94_230:
	s_and_saveexec_b32 s14, s1
	s_cbranch_execz .LBB94_234
; %bb.231:
	v_add_nc_u32_e32 v68, -8, v0
	s_movk_i32 s15, 0x140
	s_mov_b32 s1, 0
.LBB94_232:                             ; =>This Inner Loop Header: Depth=1
	scratch_load_b64 v[70:71], off, s12
	v_dual_mov_b32 v69, s15 :: v_dual_add_nc_u32 v68, -1, v68
	s_add_co_i32 s15, s15, 8
	s_wait_xcnt 0x0
	s_add_co_i32 s12, s12, 8
	ds_load_b64 v[72:73], v69
	v_cmp_eq_u32_e32 vcc_lo, 0, v68
	s_or_b32 s1, vcc_lo, s1
	s_wait_loadcnt_dscnt 0x0
	v_pk_mul_f32 v[74:75], v[72:73], v[70:71] op_sel:[1,1] op_sel_hi:[0,1]
	s_delay_alu instid0(VALU_DEP_1) | instskip(SKIP_1) | instid1(VALU_DEP_2)
	v_pk_fma_f32 v[76:77], v[72:73], v[70:71], v[74:75] op_sel_hi:[1,0,1]
	v_pk_fma_f32 v[70:71], v[72:73], v[70:71], v[74:75] neg_lo:[0,0,1] neg_hi:[0,0,1]
	v_mov_b32_e32 v71, v77
	s_delay_alu instid0(VALU_DEP_1)
	v_pk_add_f32 v[66:67], v[66:67], v[70:71]
	s_and_not1_b32 exec_lo, exec_lo, s1
	s_cbranch_execnz .LBB94_232
; %bb.233:
	s_or_b32 exec_lo, exec_lo, s1
.LBB94_234:
	s_delay_alu instid0(SALU_CYCLE_1) | instskip(SKIP_4) | instid1(VALU_DEP_1)
	s_or_b32 exec_lo, exec_lo, s14
	v_mov_b32_e32 v68, 0
	ds_load_b64 v[68:69], v68 offset:56
	s_wait_dscnt 0x0
	v_pk_mul_f32 v[70:71], v[66:67], v[68:69] op_sel:[1,1] op_sel_hi:[0,1]
	v_pk_fma_f32 v[72:73], v[66:67], v[68:69], v[70:71] op_sel_hi:[1,0,1]
	v_pk_fma_f32 v[66:67], v[66:67], v[68:69], v[70:71] neg_lo:[0,0,1] neg_hi:[0,0,1]
	s_delay_alu instid0(VALU_DEP_2)
	v_mov_b32_e32 v67, v73
	scratch_store_b64 off, v[66:67], off offset:56
.LBB94_235:
	s_wait_xcnt 0x0
	s_or_b32 exec_lo, exec_lo, s13
	scratch_load_b64 v[66:67], off, off offset:48
	v_cmp_lt_u32_e64 s1, 6, v0
	s_wait_loadcnt 0x0
	ds_store_b64 v1, v[66:67]
	s_wait_storecnt_dscnt 0x0
	s_barrier_signal -1
	s_barrier_wait -1
	s_wait_xcnt 0x0
	s_and_saveexec_b32 s12, s1
	s_cbranch_execz .LBB94_245
; %bb.236:
	s_and_not1_b32 vcc_lo, exec_lo, s5
	s_cbranch_vccnz .LBB94_238
; %bb.237:
	scratch_load_b64 v[66:67], v59, off
	ds_load_b64 v[68:69], v1
	s_wait_loadcnt_dscnt 0x0
	v_pk_mul_f32 v[70:71], v[68:69], v[66:67] op_sel:[1,1] op_sel_hi:[0,1]
	s_delay_alu instid0(VALU_DEP_1) | instskip(SKIP_1) | instid1(VALU_DEP_2)
	v_pk_fma_f32 v[72:73], v[68:69], v[66:67], v[70:71] op_sel_hi:[1,0,1]
	v_pk_fma_f32 v[66:67], v[68:69], v[66:67], v[70:71] neg_lo:[0,0,1] neg_hi:[0,0,1]
	v_mov_b32_e32 v67, v73
	s_cbranch_execz .LBB94_239
	s_branch .LBB94_240
.LBB94_238:
                                        ; implicit-def: $vgpr66_vgpr67
.LBB94_239:
	ds_load_b64 v[66:67], v1
.LBB94_240:
	s_and_saveexec_b32 s13, s0
	s_cbranch_execz .LBB94_244
; %bb.241:
	v_add_nc_u32_e32 v68, -7, v0
	s_movk_i32 s14, 0x138
	s_mov_b32 s0, 0
.LBB94_242:                             ; =>This Inner Loop Header: Depth=1
	scratch_load_b64 v[70:71], off, s11
	v_dual_mov_b32 v69, s14 :: v_dual_add_nc_u32 v68, -1, v68
	s_add_co_i32 s14, s14, 8
	s_wait_xcnt 0x0
	s_add_co_i32 s11, s11, 8
	ds_load_b64 v[72:73], v69
	v_cmp_eq_u32_e32 vcc_lo, 0, v68
	s_or_b32 s0, vcc_lo, s0
	s_wait_loadcnt_dscnt 0x0
	v_pk_mul_f32 v[74:75], v[72:73], v[70:71] op_sel:[1,1] op_sel_hi:[0,1]
	s_delay_alu instid0(VALU_DEP_1) | instskip(SKIP_1) | instid1(VALU_DEP_2)
	v_pk_fma_f32 v[76:77], v[72:73], v[70:71], v[74:75] op_sel_hi:[1,0,1]
	v_pk_fma_f32 v[70:71], v[72:73], v[70:71], v[74:75] neg_lo:[0,0,1] neg_hi:[0,0,1]
	v_mov_b32_e32 v71, v77
	s_delay_alu instid0(VALU_DEP_1)
	v_pk_add_f32 v[66:67], v[66:67], v[70:71]
	s_and_not1_b32 exec_lo, exec_lo, s0
	s_cbranch_execnz .LBB94_242
; %bb.243:
	s_or_b32 exec_lo, exec_lo, s0
.LBB94_244:
	s_delay_alu instid0(SALU_CYCLE_1) | instskip(SKIP_4) | instid1(VALU_DEP_1)
	s_or_b32 exec_lo, exec_lo, s13
	v_mov_b32_e32 v68, 0
	ds_load_b64 v[68:69], v68 offset:48
	s_wait_dscnt 0x0
	v_pk_mul_f32 v[70:71], v[66:67], v[68:69] op_sel:[1,1] op_sel_hi:[0,1]
	v_pk_fma_f32 v[72:73], v[66:67], v[68:69], v[70:71] op_sel_hi:[1,0,1]
	v_pk_fma_f32 v[66:67], v[66:67], v[68:69], v[70:71] neg_lo:[0,0,1] neg_hi:[0,0,1]
	s_delay_alu instid0(VALU_DEP_2)
	v_mov_b32_e32 v67, v73
	scratch_store_b64 off, v[66:67], off offset:48
.LBB94_245:
	s_wait_xcnt 0x0
	s_or_b32 exec_lo, exec_lo, s12
	scratch_load_b64 v[66:67], off, off offset:40
	v_cmp_lt_u32_e64 s0, 5, v0
	s_wait_loadcnt 0x0
	ds_store_b64 v1, v[66:67]
	s_wait_storecnt_dscnt 0x0
	s_barrier_signal -1
	s_barrier_wait -1
	s_wait_xcnt 0x0
	s_and_saveexec_b32 s11, s0
	s_cbranch_execz .LBB94_255
; %bb.246:
	s_and_not1_b32 vcc_lo, exec_lo, s5
	s_cbranch_vccnz .LBB94_248
; %bb.247:
	scratch_load_b64 v[66:67], v59, off
	ds_load_b64 v[68:69], v1
	s_wait_loadcnt_dscnt 0x0
	v_pk_mul_f32 v[70:71], v[68:69], v[66:67] op_sel:[1,1] op_sel_hi:[0,1]
	s_delay_alu instid0(VALU_DEP_1) | instskip(SKIP_1) | instid1(VALU_DEP_2)
	v_pk_fma_f32 v[72:73], v[68:69], v[66:67], v[70:71] op_sel_hi:[1,0,1]
	v_pk_fma_f32 v[66:67], v[68:69], v[66:67], v[70:71] neg_lo:[0,0,1] neg_hi:[0,0,1]
	v_mov_b32_e32 v67, v73
	s_cbranch_execz .LBB94_249
	s_branch .LBB94_250
.LBB94_248:
                                        ; implicit-def: $vgpr66_vgpr67
.LBB94_249:
	ds_load_b64 v[66:67], v1
.LBB94_250:
	s_and_saveexec_b32 s12, s1
	s_cbranch_execz .LBB94_254
; %bb.251:
	v_add_nc_u32_e32 v68, -6, v0
	s_movk_i32 s13, 0x130
	s_mov_b32 s1, 0
.LBB94_252:                             ; =>This Inner Loop Header: Depth=1
	scratch_load_b64 v[70:71], off, s10
	v_dual_mov_b32 v69, s13 :: v_dual_add_nc_u32 v68, -1, v68
	s_add_co_i32 s13, s13, 8
	s_wait_xcnt 0x0
	s_add_co_i32 s10, s10, 8
	ds_load_b64 v[72:73], v69
	v_cmp_eq_u32_e32 vcc_lo, 0, v68
	s_or_b32 s1, vcc_lo, s1
	s_wait_loadcnt_dscnt 0x0
	v_pk_mul_f32 v[74:75], v[72:73], v[70:71] op_sel:[1,1] op_sel_hi:[0,1]
	s_delay_alu instid0(VALU_DEP_1) | instskip(SKIP_1) | instid1(VALU_DEP_2)
	v_pk_fma_f32 v[76:77], v[72:73], v[70:71], v[74:75] op_sel_hi:[1,0,1]
	v_pk_fma_f32 v[70:71], v[72:73], v[70:71], v[74:75] neg_lo:[0,0,1] neg_hi:[0,0,1]
	v_mov_b32_e32 v71, v77
	s_delay_alu instid0(VALU_DEP_1)
	v_pk_add_f32 v[66:67], v[66:67], v[70:71]
	s_and_not1_b32 exec_lo, exec_lo, s1
	s_cbranch_execnz .LBB94_252
; %bb.253:
	s_or_b32 exec_lo, exec_lo, s1
.LBB94_254:
	s_delay_alu instid0(SALU_CYCLE_1) | instskip(SKIP_4) | instid1(VALU_DEP_1)
	s_or_b32 exec_lo, exec_lo, s12
	v_mov_b32_e32 v68, 0
	ds_load_b64 v[68:69], v68 offset:40
	s_wait_dscnt 0x0
	v_pk_mul_f32 v[70:71], v[66:67], v[68:69] op_sel:[1,1] op_sel_hi:[0,1]
	v_pk_fma_f32 v[72:73], v[66:67], v[68:69], v[70:71] op_sel_hi:[1,0,1]
	v_pk_fma_f32 v[66:67], v[66:67], v[68:69], v[70:71] neg_lo:[0,0,1] neg_hi:[0,0,1]
	s_delay_alu instid0(VALU_DEP_2)
	v_mov_b32_e32 v67, v73
	scratch_store_b64 off, v[66:67], off offset:40
.LBB94_255:
	s_wait_xcnt 0x0
	s_or_b32 exec_lo, exec_lo, s11
	scratch_load_b64 v[66:67], off, off offset:32
	v_cmp_lt_u32_e64 s1, 4, v0
	s_wait_loadcnt 0x0
	ds_store_b64 v1, v[66:67]
	s_wait_storecnt_dscnt 0x0
	s_barrier_signal -1
	s_barrier_wait -1
	s_wait_xcnt 0x0
	s_and_saveexec_b32 s10, s1
	s_cbranch_execz .LBB94_265
; %bb.256:
	s_and_not1_b32 vcc_lo, exec_lo, s5
	s_cbranch_vccnz .LBB94_258
; %bb.257:
	scratch_load_b64 v[66:67], v59, off
	ds_load_b64 v[68:69], v1
	s_wait_loadcnt_dscnt 0x0
	v_pk_mul_f32 v[70:71], v[68:69], v[66:67] op_sel:[1,1] op_sel_hi:[0,1]
	s_delay_alu instid0(VALU_DEP_1) | instskip(SKIP_1) | instid1(VALU_DEP_2)
	v_pk_fma_f32 v[72:73], v[68:69], v[66:67], v[70:71] op_sel_hi:[1,0,1]
	v_pk_fma_f32 v[66:67], v[68:69], v[66:67], v[70:71] neg_lo:[0,0,1] neg_hi:[0,0,1]
	v_mov_b32_e32 v67, v73
	s_cbranch_execz .LBB94_259
	s_branch .LBB94_260
.LBB94_258:
                                        ; implicit-def: $vgpr66_vgpr67
.LBB94_259:
	ds_load_b64 v[66:67], v1
.LBB94_260:
	s_and_saveexec_b32 s11, s0
	s_cbranch_execz .LBB94_264
; %bb.261:
	v_add_nc_u32_e32 v68, -5, v0
	s_movk_i32 s12, 0x128
	s_mov_b32 s0, 0
.LBB94_262:                             ; =>This Inner Loop Header: Depth=1
	scratch_load_b64 v[70:71], off, s9
	v_dual_mov_b32 v69, s12 :: v_dual_add_nc_u32 v68, -1, v68
	s_add_co_i32 s12, s12, 8
	s_wait_xcnt 0x0
	s_add_co_i32 s9, s9, 8
	ds_load_b64 v[72:73], v69
	v_cmp_eq_u32_e32 vcc_lo, 0, v68
	s_or_b32 s0, vcc_lo, s0
	s_wait_loadcnt_dscnt 0x0
	v_pk_mul_f32 v[74:75], v[72:73], v[70:71] op_sel:[1,1] op_sel_hi:[0,1]
	s_delay_alu instid0(VALU_DEP_1) | instskip(SKIP_1) | instid1(VALU_DEP_2)
	v_pk_fma_f32 v[76:77], v[72:73], v[70:71], v[74:75] op_sel_hi:[1,0,1]
	v_pk_fma_f32 v[70:71], v[72:73], v[70:71], v[74:75] neg_lo:[0,0,1] neg_hi:[0,0,1]
	v_mov_b32_e32 v71, v77
	s_delay_alu instid0(VALU_DEP_1)
	v_pk_add_f32 v[66:67], v[66:67], v[70:71]
	s_and_not1_b32 exec_lo, exec_lo, s0
	s_cbranch_execnz .LBB94_262
; %bb.263:
	s_or_b32 exec_lo, exec_lo, s0
.LBB94_264:
	s_delay_alu instid0(SALU_CYCLE_1) | instskip(SKIP_4) | instid1(VALU_DEP_1)
	s_or_b32 exec_lo, exec_lo, s11
	v_mov_b32_e32 v68, 0
	ds_load_b64 v[68:69], v68 offset:32
	s_wait_dscnt 0x0
	v_pk_mul_f32 v[70:71], v[66:67], v[68:69] op_sel:[1,1] op_sel_hi:[0,1]
	v_pk_fma_f32 v[72:73], v[66:67], v[68:69], v[70:71] op_sel_hi:[1,0,1]
	v_pk_fma_f32 v[66:67], v[66:67], v[68:69], v[70:71] neg_lo:[0,0,1] neg_hi:[0,0,1]
	s_delay_alu instid0(VALU_DEP_2)
	v_mov_b32_e32 v67, v73
	scratch_store_b64 off, v[66:67], off offset:32
.LBB94_265:
	s_wait_xcnt 0x0
	s_or_b32 exec_lo, exec_lo, s10
	scratch_load_b64 v[66:67], off, off offset:24
	v_cmp_lt_u32_e64 s0, 3, v0
	s_wait_loadcnt 0x0
	ds_store_b64 v1, v[66:67]
	s_wait_storecnt_dscnt 0x0
	s_barrier_signal -1
	s_barrier_wait -1
	s_wait_xcnt 0x0
	s_and_saveexec_b32 s9, s0
	s_cbranch_execz .LBB94_275
; %bb.266:
	s_and_not1_b32 vcc_lo, exec_lo, s5
	s_cbranch_vccnz .LBB94_268
; %bb.267:
	scratch_load_b64 v[66:67], v59, off
	ds_load_b64 v[68:69], v1
	s_wait_loadcnt_dscnt 0x0
	v_pk_mul_f32 v[70:71], v[68:69], v[66:67] op_sel:[1,1] op_sel_hi:[0,1]
	s_delay_alu instid0(VALU_DEP_1) | instskip(SKIP_1) | instid1(VALU_DEP_2)
	v_pk_fma_f32 v[72:73], v[68:69], v[66:67], v[70:71] op_sel_hi:[1,0,1]
	v_pk_fma_f32 v[66:67], v[68:69], v[66:67], v[70:71] neg_lo:[0,0,1] neg_hi:[0,0,1]
	v_mov_b32_e32 v67, v73
	s_cbranch_execz .LBB94_269
	s_branch .LBB94_270
.LBB94_268:
                                        ; implicit-def: $vgpr66_vgpr67
.LBB94_269:
	ds_load_b64 v[66:67], v1
.LBB94_270:
	s_and_saveexec_b32 s10, s1
	s_cbranch_execz .LBB94_274
; %bb.271:
	v_add_nc_u32_e32 v68, -4, v0
	s_movk_i32 s11, 0x120
	s_mov_b32 s1, 0
.LBB94_272:                             ; =>This Inner Loop Header: Depth=1
	scratch_load_b64 v[70:71], off, s8
	v_dual_mov_b32 v69, s11 :: v_dual_add_nc_u32 v68, -1, v68
	s_add_co_i32 s11, s11, 8
	s_wait_xcnt 0x0
	s_add_co_i32 s8, s8, 8
	ds_load_b64 v[72:73], v69
	v_cmp_eq_u32_e32 vcc_lo, 0, v68
	s_or_b32 s1, vcc_lo, s1
	s_wait_loadcnt_dscnt 0x0
	v_pk_mul_f32 v[74:75], v[72:73], v[70:71] op_sel:[1,1] op_sel_hi:[0,1]
	s_delay_alu instid0(VALU_DEP_1) | instskip(SKIP_1) | instid1(VALU_DEP_2)
	v_pk_fma_f32 v[76:77], v[72:73], v[70:71], v[74:75] op_sel_hi:[1,0,1]
	v_pk_fma_f32 v[70:71], v[72:73], v[70:71], v[74:75] neg_lo:[0,0,1] neg_hi:[0,0,1]
	v_mov_b32_e32 v71, v77
	s_delay_alu instid0(VALU_DEP_1)
	v_pk_add_f32 v[66:67], v[66:67], v[70:71]
	s_and_not1_b32 exec_lo, exec_lo, s1
	s_cbranch_execnz .LBB94_272
; %bb.273:
	s_or_b32 exec_lo, exec_lo, s1
.LBB94_274:
	s_delay_alu instid0(SALU_CYCLE_1) | instskip(SKIP_4) | instid1(VALU_DEP_1)
	s_or_b32 exec_lo, exec_lo, s10
	v_mov_b32_e32 v68, 0
	ds_load_b64 v[68:69], v68 offset:24
	s_wait_dscnt 0x0
	v_pk_mul_f32 v[70:71], v[66:67], v[68:69] op_sel:[1,1] op_sel_hi:[0,1]
	v_pk_fma_f32 v[72:73], v[66:67], v[68:69], v[70:71] op_sel_hi:[1,0,1]
	v_pk_fma_f32 v[66:67], v[66:67], v[68:69], v[70:71] neg_lo:[0,0,1] neg_hi:[0,0,1]
	s_delay_alu instid0(VALU_DEP_2)
	v_mov_b32_e32 v67, v73
	scratch_store_b64 off, v[66:67], off offset:24
.LBB94_275:
	s_wait_xcnt 0x0
	s_or_b32 exec_lo, exec_lo, s9
	scratch_load_b64 v[66:67], off, off offset:16
	v_cmp_lt_u32_e64 s1, 2, v0
	s_wait_loadcnt 0x0
	ds_store_b64 v1, v[66:67]
	s_wait_storecnt_dscnt 0x0
	s_barrier_signal -1
	s_barrier_wait -1
	s_wait_xcnt 0x0
	s_and_saveexec_b32 s8, s1
	s_cbranch_execz .LBB94_285
; %bb.276:
	s_and_not1_b32 vcc_lo, exec_lo, s5
	s_cbranch_vccnz .LBB94_278
; %bb.277:
	scratch_load_b64 v[66:67], v59, off
	ds_load_b64 v[68:69], v1
	s_wait_loadcnt_dscnt 0x0
	v_pk_mul_f32 v[70:71], v[68:69], v[66:67] op_sel:[1,1] op_sel_hi:[0,1]
	s_delay_alu instid0(VALU_DEP_1) | instskip(SKIP_1) | instid1(VALU_DEP_2)
	v_pk_fma_f32 v[72:73], v[68:69], v[66:67], v[70:71] op_sel_hi:[1,0,1]
	v_pk_fma_f32 v[66:67], v[68:69], v[66:67], v[70:71] neg_lo:[0,0,1] neg_hi:[0,0,1]
	v_mov_b32_e32 v67, v73
	s_cbranch_execz .LBB94_279
	s_branch .LBB94_280
.LBB94_278:
                                        ; implicit-def: $vgpr66_vgpr67
.LBB94_279:
	ds_load_b64 v[66:67], v1
.LBB94_280:
	s_and_saveexec_b32 s9, s0
	s_cbranch_execz .LBB94_284
; %bb.281:
	v_add_nc_u32_e32 v68, -3, v0
	s_movk_i32 s10, 0x118
	s_mov_b32 s0, 0
.LBB94_282:                             ; =>This Inner Loop Header: Depth=1
	scratch_load_b64 v[70:71], off, s7
	v_dual_mov_b32 v69, s10 :: v_dual_add_nc_u32 v68, -1, v68
	s_add_co_i32 s10, s10, 8
	s_wait_xcnt 0x0
	s_add_co_i32 s7, s7, 8
	ds_load_b64 v[72:73], v69
	v_cmp_eq_u32_e32 vcc_lo, 0, v68
	s_or_b32 s0, vcc_lo, s0
	s_wait_loadcnt_dscnt 0x0
	v_pk_mul_f32 v[74:75], v[72:73], v[70:71] op_sel:[1,1] op_sel_hi:[0,1]
	s_delay_alu instid0(VALU_DEP_1) | instskip(SKIP_1) | instid1(VALU_DEP_2)
	v_pk_fma_f32 v[76:77], v[72:73], v[70:71], v[74:75] op_sel_hi:[1,0,1]
	v_pk_fma_f32 v[70:71], v[72:73], v[70:71], v[74:75] neg_lo:[0,0,1] neg_hi:[0,0,1]
	v_mov_b32_e32 v71, v77
	s_delay_alu instid0(VALU_DEP_1)
	v_pk_add_f32 v[66:67], v[66:67], v[70:71]
	s_and_not1_b32 exec_lo, exec_lo, s0
	s_cbranch_execnz .LBB94_282
; %bb.283:
	s_or_b32 exec_lo, exec_lo, s0
.LBB94_284:
	s_delay_alu instid0(SALU_CYCLE_1) | instskip(SKIP_4) | instid1(VALU_DEP_1)
	s_or_b32 exec_lo, exec_lo, s9
	v_mov_b32_e32 v68, 0
	ds_load_b64 v[68:69], v68 offset:16
	s_wait_dscnt 0x0
	v_pk_mul_f32 v[70:71], v[66:67], v[68:69] op_sel:[1,1] op_sel_hi:[0,1]
	v_pk_fma_f32 v[72:73], v[66:67], v[68:69], v[70:71] op_sel_hi:[1,0,1]
	v_pk_fma_f32 v[66:67], v[66:67], v[68:69], v[70:71] neg_lo:[0,0,1] neg_hi:[0,0,1]
	s_delay_alu instid0(VALU_DEP_2)
	v_mov_b32_e32 v67, v73
	scratch_store_b64 off, v[66:67], off offset:16
.LBB94_285:
	s_wait_xcnt 0x0
	s_or_b32 exec_lo, exec_lo, s8
	scratch_load_b64 v[66:67], off, off offset:8
	v_cmp_lt_u32_e64 s0, 1, v0
	s_wait_loadcnt 0x0
	ds_store_b64 v1, v[66:67]
	s_wait_storecnt_dscnt 0x0
	s_barrier_signal -1
	s_barrier_wait -1
	s_wait_xcnt 0x0
	s_and_saveexec_b32 s7, s0
	s_cbranch_execz .LBB94_295
; %bb.286:
	s_and_not1_b32 vcc_lo, exec_lo, s5
	s_cbranch_vccnz .LBB94_288
; %bb.287:
	scratch_load_b64 v[66:67], v59, off
	ds_load_b64 v[68:69], v1
	s_wait_loadcnt_dscnt 0x0
	v_pk_mul_f32 v[70:71], v[68:69], v[66:67] op_sel:[1,1] op_sel_hi:[0,1]
	s_delay_alu instid0(VALU_DEP_1) | instskip(SKIP_1) | instid1(VALU_DEP_2)
	v_pk_fma_f32 v[72:73], v[68:69], v[66:67], v[70:71] op_sel_hi:[1,0,1]
	v_pk_fma_f32 v[66:67], v[68:69], v[66:67], v[70:71] neg_lo:[0,0,1] neg_hi:[0,0,1]
	v_mov_b32_e32 v67, v73
	s_cbranch_execz .LBB94_289
	s_branch .LBB94_290
.LBB94_288:
                                        ; implicit-def: $vgpr66_vgpr67
.LBB94_289:
	ds_load_b64 v[66:67], v1
.LBB94_290:
	s_and_saveexec_b32 s8, s1
	s_cbranch_execz .LBB94_294
; %bb.291:
	v_add_nc_u32_e32 v68, -2, v0
	s_movk_i32 s9, 0x110
	s_mov_b32 s1, 0
.LBB94_292:                             ; =>This Inner Loop Header: Depth=1
	scratch_load_b64 v[70:71], off, s6
	v_dual_mov_b32 v69, s9 :: v_dual_add_nc_u32 v68, -1, v68
	s_add_co_i32 s9, s9, 8
	s_wait_xcnt 0x0
	s_add_co_i32 s6, s6, 8
	ds_load_b64 v[72:73], v69
	v_cmp_eq_u32_e32 vcc_lo, 0, v68
	s_or_b32 s1, vcc_lo, s1
	s_wait_loadcnt_dscnt 0x0
	v_pk_mul_f32 v[74:75], v[72:73], v[70:71] op_sel:[1,1] op_sel_hi:[0,1]
	s_delay_alu instid0(VALU_DEP_1) | instskip(SKIP_1) | instid1(VALU_DEP_2)
	v_pk_fma_f32 v[76:77], v[72:73], v[70:71], v[74:75] op_sel_hi:[1,0,1]
	v_pk_fma_f32 v[70:71], v[72:73], v[70:71], v[74:75] neg_lo:[0,0,1] neg_hi:[0,0,1]
	v_mov_b32_e32 v71, v77
	s_delay_alu instid0(VALU_DEP_1)
	v_pk_add_f32 v[66:67], v[66:67], v[70:71]
	s_and_not1_b32 exec_lo, exec_lo, s1
	s_cbranch_execnz .LBB94_292
; %bb.293:
	s_or_b32 exec_lo, exec_lo, s1
.LBB94_294:
	s_delay_alu instid0(SALU_CYCLE_1) | instskip(SKIP_4) | instid1(VALU_DEP_1)
	s_or_b32 exec_lo, exec_lo, s8
	v_mov_b32_e32 v68, 0
	ds_load_b64 v[68:69], v68 offset:8
	s_wait_dscnt 0x0
	v_pk_mul_f32 v[70:71], v[66:67], v[68:69] op_sel:[1,1] op_sel_hi:[0,1]
	v_pk_fma_f32 v[72:73], v[66:67], v[68:69], v[70:71] op_sel_hi:[1,0,1]
	v_pk_fma_f32 v[66:67], v[66:67], v[68:69], v[70:71] neg_lo:[0,0,1] neg_hi:[0,0,1]
	s_delay_alu instid0(VALU_DEP_2)
	v_mov_b32_e32 v67, v73
	scratch_store_b64 off, v[66:67], off offset:8
.LBB94_295:
	s_wait_xcnt 0x0
	s_or_b32 exec_lo, exec_lo, s7
	scratch_load_b64 v[66:67], off, off
	s_mov_b32 s6, 0
	s_mov_b32 s1, 0
	s_mov_b32 s8, exec_lo
                                        ; implicit-def: $vgpr92
                                        ; implicit-def: $sgpr7
	s_wait_loadcnt 0x0
	ds_store_b64 v1, v[66:67]
	s_wait_storecnt_dscnt 0x0
	s_barrier_signal -1
	s_barrier_wait -1
	s_wait_xcnt 0x0
	v_cmpx_ne_u32_e32 0, v0
	s_cbranch_execz .LBB94_305
; %bb.296:
	s_and_not1_b32 vcc_lo, exec_lo, s5
	s_cbranch_vccnz .LBB94_298
; %bb.297:
	scratch_load_b64 v[68:69], v59, off
	ds_load_b64 v[70:71], v1
	s_wait_loadcnt_dscnt 0x0
	v_dual_mul_f32 v66, v71, v69 :: v_dual_mul_f32 v67, v70, v69
	s_delay_alu instid0(VALU_DEP_1)
	v_dual_fma_f32 v66, v70, v68, -v66 :: v_dual_fmac_f32 v67, v71, v68
	s_and_not1_b32 vcc_lo, exec_lo, s1
	s_cbranch_vccz .LBB94_299
	s_branch .LBB94_300
.LBB94_298:
                                        ; implicit-def: $vgpr66
.LBB94_299:
	ds_load_b64 v[66:67], v1
.LBB94_300:
	s_and_saveexec_b32 s1, s0
	s_cbranch_execz .LBB94_304
; %bb.301:
	v_add_nc_u32_e32 v68, -1, v0
	s_movk_i32 s7, 0x108
	s_mov_b32 s0, 0
.LBB94_302:                             ; =>This Inner Loop Header: Depth=1
	scratch_load_b64 v[70:71], off, s4
	v_mov_b32_e32 v69, s7
	s_add_co_i32 s7, s7, 8
	s_wait_xcnt 0x0
	s_add_co_i32 s4, s4, 8
	v_add_nc_u32_e32 v68, -1, v68
	ds_load_b64 v[72:73], v69
	v_cmp_eq_u32_e32 vcc_lo, 0, v68
	s_or_b32 s0, vcc_lo, s0
	s_wait_loadcnt_dscnt 0x0
	v_dual_mul_f32 v69, v73, v71 :: v_dual_mul_f32 v71, v72, v71
	s_delay_alu instid0(VALU_DEP_1) | instskip(NEXT) | instid1(VALU_DEP_1)
	v_dual_fma_f32 v69, v72, v70, -v69 :: v_dual_fmac_f32 v71, v73, v70
	v_dual_add_f32 v66, v66, v69 :: v_dual_add_f32 v67, v67, v71
	s_and_not1_b32 exec_lo, exec_lo, s0
	s_cbranch_execnz .LBB94_302
; %bb.303:
	s_or_b32 exec_lo, exec_lo, s0
.LBB94_304:
	s_delay_alu instid0(SALU_CYCLE_1)
	s_or_b32 exec_lo, exec_lo, s1
	v_mov_b32_e32 v68, 0
	s_mov_b32 s1, exec_lo
	s_or_b32 s7, 0, 4
	ds_load_b64 v[68:69], v68
	s_wait_dscnt 0x0
	v_dual_mul_f32 v70, v67, v69 :: v_dual_mul_f32 v92, v66, v69
	s_delay_alu instid0(VALU_DEP_1)
	v_dual_fma_f32 v66, v66, v68, -v70 :: v_dual_fmac_f32 v92, v67, v68
	scratch_store_b32 off, v66, off
.LBB94_305:
	s_wait_xcnt 0x0
	s_or_b32 exec_lo, exec_lo, s8
	s_delay_alu instid0(SALU_CYCLE_1)
	s_and_b32 vcc_lo, exec_lo, s6
	s_cbranch_vccz .LBB94_601
.LBB94_306:
	scratch_load_b64 v[66:67], off, off offset:8
	v_cmp_eq_u32_e64 s0, 0, v0
	s_wait_loadcnt 0x0
	ds_store_b64 v1, v[66:67]
	s_wait_storecnt_dscnt 0x0
	s_barrier_signal -1
	s_barrier_wait -1
	s_wait_xcnt 0x0
	s_and_saveexec_b32 s4, s0
	s_cbranch_execz .LBB94_312
; %bb.307:
	s_and_b32 vcc_lo, exec_lo, s5
	s_cbranch_vccz .LBB94_309
; %bb.308:
	scratch_load_b64 v[66:67], v59, off
	ds_load_b64 v[68:69], v1
	s_wait_loadcnt_dscnt 0x0
	v_pk_mul_f32 v[70:71], v[68:69], v[66:67] op_sel:[1,1] op_sel_hi:[0,1]
	v_pk_mul_f32 v[72:73], v[68:69], v[66:67] op_sel_hi:[1,0]
	s_delay_alu instid0(VALU_DEP_2) | instskip(NEXT) | instid1(VALU_DEP_2)
	v_pk_fma_f32 v[66:67], v[68:69], v[66:67], v[70:71] op_sel_hi:[1,0,1]
	v_sub_f32_e32 v66, v72, v70
	s_cbranch_execz .LBB94_310
	s_branch .LBB94_311
.LBB94_309:
                                        ; implicit-def: $vgpr67
.LBB94_310:
	ds_load_b64 v[66:67], v1
.LBB94_311:
	s_wait_dscnt 0x0
	v_dual_mov_b32 v68, 0 :: v_dual_mov_b32 v70, v67
	v_mov_b32_e32 v71, v66
	ds_load_b64 v[68:69], v68 offset:8
	s_wait_dscnt 0x0
	v_pk_mul_f32 v[70:71], v[70:71], v[68:69] op_sel:[0,1]
	s_delay_alu instid0(VALU_DEP_1) | instskip(SKIP_1) | instid1(VALU_DEP_2)
	v_pk_fma_f32 v[72:73], v[66:67], v[68:69], v[70:71] op_sel_hi:[1,0,1]
	v_pk_fma_f32 v[66:67], v[66:67], v[68:69], v[70:71] neg_lo:[0,0,1] neg_hi:[0,0,1]
	v_mov_b32_e32 v67, v73
	scratch_store_b64 off, v[66:67], off offset:8
.LBB94_312:
	s_wait_xcnt 0x0
	s_or_b32 exec_lo, exec_lo, s4
	scratch_load_b64 v[66:67], off, off offset:16
	v_cndmask_b32_e64 v68, 0, 1, s5
	s_mov_b32 s4, exec_lo
	s_wait_loadcnt 0x0
	ds_store_b64 v1, v[66:67]
	s_wait_storecnt_dscnt 0x0
	s_barrier_signal -1
	s_barrier_wait -1
	s_wait_xcnt 0x0
	v_cmpx_gt_u32_e32 2, v0
	s_cbranch_execz .LBB94_320
; %bb.313:
	s_and_not1_b32 vcc_lo, exec_lo, s5
	s_cbranch_vccnz .LBB94_315
; %bb.314:
	scratch_load_b64 v[66:67], v59, off
	ds_load_b64 v[70:71], v1
	s_wait_loadcnt_dscnt 0x0
	v_pk_mul_f32 v[72:73], v[70:71], v[66:67] op_sel:[1,1] op_sel_hi:[0,1]
	s_delay_alu instid0(VALU_DEP_1) | instskip(SKIP_1) | instid1(VALU_DEP_2)
	v_pk_fma_f32 v[74:75], v[70:71], v[66:67], v[72:73] op_sel_hi:[1,0,1]
	v_pk_fma_f32 v[66:67], v[70:71], v[66:67], v[72:73] neg_lo:[0,0,1] neg_hi:[0,0,1]
	v_mov_b32_e32 v67, v75
	s_cbranch_execz .LBB94_316
	s_branch .LBB94_317
.LBB94_315:
                                        ; implicit-def: $vgpr66_vgpr67
.LBB94_316:
	ds_load_b64 v[66:67], v1
.LBB94_317:
	s_and_saveexec_b32 s5, s0
	s_cbranch_execz .LBB94_319
; %bb.318:
	scratch_load_b64 v[70:71], off, off offset:8
	v_mov_b32_e32 v69, 0
	ds_load_b64 v[72:73], v69 offset:264
	s_wait_loadcnt_dscnt 0x0
	v_pk_mul_f32 v[74:75], v[72:73], v[70:71] op_sel:[1,1] op_sel_hi:[0,1]
	s_delay_alu instid0(VALU_DEP_1) | instskip(SKIP_1) | instid1(VALU_DEP_2)
	v_pk_fma_f32 v[76:77], v[72:73], v[70:71], v[74:75] op_sel_hi:[1,0,1]
	v_pk_fma_f32 v[70:71], v[72:73], v[70:71], v[74:75] neg_lo:[0,0,1] neg_hi:[0,0,1]
	v_mov_b32_e32 v71, v77
	s_delay_alu instid0(VALU_DEP_1)
	v_pk_add_f32 v[66:67], v[66:67], v[70:71]
.LBB94_319:
	s_or_b32 exec_lo, exec_lo, s5
	v_mov_b32_e32 v69, 0
	ds_load_b64 v[70:71], v69 offset:16
	s_wait_dscnt 0x0
	v_pk_mul_f32 v[72:73], v[66:67], v[70:71] op_sel:[1,1] op_sel_hi:[0,1]
	s_delay_alu instid0(VALU_DEP_1) | instskip(SKIP_1) | instid1(VALU_DEP_2)
	v_pk_fma_f32 v[74:75], v[66:67], v[70:71], v[72:73] op_sel_hi:[1,0,1]
	v_pk_fma_f32 v[66:67], v[66:67], v[70:71], v[72:73] neg_lo:[0,0,1] neg_hi:[0,0,1]
	v_mov_b32_e32 v67, v75
	scratch_store_b64 off, v[66:67], off offset:16
.LBB94_320:
	s_wait_xcnt 0x0
	s_or_b32 exec_lo, exec_lo, s4
	scratch_load_b64 v[66:67], off, off offset:24
	s_mov_b32 s4, exec_lo
	s_wait_loadcnt 0x0
	ds_store_b64 v1, v[66:67]
	s_wait_storecnt_dscnt 0x0
	s_barrier_signal -1
	s_barrier_wait -1
	s_wait_xcnt 0x0
	v_cmpx_gt_u32_e32 3, v0
	s_cbranch_execz .LBB94_330
; %bb.321:
	v_cmp_ne_u32_e32 vcc_lo, 1, v68
	s_cbranch_vccnz .LBB94_323
; %bb.322:
	scratch_load_b64 v[66:67], v59, off
	ds_load_b64 v[70:71], v1
	s_wait_loadcnt_dscnt 0x0
	v_pk_mul_f32 v[72:73], v[70:71], v[66:67] op_sel:[1,1] op_sel_hi:[0,1]
	s_delay_alu instid0(VALU_DEP_1) | instskip(SKIP_1) | instid1(VALU_DEP_2)
	v_pk_fma_f32 v[74:75], v[70:71], v[66:67], v[72:73] op_sel_hi:[1,0,1]
	v_pk_fma_f32 v[66:67], v[70:71], v[66:67], v[72:73] neg_lo:[0,0,1] neg_hi:[0,0,1]
	v_mov_b32_e32 v67, v75
	s_cbranch_execz .LBB94_324
	s_branch .LBB94_325
.LBB94_323:
                                        ; implicit-def: $vgpr66_vgpr67
.LBB94_324:
	ds_load_b64 v[66:67], v1
.LBB94_325:
	s_mov_b32 s5, exec_lo
	v_cmpx_ne_u32_e32 2, v0
	s_cbranch_execz .LBB94_329
; %bb.326:
	scratch_load_b64 v[70:71], v59, off offset:8
	ds_load_b64 v[72:73], v1 offset:8
	s_wait_loadcnt_dscnt 0x0
	v_pk_mul_f32 v[74:75], v[72:73], v[70:71] op_sel:[1,1] op_sel_hi:[0,1]
	s_delay_alu instid0(VALU_DEP_1) | instskip(SKIP_1) | instid1(VALU_DEP_2)
	v_pk_fma_f32 v[76:77], v[72:73], v[70:71], v[74:75] op_sel_hi:[1,0,1]
	v_pk_fma_f32 v[70:71], v[72:73], v[70:71], v[74:75] neg_lo:[0,0,1] neg_hi:[0,0,1]
	v_mov_b32_e32 v71, v77
	s_delay_alu instid0(VALU_DEP_1)
	v_pk_add_f32 v[66:67], v[66:67], v[70:71]
	s_and_saveexec_b32 s6, s0
	s_cbranch_execz .LBB94_328
; %bb.327:
	scratch_load_b64 v[70:71], off, off offset:16
	v_mov_b32_e32 v69, 0
	ds_load_b64 v[72:73], v69 offset:272
	s_wait_loadcnt_dscnt 0x0
	v_pk_mul_f32 v[74:75], v[72:73], v[70:71] op_sel:[1,1] op_sel_hi:[0,1]
	s_delay_alu instid0(VALU_DEP_1) | instskip(SKIP_1) | instid1(VALU_DEP_2)
	v_pk_fma_f32 v[76:77], v[72:73], v[70:71], v[74:75] op_sel_hi:[1,0,1]
	v_pk_fma_f32 v[70:71], v[72:73], v[70:71], v[74:75] neg_lo:[0,0,1] neg_hi:[0,0,1]
	v_mov_b32_e32 v71, v77
	s_delay_alu instid0(VALU_DEP_1)
	v_pk_add_f32 v[66:67], v[66:67], v[70:71]
.LBB94_328:
	s_or_b32 exec_lo, exec_lo, s6
.LBB94_329:
	s_delay_alu instid0(SALU_CYCLE_1) | instskip(SKIP_4) | instid1(VALU_DEP_1)
	s_or_b32 exec_lo, exec_lo, s5
	v_mov_b32_e32 v69, 0
	ds_load_b64 v[70:71], v69 offset:24
	s_wait_dscnt 0x0
	v_pk_mul_f32 v[72:73], v[66:67], v[70:71] op_sel:[1,1] op_sel_hi:[0,1]
	v_pk_fma_f32 v[74:75], v[66:67], v[70:71], v[72:73] op_sel_hi:[1,0,1]
	v_pk_fma_f32 v[66:67], v[66:67], v[70:71], v[72:73] neg_lo:[0,0,1] neg_hi:[0,0,1]
	s_delay_alu instid0(VALU_DEP_2)
	v_mov_b32_e32 v67, v75
	scratch_store_b64 off, v[66:67], off offset:24
.LBB94_330:
	s_wait_xcnt 0x0
	s_or_b32 exec_lo, exec_lo, s4
	scratch_load_b64 v[66:67], off, off offset:32
	s_mov_b32 s0, exec_lo
	s_wait_loadcnt 0x0
	ds_store_b64 v1, v[66:67]
	s_wait_storecnt_dscnt 0x0
	s_barrier_signal -1
	s_barrier_wait -1
	s_wait_xcnt 0x0
	v_cmpx_gt_u32_e32 4, v0
	s_cbranch_execz .LBB94_340
; %bb.331:
	v_cmp_ne_u32_e32 vcc_lo, 1, v68
	s_cbranch_vccnz .LBB94_333
; %bb.332:
	scratch_load_b64 v[66:67], v59, off
	ds_load_b64 v[70:71], v1
	s_wait_loadcnt_dscnt 0x0
	v_pk_mul_f32 v[72:73], v[70:71], v[66:67] op_sel:[1,1] op_sel_hi:[0,1]
	s_delay_alu instid0(VALU_DEP_1) | instskip(SKIP_1) | instid1(VALU_DEP_2)
	v_pk_fma_f32 v[74:75], v[70:71], v[66:67], v[72:73] op_sel_hi:[1,0,1]
	v_pk_fma_f32 v[66:67], v[70:71], v[66:67], v[72:73] neg_lo:[0,0,1] neg_hi:[0,0,1]
	v_mov_b32_e32 v67, v75
	s_cbranch_execz .LBB94_334
	s_branch .LBB94_335
.LBB94_333:
                                        ; implicit-def: $vgpr66_vgpr67
.LBB94_334:
	ds_load_b64 v[66:67], v1
.LBB94_335:
	s_mov_b32 s4, exec_lo
	v_cmpx_ne_u32_e32 3, v0
	s_cbranch_execz .LBB94_339
; %bb.336:
	v_add_nc_u32_e32 v69, 0x108, v58
	v_add3_u32 v70, 0, v58, 8
	v_mov_b32_e32 v71, v0
	s_mov_b32 s5, 0
.LBB94_337:                             ; =>This Inner Loop Header: Depth=1
	scratch_load_b64 v[72:73], v70, off
	ds_load_b64 v[74:75], v69
	s_wait_xcnt 0x0
	v_dual_add_nc_u32 v69, 8, v69 :: v_dual_add_nc_u32 v70, 8, v70
	s_wait_loadcnt_dscnt 0x0
	v_pk_mul_f32 v[76:77], v[74:75], v[72:73] op_sel:[1,1] op_sel_hi:[0,1]
	s_delay_alu instid0(VALU_DEP_1) | instskip(SKIP_2) | instid1(VALU_DEP_3)
	v_pk_fma_f32 v[78:79], v[74:75], v[72:73], v[76:77] op_sel_hi:[1,0,1]
	v_add_nc_u32_e32 v71, 1, v71
	v_pk_fma_f32 v[72:73], v[74:75], v[72:73], v[76:77] neg_lo:[0,0,1] neg_hi:[0,0,1]
	v_mov_b32_e32 v73, v79
	s_delay_alu instid0(VALU_DEP_3) | instskip(NEXT) | instid1(VALU_DEP_2)
	v_cmp_lt_u32_e32 vcc_lo, 2, v71
	v_pk_add_f32 v[66:67], v[66:67], v[72:73]
	s_or_b32 s5, vcc_lo, s5
	s_delay_alu instid0(SALU_CYCLE_1)
	s_and_not1_b32 exec_lo, exec_lo, s5
	s_cbranch_execnz .LBB94_337
; %bb.338:
	s_or_b32 exec_lo, exec_lo, s5
.LBB94_339:
	s_delay_alu instid0(SALU_CYCLE_1) | instskip(SKIP_4) | instid1(VALU_DEP_1)
	s_or_b32 exec_lo, exec_lo, s4
	v_mov_b32_e32 v69, 0
	ds_load_b64 v[70:71], v69 offset:32
	s_wait_dscnt 0x0
	v_pk_mul_f32 v[72:73], v[66:67], v[70:71] op_sel:[1,1] op_sel_hi:[0,1]
	v_pk_fma_f32 v[74:75], v[66:67], v[70:71], v[72:73] op_sel_hi:[1,0,1]
	v_pk_fma_f32 v[66:67], v[66:67], v[70:71], v[72:73] neg_lo:[0,0,1] neg_hi:[0,0,1]
	s_delay_alu instid0(VALU_DEP_2)
	v_mov_b32_e32 v67, v75
	scratch_store_b64 off, v[66:67], off offset:32
.LBB94_340:
	s_wait_xcnt 0x0
	s_or_b32 exec_lo, exec_lo, s0
	scratch_load_b64 v[66:67], off, off offset:40
	s_mov_b32 s0, exec_lo
	s_wait_loadcnt 0x0
	ds_store_b64 v1, v[66:67]
	s_wait_storecnt_dscnt 0x0
	s_barrier_signal -1
	s_barrier_wait -1
	s_wait_xcnt 0x0
	v_cmpx_gt_u32_e32 5, v0
	s_cbranch_execz .LBB94_350
; %bb.341:
	v_cmp_ne_u32_e32 vcc_lo, 1, v68
	s_cbranch_vccnz .LBB94_343
; %bb.342:
	scratch_load_b64 v[66:67], v59, off
	ds_load_b64 v[70:71], v1
	s_wait_loadcnt_dscnt 0x0
	v_pk_mul_f32 v[72:73], v[70:71], v[66:67] op_sel:[1,1] op_sel_hi:[0,1]
	s_delay_alu instid0(VALU_DEP_1) | instskip(SKIP_1) | instid1(VALU_DEP_2)
	v_pk_fma_f32 v[74:75], v[70:71], v[66:67], v[72:73] op_sel_hi:[1,0,1]
	v_pk_fma_f32 v[66:67], v[70:71], v[66:67], v[72:73] neg_lo:[0,0,1] neg_hi:[0,0,1]
	v_mov_b32_e32 v67, v75
	s_cbranch_execz .LBB94_344
	s_branch .LBB94_345
.LBB94_343:
                                        ; implicit-def: $vgpr66_vgpr67
.LBB94_344:
	ds_load_b64 v[66:67], v1
.LBB94_345:
	s_mov_b32 s4, exec_lo
	v_cmpx_ne_u32_e32 4, v0
	s_cbranch_execz .LBB94_349
; %bb.346:
	v_add_nc_u32_e32 v69, 0x108, v58
	v_add3_u32 v70, 0, v58, 8
	v_mov_b32_e32 v71, v0
	s_mov_b32 s5, 0
.LBB94_347:                             ; =>This Inner Loop Header: Depth=1
	scratch_load_b64 v[72:73], v70, off
	ds_load_b64 v[74:75], v69
	s_wait_xcnt 0x0
	v_dual_add_nc_u32 v69, 8, v69 :: v_dual_add_nc_u32 v70, 8, v70
	s_wait_loadcnt_dscnt 0x0
	v_pk_mul_f32 v[76:77], v[74:75], v[72:73] op_sel:[1,1] op_sel_hi:[0,1]
	s_delay_alu instid0(VALU_DEP_1) | instskip(SKIP_2) | instid1(VALU_DEP_3)
	v_pk_fma_f32 v[78:79], v[74:75], v[72:73], v[76:77] op_sel_hi:[1,0,1]
	v_add_nc_u32_e32 v71, 1, v71
	v_pk_fma_f32 v[72:73], v[74:75], v[72:73], v[76:77] neg_lo:[0,0,1] neg_hi:[0,0,1]
	v_mov_b32_e32 v73, v79
	s_delay_alu instid0(VALU_DEP_3) | instskip(NEXT) | instid1(VALU_DEP_2)
	v_cmp_lt_u32_e32 vcc_lo, 3, v71
	v_pk_add_f32 v[66:67], v[66:67], v[72:73]
	s_or_b32 s5, vcc_lo, s5
	s_delay_alu instid0(SALU_CYCLE_1)
	s_and_not1_b32 exec_lo, exec_lo, s5
	s_cbranch_execnz .LBB94_347
; %bb.348:
	s_or_b32 exec_lo, exec_lo, s5
.LBB94_349:
	s_delay_alu instid0(SALU_CYCLE_1) | instskip(SKIP_4) | instid1(VALU_DEP_1)
	s_or_b32 exec_lo, exec_lo, s4
	v_mov_b32_e32 v69, 0
	ds_load_b64 v[70:71], v69 offset:40
	s_wait_dscnt 0x0
	v_pk_mul_f32 v[72:73], v[66:67], v[70:71] op_sel:[1,1] op_sel_hi:[0,1]
	v_pk_fma_f32 v[74:75], v[66:67], v[70:71], v[72:73] op_sel_hi:[1,0,1]
	v_pk_fma_f32 v[66:67], v[66:67], v[70:71], v[72:73] neg_lo:[0,0,1] neg_hi:[0,0,1]
	s_delay_alu instid0(VALU_DEP_2)
	v_mov_b32_e32 v67, v75
	scratch_store_b64 off, v[66:67], off offset:40
.LBB94_350:
	s_wait_xcnt 0x0
	s_or_b32 exec_lo, exec_lo, s0
	scratch_load_b64 v[66:67], off, off offset:48
	s_mov_b32 s0, exec_lo
	s_wait_loadcnt 0x0
	ds_store_b64 v1, v[66:67]
	s_wait_storecnt_dscnt 0x0
	s_barrier_signal -1
	s_barrier_wait -1
	s_wait_xcnt 0x0
	v_cmpx_gt_u32_e32 6, v0
	s_cbranch_execz .LBB94_360
; %bb.351:
	v_cmp_ne_u32_e32 vcc_lo, 1, v68
	s_cbranch_vccnz .LBB94_353
; %bb.352:
	scratch_load_b64 v[66:67], v59, off
	ds_load_b64 v[70:71], v1
	s_wait_loadcnt_dscnt 0x0
	v_pk_mul_f32 v[72:73], v[70:71], v[66:67] op_sel:[1,1] op_sel_hi:[0,1]
	s_delay_alu instid0(VALU_DEP_1) | instskip(SKIP_1) | instid1(VALU_DEP_2)
	v_pk_fma_f32 v[74:75], v[70:71], v[66:67], v[72:73] op_sel_hi:[1,0,1]
	v_pk_fma_f32 v[66:67], v[70:71], v[66:67], v[72:73] neg_lo:[0,0,1] neg_hi:[0,0,1]
	v_mov_b32_e32 v67, v75
	s_cbranch_execz .LBB94_354
	s_branch .LBB94_355
.LBB94_353:
                                        ; implicit-def: $vgpr66_vgpr67
.LBB94_354:
	ds_load_b64 v[66:67], v1
.LBB94_355:
	s_mov_b32 s4, exec_lo
	v_cmpx_ne_u32_e32 5, v0
	s_cbranch_execz .LBB94_359
; %bb.356:
	v_add_nc_u32_e32 v69, 0x108, v58
	v_add3_u32 v70, 0, v58, 8
	v_mov_b32_e32 v71, v0
	s_mov_b32 s5, 0
.LBB94_357:                             ; =>This Inner Loop Header: Depth=1
	scratch_load_b64 v[72:73], v70, off
	ds_load_b64 v[74:75], v69
	s_wait_xcnt 0x0
	v_dual_add_nc_u32 v69, 8, v69 :: v_dual_add_nc_u32 v70, 8, v70
	s_wait_loadcnt_dscnt 0x0
	v_pk_mul_f32 v[76:77], v[74:75], v[72:73] op_sel:[1,1] op_sel_hi:[0,1]
	s_delay_alu instid0(VALU_DEP_1) | instskip(SKIP_2) | instid1(VALU_DEP_3)
	v_pk_fma_f32 v[78:79], v[74:75], v[72:73], v[76:77] op_sel_hi:[1,0,1]
	v_add_nc_u32_e32 v71, 1, v71
	v_pk_fma_f32 v[72:73], v[74:75], v[72:73], v[76:77] neg_lo:[0,0,1] neg_hi:[0,0,1]
	v_mov_b32_e32 v73, v79
	s_delay_alu instid0(VALU_DEP_3) | instskip(NEXT) | instid1(VALU_DEP_2)
	v_cmp_lt_u32_e32 vcc_lo, 4, v71
	v_pk_add_f32 v[66:67], v[66:67], v[72:73]
	s_or_b32 s5, vcc_lo, s5
	s_delay_alu instid0(SALU_CYCLE_1)
	s_and_not1_b32 exec_lo, exec_lo, s5
	s_cbranch_execnz .LBB94_357
; %bb.358:
	s_or_b32 exec_lo, exec_lo, s5
.LBB94_359:
	s_delay_alu instid0(SALU_CYCLE_1) | instskip(SKIP_4) | instid1(VALU_DEP_1)
	s_or_b32 exec_lo, exec_lo, s4
	v_mov_b32_e32 v69, 0
	ds_load_b64 v[70:71], v69 offset:48
	s_wait_dscnt 0x0
	v_pk_mul_f32 v[72:73], v[66:67], v[70:71] op_sel:[1,1] op_sel_hi:[0,1]
	v_pk_fma_f32 v[74:75], v[66:67], v[70:71], v[72:73] op_sel_hi:[1,0,1]
	v_pk_fma_f32 v[66:67], v[66:67], v[70:71], v[72:73] neg_lo:[0,0,1] neg_hi:[0,0,1]
	s_delay_alu instid0(VALU_DEP_2)
	v_mov_b32_e32 v67, v75
	scratch_store_b64 off, v[66:67], off offset:48
.LBB94_360:
	s_wait_xcnt 0x0
	s_or_b32 exec_lo, exec_lo, s0
	scratch_load_b64 v[66:67], off, off offset:56
	s_mov_b32 s0, exec_lo
	s_wait_loadcnt 0x0
	ds_store_b64 v1, v[66:67]
	s_wait_storecnt_dscnt 0x0
	s_barrier_signal -1
	s_barrier_wait -1
	s_wait_xcnt 0x0
	v_cmpx_gt_u32_e32 7, v0
	s_cbranch_execz .LBB94_370
; %bb.361:
	v_cmp_ne_u32_e32 vcc_lo, 1, v68
	s_cbranch_vccnz .LBB94_363
; %bb.362:
	scratch_load_b64 v[66:67], v59, off
	ds_load_b64 v[70:71], v1
	s_wait_loadcnt_dscnt 0x0
	v_pk_mul_f32 v[72:73], v[70:71], v[66:67] op_sel:[1,1] op_sel_hi:[0,1]
	s_delay_alu instid0(VALU_DEP_1) | instskip(SKIP_1) | instid1(VALU_DEP_2)
	v_pk_fma_f32 v[74:75], v[70:71], v[66:67], v[72:73] op_sel_hi:[1,0,1]
	v_pk_fma_f32 v[66:67], v[70:71], v[66:67], v[72:73] neg_lo:[0,0,1] neg_hi:[0,0,1]
	v_mov_b32_e32 v67, v75
	s_cbranch_execz .LBB94_364
	s_branch .LBB94_365
.LBB94_363:
                                        ; implicit-def: $vgpr66_vgpr67
.LBB94_364:
	ds_load_b64 v[66:67], v1
.LBB94_365:
	s_mov_b32 s4, exec_lo
	v_cmpx_ne_u32_e32 6, v0
	s_cbranch_execz .LBB94_369
; %bb.366:
	v_add_nc_u32_e32 v69, 0x108, v58
	v_add3_u32 v70, 0, v58, 8
	v_mov_b32_e32 v71, v0
	s_mov_b32 s5, 0
.LBB94_367:                             ; =>This Inner Loop Header: Depth=1
	scratch_load_b64 v[72:73], v70, off
	ds_load_b64 v[74:75], v69
	s_wait_xcnt 0x0
	v_dual_add_nc_u32 v69, 8, v69 :: v_dual_add_nc_u32 v70, 8, v70
	s_wait_loadcnt_dscnt 0x0
	v_pk_mul_f32 v[76:77], v[74:75], v[72:73] op_sel:[1,1] op_sel_hi:[0,1]
	s_delay_alu instid0(VALU_DEP_1) | instskip(SKIP_2) | instid1(VALU_DEP_3)
	v_pk_fma_f32 v[78:79], v[74:75], v[72:73], v[76:77] op_sel_hi:[1,0,1]
	v_add_nc_u32_e32 v71, 1, v71
	v_pk_fma_f32 v[72:73], v[74:75], v[72:73], v[76:77] neg_lo:[0,0,1] neg_hi:[0,0,1]
	v_mov_b32_e32 v73, v79
	s_delay_alu instid0(VALU_DEP_3) | instskip(NEXT) | instid1(VALU_DEP_2)
	v_cmp_lt_u32_e32 vcc_lo, 5, v71
	v_pk_add_f32 v[66:67], v[66:67], v[72:73]
	s_or_b32 s5, vcc_lo, s5
	s_delay_alu instid0(SALU_CYCLE_1)
	s_and_not1_b32 exec_lo, exec_lo, s5
	s_cbranch_execnz .LBB94_367
; %bb.368:
	s_or_b32 exec_lo, exec_lo, s5
.LBB94_369:
	s_delay_alu instid0(SALU_CYCLE_1) | instskip(SKIP_4) | instid1(VALU_DEP_1)
	s_or_b32 exec_lo, exec_lo, s4
	v_mov_b32_e32 v69, 0
	ds_load_b64 v[70:71], v69 offset:56
	s_wait_dscnt 0x0
	v_pk_mul_f32 v[72:73], v[66:67], v[70:71] op_sel:[1,1] op_sel_hi:[0,1]
	v_pk_fma_f32 v[74:75], v[66:67], v[70:71], v[72:73] op_sel_hi:[1,0,1]
	v_pk_fma_f32 v[66:67], v[66:67], v[70:71], v[72:73] neg_lo:[0,0,1] neg_hi:[0,0,1]
	s_delay_alu instid0(VALU_DEP_2)
	v_mov_b32_e32 v67, v75
	scratch_store_b64 off, v[66:67], off offset:56
.LBB94_370:
	s_wait_xcnt 0x0
	s_or_b32 exec_lo, exec_lo, s0
	scratch_load_b64 v[66:67], off, off offset:64
	s_mov_b32 s0, exec_lo
	s_wait_loadcnt 0x0
	ds_store_b64 v1, v[66:67]
	s_wait_storecnt_dscnt 0x0
	s_barrier_signal -1
	s_barrier_wait -1
	s_wait_xcnt 0x0
	v_cmpx_gt_u32_e32 8, v0
	s_cbranch_execz .LBB94_380
; %bb.371:
	v_cmp_ne_u32_e32 vcc_lo, 1, v68
	s_cbranch_vccnz .LBB94_373
; %bb.372:
	scratch_load_b64 v[66:67], v59, off
	ds_load_b64 v[70:71], v1
	s_wait_loadcnt_dscnt 0x0
	v_pk_mul_f32 v[72:73], v[70:71], v[66:67] op_sel:[1,1] op_sel_hi:[0,1]
	s_delay_alu instid0(VALU_DEP_1) | instskip(SKIP_1) | instid1(VALU_DEP_2)
	v_pk_fma_f32 v[74:75], v[70:71], v[66:67], v[72:73] op_sel_hi:[1,0,1]
	v_pk_fma_f32 v[66:67], v[70:71], v[66:67], v[72:73] neg_lo:[0,0,1] neg_hi:[0,0,1]
	v_mov_b32_e32 v67, v75
	s_cbranch_execz .LBB94_374
	s_branch .LBB94_375
.LBB94_373:
                                        ; implicit-def: $vgpr66_vgpr67
.LBB94_374:
	ds_load_b64 v[66:67], v1
.LBB94_375:
	s_mov_b32 s4, exec_lo
	v_cmpx_ne_u32_e32 7, v0
	s_cbranch_execz .LBB94_379
; %bb.376:
	v_add_nc_u32_e32 v69, 0x108, v58
	v_add3_u32 v70, 0, v58, 8
	v_mov_b32_e32 v71, v0
	s_mov_b32 s5, 0
.LBB94_377:                             ; =>This Inner Loop Header: Depth=1
	scratch_load_b64 v[72:73], v70, off
	ds_load_b64 v[74:75], v69
	s_wait_xcnt 0x0
	v_dual_add_nc_u32 v69, 8, v69 :: v_dual_add_nc_u32 v70, 8, v70
	s_wait_loadcnt_dscnt 0x0
	v_pk_mul_f32 v[76:77], v[74:75], v[72:73] op_sel:[1,1] op_sel_hi:[0,1]
	s_delay_alu instid0(VALU_DEP_1) | instskip(SKIP_2) | instid1(VALU_DEP_3)
	v_pk_fma_f32 v[78:79], v[74:75], v[72:73], v[76:77] op_sel_hi:[1,0,1]
	v_add_nc_u32_e32 v71, 1, v71
	v_pk_fma_f32 v[72:73], v[74:75], v[72:73], v[76:77] neg_lo:[0,0,1] neg_hi:[0,0,1]
	v_mov_b32_e32 v73, v79
	s_delay_alu instid0(VALU_DEP_3) | instskip(NEXT) | instid1(VALU_DEP_2)
	v_cmp_lt_u32_e32 vcc_lo, 6, v71
	v_pk_add_f32 v[66:67], v[66:67], v[72:73]
	s_or_b32 s5, vcc_lo, s5
	s_delay_alu instid0(SALU_CYCLE_1)
	s_and_not1_b32 exec_lo, exec_lo, s5
	s_cbranch_execnz .LBB94_377
; %bb.378:
	s_or_b32 exec_lo, exec_lo, s5
.LBB94_379:
	s_delay_alu instid0(SALU_CYCLE_1) | instskip(SKIP_4) | instid1(VALU_DEP_1)
	s_or_b32 exec_lo, exec_lo, s4
	v_mov_b32_e32 v69, 0
	ds_load_b64 v[70:71], v69 offset:64
	s_wait_dscnt 0x0
	v_pk_mul_f32 v[72:73], v[66:67], v[70:71] op_sel:[1,1] op_sel_hi:[0,1]
	v_pk_fma_f32 v[74:75], v[66:67], v[70:71], v[72:73] op_sel_hi:[1,0,1]
	v_pk_fma_f32 v[66:67], v[66:67], v[70:71], v[72:73] neg_lo:[0,0,1] neg_hi:[0,0,1]
	s_delay_alu instid0(VALU_DEP_2)
	v_mov_b32_e32 v67, v75
	scratch_store_b64 off, v[66:67], off offset:64
.LBB94_380:
	s_wait_xcnt 0x0
	s_or_b32 exec_lo, exec_lo, s0
	scratch_load_b64 v[66:67], off, off offset:72
	s_mov_b32 s0, exec_lo
	s_wait_loadcnt 0x0
	ds_store_b64 v1, v[66:67]
	s_wait_storecnt_dscnt 0x0
	s_barrier_signal -1
	s_barrier_wait -1
	s_wait_xcnt 0x0
	v_cmpx_gt_u32_e32 9, v0
	s_cbranch_execz .LBB94_390
; %bb.381:
	v_cmp_ne_u32_e32 vcc_lo, 1, v68
	s_cbranch_vccnz .LBB94_383
; %bb.382:
	scratch_load_b64 v[66:67], v59, off
	ds_load_b64 v[70:71], v1
	s_wait_loadcnt_dscnt 0x0
	v_pk_mul_f32 v[72:73], v[70:71], v[66:67] op_sel:[1,1] op_sel_hi:[0,1]
	s_delay_alu instid0(VALU_DEP_1) | instskip(SKIP_1) | instid1(VALU_DEP_2)
	v_pk_fma_f32 v[74:75], v[70:71], v[66:67], v[72:73] op_sel_hi:[1,0,1]
	v_pk_fma_f32 v[66:67], v[70:71], v[66:67], v[72:73] neg_lo:[0,0,1] neg_hi:[0,0,1]
	v_mov_b32_e32 v67, v75
	s_cbranch_execz .LBB94_384
	s_branch .LBB94_385
.LBB94_383:
                                        ; implicit-def: $vgpr66_vgpr67
.LBB94_384:
	ds_load_b64 v[66:67], v1
.LBB94_385:
	s_mov_b32 s4, exec_lo
	v_cmpx_ne_u32_e32 8, v0
	s_cbranch_execz .LBB94_389
; %bb.386:
	v_add_nc_u32_e32 v69, 0x108, v58
	v_add3_u32 v70, 0, v58, 8
	v_mov_b32_e32 v71, v0
	s_mov_b32 s5, 0
.LBB94_387:                             ; =>This Inner Loop Header: Depth=1
	scratch_load_b64 v[72:73], v70, off
	ds_load_b64 v[74:75], v69
	s_wait_xcnt 0x0
	v_dual_add_nc_u32 v69, 8, v69 :: v_dual_add_nc_u32 v70, 8, v70
	s_wait_loadcnt_dscnt 0x0
	v_pk_mul_f32 v[76:77], v[74:75], v[72:73] op_sel:[1,1] op_sel_hi:[0,1]
	s_delay_alu instid0(VALU_DEP_1) | instskip(SKIP_2) | instid1(VALU_DEP_3)
	v_pk_fma_f32 v[78:79], v[74:75], v[72:73], v[76:77] op_sel_hi:[1,0,1]
	v_add_nc_u32_e32 v71, 1, v71
	v_pk_fma_f32 v[72:73], v[74:75], v[72:73], v[76:77] neg_lo:[0,0,1] neg_hi:[0,0,1]
	v_mov_b32_e32 v73, v79
	s_delay_alu instid0(VALU_DEP_3) | instskip(NEXT) | instid1(VALU_DEP_2)
	v_cmp_lt_u32_e32 vcc_lo, 7, v71
	v_pk_add_f32 v[66:67], v[66:67], v[72:73]
	s_or_b32 s5, vcc_lo, s5
	s_delay_alu instid0(SALU_CYCLE_1)
	s_and_not1_b32 exec_lo, exec_lo, s5
	s_cbranch_execnz .LBB94_387
; %bb.388:
	s_or_b32 exec_lo, exec_lo, s5
.LBB94_389:
	s_delay_alu instid0(SALU_CYCLE_1) | instskip(SKIP_4) | instid1(VALU_DEP_1)
	s_or_b32 exec_lo, exec_lo, s4
	v_mov_b32_e32 v69, 0
	ds_load_b64 v[70:71], v69 offset:72
	s_wait_dscnt 0x0
	v_pk_mul_f32 v[72:73], v[66:67], v[70:71] op_sel:[1,1] op_sel_hi:[0,1]
	v_pk_fma_f32 v[74:75], v[66:67], v[70:71], v[72:73] op_sel_hi:[1,0,1]
	v_pk_fma_f32 v[66:67], v[66:67], v[70:71], v[72:73] neg_lo:[0,0,1] neg_hi:[0,0,1]
	s_delay_alu instid0(VALU_DEP_2)
	v_mov_b32_e32 v67, v75
	scratch_store_b64 off, v[66:67], off offset:72
.LBB94_390:
	s_wait_xcnt 0x0
	s_or_b32 exec_lo, exec_lo, s0
	scratch_load_b64 v[66:67], off, off offset:80
	s_mov_b32 s0, exec_lo
	s_wait_loadcnt 0x0
	ds_store_b64 v1, v[66:67]
	s_wait_storecnt_dscnt 0x0
	s_barrier_signal -1
	s_barrier_wait -1
	s_wait_xcnt 0x0
	v_cmpx_gt_u32_e32 10, v0
	s_cbranch_execz .LBB94_400
; %bb.391:
	v_cmp_ne_u32_e32 vcc_lo, 1, v68
	s_cbranch_vccnz .LBB94_393
; %bb.392:
	scratch_load_b64 v[66:67], v59, off
	ds_load_b64 v[70:71], v1
	s_wait_loadcnt_dscnt 0x0
	v_pk_mul_f32 v[72:73], v[70:71], v[66:67] op_sel:[1,1] op_sel_hi:[0,1]
	s_delay_alu instid0(VALU_DEP_1) | instskip(SKIP_1) | instid1(VALU_DEP_2)
	v_pk_fma_f32 v[74:75], v[70:71], v[66:67], v[72:73] op_sel_hi:[1,0,1]
	v_pk_fma_f32 v[66:67], v[70:71], v[66:67], v[72:73] neg_lo:[0,0,1] neg_hi:[0,0,1]
	v_mov_b32_e32 v67, v75
	s_cbranch_execz .LBB94_394
	s_branch .LBB94_395
.LBB94_393:
                                        ; implicit-def: $vgpr66_vgpr67
.LBB94_394:
	ds_load_b64 v[66:67], v1
.LBB94_395:
	s_mov_b32 s4, exec_lo
	v_cmpx_ne_u32_e32 9, v0
	s_cbranch_execz .LBB94_399
; %bb.396:
	v_add_nc_u32_e32 v69, 0x108, v58
	v_add3_u32 v70, 0, v58, 8
	v_mov_b32_e32 v71, v0
	s_mov_b32 s5, 0
.LBB94_397:                             ; =>This Inner Loop Header: Depth=1
	scratch_load_b64 v[72:73], v70, off
	ds_load_b64 v[74:75], v69
	s_wait_xcnt 0x0
	v_dual_add_nc_u32 v69, 8, v69 :: v_dual_add_nc_u32 v70, 8, v70
	s_wait_loadcnt_dscnt 0x0
	v_pk_mul_f32 v[76:77], v[74:75], v[72:73] op_sel:[1,1] op_sel_hi:[0,1]
	s_delay_alu instid0(VALU_DEP_1) | instskip(SKIP_2) | instid1(VALU_DEP_3)
	v_pk_fma_f32 v[78:79], v[74:75], v[72:73], v[76:77] op_sel_hi:[1,0,1]
	v_add_nc_u32_e32 v71, 1, v71
	v_pk_fma_f32 v[72:73], v[74:75], v[72:73], v[76:77] neg_lo:[0,0,1] neg_hi:[0,0,1]
	v_mov_b32_e32 v73, v79
	s_delay_alu instid0(VALU_DEP_3) | instskip(NEXT) | instid1(VALU_DEP_2)
	v_cmp_lt_u32_e32 vcc_lo, 8, v71
	v_pk_add_f32 v[66:67], v[66:67], v[72:73]
	s_or_b32 s5, vcc_lo, s5
	s_delay_alu instid0(SALU_CYCLE_1)
	s_and_not1_b32 exec_lo, exec_lo, s5
	s_cbranch_execnz .LBB94_397
; %bb.398:
	s_or_b32 exec_lo, exec_lo, s5
.LBB94_399:
	s_delay_alu instid0(SALU_CYCLE_1) | instskip(SKIP_4) | instid1(VALU_DEP_1)
	s_or_b32 exec_lo, exec_lo, s4
	v_mov_b32_e32 v69, 0
	ds_load_b64 v[70:71], v69 offset:80
	s_wait_dscnt 0x0
	v_pk_mul_f32 v[72:73], v[66:67], v[70:71] op_sel:[1,1] op_sel_hi:[0,1]
	v_pk_fma_f32 v[74:75], v[66:67], v[70:71], v[72:73] op_sel_hi:[1,0,1]
	v_pk_fma_f32 v[66:67], v[66:67], v[70:71], v[72:73] neg_lo:[0,0,1] neg_hi:[0,0,1]
	s_delay_alu instid0(VALU_DEP_2)
	v_mov_b32_e32 v67, v75
	scratch_store_b64 off, v[66:67], off offset:80
.LBB94_400:
	s_wait_xcnt 0x0
	s_or_b32 exec_lo, exec_lo, s0
	scratch_load_b64 v[66:67], off, off offset:88
	s_mov_b32 s0, exec_lo
	s_wait_loadcnt 0x0
	ds_store_b64 v1, v[66:67]
	s_wait_storecnt_dscnt 0x0
	s_barrier_signal -1
	s_barrier_wait -1
	s_wait_xcnt 0x0
	v_cmpx_gt_u32_e32 11, v0
	s_cbranch_execz .LBB94_410
; %bb.401:
	v_cmp_ne_u32_e32 vcc_lo, 1, v68
	s_cbranch_vccnz .LBB94_403
; %bb.402:
	scratch_load_b64 v[66:67], v59, off
	ds_load_b64 v[70:71], v1
	s_wait_loadcnt_dscnt 0x0
	v_pk_mul_f32 v[72:73], v[70:71], v[66:67] op_sel:[1,1] op_sel_hi:[0,1]
	s_delay_alu instid0(VALU_DEP_1) | instskip(SKIP_1) | instid1(VALU_DEP_2)
	v_pk_fma_f32 v[74:75], v[70:71], v[66:67], v[72:73] op_sel_hi:[1,0,1]
	v_pk_fma_f32 v[66:67], v[70:71], v[66:67], v[72:73] neg_lo:[0,0,1] neg_hi:[0,0,1]
	v_mov_b32_e32 v67, v75
	s_cbranch_execz .LBB94_404
	s_branch .LBB94_405
.LBB94_403:
                                        ; implicit-def: $vgpr66_vgpr67
.LBB94_404:
	ds_load_b64 v[66:67], v1
.LBB94_405:
	s_mov_b32 s4, exec_lo
	v_cmpx_ne_u32_e32 10, v0
	s_cbranch_execz .LBB94_409
; %bb.406:
	v_add_nc_u32_e32 v69, 0x108, v58
	v_add3_u32 v70, 0, v58, 8
	v_mov_b32_e32 v71, v0
	s_mov_b32 s5, 0
.LBB94_407:                             ; =>This Inner Loop Header: Depth=1
	scratch_load_b64 v[72:73], v70, off
	ds_load_b64 v[74:75], v69
	s_wait_xcnt 0x0
	v_dual_add_nc_u32 v69, 8, v69 :: v_dual_add_nc_u32 v70, 8, v70
	s_wait_loadcnt_dscnt 0x0
	v_pk_mul_f32 v[76:77], v[74:75], v[72:73] op_sel:[1,1] op_sel_hi:[0,1]
	s_delay_alu instid0(VALU_DEP_1) | instskip(SKIP_2) | instid1(VALU_DEP_3)
	v_pk_fma_f32 v[78:79], v[74:75], v[72:73], v[76:77] op_sel_hi:[1,0,1]
	v_add_nc_u32_e32 v71, 1, v71
	v_pk_fma_f32 v[72:73], v[74:75], v[72:73], v[76:77] neg_lo:[0,0,1] neg_hi:[0,0,1]
	v_mov_b32_e32 v73, v79
	s_delay_alu instid0(VALU_DEP_3) | instskip(NEXT) | instid1(VALU_DEP_2)
	v_cmp_lt_u32_e32 vcc_lo, 9, v71
	v_pk_add_f32 v[66:67], v[66:67], v[72:73]
	s_or_b32 s5, vcc_lo, s5
	s_delay_alu instid0(SALU_CYCLE_1)
	s_and_not1_b32 exec_lo, exec_lo, s5
	s_cbranch_execnz .LBB94_407
; %bb.408:
	s_or_b32 exec_lo, exec_lo, s5
.LBB94_409:
	s_delay_alu instid0(SALU_CYCLE_1) | instskip(SKIP_4) | instid1(VALU_DEP_1)
	s_or_b32 exec_lo, exec_lo, s4
	v_mov_b32_e32 v69, 0
	ds_load_b64 v[70:71], v69 offset:88
	s_wait_dscnt 0x0
	v_pk_mul_f32 v[72:73], v[66:67], v[70:71] op_sel:[1,1] op_sel_hi:[0,1]
	v_pk_fma_f32 v[74:75], v[66:67], v[70:71], v[72:73] op_sel_hi:[1,0,1]
	v_pk_fma_f32 v[66:67], v[66:67], v[70:71], v[72:73] neg_lo:[0,0,1] neg_hi:[0,0,1]
	s_delay_alu instid0(VALU_DEP_2)
	v_mov_b32_e32 v67, v75
	scratch_store_b64 off, v[66:67], off offset:88
.LBB94_410:
	s_wait_xcnt 0x0
	s_or_b32 exec_lo, exec_lo, s0
	scratch_load_b64 v[66:67], off, off offset:96
	s_mov_b32 s0, exec_lo
	s_wait_loadcnt 0x0
	ds_store_b64 v1, v[66:67]
	s_wait_storecnt_dscnt 0x0
	s_barrier_signal -1
	s_barrier_wait -1
	s_wait_xcnt 0x0
	v_cmpx_gt_u32_e32 12, v0
	s_cbranch_execz .LBB94_420
; %bb.411:
	v_cmp_ne_u32_e32 vcc_lo, 1, v68
	s_cbranch_vccnz .LBB94_413
; %bb.412:
	scratch_load_b64 v[66:67], v59, off
	ds_load_b64 v[70:71], v1
	s_wait_loadcnt_dscnt 0x0
	v_pk_mul_f32 v[72:73], v[70:71], v[66:67] op_sel:[1,1] op_sel_hi:[0,1]
	s_delay_alu instid0(VALU_DEP_1) | instskip(SKIP_1) | instid1(VALU_DEP_2)
	v_pk_fma_f32 v[74:75], v[70:71], v[66:67], v[72:73] op_sel_hi:[1,0,1]
	v_pk_fma_f32 v[66:67], v[70:71], v[66:67], v[72:73] neg_lo:[0,0,1] neg_hi:[0,0,1]
	v_mov_b32_e32 v67, v75
	s_cbranch_execz .LBB94_414
	s_branch .LBB94_415
.LBB94_413:
                                        ; implicit-def: $vgpr66_vgpr67
.LBB94_414:
	ds_load_b64 v[66:67], v1
.LBB94_415:
	s_mov_b32 s4, exec_lo
	v_cmpx_ne_u32_e32 11, v0
	s_cbranch_execz .LBB94_419
; %bb.416:
	v_add_nc_u32_e32 v69, 0x108, v58
	v_add3_u32 v70, 0, v58, 8
	v_mov_b32_e32 v71, v0
	s_mov_b32 s5, 0
.LBB94_417:                             ; =>This Inner Loop Header: Depth=1
	scratch_load_b64 v[72:73], v70, off
	ds_load_b64 v[74:75], v69
	s_wait_xcnt 0x0
	v_dual_add_nc_u32 v69, 8, v69 :: v_dual_add_nc_u32 v70, 8, v70
	s_wait_loadcnt_dscnt 0x0
	v_pk_mul_f32 v[76:77], v[74:75], v[72:73] op_sel:[1,1] op_sel_hi:[0,1]
	s_delay_alu instid0(VALU_DEP_1) | instskip(SKIP_2) | instid1(VALU_DEP_3)
	v_pk_fma_f32 v[78:79], v[74:75], v[72:73], v[76:77] op_sel_hi:[1,0,1]
	v_add_nc_u32_e32 v71, 1, v71
	v_pk_fma_f32 v[72:73], v[74:75], v[72:73], v[76:77] neg_lo:[0,0,1] neg_hi:[0,0,1]
	v_mov_b32_e32 v73, v79
	s_delay_alu instid0(VALU_DEP_3) | instskip(NEXT) | instid1(VALU_DEP_2)
	v_cmp_lt_u32_e32 vcc_lo, 10, v71
	v_pk_add_f32 v[66:67], v[66:67], v[72:73]
	s_or_b32 s5, vcc_lo, s5
	s_delay_alu instid0(SALU_CYCLE_1)
	s_and_not1_b32 exec_lo, exec_lo, s5
	s_cbranch_execnz .LBB94_417
; %bb.418:
	s_or_b32 exec_lo, exec_lo, s5
.LBB94_419:
	s_delay_alu instid0(SALU_CYCLE_1) | instskip(SKIP_4) | instid1(VALU_DEP_1)
	s_or_b32 exec_lo, exec_lo, s4
	v_mov_b32_e32 v69, 0
	ds_load_b64 v[70:71], v69 offset:96
	s_wait_dscnt 0x0
	v_pk_mul_f32 v[72:73], v[66:67], v[70:71] op_sel:[1,1] op_sel_hi:[0,1]
	v_pk_fma_f32 v[74:75], v[66:67], v[70:71], v[72:73] op_sel_hi:[1,0,1]
	v_pk_fma_f32 v[66:67], v[66:67], v[70:71], v[72:73] neg_lo:[0,0,1] neg_hi:[0,0,1]
	s_delay_alu instid0(VALU_DEP_2)
	v_mov_b32_e32 v67, v75
	scratch_store_b64 off, v[66:67], off offset:96
.LBB94_420:
	s_wait_xcnt 0x0
	s_or_b32 exec_lo, exec_lo, s0
	scratch_load_b64 v[66:67], off, off offset:104
	s_mov_b32 s0, exec_lo
	s_wait_loadcnt 0x0
	ds_store_b64 v1, v[66:67]
	s_wait_storecnt_dscnt 0x0
	s_barrier_signal -1
	s_barrier_wait -1
	s_wait_xcnt 0x0
	v_cmpx_gt_u32_e32 13, v0
	s_cbranch_execz .LBB94_430
; %bb.421:
	v_cmp_ne_u32_e32 vcc_lo, 1, v68
	s_cbranch_vccnz .LBB94_423
; %bb.422:
	scratch_load_b64 v[66:67], v59, off
	ds_load_b64 v[70:71], v1
	s_wait_loadcnt_dscnt 0x0
	v_pk_mul_f32 v[72:73], v[70:71], v[66:67] op_sel:[1,1] op_sel_hi:[0,1]
	s_delay_alu instid0(VALU_DEP_1) | instskip(SKIP_1) | instid1(VALU_DEP_2)
	v_pk_fma_f32 v[74:75], v[70:71], v[66:67], v[72:73] op_sel_hi:[1,0,1]
	v_pk_fma_f32 v[66:67], v[70:71], v[66:67], v[72:73] neg_lo:[0,0,1] neg_hi:[0,0,1]
	v_mov_b32_e32 v67, v75
	s_cbranch_execz .LBB94_424
	s_branch .LBB94_425
.LBB94_423:
                                        ; implicit-def: $vgpr66_vgpr67
.LBB94_424:
	ds_load_b64 v[66:67], v1
.LBB94_425:
	s_mov_b32 s4, exec_lo
	v_cmpx_ne_u32_e32 12, v0
	s_cbranch_execz .LBB94_429
; %bb.426:
	v_add_nc_u32_e32 v69, 0x108, v58
	v_add3_u32 v70, 0, v58, 8
	v_mov_b32_e32 v71, v0
	s_mov_b32 s5, 0
.LBB94_427:                             ; =>This Inner Loop Header: Depth=1
	scratch_load_b64 v[72:73], v70, off
	ds_load_b64 v[74:75], v69
	s_wait_xcnt 0x0
	v_dual_add_nc_u32 v69, 8, v69 :: v_dual_add_nc_u32 v70, 8, v70
	s_wait_loadcnt_dscnt 0x0
	v_pk_mul_f32 v[76:77], v[74:75], v[72:73] op_sel:[1,1] op_sel_hi:[0,1]
	s_delay_alu instid0(VALU_DEP_1) | instskip(SKIP_2) | instid1(VALU_DEP_3)
	v_pk_fma_f32 v[78:79], v[74:75], v[72:73], v[76:77] op_sel_hi:[1,0,1]
	v_add_nc_u32_e32 v71, 1, v71
	v_pk_fma_f32 v[72:73], v[74:75], v[72:73], v[76:77] neg_lo:[0,0,1] neg_hi:[0,0,1]
	v_mov_b32_e32 v73, v79
	s_delay_alu instid0(VALU_DEP_3) | instskip(NEXT) | instid1(VALU_DEP_2)
	v_cmp_lt_u32_e32 vcc_lo, 11, v71
	v_pk_add_f32 v[66:67], v[66:67], v[72:73]
	s_or_b32 s5, vcc_lo, s5
	s_delay_alu instid0(SALU_CYCLE_1)
	s_and_not1_b32 exec_lo, exec_lo, s5
	s_cbranch_execnz .LBB94_427
; %bb.428:
	s_or_b32 exec_lo, exec_lo, s5
.LBB94_429:
	s_delay_alu instid0(SALU_CYCLE_1) | instskip(SKIP_4) | instid1(VALU_DEP_1)
	s_or_b32 exec_lo, exec_lo, s4
	v_mov_b32_e32 v69, 0
	ds_load_b64 v[70:71], v69 offset:104
	s_wait_dscnt 0x0
	v_pk_mul_f32 v[72:73], v[66:67], v[70:71] op_sel:[1,1] op_sel_hi:[0,1]
	v_pk_fma_f32 v[74:75], v[66:67], v[70:71], v[72:73] op_sel_hi:[1,0,1]
	v_pk_fma_f32 v[66:67], v[66:67], v[70:71], v[72:73] neg_lo:[0,0,1] neg_hi:[0,0,1]
	s_delay_alu instid0(VALU_DEP_2)
	v_mov_b32_e32 v67, v75
	scratch_store_b64 off, v[66:67], off offset:104
.LBB94_430:
	s_wait_xcnt 0x0
	s_or_b32 exec_lo, exec_lo, s0
	scratch_load_b64 v[66:67], off, off offset:112
	s_mov_b32 s0, exec_lo
	s_wait_loadcnt 0x0
	ds_store_b64 v1, v[66:67]
	s_wait_storecnt_dscnt 0x0
	s_barrier_signal -1
	s_barrier_wait -1
	s_wait_xcnt 0x0
	v_cmpx_gt_u32_e32 14, v0
	s_cbranch_execz .LBB94_440
; %bb.431:
	v_cmp_ne_u32_e32 vcc_lo, 1, v68
	s_cbranch_vccnz .LBB94_433
; %bb.432:
	scratch_load_b64 v[66:67], v59, off
	ds_load_b64 v[70:71], v1
	s_wait_loadcnt_dscnt 0x0
	v_pk_mul_f32 v[72:73], v[70:71], v[66:67] op_sel:[1,1] op_sel_hi:[0,1]
	s_delay_alu instid0(VALU_DEP_1) | instskip(SKIP_1) | instid1(VALU_DEP_2)
	v_pk_fma_f32 v[74:75], v[70:71], v[66:67], v[72:73] op_sel_hi:[1,0,1]
	v_pk_fma_f32 v[66:67], v[70:71], v[66:67], v[72:73] neg_lo:[0,0,1] neg_hi:[0,0,1]
	v_mov_b32_e32 v67, v75
	s_cbranch_execz .LBB94_434
	s_branch .LBB94_435
.LBB94_433:
                                        ; implicit-def: $vgpr66_vgpr67
.LBB94_434:
	ds_load_b64 v[66:67], v1
.LBB94_435:
	s_mov_b32 s4, exec_lo
	v_cmpx_ne_u32_e32 13, v0
	s_cbranch_execz .LBB94_439
; %bb.436:
	v_add_nc_u32_e32 v69, 0x108, v58
	v_add3_u32 v70, 0, v58, 8
	v_mov_b32_e32 v71, v0
	s_mov_b32 s5, 0
.LBB94_437:                             ; =>This Inner Loop Header: Depth=1
	scratch_load_b64 v[72:73], v70, off
	ds_load_b64 v[74:75], v69
	s_wait_xcnt 0x0
	v_dual_add_nc_u32 v69, 8, v69 :: v_dual_add_nc_u32 v70, 8, v70
	s_wait_loadcnt_dscnt 0x0
	v_pk_mul_f32 v[76:77], v[74:75], v[72:73] op_sel:[1,1] op_sel_hi:[0,1]
	s_delay_alu instid0(VALU_DEP_1) | instskip(SKIP_2) | instid1(VALU_DEP_3)
	v_pk_fma_f32 v[78:79], v[74:75], v[72:73], v[76:77] op_sel_hi:[1,0,1]
	v_add_nc_u32_e32 v71, 1, v71
	v_pk_fma_f32 v[72:73], v[74:75], v[72:73], v[76:77] neg_lo:[0,0,1] neg_hi:[0,0,1]
	v_mov_b32_e32 v73, v79
	s_delay_alu instid0(VALU_DEP_3) | instskip(NEXT) | instid1(VALU_DEP_2)
	v_cmp_lt_u32_e32 vcc_lo, 12, v71
	v_pk_add_f32 v[66:67], v[66:67], v[72:73]
	s_or_b32 s5, vcc_lo, s5
	s_delay_alu instid0(SALU_CYCLE_1)
	s_and_not1_b32 exec_lo, exec_lo, s5
	s_cbranch_execnz .LBB94_437
; %bb.438:
	s_or_b32 exec_lo, exec_lo, s5
.LBB94_439:
	s_delay_alu instid0(SALU_CYCLE_1) | instskip(SKIP_4) | instid1(VALU_DEP_1)
	s_or_b32 exec_lo, exec_lo, s4
	v_mov_b32_e32 v69, 0
	ds_load_b64 v[70:71], v69 offset:112
	s_wait_dscnt 0x0
	v_pk_mul_f32 v[72:73], v[66:67], v[70:71] op_sel:[1,1] op_sel_hi:[0,1]
	v_pk_fma_f32 v[74:75], v[66:67], v[70:71], v[72:73] op_sel_hi:[1,0,1]
	v_pk_fma_f32 v[66:67], v[66:67], v[70:71], v[72:73] neg_lo:[0,0,1] neg_hi:[0,0,1]
	s_delay_alu instid0(VALU_DEP_2)
	v_mov_b32_e32 v67, v75
	scratch_store_b64 off, v[66:67], off offset:112
.LBB94_440:
	s_wait_xcnt 0x0
	s_or_b32 exec_lo, exec_lo, s0
	scratch_load_b64 v[66:67], off, off offset:120
	s_mov_b32 s0, exec_lo
	s_wait_loadcnt 0x0
	ds_store_b64 v1, v[66:67]
	s_wait_storecnt_dscnt 0x0
	s_barrier_signal -1
	s_barrier_wait -1
	s_wait_xcnt 0x0
	v_cmpx_gt_u32_e32 15, v0
	s_cbranch_execz .LBB94_450
; %bb.441:
	v_cmp_ne_u32_e32 vcc_lo, 1, v68
	s_cbranch_vccnz .LBB94_443
; %bb.442:
	scratch_load_b64 v[66:67], v59, off
	ds_load_b64 v[70:71], v1
	s_wait_loadcnt_dscnt 0x0
	v_pk_mul_f32 v[72:73], v[70:71], v[66:67] op_sel:[1,1] op_sel_hi:[0,1]
	s_delay_alu instid0(VALU_DEP_1) | instskip(SKIP_1) | instid1(VALU_DEP_2)
	v_pk_fma_f32 v[74:75], v[70:71], v[66:67], v[72:73] op_sel_hi:[1,0,1]
	v_pk_fma_f32 v[66:67], v[70:71], v[66:67], v[72:73] neg_lo:[0,0,1] neg_hi:[0,0,1]
	v_mov_b32_e32 v67, v75
	s_cbranch_execz .LBB94_444
	s_branch .LBB94_445
.LBB94_443:
                                        ; implicit-def: $vgpr66_vgpr67
.LBB94_444:
	ds_load_b64 v[66:67], v1
.LBB94_445:
	s_mov_b32 s4, exec_lo
	v_cmpx_ne_u32_e32 14, v0
	s_cbranch_execz .LBB94_449
; %bb.446:
	v_add_nc_u32_e32 v69, 0x108, v58
	v_add3_u32 v70, 0, v58, 8
	v_mov_b32_e32 v71, v0
	s_mov_b32 s5, 0
.LBB94_447:                             ; =>This Inner Loop Header: Depth=1
	scratch_load_b64 v[72:73], v70, off
	ds_load_b64 v[74:75], v69
	s_wait_xcnt 0x0
	v_dual_add_nc_u32 v69, 8, v69 :: v_dual_add_nc_u32 v70, 8, v70
	s_wait_loadcnt_dscnt 0x0
	v_pk_mul_f32 v[76:77], v[74:75], v[72:73] op_sel:[1,1] op_sel_hi:[0,1]
	s_delay_alu instid0(VALU_DEP_1) | instskip(SKIP_2) | instid1(VALU_DEP_3)
	v_pk_fma_f32 v[78:79], v[74:75], v[72:73], v[76:77] op_sel_hi:[1,0,1]
	v_add_nc_u32_e32 v71, 1, v71
	v_pk_fma_f32 v[72:73], v[74:75], v[72:73], v[76:77] neg_lo:[0,0,1] neg_hi:[0,0,1]
	v_mov_b32_e32 v73, v79
	s_delay_alu instid0(VALU_DEP_3) | instskip(NEXT) | instid1(VALU_DEP_2)
	v_cmp_lt_u32_e32 vcc_lo, 13, v71
	v_pk_add_f32 v[66:67], v[66:67], v[72:73]
	s_or_b32 s5, vcc_lo, s5
	s_delay_alu instid0(SALU_CYCLE_1)
	s_and_not1_b32 exec_lo, exec_lo, s5
	s_cbranch_execnz .LBB94_447
; %bb.448:
	s_or_b32 exec_lo, exec_lo, s5
.LBB94_449:
	s_delay_alu instid0(SALU_CYCLE_1) | instskip(SKIP_4) | instid1(VALU_DEP_1)
	s_or_b32 exec_lo, exec_lo, s4
	v_mov_b32_e32 v69, 0
	ds_load_b64 v[70:71], v69 offset:120
	s_wait_dscnt 0x0
	v_pk_mul_f32 v[72:73], v[66:67], v[70:71] op_sel:[1,1] op_sel_hi:[0,1]
	v_pk_fma_f32 v[74:75], v[66:67], v[70:71], v[72:73] op_sel_hi:[1,0,1]
	v_pk_fma_f32 v[66:67], v[66:67], v[70:71], v[72:73] neg_lo:[0,0,1] neg_hi:[0,0,1]
	s_delay_alu instid0(VALU_DEP_2)
	v_mov_b32_e32 v67, v75
	scratch_store_b64 off, v[66:67], off offset:120
.LBB94_450:
	s_wait_xcnt 0x0
	s_or_b32 exec_lo, exec_lo, s0
	scratch_load_b64 v[66:67], off, off offset:128
	s_mov_b32 s0, exec_lo
	s_wait_loadcnt 0x0
	ds_store_b64 v1, v[66:67]
	s_wait_storecnt_dscnt 0x0
	s_barrier_signal -1
	s_barrier_wait -1
	s_wait_xcnt 0x0
	v_cmpx_gt_u32_e32 16, v0
	s_cbranch_execz .LBB94_460
; %bb.451:
	v_cmp_ne_u32_e32 vcc_lo, 1, v68
	s_cbranch_vccnz .LBB94_453
; %bb.452:
	scratch_load_b64 v[66:67], v59, off
	ds_load_b64 v[70:71], v1
	s_wait_loadcnt_dscnt 0x0
	v_pk_mul_f32 v[72:73], v[70:71], v[66:67] op_sel:[1,1] op_sel_hi:[0,1]
	s_delay_alu instid0(VALU_DEP_1) | instskip(SKIP_1) | instid1(VALU_DEP_2)
	v_pk_fma_f32 v[74:75], v[70:71], v[66:67], v[72:73] op_sel_hi:[1,0,1]
	v_pk_fma_f32 v[66:67], v[70:71], v[66:67], v[72:73] neg_lo:[0,0,1] neg_hi:[0,0,1]
	v_mov_b32_e32 v67, v75
	s_cbranch_execz .LBB94_454
	s_branch .LBB94_455
.LBB94_453:
                                        ; implicit-def: $vgpr66_vgpr67
.LBB94_454:
	ds_load_b64 v[66:67], v1
.LBB94_455:
	s_mov_b32 s4, exec_lo
	v_cmpx_ne_u32_e32 15, v0
	s_cbranch_execz .LBB94_459
; %bb.456:
	v_add_nc_u32_e32 v69, 0x108, v58
	v_add3_u32 v70, 0, v58, 8
	v_mov_b32_e32 v71, v0
	s_mov_b32 s5, 0
.LBB94_457:                             ; =>This Inner Loop Header: Depth=1
	scratch_load_b64 v[72:73], v70, off
	ds_load_b64 v[74:75], v69
	s_wait_xcnt 0x0
	v_dual_add_nc_u32 v69, 8, v69 :: v_dual_add_nc_u32 v70, 8, v70
	s_wait_loadcnt_dscnt 0x0
	v_pk_mul_f32 v[76:77], v[74:75], v[72:73] op_sel:[1,1] op_sel_hi:[0,1]
	s_delay_alu instid0(VALU_DEP_1) | instskip(SKIP_2) | instid1(VALU_DEP_3)
	v_pk_fma_f32 v[78:79], v[74:75], v[72:73], v[76:77] op_sel_hi:[1,0,1]
	v_add_nc_u32_e32 v71, 1, v71
	v_pk_fma_f32 v[72:73], v[74:75], v[72:73], v[76:77] neg_lo:[0,0,1] neg_hi:[0,0,1]
	v_mov_b32_e32 v73, v79
	s_delay_alu instid0(VALU_DEP_3) | instskip(NEXT) | instid1(VALU_DEP_2)
	v_cmp_lt_u32_e32 vcc_lo, 14, v71
	v_pk_add_f32 v[66:67], v[66:67], v[72:73]
	s_or_b32 s5, vcc_lo, s5
	s_delay_alu instid0(SALU_CYCLE_1)
	s_and_not1_b32 exec_lo, exec_lo, s5
	s_cbranch_execnz .LBB94_457
; %bb.458:
	s_or_b32 exec_lo, exec_lo, s5
.LBB94_459:
	s_delay_alu instid0(SALU_CYCLE_1) | instskip(SKIP_4) | instid1(VALU_DEP_1)
	s_or_b32 exec_lo, exec_lo, s4
	v_mov_b32_e32 v69, 0
	ds_load_b64 v[70:71], v69 offset:128
	s_wait_dscnt 0x0
	v_pk_mul_f32 v[72:73], v[66:67], v[70:71] op_sel:[1,1] op_sel_hi:[0,1]
	v_pk_fma_f32 v[74:75], v[66:67], v[70:71], v[72:73] op_sel_hi:[1,0,1]
	v_pk_fma_f32 v[66:67], v[66:67], v[70:71], v[72:73] neg_lo:[0,0,1] neg_hi:[0,0,1]
	s_delay_alu instid0(VALU_DEP_2)
	v_mov_b32_e32 v67, v75
	scratch_store_b64 off, v[66:67], off offset:128
.LBB94_460:
	s_wait_xcnt 0x0
	s_or_b32 exec_lo, exec_lo, s0
	scratch_load_b64 v[66:67], off, off offset:136
	s_mov_b32 s0, exec_lo
	s_wait_loadcnt 0x0
	ds_store_b64 v1, v[66:67]
	s_wait_storecnt_dscnt 0x0
	s_barrier_signal -1
	s_barrier_wait -1
	s_wait_xcnt 0x0
	v_cmpx_gt_u32_e32 17, v0
	s_cbranch_execz .LBB94_470
; %bb.461:
	v_cmp_ne_u32_e32 vcc_lo, 1, v68
	s_cbranch_vccnz .LBB94_463
; %bb.462:
	scratch_load_b64 v[66:67], v59, off
	ds_load_b64 v[70:71], v1
	s_wait_loadcnt_dscnt 0x0
	v_pk_mul_f32 v[72:73], v[70:71], v[66:67] op_sel:[1,1] op_sel_hi:[0,1]
	s_delay_alu instid0(VALU_DEP_1) | instskip(SKIP_1) | instid1(VALU_DEP_2)
	v_pk_fma_f32 v[74:75], v[70:71], v[66:67], v[72:73] op_sel_hi:[1,0,1]
	v_pk_fma_f32 v[66:67], v[70:71], v[66:67], v[72:73] neg_lo:[0,0,1] neg_hi:[0,0,1]
	v_mov_b32_e32 v67, v75
	s_cbranch_execz .LBB94_464
	s_branch .LBB94_465
.LBB94_463:
                                        ; implicit-def: $vgpr66_vgpr67
.LBB94_464:
	ds_load_b64 v[66:67], v1
.LBB94_465:
	s_mov_b32 s4, exec_lo
	v_cmpx_ne_u32_e32 16, v0
	s_cbranch_execz .LBB94_469
; %bb.466:
	v_add_nc_u32_e32 v69, 0x108, v58
	v_add3_u32 v70, 0, v58, 8
	v_mov_b32_e32 v71, v0
	s_mov_b32 s5, 0
.LBB94_467:                             ; =>This Inner Loop Header: Depth=1
	scratch_load_b64 v[72:73], v70, off
	ds_load_b64 v[74:75], v69
	s_wait_xcnt 0x0
	v_dual_add_nc_u32 v69, 8, v69 :: v_dual_add_nc_u32 v70, 8, v70
	s_wait_loadcnt_dscnt 0x0
	v_pk_mul_f32 v[76:77], v[74:75], v[72:73] op_sel:[1,1] op_sel_hi:[0,1]
	s_delay_alu instid0(VALU_DEP_1) | instskip(SKIP_2) | instid1(VALU_DEP_3)
	v_pk_fma_f32 v[78:79], v[74:75], v[72:73], v[76:77] op_sel_hi:[1,0,1]
	v_add_nc_u32_e32 v71, 1, v71
	v_pk_fma_f32 v[72:73], v[74:75], v[72:73], v[76:77] neg_lo:[0,0,1] neg_hi:[0,0,1]
	v_mov_b32_e32 v73, v79
	s_delay_alu instid0(VALU_DEP_3) | instskip(NEXT) | instid1(VALU_DEP_2)
	v_cmp_lt_u32_e32 vcc_lo, 15, v71
	v_pk_add_f32 v[66:67], v[66:67], v[72:73]
	s_or_b32 s5, vcc_lo, s5
	s_delay_alu instid0(SALU_CYCLE_1)
	s_and_not1_b32 exec_lo, exec_lo, s5
	s_cbranch_execnz .LBB94_467
; %bb.468:
	s_or_b32 exec_lo, exec_lo, s5
.LBB94_469:
	s_delay_alu instid0(SALU_CYCLE_1) | instskip(SKIP_4) | instid1(VALU_DEP_1)
	s_or_b32 exec_lo, exec_lo, s4
	v_mov_b32_e32 v69, 0
	ds_load_b64 v[70:71], v69 offset:136
	s_wait_dscnt 0x0
	v_pk_mul_f32 v[72:73], v[66:67], v[70:71] op_sel:[1,1] op_sel_hi:[0,1]
	v_pk_fma_f32 v[74:75], v[66:67], v[70:71], v[72:73] op_sel_hi:[1,0,1]
	v_pk_fma_f32 v[66:67], v[66:67], v[70:71], v[72:73] neg_lo:[0,0,1] neg_hi:[0,0,1]
	s_delay_alu instid0(VALU_DEP_2)
	v_mov_b32_e32 v67, v75
	scratch_store_b64 off, v[66:67], off offset:136
.LBB94_470:
	s_wait_xcnt 0x0
	s_or_b32 exec_lo, exec_lo, s0
	scratch_load_b64 v[66:67], off, off offset:144
	s_mov_b32 s0, exec_lo
	s_wait_loadcnt 0x0
	ds_store_b64 v1, v[66:67]
	s_wait_storecnt_dscnt 0x0
	s_barrier_signal -1
	s_barrier_wait -1
	s_wait_xcnt 0x0
	v_cmpx_gt_u32_e32 18, v0
	s_cbranch_execz .LBB94_480
; %bb.471:
	v_cmp_ne_u32_e32 vcc_lo, 1, v68
	s_cbranch_vccnz .LBB94_473
; %bb.472:
	scratch_load_b64 v[66:67], v59, off
	ds_load_b64 v[70:71], v1
	s_wait_loadcnt_dscnt 0x0
	v_pk_mul_f32 v[72:73], v[70:71], v[66:67] op_sel:[1,1] op_sel_hi:[0,1]
	s_delay_alu instid0(VALU_DEP_1) | instskip(SKIP_1) | instid1(VALU_DEP_2)
	v_pk_fma_f32 v[74:75], v[70:71], v[66:67], v[72:73] op_sel_hi:[1,0,1]
	v_pk_fma_f32 v[66:67], v[70:71], v[66:67], v[72:73] neg_lo:[0,0,1] neg_hi:[0,0,1]
	v_mov_b32_e32 v67, v75
	s_cbranch_execz .LBB94_474
	s_branch .LBB94_475
.LBB94_473:
                                        ; implicit-def: $vgpr66_vgpr67
.LBB94_474:
	ds_load_b64 v[66:67], v1
.LBB94_475:
	s_mov_b32 s4, exec_lo
	v_cmpx_ne_u32_e32 17, v0
	s_cbranch_execz .LBB94_479
; %bb.476:
	v_add_nc_u32_e32 v69, 0x108, v58
	v_add3_u32 v70, 0, v58, 8
	v_mov_b32_e32 v71, v0
	s_mov_b32 s5, 0
.LBB94_477:                             ; =>This Inner Loop Header: Depth=1
	scratch_load_b64 v[72:73], v70, off
	ds_load_b64 v[74:75], v69
	s_wait_xcnt 0x0
	v_dual_add_nc_u32 v69, 8, v69 :: v_dual_add_nc_u32 v70, 8, v70
	s_wait_loadcnt_dscnt 0x0
	v_pk_mul_f32 v[76:77], v[74:75], v[72:73] op_sel:[1,1] op_sel_hi:[0,1]
	s_delay_alu instid0(VALU_DEP_1) | instskip(SKIP_2) | instid1(VALU_DEP_3)
	v_pk_fma_f32 v[78:79], v[74:75], v[72:73], v[76:77] op_sel_hi:[1,0,1]
	v_add_nc_u32_e32 v71, 1, v71
	v_pk_fma_f32 v[72:73], v[74:75], v[72:73], v[76:77] neg_lo:[0,0,1] neg_hi:[0,0,1]
	v_mov_b32_e32 v73, v79
	s_delay_alu instid0(VALU_DEP_3) | instskip(NEXT) | instid1(VALU_DEP_2)
	v_cmp_lt_u32_e32 vcc_lo, 16, v71
	v_pk_add_f32 v[66:67], v[66:67], v[72:73]
	s_or_b32 s5, vcc_lo, s5
	s_delay_alu instid0(SALU_CYCLE_1)
	s_and_not1_b32 exec_lo, exec_lo, s5
	s_cbranch_execnz .LBB94_477
; %bb.478:
	s_or_b32 exec_lo, exec_lo, s5
.LBB94_479:
	s_delay_alu instid0(SALU_CYCLE_1) | instskip(SKIP_4) | instid1(VALU_DEP_1)
	s_or_b32 exec_lo, exec_lo, s4
	v_mov_b32_e32 v69, 0
	ds_load_b64 v[70:71], v69 offset:144
	s_wait_dscnt 0x0
	v_pk_mul_f32 v[72:73], v[66:67], v[70:71] op_sel:[1,1] op_sel_hi:[0,1]
	v_pk_fma_f32 v[74:75], v[66:67], v[70:71], v[72:73] op_sel_hi:[1,0,1]
	v_pk_fma_f32 v[66:67], v[66:67], v[70:71], v[72:73] neg_lo:[0,0,1] neg_hi:[0,0,1]
	s_delay_alu instid0(VALU_DEP_2)
	v_mov_b32_e32 v67, v75
	scratch_store_b64 off, v[66:67], off offset:144
.LBB94_480:
	s_wait_xcnt 0x0
	s_or_b32 exec_lo, exec_lo, s0
	scratch_load_b64 v[66:67], off, off offset:152
	s_mov_b32 s0, exec_lo
	s_wait_loadcnt 0x0
	ds_store_b64 v1, v[66:67]
	s_wait_storecnt_dscnt 0x0
	s_barrier_signal -1
	s_barrier_wait -1
	s_wait_xcnt 0x0
	v_cmpx_gt_u32_e32 19, v0
	s_cbranch_execz .LBB94_490
; %bb.481:
	v_cmp_ne_u32_e32 vcc_lo, 1, v68
	s_cbranch_vccnz .LBB94_483
; %bb.482:
	scratch_load_b64 v[66:67], v59, off
	ds_load_b64 v[70:71], v1
	s_wait_loadcnt_dscnt 0x0
	v_pk_mul_f32 v[72:73], v[70:71], v[66:67] op_sel:[1,1] op_sel_hi:[0,1]
	s_delay_alu instid0(VALU_DEP_1) | instskip(SKIP_1) | instid1(VALU_DEP_2)
	v_pk_fma_f32 v[74:75], v[70:71], v[66:67], v[72:73] op_sel_hi:[1,0,1]
	v_pk_fma_f32 v[66:67], v[70:71], v[66:67], v[72:73] neg_lo:[0,0,1] neg_hi:[0,0,1]
	v_mov_b32_e32 v67, v75
	s_cbranch_execz .LBB94_484
	s_branch .LBB94_485
.LBB94_483:
                                        ; implicit-def: $vgpr66_vgpr67
.LBB94_484:
	ds_load_b64 v[66:67], v1
.LBB94_485:
	s_mov_b32 s4, exec_lo
	v_cmpx_ne_u32_e32 18, v0
	s_cbranch_execz .LBB94_489
; %bb.486:
	v_add_nc_u32_e32 v69, 0x108, v58
	v_add3_u32 v70, 0, v58, 8
	v_mov_b32_e32 v71, v0
	s_mov_b32 s5, 0
.LBB94_487:                             ; =>This Inner Loop Header: Depth=1
	scratch_load_b64 v[72:73], v70, off
	ds_load_b64 v[74:75], v69
	s_wait_xcnt 0x0
	v_dual_add_nc_u32 v69, 8, v69 :: v_dual_add_nc_u32 v70, 8, v70
	s_wait_loadcnt_dscnt 0x0
	v_pk_mul_f32 v[76:77], v[74:75], v[72:73] op_sel:[1,1] op_sel_hi:[0,1]
	s_delay_alu instid0(VALU_DEP_1) | instskip(SKIP_2) | instid1(VALU_DEP_3)
	v_pk_fma_f32 v[78:79], v[74:75], v[72:73], v[76:77] op_sel_hi:[1,0,1]
	v_add_nc_u32_e32 v71, 1, v71
	v_pk_fma_f32 v[72:73], v[74:75], v[72:73], v[76:77] neg_lo:[0,0,1] neg_hi:[0,0,1]
	v_mov_b32_e32 v73, v79
	s_delay_alu instid0(VALU_DEP_3) | instskip(NEXT) | instid1(VALU_DEP_2)
	v_cmp_lt_u32_e32 vcc_lo, 17, v71
	v_pk_add_f32 v[66:67], v[66:67], v[72:73]
	s_or_b32 s5, vcc_lo, s5
	s_delay_alu instid0(SALU_CYCLE_1)
	s_and_not1_b32 exec_lo, exec_lo, s5
	s_cbranch_execnz .LBB94_487
; %bb.488:
	s_or_b32 exec_lo, exec_lo, s5
.LBB94_489:
	s_delay_alu instid0(SALU_CYCLE_1) | instskip(SKIP_4) | instid1(VALU_DEP_1)
	s_or_b32 exec_lo, exec_lo, s4
	v_mov_b32_e32 v69, 0
	ds_load_b64 v[70:71], v69 offset:152
	s_wait_dscnt 0x0
	v_pk_mul_f32 v[72:73], v[66:67], v[70:71] op_sel:[1,1] op_sel_hi:[0,1]
	v_pk_fma_f32 v[74:75], v[66:67], v[70:71], v[72:73] op_sel_hi:[1,0,1]
	v_pk_fma_f32 v[66:67], v[66:67], v[70:71], v[72:73] neg_lo:[0,0,1] neg_hi:[0,0,1]
	s_delay_alu instid0(VALU_DEP_2)
	v_mov_b32_e32 v67, v75
	scratch_store_b64 off, v[66:67], off offset:152
.LBB94_490:
	s_wait_xcnt 0x0
	s_or_b32 exec_lo, exec_lo, s0
	scratch_load_b64 v[66:67], off, off offset:160
	s_mov_b32 s0, exec_lo
	s_wait_loadcnt 0x0
	ds_store_b64 v1, v[66:67]
	s_wait_storecnt_dscnt 0x0
	s_barrier_signal -1
	s_barrier_wait -1
	s_wait_xcnt 0x0
	v_cmpx_gt_u32_e32 20, v0
	s_cbranch_execz .LBB94_500
; %bb.491:
	v_cmp_ne_u32_e32 vcc_lo, 1, v68
	s_cbranch_vccnz .LBB94_493
; %bb.492:
	scratch_load_b64 v[66:67], v59, off
	ds_load_b64 v[70:71], v1
	s_wait_loadcnt_dscnt 0x0
	v_pk_mul_f32 v[72:73], v[70:71], v[66:67] op_sel:[1,1] op_sel_hi:[0,1]
	s_delay_alu instid0(VALU_DEP_1) | instskip(SKIP_1) | instid1(VALU_DEP_2)
	v_pk_fma_f32 v[74:75], v[70:71], v[66:67], v[72:73] op_sel_hi:[1,0,1]
	v_pk_fma_f32 v[66:67], v[70:71], v[66:67], v[72:73] neg_lo:[0,0,1] neg_hi:[0,0,1]
	v_mov_b32_e32 v67, v75
	s_cbranch_execz .LBB94_494
	s_branch .LBB94_495
.LBB94_493:
                                        ; implicit-def: $vgpr66_vgpr67
.LBB94_494:
	ds_load_b64 v[66:67], v1
.LBB94_495:
	s_mov_b32 s4, exec_lo
	v_cmpx_ne_u32_e32 19, v0
	s_cbranch_execz .LBB94_499
; %bb.496:
	v_add_nc_u32_e32 v69, 0x108, v58
	v_add3_u32 v70, 0, v58, 8
	v_mov_b32_e32 v71, v0
	s_mov_b32 s5, 0
.LBB94_497:                             ; =>This Inner Loop Header: Depth=1
	scratch_load_b64 v[72:73], v70, off
	ds_load_b64 v[74:75], v69
	s_wait_xcnt 0x0
	v_dual_add_nc_u32 v69, 8, v69 :: v_dual_add_nc_u32 v70, 8, v70
	s_wait_loadcnt_dscnt 0x0
	v_pk_mul_f32 v[76:77], v[74:75], v[72:73] op_sel:[1,1] op_sel_hi:[0,1]
	s_delay_alu instid0(VALU_DEP_1) | instskip(SKIP_2) | instid1(VALU_DEP_3)
	v_pk_fma_f32 v[78:79], v[74:75], v[72:73], v[76:77] op_sel_hi:[1,0,1]
	v_add_nc_u32_e32 v71, 1, v71
	v_pk_fma_f32 v[72:73], v[74:75], v[72:73], v[76:77] neg_lo:[0,0,1] neg_hi:[0,0,1]
	v_mov_b32_e32 v73, v79
	s_delay_alu instid0(VALU_DEP_3) | instskip(NEXT) | instid1(VALU_DEP_2)
	v_cmp_lt_u32_e32 vcc_lo, 18, v71
	v_pk_add_f32 v[66:67], v[66:67], v[72:73]
	s_or_b32 s5, vcc_lo, s5
	s_delay_alu instid0(SALU_CYCLE_1)
	s_and_not1_b32 exec_lo, exec_lo, s5
	s_cbranch_execnz .LBB94_497
; %bb.498:
	s_or_b32 exec_lo, exec_lo, s5
.LBB94_499:
	s_delay_alu instid0(SALU_CYCLE_1) | instskip(SKIP_4) | instid1(VALU_DEP_1)
	s_or_b32 exec_lo, exec_lo, s4
	v_mov_b32_e32 v69, 0
	ds_load_b64 v[70:71], v69 offset:160
	s_wait_dscnt 0x0
	v_pk_mul_f32 v[72:73], v[66:67], v[70:71] op_sel:[1,1] op_sel_hi:[0,1]
	v_pk_fma_f32 v[74:75], v[66:67], v[70:71], v[72:73] op_sel_hi:[1,0,1]
	v_pk_fma_f32 v[66:67], v[66:67], v[70:71], v[72:73] neg_lo:[0,0,1] neg_hi:[0,0,1]
	s_delay_alu instid0(VALU_DEP_2)
	v_mov_b32_e32 v67, v75
	scratch_store_b64 off, v[66:67], off offset:160
.LBB94_500:
	s_wait_xcnt 0x0
	s_or_b32 exec_lo, exec_lo, s0
	scratch_load_b64 v[66:67], off, off offset:168
	s_mov_b32 s0, exec_lo
	s_wait_loadcnt 0x0
	ds_store_b64 v1, v[66:67]
	s_wait_storecnt_dscnt 0x0
	s_barrier_signal -1
	s_barrier_wait -1
	s_wait_xcnt 0x0
	v_cmpx_gt_u32_e32 21, v0
	s_cbranch_execz .LBB94_510
; %bb.501:
	v_cmp_ne_u32_e32 vcc_lo, 1, v68
	s_cbranch_vccnz .LBB94_503
; %bb.502:
	scratch_load_b64 v[66:67], v59, off
	ds_load_b64 v[70:71], v1
	s_wait_loadcnt_dscnt 0x0
	v_pk_mul_f32 v[72:73], v[70:71], v[66:67] op_sel:[1,1] op_sel_hi:[0,1]
	s_delay_alu instid0(VALU_DEP_1) | instskip(SKIP_1) | instid1(VALU_DEP_2)
	v_pk_fma_f32 v[74:75], v[70:71], v[66:67], v[72:73] op_sel_hi:[1,0,1]
	v_pk_fma_f32 v[66:67], v[70:71], v[66:67], v[72:73] neg_lo:[0,0,1] neg_hi:[0,0,1]
	v_mov_b32_e32 v67, v75
	s_cbranch_execz .LBB94_504
	s_branch .LBB94_505
.LBB94_503:
                                        ; implicit-def: $vgpr66_vgpr67
.LBB94_504:
	ds_load_b64 v[66:67], v1
.LBB94_505:
	s_mov_b32 s4, exec_lo
	v_cmpx_ne_u32_e32 20, v0
	s_cbranch_execz .LBB94_509
; %bb.506:
	v_add_nc_u32_e32 v69, 0x108, v58
	v_add3_u32 v70, 0, v58, 8
	v_mov_b32_e32 v71, v0
	s_mov_b32 s5, 0
.LBB94_507:                             ; =>This Inner Loop Header: Depth=1
	scratch_load_b64 v[72:73], v70, off
	ds_load_b64 v[74:75], v69
	s_wait_xcnt 0x0
	v_dual_add_nc_u32 v69, 8, v69 :: v_dual_add_nc_u32 v70, 8, v70
	s_wait_loadcnt_dscnt 0x0
	v_pk_mul_f32 v[76:77], v[74:75], v[72:73] op_sel:[1,1] op_sel_hi:[0,1]
	s_delay_alu instid0(VALU_DEP_1) | instskip(SKIP_2) | instid1(VALU_DEP_3)
	v_pk_fma_f32 v[78:79], v[74:75], v[72:73], v[76:77] op_sel_hi:[1,0,1]
	v_add_nc_u32_e32 v71, 1, v71
	v_pk_fma_f32 v[72:73], v[74:75], v[72:73], v[76:77] neg_lo:[0,0,1] neg_hi:[0,0,1]
	v_mov_b32_e32 v73, v79
	s_delay_alu instid0(VALU_DEP_3) | instskip(NEXT) | instid1(VALU_DEP_2)
	v_cmp_lt_u32_e32 vcc_lo, 19, v71
	v_pk_add_f32 v[66:67], v[66:67], v[72:73]
	s_or_b32 s5, vcc_lo, s5
	s_delay_alu instid0(SALU_CYCLE_1)
	s_and_not1_b32 exec_lo, exec_lo, s5
	s_cbranch_execnz .LBB94_507
; %bb.508:
	s_or_b32 exec_lo, exec_lo, s5
.LBB94_509:
	s_delay_alu instid0(SALU_CYCLE_1) | instskip(SKIP_4) | instid1(VALU_DEP_1)
	s_or_b32 exec_lo, exec_lo, s4
	v_mov_b32_e32 v69, 0
	ds_load_b64 v[70:71], v69 offset:168
	s_wait_dscnt 0x0
	v_pk_mul_f32 v[72:73], v[66:67], v[70:71] op_sel:[1,1] op_sel_hi:[0,1]
	v_pk_fma_f32 v[74:75], v[66:67], v[70:71], v[72:73] op_sel_hi:[1,0,1]
	v_pk_fma_f32 v[66:67], v[66:67], v[70:71], v[72:73] neg_lo:[0,0,1] neg_hi:[0,0,1]
	s_delay_alu instid0(VALU_DEP_2)
	v_mov_b32_e32 v67, v75
	scratch_store_b64 off, v[66:67], off offset:168
.LBB94_510:
	s_wait_xcnt 0x0
	s_or_b32 exec_lo, exec_lo, s0
	scratch_load_b64 v[66:67], off, off offset:176
	s_mov_b32 s0, exec_lo
	s_wait_loadcnt 0x0
	ds_store_b64 v1, v[66:67]
	s_wait_storecnt_dscnt 0x0
	s_barrier_signal -1
	s_barrier_wait -1
	s_wait_xcnt 0x0
	v_cmpx_gt_u32_e32 22, v0
	s_cbranch_execz .LBB94_520
; %bb.511:
	v_cmp_ne_u32_e32 vcc_lo, 1, v68
	s_cbranch_vccnz .LBB94_513
; %bb.512:
	scratch_load_b64 v[66:67], v59, off
	ds_load_b64 v[70:71], v1
	s_wait_loadcnt_dscnt 0x0
	v_pk_mul_f32 v[72:73], v[70:71], v[66:67] op_sel:[1,1] op_sel_hi:[0,1]
	s_delay_alu instid0(VALU_DEP_1) | instskip(SKIP_1) | instid1(VALU_DEP_2)
	v_pk_fma_f32 v[74:75], v[70:71], v[66:67], v[72:73] op_sel_hi:[1,0,1]
	v_pk_fma_f32 v[66:67], v[70:71], v[66:67], v[72:73] neg_lo:[0,0,1] neg_hi:[0,0,1]
	v_mov_b32_e32 v67, v75
	s_cbranch_execz .LBB94_514
	s_branch .LBB94_515
.LBB94_513:
                                        ; implicit-def: $vgpr66_vgpr67
.LBB94_514:
	ds_load_b64 v[66:67], v1
.LBB94_515:
	s_mov_b32 s4, exec_lo
	v_cmpx_ne_u32_e32 21, v0
	s_cbranch_execz .LBB94_519
; %bb.516:
	v_add_nc_u32_e32 v69, 0x108, v58
	v_add3_u32 v70, 0, v58, 8
	v_mov_b32_e32 v71, v0
	s_mov_b32 s5, 0
.LBB94_517:                             ; =>This Inner Loop Header: Depth=1
	scratch_load_b64 v[72:73], v70, off
	ds_load_b64 v[74:75], v69
	s_wait_xcnt 0x0
	v_dual_add_nc_u32 v69, 8, v69 :: v_dual_add_nc_u32 v70, 8, v70
	s_wait_loadcnt_dscnt 0x0
	v_pk_mul_f32 v[76:77], v[74:75], v[72:73] op_sel:[1,1] op_sel_hi:[0,1]
	s_delay_alu instid0(VALU_DEP_1) | instskip(SKIP_2) | instid1(VALU_DEP_3)
	v_pk_fma_f32 v[78:79], v[74:75], v[72:73], v[76:77] op_sel_hi:[1,0,1]
	v_add_nc_u32_e32 v71, 1, v71
	v_pk_fma_f32 v[72:73], v[74:75], v[72:73], v[76:77] neg_lo:[0,0,1] neg_hi:[0,0,1]
	v_mov_b32_e32 v73, v79
	s_delay_alu instid0(VALU_DEP_3) | instskip(NEXT) | instid1(VALU_DEP_2)
	v_cmp_lt_u32_e32 vcc_lo, 20, v71
	v_pk_add_f32 v[66:67], v[66:67], v[72:73]
	s_or_b32 s5, vcc_lo, s5
	s_delay_alu instid0(SALU_CYCLE_1)
	s_and_not1_b32 exec_lo, exec_lo, s5
	s_cbranch_execnz .LBB94_517
; %bb.518:
	s_or_b32 exec_lo, exec_lo, s5
.LBB94_519:
	s_delay_alu instid0(SALU_CYCLE_1) | instskip(SKIP_4) | instid1(VALU_DEP_1)
	s_or_b32 exec_lo, exec_lo, s4
	v_mov_b32_e32 v69, 0
	ds_load_b64 v[70:71], v69 offset:176
	s_wait_dscnt 0x0
	v_pk_mul_f32 v[72:73], v[66:67], v[70:71] op_sel:[1,1] op_sel_hi:[0,1]
	v_pk_fma_f32 v[74:75], v[66:67], v[70:71], v[72:73] op_sel_hi:[1,0,1]
	v_pk_fma_f32 v[66:67], v[66:67], v[70:71], v[72:73] neg_lo:[0,0,1] neg_hi:[0,0,1]
	s_delay_alu instid0(VALU_DEP_2)
	v_mov_b32_e32 v67, v75
	scratch_store_b64 off, v[66:67], off offset:176
.LBB94_520:
	s_wait_xcnt 0x0
	s_or_b32 exec_lo, exec_lo, s0
	scratch_load_b64 v[66:67], off, off offset:184
	s_mov_b32 s0, exec_lo
	s_wait_loadcnt 0x0
	ds_store_b64 v1, v[66:67]
	s_wait_storecnt_dscnt 0x0
	s_barrier_signal -1
	s_barrier_wait -1
	s_wait_xcnt 0x0
	v_cmpx_gt_u32_e32 23, v0
	s_cbranch_execz .LBB94_530
; %bb.521:
	v_cmp_ne_u32_e32 vcc_lo, 1, v68
	s_cbranch_vccnz .LBB94_523
; %bb.522:
	scratch_load_b64 v[66:67], v59, off
	ds_load_b64 v[70:71], v1
	s_wait_loadcnt_dscnt 0x0
	v_pk_mul_f32 v[72:73], v[70:71], v[66:67] op_sel:[1,1] op_sel_hi:[0,1]
	s_delay_alu instid0(VALU_DEP_1) | instskip(SKIP_1) | instid1(VALU_DEP_2)
	v_pk_fma_f32 v[74:75], v[70:71], v[66:67], v[72:73] op_sel_hi:[1,0,1]
	v_pk_fma_f32 v[66:67], v[70:71], v[66:67], v[72:73] neg_lo:[0,0,1] neg_hi:[0,0,1]
	v_mov_b32_e32 v67, v75
	s_cbranch_execz .LBB94_524
	s_branch .LBB94_525
.LBB94_523:
                                        ; implicit-def: $vgpr66_vgpr67
.LBB94_524:
	ds_load_b64 v[66:67], v1
.LBB94_525:
	s_mov_b32 s4, exec_lo
	v_cmpx_ne_u32_e32 22, v0
	s_cbranch_execz .LBB94_529
; %bb.526:
	v_add_nc_u32_e32 v69, 0x108, v58
	v_add3_u32 v70, 0, v58, 8
	v_mov_b32_e32 v71, v0
	s_mov_b32 s5, 0
.LBB94_527:                             ; =>This Inner Loop Header: Depth=1
	scratch_load_b64 v[72:73], v70, off
	ds_load_b64 v[74:75], v69
	s_wait_xcnt 0x0
	v_dual_add_nc_u32 v69, 8, v69 :: v_dual_add_nc_u32 v70, 8, v70
	s_wait_loadcnt_dscnt 0x0
	v_pk_mul_f32 v[76:77], v[74:75], v[72:73] op_sel:[1,1] op_sel_hi:[0,1]
	s_delay_alu instid0(VALU_DEP_1) | instskip(SKIP_2) | instid1(VALU_DEP_3)
	v_pk_fma_f32 v[78:79], v[74:75], v[72:73], v[76:77] op_sel_hi:[1,0,1]
	v_add_nc_u32_e32 v71, 1, v71
	v_pk_fma_f32 v[72:73], v[74:75], v[72:73], v[76:77] neg_lo:[0,0,1] neg_hi:[0,0,1]
	v_mov_b32_e32 v73, v79
	s_delay_alu instid0(VALU_DEP_3) | instskip(NEXT) | instid1(VALU_DEP_2)
	v_cmp_lt_u32_e32 vcc_lo, 21, v71
	v_pk_add_f32 v[66:67], v[66:67], v[72:73]
	s_or_b32 s5, vcc_lo, s5
	s_delay_alu instid0(SALU_CYCLE_1)
	s_and_not1_b32 exec_lo, exec_lo, s5
	s_cbranch_execnz .LBB94_527
; %bb.528:
	s_or_b32 exec_lo, exec_lo, s5
.LBB94_529:
	s_delay_alu instid0(SALU_CYCLE_1) | instskip(SKIP_4) | instid1(VALU_DEP_1)
	s_or_b32 exec_lo, exec_lo, s4
	v_mov_b32_e32 v69, 0
	ds_load_b64 v[70:71], v69 offset:184
	s_wait_dscnt 0x0
	v_pk_mul_f32 v[72:73], v[66:67], v[70:71] op_sel:[1,1] op_sel_hi:[0,1]
	v_pk_fma_f32 v[74:75], v[66:67], v[70:71], v[72:73] op_sel_hi:[1,0,1]
	v_pk_fma_f32 v[66:67], v[66:67], v[70:71], v[72:73] neg_lo:[0,0,1] neg_hi:[0,0,1]
	s_delay_alu instid0(VALU_DEP_2)
	v_mov_b32_e32 v67, v75
	scratch_store_b64 off, v[66:67], off offset:184
.LBB94_530:
	s_wait_xcnt 0x0
	s_or_b32 exec_lo, exec_lo, s0
	scratch_load_b64 v[66:67], off, off offset:192
	s_mov_b32 s0, exec_lo
	s_wait_loadcnt 0x0
	ds_store_b64 v1, v[66:67]
	s_wait_storecnt_dscnt 0x0
	s_barrier_signal -1
	s_barrier_wait -1
	s_wait_xcnt 0x0
	v_cmpx_gt_u32_e32 24, v0
	s_cbranch_execz .LBB94_540
; %bb.531:
	v_cmp_ne_u32_e32 vcc_lo, 1, v68
	s_cbranch_vccnz .LBB94_533
; %bb.532:
	scratch_load_b64 v[66:67], v59, off
	ds_load_b64 v[70:71], v1
	s_wait_loadcnt_dscnt 0x0
	v_pk_mul_f32 v[72:73], v[70:71], v[66:67] op_sel:[1,1] op_sel_hi:[0,1]
	s_delay_alu instid0(VALU_DEP_1) | instskip(SKIP_1) | instid1(VALU_DEP_2)
	v_pk_fma_f32 v[74:75], v[70:71], v[66:67], v[72:73] op_sel_hi:[1,0,1]
	v_pk_fma_f32 v[66:67], v[70:71], v[66:67], v[72:73] neg_lo:[0,0,1] neg_hi:[0,0,1]
	v_mov_b32_e32 v67, v75
	s_cbranch_execz .LBB94_534
	s_branch .LBB94_535
.LBB94_533:
                                        ; implicit-def: $vgpr66_vgpr67
.LBB94_534:
	ds_load_b64 v[66:67], v1
.LBB94_535:
	s_mov_b32 s4, exec_lo
	v_cmpx_ne_u32_e32 23, v0
	s_cbranch_execz .LBB94_539
; %bb.536:
	v_add_nc_u32_e32 v69, 0x108, v58
	v_add3_u32 v70, 0, v58, 8
	v_mov_b32_e32 v71, v0
	s_mov_b32 s5, 0
.LBB94_537:                             ; =>This Inner Loop Header: Depth=1
	scratch_load_b64 v[72:73], v70, off
	ds_load_b64 v[74:75], v69
	s_wait_xcnt 0x0
	v_dual_add_nc_u32 v69, 8, v69 :: v_dual_add_nc_u32 v70, 8, v70
	s_wait_loadcnt_dscnt 0x0
	v_pk_mul_f32 v[76:77], v[74:75], v[72:73] op_sel:[1,1] op_sel_hi:[0,1]
	s_delay_alu instid0(VALU_DEP_1) | instskip(SKIP_2) | instid1(VALU_DEP_3)
	v_pk_fma_f32 v[78:79], v[74:75], v[72:73], v[76:77] op_sel_hi:[1,0,1]
	v_add_nc_u32_e32 v71, 1, v71
	v_pk_fma_f32 v[72:73], v[74:75], v[72:73], v[76:77] neg_lo:[0,0,1] neg_hi:[0,0,1]
	v_mov_b32_e32 v73, v79
	s_delay_alu instid0(VALU_DEP_3) | instskip(NEXT) | instid1(VALU_DEP_2)
	v_cmp_lt_u32_e32 vcc_lo, 22, v71
	v_pk_add_f32 v[66:67], v[66:67], v[72:73]
	s_or_b32 s5, vcc_lo, s5
	s_delay_alu instid0(SALU_CYCLE_1)
	s_and_not1_b32 exec_lo, exec_lo, s5
	s_cbranch_execnz .LBB94_537
; %bb.538:
	s_or_b32 exec_lo, exec_lo, s5
.LBB94_539:
	s_delay_alu instid0(SALU_CYCLE_1) | instskip(SKIP_4) | instid1(VALU_DEP_1)
	s_or_b32 exec_lo, exec_lo, s4
	v_mov_b32_e32 v69, 0
	ds_load_b64 v[70:71], v69 offset:192
	s_wait_dscnt 0x0
	v_pk_mul_f32 v[72:73], v[66:67], v[70:71] op_sel:[1,1] op_sel_hi:[0,1]
	v_pk_fma_f32 v[74:75], v[66:67], v[70:71], v[72:73] op_sel_hi:[1,0,1]
	v_pk_fma_f32 v[66:67], v[66:67], v[70:71], v[72:73] neg_lo:[0,0,1] neg_hi:[0,0,1]
	s_delay_alu instid0(VALU_DEP_2)
	v_mov_b32_e32 v67, v75
	scratch_store_b64 off, v[66:67], off offset:192
.LBB94_540:
	s_wait_xcnt 0x0
	s_or_b32 exec_lo, exec_lo, s0
	scratch_load_b64 v[66:67], off, off offset:200
	s_mov_b32 s0, exec_lo
	s_wait_loadcnt 0x0
	ds_store_b64 v1, v[66:67]
	s_wait_storecnt_dscnt 0x0
	s_barrier_signal -1
	s_barrier_wait -1
	s_wait_xcnt 0x0
	v_cmpx_gt_u32_e32 25, v0
	s_cbranch_execz .LBB94_550
; %bb.541:
	v_cmp_ne_u32_e32 vcc_lo, 1, v68
	s_cbranch_vccnz .LBB94_543
; %bb.542:
	scratch_load_b64 v[66:67], v59, off
	ds_load_b64 v[70:71], v1
	s_wait_loadcnt_dscnt 0x0
	v_pk_mul_f32 v[72:73], v[70:71], v[66:67] op_sel:[1,1] op_sel_hi:[0,1]
	s_delay_alu instid0(VALU_DEP_1) | instskip(SKIP_1) | instid1(VALU_DEP_2)
	v_pk_fma_f32 v[74:75], v[70:71], v[66:67], v[72:73] op_sel_hi:[1,0,1]
	v_pk_fma_f32 v[66:67], v[70:71], v[66:67], v[72:73] neg_lo:[0,0,1] neg_hi:[0,0,1]
	v_mov_b32_e32 v67, v75
	s_cbranch_execz .LBB94_544
	s_branch .LBB94_545
.LBB94_543:
                                        ; implicit-def: $vgpr66_vgpr67
.LBB94_544:
	ds_load_b64 v[66:67], v1
.LBB94_545:
	s_mov_b32 s4, exec_lo
	v_cmpx_ne_u32_e32 24, v0
	s_cbranch_execz .LBB94_549
; %bb.546:
	v_add_nc_u32_e32 v69, 0x108, v58
	v_add3_u32 v70, 0, v58, 8
	v_mov_b32_e32 v71, v0
	s_mov_b32 s5, 0
.LBB94_547:                             ; =>This Inner Loop Header: Depth=1
	scratch_load_b64 v[72:73], v70, off
	ds_load_b64 v[74:75], v69
	s_wait_xcnt 0x0
	v_dual_add_nc_u32 v69, 8, v69 :: v_dual_add_nc_u32 v70, 8, v70
	s_wait_loadcnt_dscnt 0x0
	v_pk_mul_f32 v[76:77], v[74:75], v[72:73] op_sel:[1,1] op_sel_hi:[0,1]
	s_delay_alu instid0(VALU_DEP_1) | instskip(SKIP_2) | instid1(VALU_DEP_3)
	v_pk_fma_f32 v[78:79], v[74:75], v[72:73], v[76:77] op_sel_hi:[1,0,1]
	v_add_nc_u32_e32 v71, 1, v71
	v_pk_fma_f32 v[72:73], v[74:75], v[72:73], v[76:77] neg_lo:[0,0,1] neg_hi:[0,0,1]
	v_mov_b32_e32 v73, v79
	s_delay_alu instid0(VALU_DEP_3) | instskip(NEXT) | instid1(VALU_DEP_2)
	v_cmp_lt_u32_e32 vcc_lo, 23, v71
	v_pk_add_f32 v[66:67], v[66:67], v[72:73]
	s_or_b32 s5, vcc_lo, s5
	s_delay_alu instid0(SALU_CYCLE_1)
	s_and_not1_b32 exec_lo, exec_lo, s5
	s_cbranch_execnz .LBB94_547
; %bb.548:
	s_or_b32 exec_lo, exec_lo, s5
.LBB94_549:
	s_delay_alu instid0(SALU_CYCLE_1) | instskip(SKIP_4) | instid1(VALU_DEP_1)
	s_or_b32 exec_lo, exec_lo, s4
	v_mov_b32_e32 v69, 0
	ds_load_b64 v[70:71], v69 offset:200
	s_wait_dscnt 0x0
	v_pk_mul_f32 v[72:73], v[66:67], v[70:71] op_sel:[1,1] op_sel_hi:[0,1]
	v_pk_fma_f32 v[74:75], v[66:67], v[70:71], v[72:73] op_sel_hi:[1,0,1]
	v_pk_fma_f32 v[66:67], v[66:67], v[70:71], v[72:73] neg_lo:[0,0,1] neg_hi:[0,0,1]
	s_delay_alu instid0(VALU_DEP_2)
	v_mov_b32_e32 v67, v75
	scratch_store_b64 off, v[66:67], off offset:200
.LBB94_550:
	s_wait_xcnt 0x0
	s_or_b32 exec_lo, exec_lo, s0
	scratch_load_b64 v[66:67], off, off offset:208
	s_mov_b32 s0, exec_lo
	s_wait_loadcnt 0x0
	ds_store_b64 v1, v[66:67]
	s_wait_storecnt_dscnt 0x0
	s_barrier_signal -1
	s_barrier_wait -1
	s_wait_xcnt 0x0
	v_cmpx_gt_u32_e32 26, v0
	s_cbranch_execz .LBB94_560
; %bb.551:
	v_cmp_ne_u32_e32 vcc_lo, 1, v68
	s_cbranch_vccnz .LBB94_553
; %bb.552:
	scratch_load_b64 v[66:67], v59, off
	ds_load_b64 v[70:71], v1
	s_wait_loadcnt_dscnt 0x0
	v_pk_mul_f32 v[72:73], v[70:71], v[66:67] op_sel:[1,1] op_sel_hi:[0,1]
	s_delay_alu instid0(VALU_DEP_1) | instskip(SKIP_1) | instid1(VALU_DEP_2)
	v_pk_fma_f32 v[74:75], v[70:71], v[66:67], v[72:73] op_sel_hi:[1,0,1]
	v_pk_fma_f32 v[66:67], v[70:71], v[66:67], v[72:73] neg_lo:[0,0,1] neg_hi:[0,0,1]
	v_mov_b32_e32 v67, v75
	s_cbranch_execz .LBB94_554
	s_branch .LBB94_555
.LBB94_553:
                                        ; implicit-def: $vgpr66_vgpr67
.LBB94_554:
	ds_load_b64 v[66:67], v1
.LBB94_555:
	s_mov_b32 s4, exec_lo
	v_cmpx_ne_u32_e32 25, v0
	s_cbranch_execz .LBB94_559
; %bb.556:
	v_add_nc_u32_e32 v69, 0x108, v58
	v_add3_u32 v70, 0, v58, 8
	v_mov_b32_e32 v71, v0
	s_mov_b32 s5, 0
.LBB94_557:                             ; =>This Inner Loop Header: Depth=1
	scratch_load_b64 v[72:73], v70, off
	ds_load_b64 v[74:75], v69
	s_wait_xcnt 0x0
	v_dual_add_nc_u32 v69, 8, v69 :: v_dual_add_nc_u32 v70, 8, v70
	s_wait_loadcnt_dscnt 0x0
	v_pk_mul_f32 v[76:77], v[74:75], v[72:73] op_sel:[1,1] op_sel_hi:[0,1]
	s_delay_alu instid0(VALU_DEP_1) | instskip(SKIP_2) | instid1(VALU_DEP_3)
	v_pk_fma_f32 v[78:79], v[74:75], v[72:73], v[76:77] op_sel_hi:[1,0,1]
	v_add_nc_u32_e32 v71, 1, v71
	v_pk_fma_f32 v[72:73], v[74:75], v[72:73], v[76:77] neg_lo:[0,0,1] neg_hi:[0,0,1]
	v_mov_b32_e32 v73, v79
	s_delay_alu instid0(VALU_DEP_3) | instskip(NEXT) | instid1(VALU_DEP_2)
	v_cmp_lt_u32_e32 vcc_lo, 24, v71
	v_pk_add_f32 v[66:67], v[66:67], v[72:73]
	s_or_b32 s5, vcc_lo, s5
	s_delay_alu instid0(SALU_CYCLE_1)
	s_and_not1_b32 exec_lo, exec_lo, s5
	s_cbranch_execnz .LBB94_557
; %bb.558:
	s_or_b32 exec_lo, exec_lo, s5
.LBB94_559:
	s_delay_alu instid0(SALU_CYCLE_1) | instskip(SKIP_4) | instid1(VALU_DEP_1)
	s_or_b32 exec_lo, exec_lo, s4
	v_mov_b32_e32 v69, 0
	ds_load_b64 v[70:71], v69 offset:208
	s_wait_dscnt 0x0
	v_pk_mul_f32 v[72:73], v[66:67], v[70:71] op_sel:[1,1] op_sel_hi:[0,1]
	v_pk_fma_f32 v[74:75], v[66:67], v[70:71], v[72:73] op_sel_hi:[1,0,1]
	v_pk_fma_f32 v[66:67], v[66:67], v[70:71], v[72:73] neg_lo:[0,0,1] neg_hi:[0,0,1]
	s_delay_alu instid0(VALU_DEP_2)
	v_mov_b32_e32 v67, v75
	scratch_store_b64 off, v[66:67], off offset:208
.LBB94_560:
	s_wait_xcnt 0x0
	s_or_b32 exec_lo, exec_lo, s0
	scratch_load_b64 v[66:67], off, off offset:216
	s_mov_b32 s0, exec_lo
	s_wait_loadcnt 0x0
	ds_store_b64 v1, v[66:67]
	s_wait_storecnt_dscnt 0x0
	s_barrier_signal -1
	s_barrier_wait -1
	s_wait_xcnt 0x0
	v_cmpx_gt_u32_e32 27, v0
	s_cbranch_execz .LBB94_570
; %bb.561:
	v_cmp_ne_u32_e32 vcc_lo, 1, v68
	s_cbranch_vccnz .LBB94_563
; %bb.562:
	scratch_load_b64 v[66:67], v59, off
	ds_load_b64 v[70:71], v1
	s_wait_loadcnt_dscnt 0x0
	v_pk_mul_f32 v[72:73], v[70:71], v[66:67] op_sel:[1,1] op_sel_hi:[0,1]
	s_delay_alu instid0(VALU_DEP_1) | instskip(SKIP_1) | instid1(VALU_DEP_2)
	v_pk_fma_f32 v[74:75], v[70:71], v[66:67], v[72:73] op_sel_hi:[1,0,1]
	v_pk_fma_f32 v[66:67], v[70:71], v[66:67], v[72:73] neg_lo:[0,0,1] neg_hi:[0,0,1]
	v_mov_b32_e32 v67, v75
	s_cbranch_execz .LBB94_564
	s_branch .LBB94_565
.LBB94_563:
                                        ; implicit-def: $vgpr66_vgpr67
.LBB94_564:
	ds_load_b64 v[66:67], v1
.LBB94_565:
	s_mov_b32 s4, exec_lo
	v_cmpx_ne_u32_e32 26, v0
	s_cbranch_execz .LBB94_569
; %bb.566:
	v_add_nc_u32_e32 v69, 0x108, v58
	v_add3_u32 v70, 0, v58, 8
	v_mov_b32_e32 v71, v0
	s_mov_b32 s5, 0
.LBB94_567:                             ; =>This Inner Loop Header: Depth=1
	scratch_load_b64 v[72:73], v70, off
	ds_load_b64 v[74:75], v69
	s_wait_xcnt 0x0
	v_dual_add_nc_u32 v69, 8, v69 :: v_dual_add_nc_u32 v70, 8, v70
	s_wait_loadcnt_dscnt 0x0
	v_pk_mul_f32 v[76:77], v[74:75], v[72:73] op_sel:[1,1] op_sel_hi:[0,1]
	s_delay_alu instid0(VALU_DEP_1) | instskip(SKIP_2) | instid1(VALU_DEP_3)
	v_pk_fma_f32 v[78:79], v[74:75], v[72:73], v[76:77] op_sel_hi:[1,0,1]
	v_add_nc_u32_e32 v71, 1, v71
	v_pk_fma_f32 v[72:73], v[74:75], v[72:73], v[76:77] neg_lo:[0,0,1] neg_hi:[0,0,1]
	v_mov_b32_e32 v73, v79
	s_delay_alu instid0(VALU_DEP_3) | instskip(NEXT) | instid1(VALU_DEP_2)
	v_cmp_lt_u32_e32 vcc_lo, 25, v71
	v_pk_add_f32 v[66:67], v[66:67], v[72:73]
	s_or_b32 s5, vcc_lo, s5
	s_delay_alu instid0(SALU_CYCLE_1)
	s_and_not1_b32 exec_lo, exec_lo, s5
	s_cbranch_execnz .LBB94_567
; %bb.568:
	s_or_b32 exec_lo, exec_lo, s5
.LBB94_569:
	s_delay_alu instid0(SALU_CYCLE_1) | instskip(SKIP_4) | instid1(VALU_DEP_1)
	s_or_b32 exec_lo, exec_lo, s4
	v_mov_b32_e32 v69, 0
	ds_load_b64 v[70:71], v69 offset:216
	s_wait_dscnt 0x0
	v_pk_mul_f32 v[72:73], v[66:67], v[70:71] op_sel:[1,1] op_sel_hi:[0,1]
	v_pk_fma_f32 v[74:75], v[66:67], v[70:71], v[72:73] op_sel_hi:[1,0,1]
	v_pk_fma_f32 v[66:67], v[66:67], v[70:71], v[72:73] neg_lo:[0,0,1] neg_hi:[0,0,1]
	s_delay_alu instid0(VALU_DEP_2)
	v_mov_b32_e32 v67, v75
	scratch_store_b64 off, v[66:67], off offset:216
.LBB94_570:
	s_wait_xcnt 0x0
	s_or_b32 exec_lo, exec_lo, s0
	scratch_load_b64 v[66:67], off, off offset:224
	s_mov_b32 s0, exec_lo
	s_wait_loadcnt 0x0
	ds_store_b64 v1, v[66:67]
	s_wait_storecnt_dscnt 0x0
	s_barrier_signal -1
	s_barrier_wait -1
	s_wait_xcnt 0x0
	v_cmpx_gt_u32_e32 28, v0
	s_cbranch_execz .LBB94_580
; %bb.571:
	v_cmp_ne_u32_e32 vcc_lo, 1, v68
	s_cbranch_vccnz .LBB94_573
; %bb.572:
	scratch_load_b64 v[66:67], v59, off
	ds_load_b64 v[70:71], v1
	s_wait_loadcnt_dscnt 0x0
	v_pk_mul_f32 v[72:73], v[70:71], v[66:67] op_sel:[1,1] op_sel_hi:[0,1]
	s_delay_alu instid0(VALU_DEP_1) | instskip(SKIP_1) | instid1(VALU_DEP_2)
	v_pk_fma_f32 v[74:75], v[70:71], v[66:67], v[72:73] op_sel_hi:[1,0,1]
	v_pk_fma_f32 v[66:67], v[70:71], v[66:67], v[72:73] neg_lo:[0,0,1] neg_hi:[0,0,1]
	v_mov_b32_e32 v67, v75
	s_cbranch_execz .LBB94_574
	s_branch .LBB94_575
.LBB94_573:
                                        ; implicit-def: $vgpr66_vgpr67
.LBB94_574:
	ds_load_b64 v[66:67], v1
.LBB94_575:
	s_mov_b32 s4, exec_lo
	v_cmpx_ne_u32_e32 27, v0
	s_cbranch_execz .LBB94_579
; %bb.576:
	v_add_nc_u32_e32 v69, 0x108, v58
	v_add3_u32 v70, 0, v58, 8
	v_mov_b32_e32 v71, v0
	s_mov_b32 s5, 0
.LBB94_577:                             ; =>This Inner Loop Header: Depth=1
	scratch_load_b64 v[72:73], v70, off
	ds_load_b64 v[74:75], v69
	s_wait_xcnt 0x0
	v_dual_add_nc_u32 v69, 8, v69 :: v_dual_add_nc_u32 v70, 8, v70
	s_wait_loadcnt_dscnt 0x0
	v_pk_mul_f32 v[76:77], v[74:75], v[72:73] op_sel:[1,1] op_sel_hi:[0,1]
	s_delay_alu instid0(VALU_DEP_1) | instskip(SKIP_2) | instid1(VALU_DEP_3)
	v_pk_fma_f32 v[78:79], v[74:75], v[72:73], v[76:77] op_sel_hi:[1,0,1]
	v_add_nc_u32_e32 v71, 1, v71
	v_pk_fma_f32 v[72:73], v[74:75], v[72:73], v[76:77] neg_lo:[0,0,1] neg_hi:[0,0,1]
	v_mov_b32_e32 v73, v79
	s_delay_alu instid0(VALU_DEP_3) | instskip(NEXT) | instid1(VALU_DEP_2)
	v_cmp_lt_u32_e32 vcc_lo, 26, v71
	v_pk_add_f32 v[66:67], v[66:67], v[72:73]
	s_or_b32 s5, vcc_lo, s5
	s_delay_alu instid0(SALU_CYCLE_1)
	s_and_not1_b32 exec_lo, exec_lo, s5
	s_cbranch_execnz .LBB94_577
; %bb.578:
	s_or_b32 exec_lo, exec_lo, s5
.LBB94_579:
	s_delay_alu instid0(SALU_CYCLE_1) | instskip(SKIP_4) | instid1(VALU_DEP_1)
	s_or_b32 exec_lo, exec_lo, s4
	v_mov_b32_e32 v69, 0
	ds_load_b64 v[70:71], v69 offset:224
	s_wait_dscnt 0x0
	v_pk_mul_f32 v[72:73], v[66:67], v[70:71] op_sel:[1,1] op_sel_hi:[0,1]
	v_pk_fma_f32 v[74:75], v[66:67], v[70:71], v[72:73] op_sel_hi:[1,0,1]
	v_pk_fma_f32 v[66:67], v[66:67], v[70:71], v[72:73] neg_lo:[0,0,1] neg_hi:[0,0,1]
	s_delay_alu instid0(VALU_DEP_2)
	v_mov_b32_e32 v67, v75
	scratch_store_b64 off, v[66:67], off offset:224
.LBB94_580:
	s_wait_xcnt 0x0
	s_or_b32 exec_lo, exec_lo, s0
	scratch_load_b64 v[66:67], off, off offset:232
	v_cmp_gt_u32_e64 s0, 29, v0
	s_wait_loadcnt 0x0
	ds_store_b64 v1, v[66:67]
	s_wait_storecnt_dscnt 0x0
	s_barrier_signal -1
	s_barrier_wait -1
	s_wait_xcnt 0x0
	s_and_saveexec_b32 s4, s0
	s_cbranch_execz .LBB94_590
; %bb.581:
	v_cmp_ne_u32_e32 vcc_lo, 1, v68
	s_cbranch_vccnz .LBB94_583
; %bb.582:
	scratch_load_b64 v[66:67], v59, off
	ds_load_b64 v[70:71], v1
	s_wait_loadcnt_dscnt 0x0
	v_pk_mul_f32 v[72:73], v[70:71], v[66:67] op_sel:[1,1] op_sel_hi:[0,1]
	s_delay_alu instid0(VALU_DEP_1) | instskip(SKIP_1) | instid1(VALU_DEP_2)
	v_pk_fma_f32 v[74:75], v[70:71], v[66:67], v[72:73] op_sel_hi:[1,0,1]
	v_pk_fma_f32 v[66:67], v[70:71], v[66:67], v[72:73] neg_lo:[0,0,1] neg_hi:[0,0,1]
	v_mov_b32_e32 v67, v75
	s_cbranch_execz .LBB94_584
	s_branch .LBB94_585
.LBB94_583:
                                        ; implicit-def: $vgpr66_vgpr67
.LBB94_584:
	ds_load_b64 v[66:67], v1
.LBB94_585:
	s_mov_b32 s5, exec_lo
	v_cmpx_ne_u32_e32 28, v0
	s_cbranch_execz .LBB94_589
; %bb.586:
	v_add_nc_u32_e32 v69, 0x108, v58
	v_add3_u32 v70, 0, v58, 8
	v_mov_b32_e32 v71, v0
	s_mov_b32 s6, 0
.LBB94_587:                             ; =>This Inner Loop Header: Depth=1
	scratch_load_b64 v[72:73], v70, off
	ds_load_b64 v[74:75], v69
	s_wait_xcnt 0x0
	v_dual_add_nc_u32 v69, 8, v69 :: v_dual_add_nc_u32 v70, 8, v70
	s_wait_loadcnt_dscnt 0x0
	v_pk_mul_f32 v[76:77], v[74:75], v[72:73] op_sel:[1,1] op_sel_hi:[0,1]
	s_delay_alu instid0(VALU_DEP_1) | instskip(SKIP_2) | instid1(VALU_DEP_3)
	v_pk_fma_f32 v[78:79], v[74:75], v[72:73], v[76:77] op_sel_hi:[1,0,1]
	v_add_nc_u32_e32 v71, 1, v71
	v_pk_fma_f32 v[72:73], v[74:75], v[72:73], v[76:77] neg_lo:[0,0,1] neg_hi:[0,0,1]
	v_mov_b32_e32 v73, v79
	s_delay_alu instid0(VALU_DEP_3) | instskip(NEXT) | instid1(VALU_DEP_2)
	v_cmp_lt_u32_e32 vcc_lo, 27, v71
	v_pk_add_f32 v[66:67], v[66:67], v[72:73]
	s_or_b32 s6, vcc_lo, s6
	s_delay_alu instid0(SALU_CYCLE_1)
	s_and_not1_b32 exec_lo, exec_lo, s6
	s_cbranch_execnz .LBB94_587
; %bb.588:
	s_or_b32 exec_lo, exec_lo, s6
.LBB94_589:
	s_delay_alu instid0(SALU_CYCLE_1) | instskip(SKIP_4) | instid1(VALU_DEP_1)
	s_or_b32 exec_lo, exec_lo, s5
	v_mov_b32_e32 v69, 0
	ds_load_b64 v[70:71], v69 offset:232
	s_wait_dscnt 0x0
	v_pk_mul_f32 v[72:73], v[66:67], v[70:71] op_sel:[1,1] op_sel_hi:[0,1]
	v_pk_fma_f32 v[74:75], v[66:67], v[70:71], v[72:73] op_sel_hi:[1,0,1]
	v_pk_fma_f32 v[66:67], v[66:67], v[70:71], v[72:73] neg_lo:[0,0,1] neg_hi:[0,0,1]
	s_delay_alu instid0(VALU_DEP_2)
	v_mov_b32_e32 v67, v75
	scratch_store_b64 off, v[66:67], off offset:232
.LBB94_590:
	s_wait_xcnt 0x0
	s_or_b32 exec_lo, exec_lo, s4
	scratch_load_b64 v[66:67], off, off offset:240
	s_mov_b32 s4, exec_lo
                                        ; implicit-def: $vgpr92
                                        ; implicit-def: $sgpr7
	s_wait_loadcnt 0x0
	ds_store_b64 v1, v[66:67]
	s_wait_storecnt_dscnt 0x0
	s_barrier_signal -1
	s_barrier_wait -1
	s_wait_xcnt 0x0
	v_cmpx_ne_u32_e32 30, v0
	s_cbranch_execz .LBB94_600
; %bb.591:
	v_cmp_ne_u32_e32 vcc_lo, 1, v68
	s_cbranch_vccnz .LBB94_593
; %bb.592:
	scratch_load_b64 v[68:69], v59, off
	ds_load_b64 v[70:71], v1
	s_wait_loadcnt_dscnt 0x0
	v_dual_mul_f32 v59, v71, v69 :: v_dual_mul_f32 v67, v70, v69
	s_delay_alu instid0(VALU_DEP_1) | instskip(NEXT) | instid1(VALU_DEP_2)
	v_fma_f32 v66, v70, v68, -v59
	v_fmac_f32_e32 v67, v71, v68
	s_cbranch_execz .LBB94_594
	s_branch .LBB94_595
.LBB94_593:
                                        ; implicit-def: $vgpr67
.LBB94_594:
	ds_load_b64 v[66:67], v1
.LBB94_595:
	s_and_saveexec_b32 s5, s0
	s_cbranch_execz .LBB94_599
; %bb.596:
	v_add_nc_u32_e32 v1, 0x108, v58
	v_add3_u32 v58, 0, v58, 8
	s_mov_b32 s0, 0
.LBB94_597:                             ; =>This Inner Loop Header: Depth=1
	scratch_load_b64 v[68:69], v58, off
	ds_load_b64 v[70:71], v1
	v_dual_add_nc_u32 v0, 1, v0 :: v_dual_add_nc_u32 v1, 8, v1
	s_delay_alu instid0(VALU_DEP_1) | instskip(SKIP_3) | instid1(VALU_DEP_1)
	v_cmp_lt_u32_e32 vcc_lo, 28, v0
	s_or_b32 s0, vcc_lo, s0
	s_wait_loadcnt_dscnt 0x0
	v_dual_mul_f32 v59, v71, v69 :: v_dual_mul_f32 v69, v70, v69
	v_dual_fma_f32 v59, v70, v68, -v59 :: v_dual_fmac_f32 v69, v71, v68
	s_delay_alu instid0(VALU_DEP_1) | instskip(NEXT) | instid1(VALU_DEP_2)
	v_dual_add_nc_u32 v58, 8, v58 :: v_dual_add_f32 v66, v66, v59
	v_add_f32_e32 v67, v67, v69
	s_and_not1_b32 exec_lo, exec_lo, s0
	s_cbranch_execnz .LBB94_597
; %bb.598:
	s_or_b32 exec_lo, exec_lo, s0
.LBB94_599:
	s_delay_alu instid0(SALU_CYCLE_1)
	s_or_b32 exec_lo, exec_lo, s5
	v_mov_b32_e32 v0, 0
	s_movk_i32 s7, 0xf4
	s_or_b32 s1, s1, exec_lo
	ds_load_b64 v[0:1], v0 offset:240
	s_wait_dscnt 0x0
	v_dual_mul_f32 v58, v67, v1 :: v_dual_mul_f32 v92, v66, v1
	s_delay_alu instid0(VALU_DEP_1)
	v_dual_fma_f32 v1, v66, v0, -v58 :: v_dual_fmac_f32 v92, v67, v0
	scratch_store_b32 off, v1, off offset:240
.LBB94_600:
	s_wait_xcnt 0x0
	s_or_b32 exec_lo, exec_lo, s4
.LBB94_601:
	v_lshl_add_u64 v[90:91], v[6:7], 3, s[2:3]
	v_lshl_add_u64 v[88:89], v[8:9], 3, s[2:3]
	;; [unrolled: 1-line block ×29, first 2 shown]
	s_and_saveexec_b32 s0, s1
	s_cbranch_execz .LBB94_603
; %bb.602:
	scratch_store_b32 off, v92, s7
.LBB94_603:
	s_wait_xcnt 0x0
	s_or_b32 exec_lo, exec_lo, s0
	scratch_load_b64 v[34:35], off, off
	s_wait_loadcnt 0x0
	flat_store_b64 v[2:3], v[34:35]
	scratch_load_b64 v[2:3], off, off offset:8
	s_wait_loadcnt 0x0
	flat_store_b64 v[4:5], v[2:3]
	scratch_load_b64 v[2:3], off, off offset:16
	;; [unrolled: 3-line block ×30, first 2 shown]
	s_wait_loadcnt 0x0
	flat_store_b64 v[0:1], v[2:3]
.LBB94_604:
	s_sendmsg sendmsg(MSG_DEALLOC_VGPRS)
	s_endpgm
	.section	.rodata,"a",@progbits
	.p2align	6, 0x0
	.amdhsa_kernel _ZN9rocsolver6v33100L18trti2_kernel_smallILi31E19rocblas_complex_numIfEPKPS3_EEv13rocblas_fill_17rocblas_diagonal_T1_iil
		.amdhsa_group_segment_fixed_size 504
		.amdhsa_private_segment_fixed_size 256
		.amdhsa_kernarg_size 32
		.amdhsa_user_sgpr_count 2
		.amdhsa_user_sgpr_dispatch_ptr 0
		.amdhsa_user_sgpr_queue_ptr 0
		.amdhsa_user_sgpr_kernarg_segment_ptr 1
		.amdhsa_user_sgpr_dispatch_id 0
		.amdhsa_user_sgpr_kernarg_preload_length 0
		.amdhsa_user_sgpr_kernarg_preload_offset 0
		.amdhsa_user_sgpr_private_segment_size 0
		.amdhsa_wavefront_size32 1
		.amdhsa_uses_dynamic_stack 0
		.amdhsa_enable_private_segment 1
		.amdhsa_system_sgpr_workgroup_id_x 1
		.amdhsa_system_sgpr_workgroup_id_y 0
		.amdhsa_system_sgpr_workgroup_id_z 0
		.amdhsa_system_sgpr_workgroup_info 0
		.amdhsa_system_vgpr_workitem_id 0
		.amdhsa_next_free_vgpr 93
		.amdhsa_next_free_sgpr 37
		.amdhsa_named_barrier_count 0
		.amdhsa_reserve_vcc 1
		.amdhsa_float_round_mode_32 0
		.amdhsa_float_round_mode_16_64 0
		.amdhsa_float_denorm_mode_32 3
		.amdhsa_float_denorm_mode_16_64 3
		.amdhsa_fp16_overflow 0
		.amdhsa_memory_ordered 1
		.amdhsa_forward_progress 1
		.amdhsa_inst_pref_size 187
		.amdhsa_round_robin_scheduling 0
		.amdhsa_exception_fp_ieee_invalid_op 0
		.amdhsa_exception_fp_denorm_src 0
		.amdhsa_exception_fp_ieee_div_zero 0
		.amdhsa_exception_fp_ieee_overflow 0
		.amdhsa_exception_fp_ieee_underflow 0
		.amdhsa_exception_fp_ieee_inexact 0
		.amdhsa_exception_int_div_zero 0
	.end_amdhsa_kernel
	.section	.text._ZN9rocsolver6v33100L18trti2_kernel_smallILi31E19rocblas_complex_numIfEPKPS3_EEv13rocblas_fill_17rocblas_diagonal_T1_iil,"axG",@progbits,_ZN9rocsolver6v33100L18trti2_kernel_smallILi31E19rocblas_complex_numIfEPKPS3_EEv13rocblas_fill_17rocblas_diagonal_T1_iil,comdat
.Lfunc_end94:
	.size	_ZN9rocsolver6v33100L18trti2_kernel_smallILi31E19rocblas_complex_numIfEPKPS3_EEv13rocblas_fill_17rocblas_diagonal_T1_iil, .Lfunc_end94-_ZN9rocsolver6v33100L18trti2_kernel_smallILi31E19rocblas_complex_numIfEPKPS3_EEv13rocblas_fill_17rocblas_diagonal_T1_iil
                                        ; -- End function
	.set _ZN9rocsolver6v33100L18trti2_kernel_smallILi31E19rocblas_complex_numIfEPKPS3_EEv13rocblas_fill_17rocblas_diagonal_T1_iil.num_vgpr, 93
	.set _ZN9rocsolver6v33100L18trti2_kernel_smallILi31E19rocblas_complex_numIfEPKPS3_EEv13rocblas_fill_17rocblas_diagonal_T1_iil.num_agpr, 0
	.set _ZN9rocsolver6v33100L18trti2_kernel_smallILi31E19rocblas_complex_numIfEPKPS3_EEv13rocblas_fill_17rocblas_diagonal_T1_iil.numbered_sgpr, 37
	.set _ZN9rocsolver6v33100L18trti2_kernel_smallILi31E19rocblas_complex_numIfEPKPS3_EEv13rocblas_fill_17rocblas_diagonal_T1_iil.num_named_barrier, 0
	.set _ZN9rocsolver6v33100L18trti2_kernel_smallILi31E19rocblas_complex_numIfEPKPS3_EEv13rocblas_fill_17rocblas_diagonal_T1_iil.private_seg_size, 256
	.set _ZN9rocsolver6v33100L18trti2_kernel_smallILi31E19rocblas_complex_numIfEPKPS3_EEv13rocblas_fill_17rocblas_diagonal_T1_iil.uses_vcc, 1
	.set _ZN9rocsolver6v33100L18trti2_kernel_smallILi31E19rocblas_complex_numIfEPKPS3_EEv13rocblas_fill_17rocblas_diagonal_T1_iil.uses_flat_scratch, 0
	.set _ZN9rocsolver6v33100L18trti2_kernel_smallILi31E19rocblas_complex_numIfEPKPS3_EEv13rocblas_fill_17rocblas_diagonal_T1_iil.has_dyn_sized_stack, 0
	.set _ZN9rocsolver6v33100L18trti2_kernel_smallILi31E19rocblas_complex_numIfEPKPS3_EEv13rocblas_fill_17rocblas_diagonal_T1_iil.has_recursion, 0
	.set _ZN9rocsolver6v33100L18trti2_kernel_smallILi31E19rocblas_complex_numIfEPKPS3_EEv13rocblas_fill_17rocblas_diagonal_T1_iil.has_indirect_call, 0
	.section	.AMDGPU.csdata,"",@progbits
; Kernel info:
; codeLenInByte = 23832
; TotalNumSgprs: 39
; NumVgprs: 93
; ScratchSize: 256
; MemoryBound: 0
; FloatMode: 240
; IeeeMode: 1
; LDSByteSize: 504 bytes/workgroup (compile time only)
; SGPRBlocks: 0
; VGPRBlocks: 5
; NumSGPRsForWavesPerEU: 39
; NumVGPRsForWavesPerEU: 93
; NamedBarCnt: 0
; Occupancy: 10
; WaveLimiterHint : 1
; COMPUTE_PGM_RSRC2:SCRATCH_EN: 1
; COMPUTE_PGM_RSRC2:USER_SGPR: 2
; COMPUTE_PGM_RSRC2:TRAP_HANDLER: 0
; COMPUTE_PGM_RSRC2:TGID_X_EN: 1
; COMPUTE_PGM_RSRC2:TGID_Y_EN: 0
; COMPUTE_PGM_RSRC2:TGID_Z_EN: 0
; COMPUTE_PGM_RSRC2:TIDIG_COMP_CNT: 0
	.section	.text._ZN9rocsolver6v33100L18trti2_kernel_smallILi32E19rocblas_complex_numIfEPKPS3_EEv13rocblas_fill_17rocblas_diagonal_T1_iil,"axG",@progbits,_ZN9rocsolver6v33100L18trti2_kernel_smallILi32E19rocblas_complex_numIfEPKPS3_EEv13rocblas_fill_17rocblas_diagonal_T1_iil,comdat
	.globl	_ZN9rocsolver6v33100L18trti2_kernel_smallILi32E19rocblas_complex_numIfEPKPS3_EEv13rocblas_fill_17rocblas_diagonal_T1_iil ; -- Begin function _ZN9rocsolver6v33100L18trti2_kernel_smallILi32E19rocblas_complex_numIfEPKPS3_EEv13rocblas_fill_17rocblas_diagonal_T1_iil
	.p2align	8
	.type	_ZN9rocsolver6v33100L18trti2_kernel_smallILi32E19rocblas_complex_numIfEPKPS3_EEv13rocblas_fill_17rocblas_diagonal_T1_iil,@function
_ZN9rocsolver6v33100L18trti2_kernel_smallILi32E19rocblas_complex_numIfEPKPS3_EEv13rocblas_fill_17rocblas_diagonal_T1_iil: ; @_ZN9rocsolver6v33100L18trti2_kernel_smallILi32E19rocblas_complex_numIfEPKPS3_EEv13rocblas_fill_17rocblas_diagonal_T1_iil
; %bb.0:
	s_mov_b32 s2, exec_lo
	v_cmpx_gt_u32_e32 32, v0
	s_cbranch_execz .LBB95_624
; %bb.1:
	s_clause 0x1
	s_load_b64 s[2:3], s[0:1], 0x10
	s_load_b128 s[4:7], s[0:1], 0x0
	s_wait_xcnt 0x0
	s_bfe_u32 s0, ttmp6, 0x4000c
	s_and_b32 s1, ttmp6, 15
	s_add_co_i32 s0, s0, 1
	s_getreg_b32 s8, hwreg(HW_REG_IB_STS2, 6, 4)
	s_mul_i32 s0, ttmp9, s0
	v_dual_mov_b32 v59, 0 :: v_dual_lshlrev_b32 v58, 3, v0
	s_add_co_i32 s0, s1, s0
	s_wait_kmcnt 0x0
	s_ashr_i32 s1, s2, 31
	s_cmp_eq_u32 s8, 0
	s_cselect_b32 s8, ttmp9, s0
	s_mov_b32 s0, s2
	s_ashr_i32 s9, s8, 31
	s_lshl_b64 s[0:1], s[0:1], 3
	s_lshl_b64 s[8:9], s[8:9], 3
	s_delay_alu instid0(SALU_CYCLE_1)
	s_add_nc_u64 s[6:7], s[6:7], s[8:9]
	s_load_b64 s[6:7], s[6:7], 0x0
	s_wait_kmcnt 0x0
	s_add_nc_u64 s[6:7], s[6:7], s[0:1]
	s_mov_b32 s0, s3
	flat_load_b64 v[6:7], v0, s[6:7] scale_offset
	v_add_nc_u64_e32 v[2:3], s[6:7], v[58:59]
	s_ashr_i32 s1, s3, 31
	s_cmp_lg_u32 s5, 0x84
	s_delay_alu instid0(VALU_DEP_1)
	v_lshl_add_u64 v[4:5], s[0:1], 3, v[2:3]
	s_mov_b32 s0, -1
	s_wait_loadcnt_dscnt 0x0
	scratch_store_b64 off, v[6:7], off
	flat_load_b64 v[8:9], v[4:5]
	s_wait_xcnt 0x1
	v_add3_u32 v6, s3, s3, v0
	s_wait_loadcnt_dscnt 0x0
	scratch_store_b64 off, v[8:9], off offset:8
	flat_load_b64 v[10:11], v6, s[6:7] scale_offset
	s_wait_xcnt 0x1
	v_add_nc_u32_e32 v8, s3, v6
	s_wait_loadcnt_dscnt 0x0
	scratch_store_b64 off, v[10:11], off offset:16
	flat_load_b64 v[12:13], v8, s[6:7] scale_offset
	s_wait_xcnt 0x1
	v_add_nc_u32_e32 v10, s3, v8
	s_wait_loadcnt_dscnt 0x0
	scratch_store_b64 off, v[12:13], off offset:24
	flat_load_b64 v[14:15], v10, s[6:7] scale_offset
	s_wait_xcnt 0x1
	v_add_nc_u32_e32 v12, s3, v10
	s_wait_loadcnt_dscnt 0x0
	scratch_store_b64 off, v[14:15], off offset:32
	flat_load_b64 v[16:17], v12, s[6:7] scale_offset
	s_wait_xcnt 0x1
	v_add_nc_u32_e32 v14, s3, v12
	s_wait_loadcnt_dscnt 0x0
	scratch_store_b64 off, v[16:17], off offset:40
	flat_load_b64 v[18:19], v14, s[6:7] scale_offset
	s_wait_xcnt 0x1
	v_add_nc_u32_e32 v16, s3, v14
	s_wait_loadcnt_dscnt 0x0
	scratch_store_b64 off, v[18:19], off offset:48
	flat_load_b64 v[20:21], v16, s[6:7] scale_offset
	s_wait_xcnt 0x1
	v_add_nc_u32_e32 v18, s3, v16
	s_wait_loadcnt_dscnt 0x0
	scratch_store_b64 off, v[20:21], off offset:56
	flat_load_b64 v[22:23], v18, s[6:7] scale_offset
	s_wait_xcnt 0x1
	v_add_nc_u32_e32 v20, s3, v18
	s_wait_loadcnt_dscnt 0x0
	scratch_store_b64 off, v[22:23], off offset:64
	flat_load_b64 v[24:25], v20, s[6:7] scale_offset
	s_wait_xcnt 0x1
	v_add_nc_u32_e32 v22, s3, v20
	s_wait_loadcnt_dscnt 0x0
	scratch_store_b64 off, v[24:25], off offset:72
	flat_load_b64 v[26:27], v22, s[6:7] scale_offset
	s_wait_xcnt 0x1
	v_add_nc_u32_e32 v24, s3, v22
	s_wait_loadcnt_dscnt 0x0
	scratch_store_b64 off, v[26:27], off offset:80
	flat_load_b64 v[28:29], v24, s[6:7] scale_offset
	s_wait_xcnt 0x1
	v_add_nc_u32_e32 v26, s3, v24
	s_wait_loadcnt_dscnt 0x0
	scratch_store_b64 off, v[28:29], off offset:88
	flat_load_b64 v[30:31], v26, s[6:7] scale_offset
	s_wait_xcnt 0x1
	v_add_nc_u32_e32 v28, s3, v26
	s_wait_loadcnt_dscnt 0x0
	scratch_store_b64 off, v[30:31], off offset:96
	flat_load_b64 v[32:33], v28, s[6:7] scale_offset
	s_wait_xcnt 0x1
	v_add_nc_u32_e32 v30, s3, v28
	s_wait_loadcnt_dscnt 0x0
	scratch_store_b64 off, v[32:33], off offset:104
	flat_load_b64 v[34:35], v30, s[6:7] scale_offset
	s_wait_xcnt 0x1
	v_add_nc_u32_e32 v32, s3, v30
	s_wait_loadcnt_dscnt 0x0
	scratch_store_b64 off, v[34:35], off offset:112
	flat_load_b64 v[36:37], v32, s[6:7] scale_offset
	s_wait_xcnt 0x1
	v_add_nc_u32_e32 v34, s3, v32
	s_wait_loadcnt_dscnt 0x0
	scratch_store_b64 off, v[36:37], off offset:120
	flat_load_b64 v[38:39], v34, s[6:7] scale_offset
	s_wait_xcnt 0x1
	v_add_nc_u32_e32 v36, s3, v34
	s_wait_loadcnt_dscnt 0x0
	scratch_store_b64 off, v[38:39], off offset:128
	flat_load_b64 v[40:41], v36, s[6:7] scale_offset
	s_wait_xcnt 0x1
	v_add_nc_u32_e32 v38, s3, v36
	s_wait_loadcnt_dscnt 0x0
	scratch_store_b64 off, v[40:41], off offset:136
	flat_load_b64 v[42:43], v38, s[6:7] scale_offset
	s_wait_xcnt 0x1
	v_add_nc_u32_e32 v40, s3, v38
	s_wait_loadcnt_dscnt 0x0
	scratch_store_b64 off, v[42:43], off offset:144
	flat_load_b64 v[44:45], v40, s[6:7] scale_offset
	s_wait_xcnt 0x1
	v_add_nc_u32_e32 v42, s3, v40
	s_wait_loadcnt_dscnt 0x0
	scratch_store_b64 off, v[44:45], off offset:152
	flat_load_b64 v[46:47], v42, s[6:7] scale_offset
	s_wait_xcnt 0x1
	v_add_nc_u32_e32 v44, s3, v42
	s_wait_loadcnt_dscnt 0x0
	scratch_store_b64 off, v[46:47], off offset:160
	flat_load_b64 v[48:49], v44, s[6:7] scale_offset
	s_wait_xcnt 0x1
	v_add_nc_u32_e32 v46, s3, v44
	s_wait_loadcnt_dscnt 0x0
	scratch_store_b64 off, v[48:49], off offset:168
	flat_load_b64 v[50:51], v46, s[6:7] scale_offset
	s_wait_xcnt 0x1
	v_add_nc_u32_e32 v48, s3, v46
	s_wait_loadcnt_dscnt 0x0
	scratch_store_b64 off, v[50:51], off offset:176
	flat_load_b64 v[52:53], v48, s[6:7] scale_offset
	s_wait_xcnt 0x1
	v_add_nc_u32_e32 v50, s3, v48
	s_wait_loadcnt_dscnt 0x0
	scratch_store_b64 off, v[52:53], off offset:184
	flat_load_b64 v[54:55], v50, s[6:7] scale_offset
	s_wait_xcnt 0x1
	v_add_nc_u32_e32 v52, s3, v50
	s_wait_loadcnt_dscnt 0x0
	scratch_store_b64 off, v[54:55], off offset:192
	flat_load_b64 v[56:57], v52, s[6:7] scale_offset
	s_wait_xcnt 0x1
	v_add_nc_u32_e32 v54, s3, v52
	s_wait_loadcnt_dscnt 0x0
	scratch_store_b64 off, v[56:57], off offset:200
	flat_load_b64 v[60:61], v54, s[6:7] scale_offset
	s_wait_xcnt 0x1
	v_add_nc_u32_e32 v56, s3, v54
	s_wait_loadcnt_dscnt 0x0
	scratch_store_b64 off, v[60:61], off offset:208
	flat_load_b64 v[62:63], v56, s[6:7] scale_offset
	s_wait_xcnt 0x1
	v_add_nc_u32_e32 v60, s3, v56
	s_wait_loadcnt_dscnt 0x0
	scratch_store_b64 off, v[62:63], off offset:216
	flat_load_b64 v[64:65], v60, s[6:7] scale_offset
	s_wait_xcnt 0x1
	v_add_nc_u32_e32 v62, s3, v60
	s_wait_loadcnt_dscnt 0x0
	scratch_store_b64 off, v[64:65], off offset:224
	flat_load_b64 v[66:67], v62, s[6:7] scale_offset
	s_wait_xcnt 0x1
	v_add_nc_u32_e32 v64, s3, v62
	s_wait_loadcnt_dscnt 0x0
	scratch_store_b64 off, v[66:67], off offset:232
	flat_load_b64 v[68:69], v64, s[6:7] scale_offset
	s_wait_xcnt 0x1
	v_add_nc_u32_e32 v66, s3, v64
	s_cselect_b32 s3, -1, 0
	s_delay_alu instid0(SALU_CYCLE_1)
	s_and_b32 vcc_lo, exec_lo, s3
	s_wait_loadcnt_dscnt 0x0
	scratch_store_b64 off, v[68:69], off offset:240
	flat_load_b64 v[68:69], v66, s[6:7] scale_offset
	s_wait_loadcnt_dscnt 0x0
	scratch_store_b64 off, v[68:69], off offset:248
	s_cbranch_vccz .LBB95_7
; %bb.2:
	scratch_load_b64 v[68:69], v0, off scale_offset
                                        ; implicit-def: $vgpr73
                                        ; implicit-def: $vgpr70
	s_wait_loadcnt 0x0
	v_cmp_ngt_f32_e64 s0, |v68|, |v69|
	s_wait_xcnt 0x0
	s_and_saveexec_b32 s1, s0
	s_delay_alu instid0(SALU_CYCLE_1)
	s_xor_b32 s0, exec_lo, s1
	s_cbranch_execz .LBB95_4
; %bb.3:
	v_div_scale_f32 v1, null, v69, v69, v68
	v_div_scale_f32 v11, vcc_lo, v68, v69, v68
	s_delay_alu instid0(VALU_DEP_2) | instskip(SKIP_1) | instid1(TRANS32_DEP_1)
	v_rcp_f32_e32 v7, v1
	v_nop
	v_fma_f32 v9, -v1, v7, 1.0
	s_delay_alu instid0(VALU_DEP_1) | instskip(NEXT) | instid1(VALU_DEP_1)
	v_fmac_f32_e32 v7, v9, v7
	v_mul_f32_e32 v9, v11, v7
	s_delay_alu instid0(VALU_DEP_1) | instskip(NEXT) | instid1(VALU_DEP_1)
	v_fma_f32 v13, -v1, v9, v11
	v_fmac_f32_e32 v9, v13, v7
	s_delay_alu instid0(VALU_DEP_1) | instskip(NEXT) | instid1(VALU_DEP_1)
	v_fma_f32 v1, -v1, v9, v11
	v_div_fmas_f32 v1, v1, v7, v9
	s_delay_alu instid0(VALU_DEP_1) | instskip(NEXT) | instid1(VALU_DEP_1)
	v_div_fixup_f32 v1, v1, v69, v68
	v_fmac_f32_e32 v69, v68, v1
	s_delay_alu instid0(VALU_DEP_1) | instskip(NEXT) | instid1(VALU_DEP_1)
	v_div_scale_f32 v7, null, v69, v69, -1.0
	v_rcp_f32_e32 v9, v7
	v_nop
	s_delay_alu instid0(TRANS32_DEP_1) | instskip(NEXT) | instid1(VALU_DEP_1)
	v_fma_f32 v11, -v7, v9, 1.0
	v_fmac_f32_e32 v9, v11, v9
	v_div_scale_f32 v11, vcc_lo, -1.0, v69, -1.0
	s_delay_alu instid0(VALU_DEP_1) | instskip(NEXT) | instid1(VALU_DEP_1)
	v_mul_f32_e32 v13, v11, v9
	v_fma_f32 v15, -v7, v13, v11
	s_delay_alu instid0(VALU_DEP_1) | instskip(NEXT) | instid1(VALU_DEP_1)
	v_fmac_f32_e32 v13, v15, v9
	v_fma_f32 v7, -v7, v13, v11
	s_delay_alu instid0(VALU_DEP_1) | instskip(NEXT) | instid1(VALU_DEP_1)
	v_div_fmas_f32 v7, v7, v9, v13
	v_div_fixup_f32 v73, v7, v69, -1.0
                                        ; implicit-def: $vgpr68_vgpr69
	s_delay_alu instid0(VALU_DEP_1) | instskip(NEXT) | instid1(VALU_DEP_1)
	v_mul_f32_e32 v70, v1, v73
	v_xor_b32_e32 v72, 0x80000000, v70
.LBB95_4:
	s_or_saveexec_b32 s0, s0
	v_lshl_add_u32 v1, v0, 3, 0
	s_xor_b32 exec_lo, exec_lo, s0
	s_cbranch_execz .LBB95_6
; %bb.5:
	v_div_scale_f32 v7, null, v68, v68, v69
	v_div_scale_f32 v13, vcc_lo, v69, v68, v69
	s_delay_alu instid0(VALU_DEP_2) | instskip(SKIP_1) | instid1(TRANS32_DEP_1)
	v_rcp_f32_e32 v9, v7
	v_nop
	v_fma_f32 v11, -v7, v9, 1.0
	s_delay_alu instid0(VALU_DEP_1) | instskip(NEXT) | instid1(VALU_DEP_1)
	v_fmac_f32_e32 v9, v11, v9
	v_mul_f32_e32 v11, v13, v9
	s_delay_alu instid0(VALU_DEP_1) | instskip(NEXT) | instid1(VALU_DEP_1)
	v_fma_f32 v15, -v7, v11, v13
	v_fmac_f32_e32 v11, v15, v9
	s_delay_alu instid0(VALU_DEP_1) | instskip(NEXT) | instid1(VALU_DEP_1)
	v_fma_f32 v7, -v7, v11, v13
	v_div_fmas_f32 v7, v7, v9, v11
	s_delay_alu instid0(VALU_DEP_1) | instskip(NEXT) | instid1(VALU_DEP_1)
	v_div_fixup_f32 v7, v7, v68, v69
	v_fmac_f32_e32 v68, v69, v7
	s_delay_alu instid0(VALU_DEP_1) | instskip(SKIP_1) | instid1(VALU_DEP_2)
	v_div_scale_f32 v9, null, v68, v68, 1.0
	v_div_scale_f32 v15, vcc_lo, 1.0, v68, 1.0
	v_rcp_f32_e32 v11, v9
	v_nop
	s_delay_alu instid0(TRANS32_DEP_1) | instskip(NEXT) | instid1(VALU_DEP_1)
	v_fma_f32 v13, -v9, v11, 1.0
	v_fmac_f32_e32 v11, v13, v11
	s_delay_alu instid0(VALU_DEP_1) | instskip(NEXT) | instid1(VALU_DEP_1)
	v_mul_f32_e32 v13, v15, v11
	v_fma_f32 v17, -v9, v13, v15
	s_delay_alu instid0(VALU_DEP_1) | instskip(NEXT) | instid1(VALU_DEP_1)
	v_fmac_f32_e32 v13, v17, v11
	v_fma_f32 v9, -v9, v13, v15
	s_delay_alu instid0(VALU_DEP_1) | instskip(NEXT) | instid1(VALU_DEP_1)
	v_div_fmas_f32 v9, v9, v11, v13
	v_div_fixup_f32 v72, v9, v68, 1.0
	s_delay_alu instid0(VALU_DEP_1)
	v_xor_b32_e32 v70, 0x80000000, v72
	v_mul_f32_e64 v73, v7, -v72
.LBB95_6:
	s_or_b32 exec_lo, exec_lo, s0
	s_delay_alu instid0(VALU_DEP_1)
	v_xor_b32_e32 v71, 0x80000000, v73
	s_mov_b32 s0, 0
	scratch_store_b64 v1, v[72:73], off
	ds_store_b64 v58, v[70:71]
.LBB95_7:
	s_and_b32 vcc_lo, exec_lo, s0
	s_cbranch_vccz .LBB95_9
; %bb.8:
	s_mov_b64 s[0:1], 0xbf800000
	s_wait_xcnt 0x0
	v_mov_b64_e32 v[68:69], s[0:1]
	ds_store_b64 v58, v[68:69]
.LBB95_9:
	v_dual_ashrrev_i32 v7, 31, v6 :: v_dual_ashrrev_i32 v9, 31, v8
	v_dual_ashrrev_i32 v11, 31, v10 :: v_dual_ashrrev_i32 v13, 31, v12
	;; [unrolled: 1-line block ×15, first 2 shown]
	s_wait_xcnt 0x0
	v_add_nc_u32_e32 v1, 0x100, v58
	v_mov_b32_e32 v59, v58
	s_cmp_eq_u32 s4, 0x79
	s_cbranch_scc1 .LBB95_13
; %bb.10:
	scratch_load_b64 v[68:69], off, off offset:240
	v_cmp_eq_u32_e64 s0, 31, v0
	s_movk_i32 s1, 0x48
	s_movk_i32 s14, 0x50
	;; [unrolled: 1-line block ×21, first 2 shown]
	s_wait_loadcnt 0x0
	ds_store_b64 v1, v[68:69]
	s_wait_storecnt_dscnt 0x0
	s_barrier_signal -1
	s_barrier_wait -1
	s_wait_xcnt 0x0
	s_and_saveexec_b32 s2, s0
	s_cbranch_execz .LBB95_17
; %bb.11:
	s_and_b32 vcc_lo, exec_lo, s3
	s_cbranch_vccz .LBB95_14
; %bb.12:
	scratch_load_b64 v[68:69], v59, off
	ds_load_b64 v[70:71], v1
	s_wait_loadcnt_dscnt 0x0
	v_pk_mul_f32 v[72:73], v[70:71], v[68:69] op_sel:[1,1] op_sel_hi:[0,1]
	v_pk_mul_f32 v[74:75], v[70:71], v[68:69] op_sel_hi:[1,0]
	s_delay_alu instid0(VALU_DEP_2) | instskip(NEXT) | instid1(VALU_DEP_2)
	v_pk_fma_f32 v[68:69], v[70:71], v[68:69], v[72:73] op_sel_hi:[1,0,1]
	v_sub_f32_e32 v68, v74, v72
	s_cbranch_execz .LBB95_15
	s_branch .LBB95_16
.LBB95_13:
	s_mov_b32 s1, 0
                                        ; implicit-def: $vgpr94
                                        ; implicit-def: $sgpr5
	s_cbranch_execnz .LBB95_316
	s_branch .LBB95_621
.LBB95_14:
                                        ; implicit-def: $vgpr69
.LBB95_15:
	ds_load_b64 v[68:69], v1
.LBB95_16:
	s_wait_dscnt 0x0
	v_dual_mov_b32 v70, 0 :: v_dual_mov_b32 v72, v69
	v_mov_b32_e32 v73, v68
	ds_load_b64 v[70:71], v70 offset:240
	s_wait_dscnt 0x0
	v_pk_mul_f32 v[72:73], v[72:73], v[70:71] op_sel:[0,1]
	s_delay_alu instid0(VALU_DEP_1) | instskip(SKIP_1) | instid1(VALU_DEP_2)
	v_pk_fma_f32 v[74:75], v[68:69], v[70:71], v[72:73] op_sel_hi:[1,0,1]
	v_pk_fma_f32 v[68:69], v[68:69], v[70:71], v[72:73] neg_lo:[0,0,1] neg_hi:[0,0,1]
	v_mov_b32_e32 v69, v75
	scratch_store_b64 off, v[68:69], off offset:240
.LBB95_17:
	s_wait_xcnt 0x0
	s_or_b32 exec_lo, exec_lo, s2
	scratch_load_b64 v[68:69], off, off offset:232
	s_mov_b32 s13, s1
	v_cmp_lt_u32_e64 s1, 29, v0
	s_or_b32 s4, 0, 8
	s_mov_b32 s5, 16
	s_mov_b32 s8, 24
	;; [unrolled: 1-line block ×7, first 2 shown]
	s_wait_loadcnt 0x0
	ds_store_b64 v1, v[68:69]
	s_wait_storecnt_dscnt 0x0
	s_barrier_signal -1
	s_barrier_wait -1
	s_wait_xcnt 0x0
	s_and_saveexec_b32 s35, s1
	s_cbranch_execz .LBB95_25
; %bb.18:
	s_and_not1_b32 vcc_lo, exec_lo, s3
	s_cbranch_vccnz .LBB95_20
; %bb.19:
	scratch_load_b64 v[68:69], v59, off
	ds_load_b64 v[70:71], v1
	s_wait_loadcnt_dscnt 0x0
	v_pk_mul_f32 v[72:73], v[70:71], v[68:69] op_sel:[1,1] op_sel_hi:[0,1]
	s_delay_alu instid0(VALU_DEP_1) | instskip(SKIP_1) | instid1(VALU_DEP_2)
	v_pk_fma_f32 v[74:75], v[70:71], v[68:69], v[72:73] op_sel_hi:[1,0,1]
	v_pk_fma_f32 v[68:69], v[70:71], v[68:69], v[72:73] neg_lo:[0,0,1] neg_hi:[0,0,1]
	v_mov_b32_e32 v69, v75
	s_cbranch_execz .LBB95_21
	s_branch .LBB95_22
.LBB95_20:
                                        ; implicit-def: $vgpr68_vgpr69
.LBB95_21:
	ds_load_b64 v[68:69], v1
.LBB95_22:
	s_and_saveexec_b32 s36, s0
	s_cbranch_execz .LBB95_24
; %bb.23:
	scratch_load_b64 v[70:71], off, off offset:240
	v_mov_b32_e32 v72, 0
	ds_load_b64 v[72:73], v72 offset:496
	s_wait_loadcnt_dscnt 0x0
	v_pk_mul_f32 v[74:75], v[72:73], v[70:71] op_sel:[1,1] op_sel_hi:[0,1]
	s_delay_alu instid0(VALU_DEP_1) | instskip(SKIP_1) | instid1(VALU_DEP_2)
	v_pk_fma_f32 v[76:77], v[72:73], v[70:71], v[74:75] op_sel_hi:[1,0,1]
	v_pk_fma_f32 v[70:71], v[72:73], v[70:71], v[74:75] neg_lo:[0,0,1] neg_hi:[0,0,1]
	v_mov_b32_e32 v71, v77
	s_delay_alu instid0(VALU_DEP_1)
	v_pk_add_f32 v[68:69], v[68:69], v[70:71]
.LBB95_24:
	s_or_b32 exec_lo, exec_lo, s36
	v_mov_b32_e32 v70, 0
	ds_load_b64 v[70:71], v70 offset:232
	s_wait_dscnt 0x0
	v_pk_mul_f32 v[72:73], v[68:69], v[70:71] op_sel:[1,1] op_sel_hi:[0,1]
	s_delay_alu instid0(VALU_DEP_1) | instskip(SKIP_1) | instid1(VALU_DEP_2)
	v_pk_fma_f32 v[74:75], v[68:69], v[70:71], v[72:73] op_sel_hi:[1,0,1]
	v_pk_fma_f32 v[68:69], v[68:69], v[70:71], v[72:73] neg_lo:[0,0,1] neg_hi:[0,0,1]
	v_mov_b32_e32 v69, v75
	scratch_store_b64 off, v[68:69], off offset:232
.LBB95_25:
	s_wait_xcnt 0x0
	s_or_b32 exec_lo, exec_lo, s35
	scratch_load_b64 v[68:69], off, off offset:224
	v_cmp_lt_u32_e64 s0, 28, v0
	s_wait_loadcnt 0x0
	ds_store_b64 v1, v[68:69]
	s_wait_storecnt_dscnt 0x0
	s_barrier_signal -1
	s_barrier_wait -1
	s_wait_xcnt 0x0
	s_and_saveexec_b32 s35, s0
	s_cbranch_execz .LBB95_35
; %bb.26:
	s_and_not1_b32 vcc_lo, exec_lo, s3
	s_cbranch_vccnz .LBB95_28
; %bb.27:
	scratch_load_b64 v[68:69], v59, off
	ds_load_b64 v[70:71], v1
	s_wait_loadcnt_dscnt 0x0
	v_pk_mul_f32 v[72:73], v[70:71], v[68:69] op_sel:[1,1] op_sel_hi:[0,1]
	s_delay_alu instid0(VALU_DEP_1) | instskip(SKIP_1) | instid1(VALU_DEP_2)
	v_pk_fma_f32 v[74:75], v[70:71], v[68:69], v[72:73] op_sel_hi:[1,0,1]
	v_pk_fma_f32 v[68:69], v[70:71], v[68:69], v[72:73] neg_lo:[0,0,1] neg_hi:[0,0,1]
	v_mov_b32_e32 v69, v75
	s_cbranch_execz .LBB95_29
	s_branch .LBB95_30
.LBB95_28:
                                        ; implicit-def: $vgpr68_vgpr69
.LBB95_29:
	ds_load_b64 v[68:69], v1
.LBB95_30:
	s_and_saveexec_b32 s36, s1
	s_cbranch_execz .LBB95_34
; %bb.31:
	v_subrev_nc_u32_e32 v70, 29, v0
	s_movk_i32 s37, 0x1e8
	s_mov_b32 s1, 0
.LBB95_32:                              ; =>This Inner Loop Header: Depth=1
	scratch_load_b64 v[72:73], off, s34
	v_dual_mov_b32 v71, s37 :: v_dual_add_nc_u32 v70, -1, v70
	s_add_co_i32 s37, s37, 8
	s_wait_xcnt 0x0
	s_add_co_i32 s34, s34, 8
	ds_load_b64 v[74:75], v71
	v_cmp_eq_u32_e32 vcc_lo, 0, v70
	s_or_b32 s1, vcc_lo, s1
	s_wait_loadcnt_dscnt 0x0
	v_pk_mul_f32 v[76:77], v[74:75], v[72:73] op_sel:[1,1] op_sel_hi:[0,1]
	s_delay_alu instid0(VALU_DEP_1) | instskip(SKIP_1) | instid1(VALU_DEP_2)
	v_pk_fma_f32 v[78:79], v[74:75], v[72:73], v[76:77] op_sel_hi:[1,0,1]
	v_pk_fma_f32 v[72:73], v[74:75], v[72:73], v[76:77] neg_lo:[0,0,1] neg_hi:[0,0,1]
	v_mov_b32_e32 v73, v79
	s_delay_alu instid0(VALU_DEP_1)
	v_pk_add_f32 v[68:69], v[68:69], v[72:73]
	s_and_not1_b32 exec_lo, exec_lo, s1
	s_cbranch_execnz .LBB95_32
; %bb.33:
	s_or_b32 exec_lo, exec_lo, s1
.LBB95_34:
	s_delay_alu instid0(SALU_CYCLE_1) | instskip(SKIP_4) | instid1(VALU_DEP_1)
	s_or_b32 exec_lo, exec_lo, s36
	v_mov_b32_e32 v70, 0
	ds_load_b64 v[70:71], v70 offset:224
	s_wait_dscnt 0x0
	v_pk_mul_f32 v[72:73], v[68:69], v[70:71] op_sel:[1,1] op_sel_hi:[0,1]
	v_pk_fma_f32 v[74:75], v[68:69], v[70:71], v[72:73] op_sel_hi:[1,0,1]
	v_pk_fma_f32 v[68:69], v[68:69], v[70:71], v[72:73] neg_lo:[0,0,1] neg_hi:[0,0,1]
	s_delay_alu instid0(VALU_DEP_2)
	v_mov_b32_e32 v69, v75
	scratch_store_b64 off, v[68:69], off offset:224
.LBB95_35:
	s_wait_xcnt 0x0
	s_or_b32 exec_lo, exec_lo, s35
	scratch_load_b64 v[68:69], off, off offset:216
	v_cmp_lt_u32_e64 s1, 27, v0
	s_wait_loadcnt 0x0
	ds_store_b64 v1, v[68:69]
	s_wait_storecnt_dscnt 0x0
	s_barrier_signal -1
	s_barrier_wait -1
	s_wait_xcnt 0x0
	s_and_saveexec_b32 s34, s1
	s_cbranch_execz .LBB95_45
; %bb.36:
	s_and_not1_b32 vcc_lo, exec_lo, s3
	s_cbranch_vccnz .LBB95_38
; %bb.37:
	scratch_load_b64 v[68:69], v59, off
	ds_load_b64 v[70:71], v1
	s_wait_loadcnt_dscnt 0x0
	v_pk_mul_f32 v[72:73], v[70:71], v[68:69] op_sel:[1,1] op_sel_hi:[0,1]
	s_delay_alu instid0(VALU_DEP_1) | instskip(SKIP_1) | instid1(VALU_DEP_2)
	v_pk_fma_f32 v[74:75], v[70:71], v[68:69], v[72:73] op_sel_hi:[1,0,1]
	v_pk_fma_f32 v[68:69], v[70:71], v[68:69], v[72:73] neg_lo:[0,0,1] neg_hi:[0,0,1]
	v_mov_b32_e32 v69, v75
	s_cbranch_execz .LBB95_39
	s_branch .LBB95_40
.LBB95_38:
                                        ; implicit-def: $vgpr68_vgpr69
.LBB95_39:
	ds_load_b64 v[68:69], v1
.LBB95_40:
	s_and_saveexec_b32 s35, s0
	s_cbranch_execz .LBB95_44
; %bb.41:
	v_subrev_nc_u32_e32 v70, 28, v0
	s_movk_i32 s36, 0x1e0
	s_mov_b32 s0, 0
.LBB95_42:                              ; =>This Inner Loop Header: Depth=1
	scratch_load_b64 v[72:73], off, s33
	v_dual_mov_b32 v71, s36 :: v_dual_add_nc_u32 v70, -1, v70
	s_add_co_i32 s36, s36, 8
	s_wait_xcnt 0x0
	s_add_co_i32 s33, s33, 8
	ds_load_b64 v[74:75], v71
	v_cmp_eq_u32_e32 vcc_lo, 0, v70
	s_or_b32 s0, vcc_lo, s0
	s_wait_loadcnt_dscnt 0x0
	v_pk_mul_f32 v[76:77], v[74:75], v[72:73] op_sel:[1,1] op_sel_hi:[0,1]
	s_delay_alu instid0(VALU_DEP_1) | instskip(SKIP_1) | instid1(VALU_DEP_2)
	v_pk_fma_f32 v[78:79], v[74:75], v[72:73], v[76:77] op_sel_hi:[1,0,1]
	v_pk_fma_f32 v[72:73], v[74:75], v[72:73], v[76:77] neg_lo:[0,0,1] neg_hi:[0,0,1]
	v_mov_b32_e32 v73, v79
	s_delay_alu instid0(VALU_DEP_1)
	v_pk_add_f32 v[68:69], v[68:69], v[72:73]
	s_and_not1_b32 exec_lo, exec_lo, s0
	s_cbranch_execnz .LBB95_42
; %bb.43:
	s_or_b32 exec_lo, exec_lo, s0
.LBB95_44:
	s_delay_alu instid0(SALU_CYCLE_1) | instskip(SKIP_4) | instid1(VALU_DEP_1)
	s_or_b32 exec_lo, exec_lo, s35
	v_mov_b32_e32 v70, 0
	ds_load_b64 v[70:71], v70 offset:216
	s_wait_dscnt 0x0
	v_pk_mul_f32 v[72:73], v[68:69], v[70:71] op_sel:[1,1] op_sel_hi:[0,1]
	v_pk_fma_f32 v[74:75], v[68:69], v[70:71], v[72:73] op_sel_hi:[1,0,1]
	v_pk_fma_f32 v[68:69], v[68:69], v[70:71], v[72:73] neg_lo:[0,0,1] neg_hi:[0,0,1]
	s_delay_alu instid0(VALU_DEP_2)
	v_mov_b32_e32 v69, v75
	scratch_store_b64 off, v[68:69], off offset:216
.LBB95_45:
	s_wait_xcnt 0x0
	s_or_b32 exec_lo, exec_lo, s34
	scratch_load_b64 v[68:69], off, off offset:208
	v_cmp_lt_u32_e64 s0, 26, v0
	s_wait_loadcnt 0x0
	ds_store_b64 v1, v[68:69]
	s_wait_storecnt_dscnt 0x0
	s_barrier_signal -1
	s_barrier_wait -1
	s_wait_xcnt 0x0
	s_and_saveexec_b32 s33, s0
	s_cbranch_execz .LBB95_55
; %bb.46:
	s_and_not1_b32 vcc_lo, exec_lo, s3
	s_cbranch_vccnz .LBB95_48
; %bb.47:
	scratch_load_b64 v[68:69], v59, off
	ds_load_b64 v[70:71], v1
	s_wait_loadcnt_dscnt 0x0
	v_pk_mul_f32 v[72:73], v[70:71], v[68:69] op_sel:[1,1] op_sel_hi:[0,1]
	s_delay_alu instid0(VALU_DEP_1) | instskip(SKIP_1) | instid1(VALU_DEP_2)
	v_pk_fma_f32 v[74:75], v[70:71], v[68:69], v[72:73] op_sel_hi:[1,0,1]
	v_pk_fma_f32 v[68:69], v[70:71], v[68:69], v[72:73] neg_lo:[0,0,1] neg_hi:[0,0,1]
	v_mov_b32_e32 v69, v75
	s_cbranch_execz .LBB95_49
	s_branch .LBB95_50
.LBB95_48:
                                        ; implicit-def: $vgpr68_vgpr69
.LBB95_49:
	ds_load_b64 v[68:69], v1
.LBB95_50:
	s_and_saveexec_b32 s34, s1
	s_cbranch_execz .LBB95_54
; %bb.51:
	v_subrev_nc_u32_e32 v70, 27, v0
	s_movk_i32 s35, 0x1d8
	s_mov_b32 s1, 0
.LBB95_52:                              ; =>This Inner Loop Header: Depth=1
	scratch_load_b64 v[72:73], off, s31
	v_dual_mov_b32 v71, s35 :: v_dual_add_nc_u32 v70, -1, v70
	s_add_co_i32 s35, s35, 8
	s_wait_xcnt 0x0
	s_add_co_i32 s31, s31, 8
	ds_load_b64 v[74:75], v71
	v_cmp_eq_u32_e32 vcc_lo, 0, v70
	s_or_b32 s1, vcc_lo, s1
	s_wait_loadcnt_dscnt 0x0
	v_pk_mul_f32 v[76:77], v[74:75], v[72:73] op_sel:[1,1] op_sel_hi:[0,1]
	s_delay_alu instid0(VALU_DEP_1) | instskip(SKIP_1) | instid1(VALU_DEP_2)
	v_pk_fma_f32 v[78:79], v[74:75], v[72:73], v[76:77] op_sel_hi:[1,0,1]
	v_pk_fma_f32 v[72:73], v[74:75], v[72:73], v[76:77] neg_lo:[0,0,1] neg_hi:[0,0,1]
	v_mov_b32_e32 v73, v79
	s_delay_alu instid0(VALU_DEP_1)
	v_pk_add_f32 v[68:69], v[68:69], v[72:73]
	s_and_not1_b32 exec_lo, exec_lo, s1
	s_cbranch_execnz .LBB95_52
; %bb.53:
	s_or_b32 exec_lo, exec_lo, s1
.LBB95_54:
	s_delay_alu instid0(SALU_CYCLE_1) | instskip(SKIP_4) | instid1(VALU_DEP_1)
	s_or_b32 exec_lo, exec_lo, s34
	v_mov_b32_e32 v70, 0
	ds_load_b64 v[70:71], v70 offset:208
	s_wait_dscnt 0x0
	v_pk_mul_f32 v[72:73], v[68:69], v[70:71] op_sel:[1,1] op_sel_hi:[0,1]
	v_pk_fma_f32 v[74:75], v[68:69], v[70:71], v[72:73] op_sel_hi:[1,0,1]
	v_pk_fma_f32 v[68:69], v[68:69], v[70:71], v[72:73] neg_lo:[0,0,1] neg_hi:[0,0,1]
	s_delay_alu instid0(VALU_DEP_2)
	v_mov_b32_e32 v69, v75
	scratch_store_b64 off, v[68:69], off offset:208
.LBB95_55:
	s_wait_xcnt 0x0
	s_or_b32 exec_lo, exec_lo, s33
	scratch_load_b64 v[68:69], off, off offset:200
	v_cmp_lt_u32_e64 s1, 25, v0
	s_wait_loadcnt 0x0
	ds_store_b64 v1, v[68:69]
	s_wait_storecnt_dscnt 0x0
	s_barrier_signal -1
	s_barrier_wait -1
	s_wait_xcnt 0x0
	s_and_saveexec_b32 s31, s1
	s_cbranch_execz .LBB95_65
; %bb.56:
	s_and_not1_b32 vcc_lo, exec_lo, s3
	s_cbranch_vccnz .LBB95_58
; %bb.57:
	scratch_load_b64 v[68:69], v59, off
	ds_load_b64 v[70:71], v1
	s_wait_loadcnt_dscnt 0x0
	v_pk_mul_f32 v[72:73], v[70:71], v[68:69] op_sel:[1,1] op_sel_hi:[0,1]
	s_delay_alu instid0(VALU_DEP_1) | instskip(SKIP_1) | instid1(VALU_DEP_2)
	v_pk_fma_f32 v[74:75], v[70:71], v[68:69], v[72:73] op_sel_hi:[1,0,1]
	v_pk_fma_f32 v[68:69], v[70:71], v[68:69], v[72:73] neg_lo:[0,0,1] neg_hi:[0,0,1]
	v_mov_b32_e32 v69, v75
	s_cbranch_execz .LBB95_59
	s_branch .LBB95_60
.LBB95_58:
                                        ; implicit-def: $vgpr68_vgpr69
.LBB95_59:
	ds_load_b64 v[68:69], v1
.LBB95_60:
	s_and_saveexec_b32 s33, s0
	s_cbranch_execz .LBB95_64
; %bb.61:
	v_subrev_nc_u32_e32 v70, 26, v0
	s_movk_i32 s34, 0x1d0
	s_mov_b32 s0, 0
.LBB95_62:                              ; =>This Inner Loop Header: Depth=1
	scratch_load_b64 v[72:73], off, s30
	v_dual_mov_b32 v71, s34 :: v_dual_add_nc_u32 v70, -1, v70
	s_add_co_i32 s34, s34, 8
	s_wait_xcnt 0x0
	s_add_co_i32 s30, s30, 8
	ds_load_b64 v[74:75], v71
	v_cmp_eq_u32_e32 vcc_lo, 0, v70
	s_or_b32 s0, vcc_lo, s0
	s_wait_loadcnt_dscnt 0x0
	v_pk_mul_f32 v[76:77], v[74:75], v[72:73] op_sel:[1,1] op_sel_hi:[0,1]
	s_delay_alu instid0(VALU_DEP_1) | instskip(SKIP_1) | instid1(VALU_DEP_2)
	v_pk_fma_f32 v[78:79], v[74:75], v[72:73], v[76:77] op_sel_hi:[1,0,1]
	v_pk_fma_f32 v[72:73], v[74:75], v[72:73], v[76:77] neg_lo:[0,0,1] neg_hi:[0,0,1]
	v_mov_b32_e32 v73, v79
	s_delay_alu instid0(VALU_DEP_1)
	v_pk_add_f32 v[68:69], v[68:69], v[72:73]
	s_and_not1_b32 exec_lo, exec_lo, s0
	s_cbranch_execnz .LBB95_62
; %bb.63:
	s_or_b32 exec_lo, exec_lo, s0
.LBB95_64:
	s_delay_alu instid0(SALU_CYCLE_1) | instskip(SKIP_4) | instid1(VALU_DEP_1)
	s_or_b32 exec_lo, exec_lo, s33
	v_mov_b32_e32 v70, 0
	ds_load_b64 v[70:71], v70 offset:200
	s_wait_dscnt 0x0
	v_pk_mul_f32 v[72:73], v[68:69], v[70:71] op_sel:[1,1] op_sel_hi:[0,1]
	v_pk_fma_f32 v[74:75], v[68:69], v[70:71], v[72:73] op_sel_hi:[1,0,1]
	v_pk_fma_f32 v[68:69], v[68:69], v[70:71], v[72:73] neg_lo:[0,0,1] neg_hi:[0,0,1]
	s_delay_alu instid0(VALU_DEP_2)
	v_mov_b32_e32 v69, v75
	scratch_store_b64 off, v[68:69], off offset:200
.LBB95_65:
	s_wait_xcnt 0x0
	s_or_b32 exec_lo, exec_lo, s31
	scratch_load_b64 v[68:69], off, off offset:192
	v_cmp_lt_u32_e64 s0, 24, v0
	s_wait_loadcnt 0x0
	ds_store_b64 v1, v[68:69]
	s_wait_storecnt_dscnt 0x0
	s_barrier_signal -1
	s_barrier_wait -1
	s_wait_xcnt 0x0
	s_and_saveexec_b32 s30, s0
	s_cbranch_execz .LBB95_75
; %bb.66:
	s_and_not1_b32 vcc_lo, exec_lo, s3
	s_cbranch_vccnz .LBB95_68
; %bb.67:
	scratch_load_b64 v[68:69], v59, off
	ds_load_b64 v[70:71], v1
	s_wait_loadcnt_dscnt 0x0
	v_pk_mul_f32 v[72:73], v[70:71], v[68:69] op_sel:[1,1] op_sel_hi:[0,1]
	s_delay_alu instid0(VALU_DEP_1) | instskip(SKIP_1) | instid1(VALU_DEP_2)
	v_pk_fma_f32 v[74:75], v[70:71], v[68:69], v[72:73] op_sel_hi:[1,0,1]
	v_pk_fma_f32 v[68:69], v[70:71], v[68:69], v[72:73] neg_lo:[0,0,1] neg_hi:[0,0,1]
	v_mov_b32_e32 v69, v75
	s_cbranch_execz .LBB95_69
	s_branch .LBB95_70
.LBB95_68:
                                        ; implicit-def: $vgpr68_vgpr69
.LBB95_69:
	ds_load_b64 v[68:69], v1
.LBB95_70:
	s_and_saveexec_b32 s31, s1
	s_cbranch_execz .LBB95_74
; %bb.71:
	v_subrev_nc_u32_e32 v70, 25, v0
	s_movk_i32 s33, 0x1c8
	s_mov_b32 s1, 0
.LBB95_72:                              ; =>This Inner Loop Header: Depth=1
	scratch_load_b64 v[72:73], off, s29
	v_dual_mov_b32 v71, s33 :: v_dual_add_nc_u32 v70, -1, v70
	s_add_co_i32 s33, s33, 8
	s_wait_xcnt 0x0
	s_add_co_i32 s29, s29, 8
	ds_load_b64 v[74:75], v71
	v_cmp_eq_u32_e32 vcc_lo, 0, v70
	s_or_b32 s1, vcc_lo, s1
	s_wait_loadcnt_dscnt 0x0
	v_pk_mul_f32 v[76:77], v[74:75], v[72:73] op_sel:[1,1] op_sel_hi:[0,1]
	s_delay_alu instid0(VALU_DEP_1) | instskip(SKIP_1) | instid1(VALU_DEP_2)
	v_pk_fma_f32 v[78:79], v[74:75], v[72:73], v[76:77] op_sel_hi:[1,0,1]
	v_pk_fma_f32 v[72:73], v[74:75], v[72:73], v[76:77] neg_lo:[0,0,1] neg_hi:[0,0,1]
	v_mov_b32_e32 v73, v79
	s_delay_alu instid0(VALU_DEP_1)
	v_pk_add_f32 v[68:69], v[68:69], v[72:73]
	s_and_not1_b32 exec_lo, exec_lo, s1
	s_cbranch_execnz .LBB95_72
; %bb.73:
	s_or_b32 exec_lo, exec_lo, s1
.LBB95_74:
	s_delay_alu instid0(SALU_CYCLE_1) | instskip(SKIP_4) | instid1(VALU_DEP_1)
	s_or_b32 exec_lo, exec_lo, s31
	v_mov_b32_e32 v70, 0
	ds_load_b64 v[70:71], v70 offset:192
	s_wait_dscnt 0x0
	v_pk_mul_f32 v[72:73], v[68:69], v[70:71] op_sel:[1,1] op_sel_hi:[0,1]
	v_pk_fma_f32 v[74:75], v[68:69], v[70:71], v[72:73] op_sel_hi:[1,0,1]
	v_pk_fma_f32 v[68:69], v[68:69], v[70:71], v[72:73] neg_lo:[0,0,1] neg_hi:[0,0,1]
	s_delay_alu instid0(VALU_DEP_2)
	v_mov_b32_e32 v69, v75
	scratch_store_b64 off, v[68:69], off offset:192
.LBB95_75:
	s_wait_xcnt 0x0
	s_or_b32 exec_lo, exec_lo, s30
	scratch_load_b64 v[68:69], off, off offset:184
	v_cmp_lt_u32_e64 s1, 23, v0
	s_wait_loadcnt 0x0
	ds_store_b64 v1, v[68:69]
	s_wait_storecnt_dscnt 0x0
	s_barrier_signal -1
	s_barrier_wait -1
	s_wait_xcnt 0x0
	s_and_saveexec_b32 s29, s1
	s_cbranch_execz .LBB95_85
; %bb.76:
	s_and_not1_b32 vcc_lo, exec_lo, s3
	s_cbranch_vccnz .LBB95_78
; %bb.77:
	scratch_load_b64 v[68:69], v59, off
	ds_load_b64 v[70:71], v1
	s_wait_loadcnt_dscnt 0x0
	v_pk_mul_f32 v[72:73], v[70:71], v[68:69] op_sel:[1,1] op_sel_hi:[0,1]
	s_delay_alu instid0(VALU_DEP_1) | instskip(SKIP_1) | instid1(VALU_DEP_2)
	v_pk_fma_f32 v[74:75], v[70:71], v[68:69], v[72:73] op_sel_hi:[1,0,1]
	v_pk_fma_f32 v[68:69], v[70:71], v[68:69], v[72:73] neg_lo:[0,0,1] neg_hi:[0,0,1]
	v_mov_b32_e32 v69, v75
	s_cbranch_execz .LBB95_79
	s_branch .LBB95_80
.LBB95_78:
                                        ; implicit-def: $vgpr68_vgpr69
.LBB95_79:
	ds_load_b64 v[68:69], v1
.LBB95_80:
	s_and_saveexec_b32 s30, s0
	s_cbranch_execz .LBB95_84
; %bb.81:
	v_subrev_nc_u32_e32 v70, 24, v0
	s_movk_i32 s31, 0x1c0
	s_mov_b32 s0, 0
.LBB95_82:                              ; =>This Inner Loop Header: Depth=1
	scratch_load_b64 v[72:73], off, s28
	v_dual_mov_b32 v71, s31 :: v_dual_add_nc_u32 v70, -1, v70
	s_add_co_i32 s31, s31, 8
	s_wait_xcnt 0x0
	s_add_co_i32 s28, s28, 8
	ds_load_b64 v[74:75], v71
	v_cmp_eq_u32_e32 vcc_lo, 0, v70
	s_or_b32 s0, vcc_lo, s0
	s_wait_loadcnt_dscnt 0x0
	v_pk_mul_f32 v[76:77], v[74:75], v[72:73] op_sel:[1,1] op_sel_hi:[0,1]
	s_delay_alu instid0(VALU_DEP_1) | instskip(SKIP_1) | instid1(VALU_DEP_2)
	v_pk_fma_f32 v[78:79], v[74:75], v[72:73], v[76:77] op_sel_hi:[1,0,1]
	v_pk_fma_f32 v[72:73], v[74:75], v[72:73], v[76:77] neg_lo:[0,0,1] neg_hi:[0,0,1]
	v_mov_b32_e32 v73, v79
	s_delay_alu instid0(VALU_DEP_1)
	v_pk_add_f32 v[68:69], v[68:69], v[72:73]
	s_and_not1_b32 exec_lo, exec_lo, s0
	s_cbranch_execnz .LBB95_82
; %bb.83:
	s_or_b32 exec_lo, exec_lo, s0
.LBB95_84:
	s_delay_alu instid0(SALU_CYCLE_1) | instskip(SKIP_4) | instid1(VALU_DEP_1)
	s_or_b32 exec_lo, exec_lo, s30
	v_mov_b32_e32 v70, 0
	ds_load_b64 v[70:71], v70 offset:184
	s_wait_dscnt 0x0
	v_pk_mul_f32 v[72:73], v[68:69], v[70:71] op_sel:[1,1] op_sel_hi:[0,1]
	v_pk_fma_f32 v[74:75], v[68:69], v[70:71], v[72:73] op_sel_hi:[1,0,1]
	v_pk_fma_f32 v[68:69], v[68:69], v[70:71], v[72:73] neg_lo:[0,0,1] neg_hi:[0,0,1]
	s_delay_alu instid0(VALU_DEP_2)
	v_mov_b32_e32 v69, v75
	scratch_store_b64 off, v[68:69], off offset:184
.LBB95_85:
	s_wait_xcnt 0x0
	s_or_b32 exec_lo, exec_lo, s29
	scratch_load_b64 v[68:69], off, off offset:176
	v_cmp_lt_u32_e64 s0, 22, v0
	s_wait_loadcnt 0x0
	ds_store_b64 v1, v[68:69]
	s_wait_storecnt_dscnt 0x0
	s_barrier_signal -1
	s_barrier_wait -1
	s_wait_xcnt 0x0
	s_and_saveexec_b32 s28, s0
	s_cbranch_execz .LBB95_95
; %bb.86:
	s_and_not1_b32 vcc_lo, exec_lo, s3
	s_cbranch_vccnz .LBB95_88
; %bb.87:
	scratch_load_b64 v[68:69], v59, off
	ds_load_b64 v[70:71], v1
	s_wait_loadcnt_dscnt 0x0
	v_pk_mul_f32 v[72:73], v[70:71], v[68:69] op_sel:[1,1] op_sel_hi:[0,1]
	s_delay_alu instid0(VALU_DEP_1) | instskip(SKIP_1) | instid1(VALU_DEP_2)
	v_pk_fma_f32 v[74:75], v[70:71], v[68:69], v[72:73] op_sel_hi:[1,0,1]
	v_pk_fma_f32 v[68:69], v[70:71], v[68:69], v[72:73] neg_lo:[0,0,1] neg_hi:[0,0,1]
	v_mov_b32_e32 v69, v75
	s_cbranch_execz .LBB95_89
	s_branch .LBB95_90
.LBB95_88:
                                        ; implicit-def: $vgpr68_vgpr69
.LBB95_89:
	ds_load_b64 v[68:69], v1
.LBB95_90:
	s_and_saveexec_b32 s29, s1
	s_cbranch_execz .LBB95_94
; %bb.91:
	v_subrev_nc_u32_e32 v70, 23, v0
	s_movk_i32 s30, 0x1b8
	s_mov_b32 s1, 0
.LBB95_92:                              ; =>This Inner Loop Header: Depth=1
	scratch_load_b64 v[72:73], off, s27
	v_dual_mov_b32 v71, s30 :: v_dual_add_nc_u32 v70, -1, v70
	s_add_co_i32 s30, s30, 8
	s_wait_xcnt 0x0
	s_add_co_i32 s27, s27, 8
	ds_load_b64 v[74:75], v71
	v_cmp_eq_u32_e32 vcc_lo, 0, v70
	s_or_b32 s1, vcc_lo, s1
	s_wait_loadcnt_dscnt 0x0
	v_pk_mul_f32 v[76:77], v[74:75], v[72:73] op_sel:[1,1] op_sel_hi:[0,1]
	s_delay_alu instid0(VALU_DEP_1) | instskip(SKIP_1) | instid1(VALU_DEP_2)
	v_pk_fma_f32 v[78:79], v[74:75], v[72:73], v[76:77] op_sel_hi:[1,0,1]
	v_pk_fma_f32 v[72:73], v[74:75], v[72:73], v[76:77] neg_lo:[0,0,1] neg_hi:[0,0,1]
	v_mov_b32_e32 v73, v79
	s_delay_alu instid0(VALU_DEP_1)
	v_pk_add_f32 v[68:69], v[68:69], v[72:73]
	s_and_not1_b32 exec_lo, exec_lo, s1
	s_cbranch_execnz .LBB95_92
; %bb.93:
	s_or_b32 exec_lo, exec_lo, s1
.LBB95_94:
	s_delay_alu instid0(SALU_CYCLE_1) | instskip(SKIP_4) | instid1(VALU_DEP_1)
	s_or_b32 exec_lo, exec_lo, s29
	v_mov_b32_e32 v70, 0
	ds_load_b64 v[70:71], v70 offset:176
	s_wait_dscnt 0x0
	v_pk_mul_f32 v[72:73], v[68:69], v[70:71] op_sel:[1,1] op_sel_hi:[0,1]
	v_pk_fma_f32 v[74:75], v[68:69], v[70:71], v[72:73] op_sel_hi:[1,0,1]
	v_pk_fma_f32 v[68:69], v[68:69], v[70:71], v[72:73] neg_lo:[0,0,1] neg_hi:[0,0,1]
	s_delay_alu instid0(VALU_DEP_2)
	v_mov_b32_e32 v69, v75
	scratch_store_b64 off, v[68:69], off offset:176
.LBB95_95:
	s_wait_xcnt 0x0
	s_or_b32 exec_lo, exec_lo, s28
	scratch_load_b64 v[68:69], off, off offset:168
	v_cmp_lt_u32_e64 s1, 21, v0
	s_wait_loadcnt 0x0
	ds_store_b64 v1, v[68:69]
	s_wait_storecnt_dscnt 0x0
	s_barrier_signal -1
	s_barrier_wait -1
	s_wait_xcnt 0x0
	s_and_saveexec_b32 s27, s1
	s_cbranch_execz .LBB95_105
; %bb.96:
	s_and_not1_b32 vcc_lo, exec_lo, s3
	s_cbranch_vccnz .LBB95_98
; %bb.97:
	scratch_load_b64 v[68:69], v59, off
	ds_load_b64 v[70:71], v1
	s_wait_loadcnt_dscnt 0x0
	v_pk_mul_f32 v[72:73], v[70:71], v[68:69] op_sel:[1,1] op_sel_hi:[0,1]
	s_delay_alu instid0(VALU_DEP_1) | instskip(SKIP_1) | instid1(VALU_DEP_2)
	v_pk_fma_f32 v[74:75], v[70:71], v[68:69], v[72:73] op_sel_hi:[1,0,1]
	v_pk_fma_f32 v[68:69], v[70:71], v[68:69], v[72:73] neg_lo:[0,0,1] neg_hi:[0,0,1]
	v_mov_b32_e32 v69, v75
	s_cbranch_execz .LBB95_99
	s_branch .LBB95_100
.LBB95_98:
                                        ; implicit-def: $vgpr68_vgpr69
.LBB95_99:
	ds_load_b64 v[68:69], v1
.LBB95_100:
	s_and_saveexec_b32 s28, s0
	s_cbranch_execz .LBB95_104
; %bb.101:
	v_subrev_nc_u32_e32 v70, 22, v0
	s_movk_i32 s29, 0x1b0
	s_mov_b32 s0, 0
.LBB95_102:                             ; =>This Inner Loop Header: Depth=1
	scratch_load_b64 v[72:73], off, s26
	v_dual_mov_b32 v71, s29 :: v_dual_add_nc_u32 v70, -1, v70
	s_add_co_i32 s29, s29, 8
	s_wait_xcnt 0x0
	s_add_co_i32 s26, s26, 8
	ds_load_b64 v[74:75], v71
	v_cmp_eq_u32_e32 vcc_lo, 0, v70
	s_or_b32 s0, vcc_lo, s0
	s_wait_loadcnt_dscnt 0x0
	v_pk_mul_f32 v[76:77], v[74:75], v[72:73] op_sel:[1,1] op_sel_hi:[0,1]
	s_delay_alu instid0(VALU_DEP_1) | instskip(SKIP_1) | instid1(VALU_DEP_2)
	v_pk_fma_f32 v[78:79], v[74:75], v[72:73], v[76:77] op_sel_hi:[1,0,1]
	v_pk_fma_f32 v[72:73], v[74:75], v[72:73], v[76:77] neg_lo:[0,0,1] neg_hi:[0,0,1]
	v_mov_b32_e32 v73, v79
	s_delay_alu instid0(VALU_DEP_1)
	v_pk_add_f32 v[68:69], v[68:69], v[72:73]
	s_and_not1_b32 exec_lo, exec_lo, s0
	s_cbranch_execnz .LBB95_102
; %bb.103:
	s_or_b32 exec_lo, exec_lo, s0
.LBB95_104:
	s_delay_alu instid0(SALU_CYCLE_1) | instskip(SKIP_4) | instid1(VALU_DEP_1)
	s_or_b32 exec_lo, exec_lo, s28
	v_mov_b32_e32 v70, 0
	ds_load_b64 v[70:71], v70 offset:168
	s_wait_dscnt 0x0
	v_pk_mul_f32 v[72:73], v[68:69], v[70:71] op_sel:[1,1] op_sel_hi:[0,1]
	v_pk_fma_f32 v[74:75], v[68:69], v[70:71], v[72:73] op_sel_hi:[1,0,1]
	v_pk_fma_f32 v[68:69], v[68:69], v[70:71], v[72:73] neg_lo:[0,0,1] neg_hi:[0,0,1]
	s_delay_alu instid0(VALU_DEP_2)
	v_mov_b32_e32 v69, v75
	scratch_store_b64 off, v[68:69], off offset:168
.LBB95_105:
	s_wait_xcnt 0x0
	s_or_b32 exec_lo, exec_lo, s27
	scratch_load_b64 v[68:69], off, off offset:160
	v_cmp_lt_u32_e64 s0, 20, v0
	s_wait_loadcnt 0x0
	ds_store_b64 v1, v[68:69]
	s_wait_storecnt_dscnt 0x0
	s_barrier_signal -1
	s_barrier_wait -1
	s_wait_xcnt 0x0
	s_and_saveexec_b32 s26, s0
	s_cbranch_execz .LBB95_115
; %bb.106:
	s_and_not1_b32 vcc_lo, exec_lo, s3
	s_cbranch_vccnz .LBB95_108
; %bb.107:
	scratch_load_b64 v[68:69], v59, off
	ds_load_b64 v[70:71], v1
	s_wait_loadcnt_dscnt 0x0
	v_pk_mul_f32 v[72:73], v[70:71], v[68:69] op_sel:[1,1] op_sel_hi:[0,1]
	s_delay_alu instid0(VALU_DEP_1) | instskip(SKIP_1) | instid1(VALU_DEP_2)
	v_pk_fma_f32 v[74:75], v[70:71], v[68:69], v[72:73] op_sel_hi:[1,0,1]
	v_pk_fma_f32 v[68:69], v[70:71], v[68:69], v[72:73] neg_lo:[0,0,1] neg_hi:[0,0,1]
	v_mov_b32_e32 v69, v75
	s_cbranch_execz .LBB95_109
	s_branch .LBB95_110
.LBB95_108:
                                        ; implicit-def: $vgpr68_vgpr69
.LBB95_109:
	ds_load_b64 v[68:69], v1
.LBB95_110:
	s_and_saveexec_b32 s27, s1
	s_cbranch_execz .LBB95_114
; %bb.111:
	v_subrev_nc_u32_e32 v70, 21, v0
	s_movk_i32 s28, 0x1a8
	s_mov_b32 s1, 0
.LBB95_112:                             ; =>This Inner Loop Header: Depth=1
	scratch_load_b64 v[72:73], off, s25
	v_dual_mov_b32 v71, s28 :: v_dual_add_nc_u32 v70, -1, v70
	s_add_co_i32 s28, s28, 8
	s_wait_xcnt 0x0
	s_add_co_i32 s25, s25, 8
	ds_load_b64 v[74:75], v71
	v_cmp_eq_u32_e32 vcc_lo, 0, v70
	s_or_b32 s1, vcc_lo, s1
	s_wait_loadcnt_dscnt 0x0
	v_pk_mul_f32 v[76:77], v[74:75], v[72:73] op_sel:[1,1] op_sel_hi:[0,1]
	s_delay_alu instid0(VALU_DEP_1) | instskip(SKIP_1) | instid1(VALU_DEP_2)
	v_pk_fma_f32 v[78:79], v[74:75], v[72:73], v[76:77] op_sel_hi:[1,0,1]
	v_pk_fma_f32 v[72:73], v[74:75], v[72:73], v[76:77] neg_lo:[0,0,1] neg_hi:[0,0,1]
	v_mov_b32_e32 v73, v79
	s_delay_alu instid0(VALU_DEP_1)
	v_pk_add_f32 v[68:69], v[68:69], v[72:73]
	s_and_not1_b32 exec_lo, exec_lo, s1
	s_cbranch_execnz .LBB95_112
; %bb.113:
	s_or_b32 exec_lo, exec_lo, s1
.LBB95_114:
	s_delay_alu instid0(SALU_CYCLE_1) | instskip(SKIP_4) | instid1(VALU_DEP_1)
	s_or_b32 exec_lo, exec_lo, s27
	v_mov_b32_e32 v70, 0
	ds_load_b64 v[70:71], v70 offset:160
	s_wait_dscnt 0x0
	v_pk_mul_f32 v[72:73], v[68:69], v[70:71] op_sel:[1,1] op_sel_hi:[0,1]
	v_pk_fma_f32 v[74:75], v[68:69], v[70:71], v[72:73] op_sel_hi:[1,0,1]
	v_pk_fma_f32 v[68:69], v[68:69], v[70:71], v[72:73] neg_lo:[0,0,1] neg_hi:[0,0,1]
	s_delay_alu instid0(VALU_DEP_2)
	v_mov_b32_e32 v69, v75
	scratch_store_b64 off, v[68:69], off offset:160
.LBB95_115:
	s_wait_xcnt 0x0
	s_or_b32 exec_lo, exec_lo, s26
	scratch_load_b64 v[68:69], off, off offset:152
	v_cmp_lt_u32_e64 s1, 19, v0
	s_wait_loadcnt 0x0
	ds_store_b64 v1, v[68:69]
	s_wait_storecnt_dscnt 0x0
	s_barrier_signal -1
	s_barrier_wait -1
	s_wait_xcnt 0x0
	s_and_saveexec_b32 s25, s1
	s_cbranch_execz .LBB95_125
; %bb.116:
	s_and_not1_b32 vcc_lo, exec_lo, s3
	s_cbranch_vccnz .LBB95_118
; %bb.117:
	scratch_load_b64 v[68:69], v59, off
	ds_load_b64 v[70:71], v1
	s_wait_loadcnt_dscnt 0x0
	v_pk_mul_f32 v[72:73], v[70:71], v[68:69] op_sel:[1,1] op_sel_hi:[0,1]
	s_delay_alu instid0(VALU_DEP_1) | instskip(SKIP_1) | instid1(VALU_DEP_2)
	v_pk_fma_f32 v[74:75], v[70:71], v[68:69], v[72:73] op_sel_hi:[1,0,1]
	v_pk_fma_f32 v[68:69], v[70:71], v[68:69], v[72:73] neg_lo:[0,0,1] neg_hi:[0,0,1]
	v_mov_b32_e32 v69, v75
	s_cbranch_execz .LBB95_119
	s_branch .LBB95_120
.LBB95_118:
                                        ; implicit-def: $vgpr68_vgpr69
.LBB95_119:
	ds_load_b64 v[68:69], v1
.LBB95_120:
	s_and_saveexec_b32 s26, s0
	s_cbranch_execz .LBB95_124
; %bb.121:
	v_subrev_nc_u32_e32 v70, 20, v0
	s_movk_i32 s27, 0x1a0
	s_mov_b32 s0, 0
.LBB95_122:                             ; =>This Inner Loop Header: Depth=1
	scratch_load_b64 v[72:73], off, s24
	v_dual_mov_b32 v71, s27 :: v_dual_add_nc_u32 v70, -1, v70
	s_add_co_i32 s27, s27, 8
	s_wait_xcnt 0x0
	s_add_co_i32 s24, s24, 8
	ds_load_b64 v[74:75], v71
	v_cmp_eq_u32_e32 vcc_lo, 0, v70
	s_or_b32 s0, vcc_lo, s0
	s_wait_loadcnt_dscnt 0x0
	v_pk_mul_f32 v[76:77], v[74:75], v[72:73] op_sel:[1,1] op_sel_hi:[0,1]
	s_delay_alu instid0(VALU_DEP_1) | instskip(SKIP_1) | instid1(VALU_DEP_2)
	v_pk_fma_f32 v[78:79], v[74:75], v[72:73], v[76:77] op_sel_hi:[1,0,1]
	v_pk_fma_f32 v[72:73], v[74:75], v[72:73], v[76:77] neg_lo:[0,0,1] neg_hi:[0,0,1]
	v_mov_b32_e32 v73, v79
	s_delay_alu instid0(VALU_DEP_1)
	v_pk_add_f32 v[68:69], v[68:69], v[72:73]
	s_and_not1_b32 exec_lo, exec_lo, s0
	s_cbranch_execnz .LBB95_122
; %bb.123:
	s_or_b32 exec_lo, exec_lo, s0
.LBB95_124:
	s_delay_alu instid0(SALU_CYCLE_1) | instskip(SKIP_4) | instid1(VALU_DEP_1)
	s_or_b32 exec_lo, exec_lo, s26
	v_mov_b32_e32 v70, 0
	ds_load_b64 v[70:71], v70 offset:152
	s_wait_dscnt 0x0
	v_pk_mul_f32 v[72:73], v[68:69], v[70:71] op_sel:[1,1] op_sel_hi:[0,1]
	v_pk_fma_f32 v[74:75], v[68:69], v[70:71], v[72:73] op_sel_hi:[1,0,1]
	v_pk_fma_f32 v[68:69], v[68:69], v[70:71], v[72:73] neg_lo:[0,0,1] neg_hi:[0,0,1]
	s_delay_alu instid0(VALU_DEP_2)
	v_mov_b32_e32 v69, v75
	scratch_store_b64 off, v[68:69], off offset:152
.LBB95_125:
	s_wait_xcnt 0x0
	s_or_b32 exec_lo, exec_lo, s25
	scratch_load_b64 v[68:69], off, off offset:144
	v_cmp_lt_u32_e64 s0, 18, v0
	s_wait_loadcnt 0x0
	ds_store_b64 v1, v[68:69]
	s_wait_storecnt_dscnt 0x0
	s_barrier_signal -1
	s_barrier_wait -1
	s_wait_xcnt 0x0
	s_and_saveexec_b32 s24, s0
	s_cbranch_execz .LBB95_135
; %bb.126:
	s_and_not1_b32 vcc_lo, exec_lo, s3
	s_cbranch_vccnz .LBB95_128
; %bb.127:
	scratch_load_b64 v[68:69], v59, off
	ds_load_b64 v[70:71], v1
	s_wait_loadcnt_dscnt 0x0
	v_pk_mul_f32 v[72:73], v[70:71], v[68:69] op_sel:[1,1] op_sel_hi:[0,1]
	s_delay_alu instid0(VALU_DEP_1) | instskip(SKIP_1) | instid1(VALU_DEP_2)
	v_pk_fma_f32 v[74:75], v[70:71], v[68:69], v[72:73] op_sel_hi:[1,0,1]
	v_pk_fma_f32 v[68:69], v[70:71], v[68:69], v[72:73] neg_lo:[0,0,1] neg_hi:[0,0,1]
	v_mov_b32_e32 v69, v75
	s_cbranch_execz .LBB95_129
	s_branch .LBB95_130
.LBB95_128:
                                        ; implicit-def: $vgpr68_vgpr69
.LBB95_129:
	ds_load_b64 v[68:69], v1
.LBB95_130:
	s_and_saveexec_b32 s25, s1
	s_cbranch_execz .LBB95_134
; %bb.131:
	v_subrev_nc_u32_e32 v70, 19, v0
	s_movk_i32 s26, 0x198
	s_mov_b32 s1, 0
.LBB95_132:                             ; =>This Inner Loop Header: Depth=1
	scratch_load_b64 v[72:73], off, s23
	v_dual_mov_b32 v71, s26 :: v_dual_add_nc_u32 v70, -1, v70
	s_add_co_i32 s26, s26, 8
	s_wait_xcnt 0x0
	s_add_co_i32 s23, s23, 8
	ds_load_b64 v[74:75], v71
	v_cmp_eq_u32_e32 vcc_lo, 0, v70
	s_or_b32 s1, vcc_lo, s1
	s_wait_loadcnt_dscnt 0x0
	v_pk_mul_f32 v[76:77], v[74:75], v[72:73] op_sel:[1,1] op_sel_hi:[0,1]
	s_delay_alu instid0(VALU_DEP_1) | instskip(SKIP_1) | instid1(VALU_DEP_2)
	v_pk_fma_f32 v[78:79], v[74:75], v[72:73], v[76:77] op_sel_hi:[1,0,1]
	v_pk_fma_f32 v[72:73], v[74:75], v[72:73], v[76:77] neg_lo:[0,0,1] neg_hi:[0,0,1]
	v_mov_b32_e32 v73, v79
	s_delay_alu instid0(VALU_DEP_1)
	v_pk_add_f32 v[68:69], v[68:69], v[72:73]
	s_and_not1_b32 exec_lo, exec_lo, s1
	s_cbranch_execnz .LBB95_132
; %bb.133:
	s_or_b32 exec_lo, exec_lo, s1
.LBB95_134:
	s_delay_alu instid0(SALU_CYCLE_1) | instskip(SKIP_4) | instid1(VALU_DEP_1)
	s_or_b32 exec_lo, exec_lo, s25
	v_mov_b32_e32 v70, 0
	ds_load_b64 v[70:71], v70 offset:144
	s_wait_dscnt 0x0
	v_pk_mul_f32 v[72:73], v[68:69], v[70:71] op_sel:[1,1] op_sel_hi:[0,1]
	v_pk_fma_f32 v[74:75], v[68:69], v[70:71], v[72:73] op_sel_hi:[1,0,1]
	v_pk_fma_f32 v[68:69], v[68:69], v[70:71], v[72:73] neg_lo:[0,0,1] neg_hi:[0,0,1]
	s_delay_alu instid0(VALU_DEP_2)
	v_mov_b32_e32 v69, v75
	scratch_store_b64 off, v[68:69], off offset:144
.LBB95_135:
	s_wait_xcnt 0x0
	s_or_b32 exec_lo, exec_lo, s24
	scratch_load_b64 v[68:69], off, off offset:136
	v_cmp_lt_u32_e64 s1, 17, v0
	s_wait_loadcnt 0x0
	ds_store_b64 v1, v[68:69]
	s_wait_storecnt_dscnt 0x0
	s_barrier_signal -1
	s_barrier_wait -1
	s_wait_xcnt 0x0
	s_and_saveexec_b32 s23, s1
	s_cbranch_execz .LBB95_145
; %bb.136:
	s_and_not1_b32 vcc_lo, exec_lo, s3
	s_cbranch_vccnz .LBB95_138
; %bb.137:
	scratch_load_b64 v[68:69], v59, off
	ds_load_b64 v[70:71], v1
	s_wait_loadcnt_dscnt 0x0
	v_pk_mul_f32 v[72:73], v[70:71], v[68:69] op_sel:[1,1] op_sel_hi:[0,1]
	s_delay_alu instid0(VALU_DEP_1) | instskip(SKIP_1) | instid1(VALU_DEP_2)
	v_pk_fma_f32 v[74:75], v[70:71], v[68:69], v[72:73] op_sel_hi:[1,0,1]
	v_pk_fma_f32 v[68:69], v[70:71], v[68:69], v[72:73] neg_lo:[0,0,1] neg_hi:[0,0,1]
	v_mov_b32_e32 v69, v75
	s_cbranch_execz .LBB95_139
	s_branch .LBB95_140
.LBB95_138:
                                        ; implicit-def: $vgpr68_vgpr69
.LBB95_139:
	ds_load_b64 v[68:69], v1
.LBB95_140:
	s_and_saveexec_b32 s24, s0
	s_cbranch_execz .LBB95_144
; %bb.141:
	v_subrev_nc_u32_e32 v70, 18, v0
	s_movk_i32 s25, 0x190
	s_mov_b32 s0, 0
.LBB95_142:                             ; =>This Inner Loop Header: Depth=1
	scratch_load_b64 v[72:73], off, s22
	v_dual_mov_b32 v71, s25 :: v_dual_add_nc_u32 v70, -1, v70
	s_add_co_i32 s25, s25, 8
	s_wait_xcnt 0x0
	s_add_co_i32 s22, s22, 8
	ds_load_b64 v[74:75], v71
	v_cmp_eq_u32_e32 vcc_lo, 0, v70
	s_or_b32 s0, vcc_lo, s0
	s_wait_loadcnt_dscnt 0x0
	v_pk_mul_f32 v[76:77], v[74:75], v[72:73] op_sel:[1,1] op_sel_hi:[0,1]
	s_delay_alu instid0(VALU_DEP_1) | instskip(SKIP_1) | instid1(VALU_DEP_2)
	v_pk_fma_f32 v[78:79], v[74:75], v[72:73], v[76:77] op_sel_hi:[1,0,1]
	v_pk_fma_f32 v[72:73], v[74:75], v[72:73], v[76:77] neg_lo:[0,0,1] neg_hi:[0,0,1]
	v_mov_b32_e32 v73, v79
	s_delay_alu instid0(VALU_DEP_1)
	v_pk_add_f32 v[68:69], v[68:69], v[72:73]
	s_and_not1_b32 exec_lo, exec_lo, s0
	s_cbranch_execnz .LBB95_142
; %bb.143:
	s_or_b32 exec_lo, exec_lo, s0
.LBB95_144:
	s_delay_alu instid0(SALU_CYCLE_1) | instskip(SKIP_4) | instid1(VALU_DEP_1)
	s_or_b32 exec_lo, exec_lo, s24
	v_mov_b32_e32 v70, 0
	ds_load_b64 v[70:71], v70 offset:136
	s_wait_dscnt 0x0
	v_pk_mul_f32 v[72:73], v[68:69], v[70:71] op_sel:[1,1] op_sel_hi:[0,1]
	v_pk_fma_f32 v[74:75], v[68:69], v[70:71], v[72:73] op_sel_hi:[1,0,1]
	v_pk_fma_f32 v[68:69], v[68:69], v[70:71], v[72:73] neg_lo:[0,0,1] neg_hi:[0,0,1]
	s_delay_alu instid0(VALU_DEP_2)
	v_mov_b32_e32 v69, v75
	scratch_store_b64 off, v[68:69], off offset:136
.LBB95_145:
	s_wait_xcnt 0x0
	s_or_b32 exec_lo, exec_lo, s23
	scratch_load_b64 v[68:69], off, off offset:128
	v_cmp_lt_u32_e64 s0, 16, v0
	s_wait_loadcnt 0x0
	ds_store_b64 v1, v[68:69]
	s_wait_storecnt_dscnt 0x0
	s_barrier_signal -1
	s_barrier_wait -1
	s_wait_xcnt 0x0
	s_and_saveexec_b32 s22, s0
	s_cbranch_execz .LBB95_155
; %bb.146:
	s_and_not1_b32 vcc_lo, exec_lo, s3
	s_cbranch_vccnz .LBB95_148
; %bb.147:
	scratch_load_b64 v[68:69], v59, off
	ds_load_b64 v[70:71], v1
	s_wait_loadcnt_dscnt 0x0
	v_pk_mul_f32 v[72:73], v[70:71], v[68:69] op_sel:[1,1] op_sel_hi:[0,1]
	s_delay_alu instid0(VALU_DEP_1) | instskip(SKIP_1) | instid1(VALU_DEP_2)
	v_pk_fma_f32 v[74:75], v[70:71], v[68:69], v[72:73] op_sel_hi:[1,0,1]
	v_pk_fma_f32 v[68:69], v[70:71], v[68:69], v[72:73] neg_lo:[0,0,1] neg_hi:[0,0,1]
	v_mov_b32_e32 v69, v75
	s_cbranch_execz .LBB95_149
	s_branch .LBB95_150
.LBB95_148:
                                        ; implicit-def: $vgpr68_vgpr69
.LBB95_149:
	ds_load_b64 v[68:69], v1
.LBB95_150:
	s_and_saveexec_b32 s23, s1
	s_cbranch_execz .LBB95_154
; %bb.151:
	v_subrev_nc_u32_e32 v70, 17, v0
	s_movk_i32 s24, 0x188
	s_mov_b32 s1, 0
.LBB95_152:                             ; =>This Inner Loop Header: Depth=1
	scratch_load_b64 v[72:73], off, s21
	v_dual_mov_b32 v71, s24 :: v_dual_add_nc_u32 v70, -1, v70
	s_add_co_i32 s24, s24, 8
	s_wait_xcnt 0x0
	s_add_co_i32 s21, s21, 8
	ds_load_b64 v[74:75], v71
	v_cmp_eq_u32_e32 vcc_lo, 0, v70
	s_or_b32 s1, vcc_lo, s1
	s_wait_loadcnt_dscnt 0x0
	v_pk_mul_f32 v[76:77], v[74:75], v[72:73] op_sel:[1,1] op_sel_hi:[0,1]
	s_delay_alu instid0(VALU_DEP_1) | instskip(SKIP_1) | instid1(VALU_DEP_2)
	v_pk_fma_f32 v[78:79], v[74:75], v[72:73], v[76:77] op_sel_hi:[1,0,1]
	v_pk_fma_f32 v[72:73], v[74:75], v[72:73], v[76:77] neg_lo:[0,0,1] neg_hi:[0,0,1]
	v_mov_b32_e32 v73, v79
	s_delay_alu instid0(VALU_DEP_1)
	v_pk_add_f32 v[68:69], v[68:69], v[72:73]
	s_and_not1_b32 exec_lo, exec_lo, s1
	s_cbranch_execnz .LBB95_152
; %bb.153:
	s_or_b32 exec_lo, exec_lo, s1
.LBB95_154:
	s_delay_alu instid0(SALU_CYCLE_1) | instskip(SKIP_4) | instid1(VALU_DEP_1)
	s_or_b32 exec_lo, exec_lo, s23
	v_mov_b32_e32 v70, 0
	ds_load_b64 v[70:71], v70 offset:128
	s_wait_dscnt 0x0
	v_pk_mul_f32 v[72:73], v[68:69], v[70:71] op_sel:[1,1] op_sel_hi:[0,1]
	v_pk_fma_f32 v[74:75], v[68:69], v[70:71], v[72:73] op_sel_hi:[1,0,1]
	v_pk_fma_f32 v[68:69], v[68:69], v[70:71], v[72:73] neg_lo:[0,0,1] neg_hi:[0,0,1]
	s_delay_alu instid0(VALU_DEP_2)
	v_mov_b32_e32 v69, v75
	scratch_store_b64 off, v[68:69], off offset:128
.LBB95_155:
	s_wait_xcnt 0x0
	s_or_b32 exec_lo, exec_lo, s22
	scratch_load_b64 v[68:69], off, off offset:120
	v_cmp_lt_u32_e64 s1, 15, v0
	s_wait_loadcnt 0x0
	ds_store_b64 v1, v[68:69]
	s_wait_storecnt_dscnt 0x0
	s_barrier_signal -1
	s_barrier_wait -1
	s_wait_xcnt 0x0
	s_and_saveexec_b32 s21, s1
	s_cbranch_execz .LBB95_165
; %bb.156:
	s_and_not1_b32 vcc_lo, exec_lo, s3
	s_cbranch_vccnz .LBB95_158
; %bb.157:
	scratch_load_b64 v[68:69], v59, off
	ds_load_b64 v[70:71], v1
	s_wait_loadcnt_dscnt 0x0
	v_pk_mul_f32 v[72:73], v[70:71], v[68:69] op_sel:[1,1] op_sel_hi:[0,1]
	s_delay_alu instid0(VALU_DEP_1) | instskip(SKIP_1) | instid1(VALU_DEP_2)
	v_pk_fma_f32 v[74:75], v[70:71], v[68:69], v[72:73] op_sel_hi:[1,0,1]
	v_pk_fma_f32 v[68:69], v[70:71], v[68:69], v[72:73] neg_lo:[0,0,1] neg_hi:[0,0,1]
	v_mov_b32_e32 v69, v75
	s_cbranch_execz .LBB95_159
	s_branch .LBB95_160
.LBB95_158:
                                        ; implicit-def: $vgpr68_vgpr69
.LBB95_159:
	ds_load_b64 v[68:69], v1
.LBB95_160:
	s_and_saveexec_b32 s22, s0
	s_cbranch_execz .LBB95_164
; %bb.161:
	v_add_nc_u32_e32 v70, -16, v0
	s_movk_i32 s23, 0x180
	s_mov_b32 s0, 0
.LBB95_162:                             ; =>This Inner Loop Header: Depth=1
	scratch_load_b64 v[72:73], off, s20
	v_dual_mov_b32 v71, s23 :: v_dual_add_nc_u32 v70, -1, v70
	s_add_co_i32 s23, s23, 8
	s_wait_xcnt 0x0
	s_add_co_i32 s20, s20, 8
	ds_load_b64 v[74:75], v71
	v_cmp_eq_u32_e32 vcc_lo, 0, v70
	s_or_b32 s0, vcc_lo, s0
	s_wait_loadcnt_dscnt 0x0
	v_pk_mul_f32 v[76:77], v[74:75], v[72:73] op_sel:[1,1] op_sel_hi:[0,1]
	s_delay_alu instid0(VALU_DEP_1) | instskip(SKIP_1) | instid1(VALU_DEP_2)
	v_pk_fma_f32 v[78:79], v[74:75], v[72:73], v[76:77] op_sel_hi:[1,0,1]
	v_pk_fma_f32 v[72:73], v[74:75], v[72:73], v[76:77] neg_lo:[0,0,1] neg_hi:[0,0,1]
	v_mov_b32_e32 v73, v79
	s_delay_alu instid0(VALU_DEP_1)
	v_pk_add_f32 v[68:69], v[68:69], v[72:73]
	s_and_not1_b32 exec_lo, exec_lo, s0
	s_cbranch_execnz .LBB95_162
; %bb.163:
	s_or_b32 exec_lo, exec_lo, s0
.LBB95_164:
	s_delay_alu instid0(SALU_CYCLE_1) | instskip(SKIP_4) | instid1(VALU_DEP_1)
	s_or_b32 exec_lo, exec_lo, s22
	v_mov_b32_e32 v70, 0
	ds_load_b64 v[70:71], v70 offset:120
	s_wait_dscnt 0x0
	v_pk_mul_f32 v[72:73], v[68:69], v[70:71] op_sel:[1,1] op_sel_hi:[0,1]
	v_pk_fma_f32 v[74:75], v[68:69], v[70:71], v[72:73] op_sel_hi:[1,0,1]
	v_pk_fma_f32 v[68:69], v[68:69], v[70:71], v[72:73] neg_lo:[0,0,1] neg_hi:[0,0,1]
	s_delay_alu instid0(VALU_DEP_2)
	v_mov_b32_e32 v69, v75
	scratch_store_b64 off, v[68:69], off offset:120
.LBB95_165:
	s_wait_xcnt 0x0
	s_or_b32 exec_lo, exec_lo, s21
	scratch_load_b64 v[68:69], off, off offset:112
	v_cmp_lt_u32_e64 s0, 14, v0
	s_wait_loadcnt 0x0
	ds_store_b64 v1, v[68:69]
	s_wait_storecnt_dscnt 0x0
	s_barrier_signal -1
	s_barrier_wait -1
	s_wait_xcnt 0x0
	s_and_saveexec_b32 s20, s0
	s_cbranch_execz .LBB95_175
; %bb.166:
	s_and_not1_b32 vcc_lo, exec_lo, s3
	s_cbranch_vccnz .LBB95_168
; %bb.167:
	scratch_load_b64 v[68:69], v59, off
	ds_load_b64 v[70:71], v1
	s_wait_loadcnt_dscnt 0x0
	v_pk_mul_f32 v[72:73], v[70:71], v[68:69] op_sel:[1,1] op_sel_hi:[0,1]
	s_delay_alu instid0(VALU_DEP_1) | instskip(SKIP_1) | instid1(VALU_DEP_2)
	v_pk_fma_f32 v[74:75], v[70:71], v[68:69], v[72:73] op_sel_hi:[1,0,1]
	v_pk_fma_f32 v[68:69], v[70:71], v[68:69], v[72:73] neg_lo:[0,0,1] neg_hi:[0,0,1]
	v_mov_b32_e32 v69, v75
	s_cbranch_execz .LBB95_169
	s_branch .LBB95_170
.LBB95_168:
                                        ; implicit-def: $vgpr68_vgpr69
.LBB95_169:
	ds_load_b64 v[68:69], v1
.LBB95_170:
	s_and_saveexec_b32 s21, s1
	s_cbranch_execz .LBB95_174
; %bb.171:
	v_add_nc_u32_e32 v70, -15, v0
	s_movk_i32 s22, 0x178
	s_mov_b32 s1, 0
.LBB95_172:                             ; =>This Inner Loop Header: Depth=1
	scratch_load_b64 v[72:73], off, s19
	v_dual_mov_b32 v71, s22 :: v_dual_add_nc_u32 v70, -1, v70
	s_add_co_i32 s22, s22, 8
	s_wait_xcnt 0x0
	s_add_co_i32 s19, s19, 8
	ds_load_b64 v[74:75], v71
	v_cmp_eq_u32_e32 vcc_lo, 0, v70
	s_or_b32 s1, vcc_lo, s1
	s_wait_loadcnt_dscnt 0x0
	v_pk_mul_f32 v[76:77], v[74:75], v[72:73] op_sel:[1,1] op_sel_hi:[0,1]
	s_delay_alu instid0(VALU_DEP_1) | instskip(SKIP_1) | instid1(VALU_DEP_2)
	v_pk_fma_f32 v[78:79], v[74:75], v[72:73], v[76:77] op_sel_hi:[1,0,1]
	v_pk_fma_f32 v[72:73], v[74:75], v[72:73], v[76:77] neg_lo:[0,0,1] neg_hi:[0,0,1]
	v_mov_b32_e32 v73, v79
	s_delay_alu instid0(VALU_DEP_1)
	v_pk_add_f32 v[68:69], v[68:69], v[72:73]
	s_and_not1_b32 exec_lo, exec_lo, s1
	s_cbranch_execnz .LBB95_172
; %bb.173:
	s_or_b32 exec_lo, exec_lo, s1
.LBB95_174:
	s_delay_alu instid0(SALU_CYCLE_1) | instskip(SKIP_4) | instid1(VALU_DEP_1)
	s_or_b32 exec_lo, exec_lo, s21
	v_mov_b32_e32 v70, 0
	ds_load_b64 v[70:71], v70 offset:112
	s_wait_dscnt 0x0
	v_pk_mul_f32 v[72:73], v[68:69], v[70:71] op_sel:[1,1] op_sel_hi:[0,1]
	v_pk_fma_f32 v[74:75], v[68:69], v[70:71], v[72:73] op_sel_hi:[1,0,1]
	v_pk_fma_f32 v[68:69], v[68:69], v[70:71], v[72:73] neg_lo:[0,0,1] neg_hi:[0,0,1]
	s_delay_alu instid0(VALU_DEP_2)
	v_mov_b32_e32 v69, v75
	scratch_store_b64 off, v[68:69], off offset:112
.LBB95_175:
	s_wait_xcnt 0x0
	s_or_b32 exec_lo, exec_lo, s20
	scratch_load_b64 v[68:69], off, off offset:104
	v_cmp_lt_u32_e64 s1, 13, v0
	s_wait_loadcnt 0x0
	ds_store_b64 v1, v[68:69]
	s_wait_storecnt_dscnt 0x0
	s_barrier_signal -1
	s_barrier_wait -1
	s_wait_xcnt 0x0
	s_and_saveexec_b32 s19, s1
	s_cbranch_execz .LBB95_185
; %bb.176:
	s_and_not1_b32 vcc_lo, exec_lo, s3
	s_cbranch_vccnz .LBB95_178
; %bb.177:
	scratch_load_b64 v[68:69], v59, off
	ds_load_b64 v[70:71], v1
	s_wait_loadcnt_dscnt 0x0
	v_pk_mul_f32 v[72:73], v[70:71], v[68:69] op_sel:[1,1] op_sel_hi:[0,1]
	s_delay_alu instid0(VALU_DEP_1) | instskip(SKIP_1) | instid1(VALU_DEP_2)
	v_pk_fma_f32 v[74:75], v[70:71], v[68:69], v[72:73] op_sel_hi:[1,0,1]
	v_pk_fma_f32 v[68:69], v[70:71], v[68:69], v[72:73] neg_lo:[0,0,1] neg_hi:[0,0,1]
	v_mov_b32_e32 v69, v75
	s_cbranch_execz .LBB95_179
	s_branch .LBB95_180
.LBB95_178:
                                        ; implicit-def: $vgpr68_vgpr69
.LBB95_179:
	ds_load_b64 v[68:69], v1
.LBB95_180:
	s_and_saveexec_b32 s20, s0
	s_cbranch_execz .LBB95_184
; %bb.181:
	v_add_nc_u32_e32 v70, -14, v0
	s_movk_i32 s21, 0x170
	s_mov_b32 s0, 0
.LBB95_182:                             ; =>This Inner Loop Header: Depth=1
	scratch_load_b64 v[72:73], off, s18
	v_dual_mov_b32 v71, s21 :: v_dual_add_nc_u32 v70, -1, v70
	s_add_co_i32 s21, s21, 8
	s_wait_xcnt 0x0
	s_add_co_i32 s18, s18, 8
	ds_load_b64 v[74:75], v71
	v_cmp_eq_u32_e32 vcc_lo, 0, v70
	s_or_b32 s0, vcc_lo, s0
	s_wait_loadcnt_dscnt 0x0
	v_pk_mul_f32 v[76:77], v[74:75], v[72:73] op_sel:[1,1] op_sel_hi:[0,1]
	s_delay_alu instid0(VALU_DEP_1) | instskip(SKIP_1) | instid1(VALU_DEP_2)
	v_pk_fma_f32 v[78:79], v[74:75], v[72:73], v[76:77] op_sel_hi:[1,0,1]
	v_pk_fma_f32 v[72:73], v[74:75], v[72:73], v[76:77] neg_lo:[0,0,1] neg_hi:[0,0,1]
	v_mov_b32_e32 v73, v79
	s_delay_alu instid0(VALU_DEP_1)
	v_pk_add_f32 v[68:69], v[68:69], v[72:73]
	s_and_not1_b32 exec_lo, exec_lo, s0
	s_cbranch_execnz .LBB95_182
; %bb.183:
	s_or_b32 exec_lo, exec_lo, s0
.LBB95_184:
	s_delay_alu instid0(SALU_CYCLE_1) | instskip(SKIP_4) | instid1(VALU_DEP_1)
	s_or_b32 exec_lo, exec_lo, s20
	v_mov_b32_e32 v70, 0
	ds_load_b64 v[70:71], v70 offset:104
	s_wait_dscnt 0x0
	v_pk_mul_f32 v[72:73], v[68:69], v[70:71] op_sel:[1,1] op_sel_hi:[0,1]
	v_pk_fma_f32 v[74:75], v[68:69], v[70:71], v[72:73] op_sel_hi:[1,0,1]
	v_pk_fma_f32 v[68:69], v[68:69], v[70:71], v[72:73] neg_lo:[0,0,1] neg_hi:[0,0,1]
	s_delay_alu instid0(VALU_DEP_2)
	v_mov_b32_e32 v69, v75
	scratch_store_b64 off, v[68:69], off offset:104
.LBB95_185:
	s_wait_xcnt 0x0
	s_or_b32 exec_lo, exec_lo, s19
	scratch_load_b64 v[68:69], off, off offset:96
	v_cmp_lt_u32_e64 s0, 12, v0
	s_wait_loadcnt 0x0
	ds_store_b64 v1, v[68:69]
	s_wait_storecnt_dscnt 0x0
	s_barrier_signal -1
	s_barrier_wait -1
	s_wait_xcnt 0x0
	s_and_saveexec_b32 s18, s0
	s_cbranch_execz .LBB95_195
; %bb.186:
	s_and_not1_b32 vcc_lo, exec_lo, s3
	s_cbranch_vccnz .LBB95_188
; %bb.187:
	scratch_load_b64 v[68:69], v59, off
	ds_load_b64 v[70:71], v1
	s_wait_loadcnt_dscnt 0x0
	v_pk_mul_f32 v[72:73], v[70:71], v[68:69] op_sel:[1,1] op_sel_hi:[0,1]
	s_delay_alu instid0(VALU_DEP_1) | instskip(SKIP_1) | instid1(VALU_DEP_2)
	v_pk_fma_f32 v[74:75], v[70:71], v[68:69], v[72:73] op_sel_hi:[1,0,1]
	v_pk_fma_f32 v[68:69], v[70:71], v[68:69], v[72:73] neg_lo:[0,0,1] neg_hi:[0,0,1]
	v_mov_b32_e32 v69, v75
	s_cbranch_execz .LBB95_189
	s_branch .LBB95_190
.LBB95_188:
                                        ; implicit-def: $vgpr68_vgpr69
.LBB95_189:
	ds_load_b64 v[68:69], v1
.LBB95_190:
	s_and_saveexec_b32 s19, s1
	s_cbranch_execz .LBB95_194
; %bb.191:
	v_add_nc_u32_e32 v70, -13, v0
	s_movk_i32 s20, 0x168
	s_mov_b32 s1, 0
.LBB95_192:                             ; =>This Inner Loop Header: Depth=1
	scratch_load_b64 v[72:73], off, s17
	v_dual_mov_b32 v71, s20 :: v_dual_add_nc_u32 v70, -1, v70
	s_add_co_i32 s20, s20, 8
	s_wait_xcnt 0x0
	s_add_co_i32 s17, s17, 8
	ds_load_b64 v[74:75], v71
	v_cmp_eq_u32_e32 vcc_lo, 0, v70
	s_or_b32 s1, vcc_lo, s1
	s_wait_loadcnt_dscnt 0x0
	v_pk_mul_f32 v[76:77], v[74:75], v[72:73] op_sel:[1,1] op_sel_hi:[0,1]
	s_delay_alu instid0(VALU_DEP_1) | instskip(SKIP_1) | instid1(VALU_DEP_2)
	v_pk_fma_f32 v[78:79], v[74:75], v[72:73], v[76:77] op_sel_hi:[1,0,1]
	v_pk_fma_f32 v[72:73], v[74:75], v[72:73], v[76:77] neg_lo:[0,0,1] neg_hi:[0,0,1]
	v_mov_b32_e32 v73, v79
	s_delay_alu instid0(VALU_DEP_1)
	v_pk_add_f32 v[68:69], v[68:69], v[72:73]
	s_and_not1_b32 exec_lo, exec_lo, s1
	s_cbranch_execnz .LBB95_192
; %bb.193:
	s_or_b32 exec_lo, exec_lo, s1
.LBB95_194:
	s_delay_alu instid0(SALU_CYCLE_1) | instskip(SKIP_4) | instid1(VALU_DEP_1)
	s_or_b32 exec_lo, exec_lo, s19
	v_mov_b32_e32 v70, 0
	ds_load_b64 v[70:71], v70 offset:96
	s_wait_dscnt 0x0
	v_pk_mul_f32 v[72:73], v[68:69], v[70:71] op_sel:[1,1] op_sel_hi:[0,1]
	v_pk_fma_f32 v[74:75], v[68:69], v[70:71], v[72:73] op_sel_hi:[1,0,1]
	v_pk_fma_f32 v[68:69], v[68:69], v[70:71], v[72:73] neg_lo:[0,0,1] neg_hi:[0,0,1]
	s_delay_alu instid0(VALU_DEP_2)
	v_mov_b32_e32 v69, v75
	scratch_store_b64 off, v[68:69], off offset:96
.LBB95_195:
	s_wait_xcnt 0x0
	s_or_b32 exec_lo, exec_lo, s18
	scratch_load_b64 v[68:69], off, off offset:88
	v_cmp_lt_u32_e64 s1, 11, v0
	s_wait_loadcnt 0x0
	ds_store_b64 v1, v[68:69]
	s_wait_storecnt_dscnt 0x0
	s_barrier_signal -1
	s_barrier_wait -1
	s_wait_xcnt 0x0
	s_and_saveexec_b32 s17, s1
	s_cbranch_execz .LBB95_205
; %bb.196:
	s_and_not1_b32 vcc_lo, exec_lo, s3
	s_cbranch_vccnz .LBB95_198
; %bb.197:
	scratch_load_b64 v[68:69], v59, off
	ds_load_b64 v[70:71], v1
	s_wait_loadcnt_dscnt 0x0
	v_pk_mul_f32 v[72:73], v[70:71], v[68:69] op_sel:[1,1] op_sel_hi:[0,1]
	s_delay_alu instid0(VALU_DEP_1) | instskip(SKIP_1) | instid1(VALU_DEP_2)
	v_pk_fma_f32 v[74:75], v[70:71], v[68:69], v[72:73] op_sel_hi:[1,0,1]
	v_pk_fma_f32 v[68:69], v[70:71], v[68:69], v[72:73] neg_lo:[0,0,1] neg_hi:[0,0,1]
	v_mov_b32_e32 v69, v75
	s_cbranch_execz .LBB95_199
	s_branch .LBB95_200
.LBB95_198:
                                        ; implicit-def: $vgpr68_vgpr69
.LBB95_199:
	ds_load_b64 v[68:69], v1
.LBB95_200:
	s_and_saveexec_b32 s18, s0
	s_cbranch_execz .LBB95_204
; %bb.201:
	v_add_nc_u32_e32 v70, -12, v0
	s_movk_i32 s19, 0x160
	s_mov_b32 s0, 0
.LBB95_202:                             ; =>This Inner Loop Header: Depth=1
	scratch_load_b64 v[72:73], off, s16
	v_dual_mov_b32 v71, s19 :: v_dual_add_nc_u32 v70, -1, v70
	s_add_co_i32 s19, s19, 8
	s_wait_xcnt 0x0
	s_add_co_i32 s16, s16, 8
	ds_load_b64 v[74:75], v71
	v_cmp_eq_u32_e32 vcc_lo, 0, v70
	s_or_b32 s0, vcc_lo, s0
	s_wait_loadcnt_dscnt 0x0
	v_pk_mul_f32 v[76:77], v[74:75], v[72:73] op_sel:[1,1] op_sel_hi:[0,1]
	s_delay_alu instid0(VALU_DEP_1) | instskip(SKIP_1) | instid1(VALU_DEP_2)
	v_pk_fma_f32 v[78:79], v[74:75], v[72:73], v[76:77] op_sel_hi:[1,0,1]
	v_pk_fma_f32 v[72:73], v[74:75], v[72:73], v[76:77] neg_lo:[0,0,1] neg_hi:[0,0,1]
	v_mov_b32_e32 v73, v79
	s_delay_alu instid0(VALU_DEP_1)
	v_pk_add_f32 v[68:69], v[68:69], v[72:73]
	s_and_not1_b32 exec_lo, exec_lo, s0
	s_cbranch_execnz .LBB95_202
; %bb.203:
	s_or_b32 exec_lo, exec_lo, s0
.LBB95_204:
	s_delay_alu instid0(SALU_CYCLE_1) | instskip(SKIP_4) | instid1(VALU_DEP_1)
	s_or_b32 exec_lo, exec_lo, s18
	v_mov_b32_e32 v70, 0
	ds_load_b64 v[70:71], v70 offset:88
	s_wait_dscnt 0x0
	v_pk_mul_f32 v[72:73], v[68:69], v[70:71] op_sel:[1,1] op_sel_hi:[0,1]
	v_pk_fma_f32 v[74:75], v[68:69], v[70:71], v[72:73] op_sel_hi:[1,0,1]
	v_pk_fma_f32 v[68:69], v[68:69], v[70:71], v[72:73] neg_lo:[0,0,1] neg_hi:[0,0,1]
	s_delay_alu instid0(VALU_DEP_2)
	v_mov_b32_e32 v69, v75
	scratch_store_b64 off, v[68:69], off offset:88
.LBB95_205:
	s_wait_xcnt 0x0
	s_or_b32 exec_lo, exec_lo, s17
	scratch_load_b64 v[68:69], off, off offset:80
	v_cmp_lt_u32_e64 s0, 10, v0
	s_wait_loadcnt 0x0
	ds_store_b64 v1, v[68:69]
	s_wait_storecnt_dscnt 0x0
	s_barrier_signal -1
	s_barrier_wait -1
	s_wait_xcnt 0x0
	s_and_saveexec_b32 s16, s0
	s_cbranch_execz .LBB95_215
; %bb.206:
	s_and_not1_b32 vcc_lo, exec_lo, s3
	s_cbranch_vccnz .LBB95_208
; %bb.207:
	scratch_load_b64 v[68:69], v59, off
	ds_load_b64 v[70:71], v1
	s_wait_loadcnt_dscnt 0x0
	v_pk_mul_f32 v[72:73], v[70:71], v[68:69] op_sel:[1,1] op_sel_hi:[0,1]
	s_delay_alu instid0(VALU_DEP_1) | instskip(SKIP_1) | instid1(VALU_DEP_2)
	v_pk_fma_f32 v[74:75], v[70:71], v[68:69], v[72:73] op_sel_hi:[1,0,1]
	v_pk_fma_f32 v[68:69], v[70:71], v[68:69], v[72:73] neg_lo:[0,0,1] neg_hi:[0,0,1]
	v_mov_b32_e32 v69, v75
	s_cbranch_execz .LBB95_209
	s_branch .LBB95_210
.LBB95_208:
                                        ; implicit-def: $vgpr68_vgpr69
.LBB95_209:
	ds_load_b64 v[68:69], v1
.LBB95_210:
	s_and_saveexec_b32 s17, s1
	s_cbranch_execz .LBB95_214
; %bb.211:
	v_add_nc_u32_e32 v70, -11, v0
	s_movk_i32 s18, 0x158
	s_mov_b32 s1, 0
.LBB95_212:                             ; =>This Inner Loop Header: Depth=1
	scratch_load_b64 v[72:73], off, s15
	v_dual_mov_b32 v71, s18 :: v_dual_add_nc_u32 v70, -1, v70
	s_add_co_i32 s18, s18, 8
	s_wait_xcnt 0x0
	s_add_co_i32 s15, s15, 8
	ds_load_b64 v[74:75], v71
	v_cmp_eq_u32_e32 vcc_lo, 0, v70
	s_or_b32 s1, vcc_lo, s1
	s_wait_loadcnt_dscnt 0x0
	v_pk_mul_f32 v[76:77], v[74:75], v[72:73] op_sel:[1,1] op_sel_hi:[0,1]
	s_delay_alu instid0(VALU_DEP_1) | instskip(SKIP_1) | instid1(VALU_DEP_2)
	v_pk_fma_f32 v[78:79], v[74:75], v[72:73], v[76:77] op_sel_hi:[1,0,1]
	v_pk_fma_f32 v[72:73], v[74:75], v[72:73], v[76:77] neg_lo:[0,0,1] neg_hi:[0,0,1]
	v_mov_b32_e32 v73, v79
	s_delay_alu instid0(VALU_DEP_1)
	v_pk_add_f32 v[68:69], v[68:69], v[72:73]
	s_and_not1_b32 exec_lo, exec_lo, s1
	s_cbranch_execnz .LBB95_212
; %bb.213:
	s_or_b32 exec_lo, exec_lo, s1
.LBB95_214:
	s_delay_alu instid0(SALU_CYCLE_1) | instskip(SKIP_4) | instid1(VALU_DEP_1)
	s_or_b32 exec_lo, exec_lo, s17
	v_mov_b32_e32 v70, 0
	ds_load_b64 v[70:71], v70 offset:80
	s_wait_dscnt 0x0
	v_pk_mul_f32 v[72:73], v[68:69], v[70:71] op_sel:[1,1] op_sel_hi:[0,1]
	v_pk_fma_f32 v[74:75], v[68:69], v[70:71], v[72:73] op_sel_hi:[1,0,1]
	v_pk_fma_f32 v[68:69], v[68:69], v[70:71], v[72:73] neg_lo:[0,0,1] neg_hi:[0,0,1]
	s_delay_alu instid0(VALU_DEP_2)
	v_mov_b32_e32 v69, v75
	scratch_store_b64 off, v[68:69], off offset:80
.LBB95_215:
	s_wait_xcnt 0x0
	s_or_b32 exec_lo, exec_lo, s16
	scratch_load_b64 v[68:69], off, off offset:72
	v_cmp_lt_u32_e64 s1, 9, v0
	s_wait_loadcnt 0x0
	ds_store_b64 v1, v[68:69]
	s_wait_storecnt_dscnt 0x0
	s_barrier_signal -1
	s_barrier_wait -1
	s_wait_xcnt 0x0
	s_and_saveexec_b32 s15, s1
	s_cbranch_execz .LBB95_225
; %bb.216:
	s_and_not1_b32 vcc_lo, exec_lo, s3
	s_cbranch_vccnz .LBB95_218
; %bb.217:
	scratch_load_b64 v[68:69], v59, off
	ds_load_b64 v[70:71], v1
	s_wait_loadcnt_dscnt 0x0
	v_pk_mul_f32 v[72:73], v[70:71], v[68:69] op_sel:[1,1] op_sel_hi:[0,1]
	s_delay_alu instid0(VALU_DEP_1) | instskip(SKIP_1) | instid1(VALU_DEP_2)
	v_pk_fma_f32 v[74:75], v[70:71], v[68:69], v[72:73] op_sel_hi:[1,0,1]
	v_pk_fma_f32 v[68:69], v[70:71], v[68:69], v[72:73] neg_lo:[0,0,1] neg_hi:[0,0,1]
	v_mov_b32_e32 v69, v75
	s_cbranch_execz .LBB95_219
	s_branch .LBB95_220
.LBB95_218:
                                        ; implicit-def: $vgpr68_vgpr69
.LBB95_219:
	ds_load_b64 v[68:69], v1
.LBB95_220:
	s_and_saveexec_b32 s16, s0
	s_cbranch_execz .LBB95_224
; %bb.221:
	v_add_nc_u32_e32 v70, -10, v0
	s_movk_i32 s17, 0x150
	s_mov_b32 s0, 0
.LBB95_222:                             ; =>This Inner Loop Header: Depth=1
	scratch_load_b64 v[72:73], off, s14
	v_dual_mov_b32 v71, s17 :: v_dual_add_nc_u32 v70, -1, v70
	s_add_co_i32 s17, s17, 8
	s_wait_xcnt 0x0
	s_add_co_i32 s14, s14, 8
	ds_load_b64 v[74:75], v71
	v_cmp_eq_u32_e32 vcc_lo, 0, v70
	s_or_b32 s0, vcc_lo, s0
	s_wait_loadcnt_dscnt 0x0
	v_pk_mul_f32 v[76:77], v[74:75], v[72:73] op_sel:[1,1] op_sel_hi:[0,1]
	s_delay_alu instid0(VALU_DEP_1) | instskip(SKIP_1) | instid1(VALU_DEP_2)
	v_pk_fma_f32 v[78:79], v[74:75], v[72:73], v[76:77] op_sel_hi:[1,0,1]
	v_pk_fma_f32 v[72:73], v[74:75], v[72:73], v[76:77] neg_lo:[0,0,1] neg_hi:[0,0,1]
	v_mov_b32_e32 v73, v79
	s_delay_alu instid0(VALU_DEP_1)
	v_pk_add_f32 v[68:69], v[68:69], v[72:73]
	s_and_not1_b32 exec_lo, exec_lo, s0
	s_cbranch_execnz .LBB95_222
; %bb.223:
	s_or_b32 exec_lo, exec_lo, s0
.LBB95_224:
	s_delay_alu instid0(SALU_CYCLE_1) | instskip(SKIP_4) | instid1(VALU_DEP_1)
	s_or_b32 exec_lo, exec_lo, s16
	v_mov_b32_e32 v70, 0
	ds_load_b64 v[70:71], v70 offset:72
	s_wait_dscnt 0x0
	v_pk_mul_f32 v[72:73], v[68:69], v[70:71] op_sel:[1,1] op_sel_hi:[0,1]
	v_pk_fma_f32 v[74:75], v[68:69], v[70:71], v[72:73] op_sel_hi:[1,0,1]
	v_pk_fma_f32 v[68:69], v[68:69], v[70:71], v[72:73] neg_lo:[0,0,1] neg_hi:[0,0,1]
	s_delay_alu instid0(VALU_DEP_2)
	v_mov_b32_e32 v69, v75
	scratch_store_b64 off, v[68:69], off offset:72
.LBB95_225:
	s_wait_xcnt 0x0
	s_or_b32 exec_lo, exec_lo, s15
	scratch_load_b64 v[68:69], off, off offset:64
	v_cmp_lt_u32_e64 s0, 8, v0
	s_wait_loadcnt 0x0
	ds_store_b64 v1, v[68:69]
	s_wait_storecnt_dscnt 0x0
	s_barrier_signal -1
	s_barrier_wait -1
	s_wait_xcnt 0x0
	s_and_saveexec_b32 s14, s0
	s_cbranch_execz .LBB95_235
; %bb.226:
	s_and_not1_b32 vcc_lo, exec_lo, s3
	s_cbranch_vccnz .LBB95_228
; %bb.227:
	scratch_load_b64 v[68:69], v59, off
	ds_load_b64 v[70:71], v1
	s_wait_loadcnt_dscnt 0x0
	v_pk_mul_f32 v[72:73], v[70:71], v[68:69] op_sel:[1,1] op_sel_hi:[0,1]
	s_delay_alu instid0(VALU_DEP_1) | instskip(SKIP_1) | instid1(VALU_DEP_2)
	v_pk_fma_f32 v[74:75], v[70:71], v[68:69], v[72:73] op_sel_hi:[1,0,1]
	v_pk_fma_f32 v[68:69], v[70:71], v[68:69], v[72:73] neg_lo:[0,0,1] neg_hi:[0,0,1]
	v_mov_b32_e32 v69, v75
	s_cbranch_execz .LBB95_229
	s_branch .LBB95_230
.LBB95_228:
                                        ; implicit-def: $vgpr68_vgpr69
.LBB95_229:
	ds_load_b64 v[68:69], v1
.LBB95_230:
	s_and_saveexec_b32 s15, s1
	s_cbranch_execz .LBB95_234
; %bb.231:
	v_add_nc_u32_e32 v70, -9, v0
	s_movk_i32 s16, 0x148
	s_mov_b32 s1, 0
.LBB95_232:                             ; =>This Inner Loop Header: Depth=1
	scratch_load_b64 v[72:73], off, s13
	v_dual_mov_b32 v71, s16 :: v_dual_add_nc_u32 v70, -1, v70
	s_add_co_i32 s16, s16, 8
	s_wait_xcnt 0x0
	s_add_co_i32 s13, s13, 8
	ds_load_b64 v[74:75], v71
	v_cmp_eq_u32_e32 vcc_lo, 0, v70
	s_or_b32 s1, vcc_lo, s1
	s_wait_loadcnt_dscnt 0x0
	v_pk_mul_f32 v[76:77], v[74:75], v[72:73] op_sel:[1,1] op_sel_hi:[0,1]
	s_delay_alu instid0(VALU_DEP_1) | instskip(SKIP_1) | instid1(VALU_DEP_2)
	v_pk_fma_f32 v[78:79], v[74:75], v[72:73], v[76:77] op_sel_hi:[1,0,1]
	v_pk_fma_f32 v[72:73], v[74:75], v[72:73], v[76:77] neg_lo:[0,0,1] neg_hi:[0,0,1]
	v_mov_b32_e32 v73, v79
	s_delay_alu instid0(VALU_DEP_1)
	v_pk_add_f32 v[68:69], v[68:69], v[72:73]
	s_and_not1_b32 exec_lo, exec_lo, s1
	s_cbranch_execnz .LBB95_232
; %bb.233:
	s_or_b32 exec_lo, exec_lo, s1
.LBB95_234:
	s_delay_alu instid0(SALU_CYCLE_1) | instskip(SKIP_4) | instid1(VALU_DEP_1)
	s_or_b32 exec_lo, exec_lo, s15
	v_mov_b32_e32 v70, 0
	ds_load_b64 v[70:71], v70 offset:64
	s_wait_dscnt 0x0
	v_pk_mul_f32 v[72:73], v[68:69], v[70:71] op_sel:[1,1] op_sel_hi:[0,1]
	v_pk_fma_f32 v[74:75], v[68:69], v[70:71], v[72:73] op_sel_hi:[1,0,1]
	v_pk_fma_f32 v[68:69], v[68:69], v[70:71], v[72:73] neg_lo:[0,0,1] neg_hi:[0,0,1]
	s_delay_alu instid0(VALU_DEP_2)
	v_mov_b32_e32 v69, v75
	scratch_store_b64 off, v[68:69], off offset:64
.LBB95_235:
	s_wait_xcnt 0x0
	s_or_b32 exec_lo, exec_lo, s14
	scratch_load_b64 v[68:69], off, off offset:56
	v_cmp_lt_u32_e64 s1, 7, v0
	s_wait_loadcnt 0x0
	ds_store_b64 v1, v[68:69]
	s_wait_storecnt_dscnt 0x0
	s_barrier_signal -1
	s_barrier_wait -1
	s_wait_xcnt 0x0
	s_and_saveexec_b32 s13, s1
	s_cbranch_execz .LBB95_245
; %bb.236:
	s_and_not1_b32 vcc_lo, exec_lo, s3
	s_cbranch_vccnz .LBB95_238
; %bb.237:
	scratch_load_b64 v[68:69], v59, off
	ds_load_b64 v[70:71], v1
	s_wait_loadcnt_dscnt 0x0
	v_pk_mul_f32 v[72:73], v[70:71], v[68:69] op_sel:[1,1] op_sel_hi:[0,1]
	s_delay_alu instid0(VALU_DEP_1) | instskip(SKIP_1) | instid1(VALU_DEP_2)
	v_pk_fma_f32 v[74:75], v[70:71], v[68:69], v[72:73] op_sel_hi:[1,0,1]
	v_pk_fma_f32 v[68:69], v[70:71], v[68:69], v[72:73] neg_lo:[0,0,1] neg_hi:[0,0,1]
	v_mov_b32_e32 v69, v75
	s_cbranch_execz .LBB95_239
	s_branch .LBB95_240
.LBB95_238:
                                        ; implicit-def: $vgpr68_vgpr69
.LBB95_239:
	ds_load_b64 v[68:69], v1
.LBB95_240:
	s_and_saveexec_b32 s14, s0
	s_cbranch_execz .LBB95_244
; %bb.241:
	v_add_nc_u32_e32 v70, -8, v0
	s_movk_i32 s15, 0x140
	s_mov_b32 s0, 0
.LBB95_242:                             ; =>This Inner Loop Header: Depth=1
	scratch_load_b64 v[72:73], off, s12
	v_dual_mov_b32 v71, s15 :: v_dual_add_nc_u32 v70, -1, v70
	s_add_co_i32 s15, s15, 8
	s_wait_xcnt 0x0
	s_add_co_i32 s12, s12, 8
	ds_load_b64 v[74:75], v71
	v_cmp_eq_u32_e32 vcc_lo, 0, v70
	s_or_b32 s0, vcc_lo, s0
	s_wait_loadcnt_dscnt 0x0
	v_pk_mul_f32 v[76:77], v[74:75], v[72:73] op_sel:[1,1] op_sel_hi:[0,1]
	s_delay_alu instid0(VALU_DEP_1) | instskip(SKIP_1) | instid1(VALU_DEP_2)
	v_pk_fma_f32 v[78:79], v[74:75], v[72:73], v[76:77] op_sel_hi:[1,0,1]
	v_pk_fma_f32 v[72:73], v[74:75], v[72:73], v[76:77] neg_lo:[0,0,1] neg_hi:[0,0,1]
	v_mov_b32_e32 v73, v79
	s_delay_alu instid0(VALU_DEP_1)
	v_pk_add_f32 v[68:69], v[68:69], v[72:73]
	s_and_not1_b32 exec_lo, exec_lo, s0
	s_cbranch_execnz .LBB95_242
; %bb.243:
	s_or_b32 exec_lo, exec_lo, s0
.LBB95_244:
	s_delay_alu instid0(SALU_CYCLE_1) | instskip(SKIP_4) | instid1(VALU_DEP_1)
	s_or_b32 exec_lo, exec_lo, s14
	v_mov_b32_e32 v70, 0
	ds_load_b64 v[70:71], v70 offset:56
	s_wait_dscnt 0x0
	v_pk_mul_f32 v[72:73], v[68:69], v[70:71] op_sel:[1,1] op_sel_hi:[0,1]
	v_pk_fma_f32 v[74:75], v[68:69], v[70:71], v[72:73] op_sel_hi:[1,0,1]
	v_pk_fma_f32 v[68:69], v[68:69], v[70:71], v[72:73] neg_lo:[0,0,1] neg_hi:[0,0,1]
	s_delay_alu instid0(VALU_DEP_2)
	v_mov_b32_e32 v69, v75
	scratch_store_b64 off, v[68:69], off offset:56
.LBB95_245:
	s_wait_xcnt 0x0
	s_or_b32 exec_lo, exec_lo, s13
	scratch_load_b64 v[68:69], off, off offset:48
	v_cmp_lt_u32_e64 s0, 6, v0
	s_wait_loadcnt 0x0
	ds_store_b64 v1, v[68:69]
	s_wait_storecnt_dscnt 0x0
	s_barrier_signal -1
	s_barrier_wait -1
	s_wait_xcnt 0x0
	s_and_saveexec_b32 s12, s0
	s_cbranch_execz .LBB95_255
; %bb.246:
	s_and_not1_b32 vcc_lo, exec_lo, s3
	s_cbranch_vccnz .LBB95_248
; %bb.247:
	scratch_load_b64 v[68:69], v59, off
	ds_load_b64 v[70:71], v1
	s_wait_loadcnt_dscnt 0x0
	v_pk_mul_f32 v[72:73], v[70:71], v[68:69] op_sel:[1,1] op_sel_hi:[0,1]
	s_delay_alu instid0(VALU_DEP_1) | instskip(SKIP_1) | instid1(VALU_DEP_2)
	v_pk_fma_f32 v[74:75], v[70:71], v[68:69], v[72:73] op_sel_hi:[1,0,1]
	v_pk_fma_f32 v[68:69], v[70:71], v[68:69], v[72:73] neg_lo:[0,0,1] neg_hi:[0,0,1]
	v_mov_b32_e32 v69, v75
	s_cbranch_execz .LBB95_249
	s_branch .LBB95_250
.LBB95_248:
                                        ; implicit-def: $vgpr68_vgpr69
.LBB95_249:
	ds_load_b64 v[68:69], v1
.LBB95_250:
	s_and_saveexec_b32 s13, s1
	s_cbranch_execz .LBB95_254
; %bb.251:
	v_add_nc_u32_e32 v70, -7, v0
	s_movk_i32 s14, 0x138
	s_mov_b32 s1, 0
.LBB95_252:                             ; =>This Inner Loop Header: Depth=1
	scratch_load_b64 v[72:73], off, s11
	v_dual_mov_b32 v71, s14 :: v_dual_add_nc_u32 v70, -1, v70
	s_add_co_i32 s14, s14, 8
	s_wait_xcnt 0x0
	s_add_co_i32 s11, s11, 8
	ds_load_b64 v[74:75], v71
	v_cmp_eq_u32_e32 vcc_lo, 0, v70
	s_or_b32 s1, vcc_lo, s1
	s_wait_loadcnt_dscnt 0x0
	v_pk_mul_f32 v[76:77], v[74:75], v[72:73] op_sel:[1,1] op_sel_hi:[0,1]
	s_delay_alu instid0(VALU_DEP_1) | instskip(SKIP_1) | instid1(VALU_DEP_2)
	v_pk_fma_f32 v[78:79], v[74:75], v[72:73], v[76:77] op_sel_hi:[1,0,1]
	v_pk_fma_f32 v[72:73], v[74:75], v[72:73], v[76:77] neg_lo:[0,0,1] neg_hi:[0,0,1]
	v_mov_b32_e32 v73, v79
	s_delay_alu instid0(VALU_DEP_1)
	v_pk_add_f32 v[68:69], v[68:69], v[72:73]
	s_and_not1_b32 exec_lo, exec_lo, s1
	s_cbranch_execnz .LBB95_252
; %bb.253:
	s_or_b32 exec_lo, exec_lo, s1
.LBB95_254:
	s_delay_alu instid0(SALU_CYCLE_1) | instskip(SKIP_4) | instid1(VALU_DEP_1)
	s_or_b32 exec_lo, exec_lo, s13
	v_mov_b32_e32 v70, 0
	ds_load_b64 v[70:71], v70 offset:48
	s_wait_dscnt 0x0
	v_pk_mul_f32 v[72:73], v[68:69], v[70:71] op_sel:[1,1] op_sel_hi:[0,1]
	v_pk_fma_f32 v[74:75], v[68:69], v[70:71], v[72:73] op_sel_hi:[1,0,1]
	v_pk_fma_f32 v[68:69], v[68:69], v[70:71], v[72:73] neg_lo:[0,0,1] neg_hi:[0,0,1]
	s_delay_alu instid0(VALU_DEP_2)
	v_mov_b32_e32 v69, v75
	scratch_store_b64 off, v[68:69], off offset:48
.LBB95_255:
	s_wait_xcnt 0x0
	s_or_b32 exec_lo, exec_lo, s12
	scratch_load_b64 v[68:69], off, off offset:40
	v_cmp_lt_u32_e64 s1, 5, v0
	s_wait_loadcnt 0x0
	ds_store_b64 v1, v[68:69]
	s_wait_storecnt_dscnt 0x0
	s_barrier_signal -1
	s_barrier_wait -1
	s_wait_xcnt 0x0
	s_and_saveexec_b32 s11, s1
	s_cbranch_execz .LBB95_265
; %bb.256:
	s_and_not1_b32 vcc_lo, exec_lo, s3
	s_cbranch_vccnz .LBB95_258
; %bb.257:
	scratch_load_b64 v[68:69], v59, off
	ds_load_b64 v[70:71], v1
	s_wait_loadcnt_dscnt 0x0
	v_pk_mul_f32 v[72:73], v[70:71], v[68:69] op_sel:[1,1] op_sel_hi:[0,1]
	s_delay_alu instid0(VALU_DEP_1) | instskip(SKIP_1) | instid1(VALU_DEP_2)
	v_pk_fma_f32 v[74:75], v[70:71], v[68:69], v[72:73] op_sel_hi:[1,0,1]
	v_pk_fma_f32 v[68:69], v[70:71], v[68:69], v[72:73] neg_lo:[0,0,1] neg_hi:[0,0,1]
	v_mov_b32_e32 v69, v75
	s_cbranch_execz .LBB95_259
	s_branch .LBB95_260
.LBB95_258:
                                        ; implicit-def: $vgpr68_vgpr69
.LBB95_259:
	ds_load_b64 v[68:69], v1
.LBB95_260:
	s_and_saveexec_b32 s12, s0
	s_cbranch_execz .LBB95_264
; %bb.261:
	v_add_nc_u32_e32 v70, -6, v0
	s_movk_i32 s13, 0x130
	s_mov_b32 s0, 0
.LBB95_262:                             ; =>This Inner Loop Header: Depth=1
	scratch_load_b64 v[72:73], off, s10
	v_dual_mov_b32 v71, s13 :: v_dual_add_nc_u32 v70, -1, v70
	s_add_co_i32 s13, s13, 8
	s_wait_xcnt 0x0
	s_add_co_i32 s10, s10, 8
	ds_load_b64 v[74:75], v71
	v_cmp_eq_u32_e32 vcc_lo, 0, v70
	s_or_b32 s0, vcc_lo, s0
	s_wait_loadcnt_dscnt 0x0
	v_pk_mul_f32 v[76:77], v[74:75], v[72:73] op_sel:[1,1] op_sel_hi:[0,1]
	s_delay_alu instid0(VALU_DEP_1) | instskip(SKIP_1) | instid1(VALU_DEP_2)
	v_pk_fma_f32 v[78:79], v[74:75], v[72:73], v[76:77] op_sel_hi:[1,0,1]
	v_pk_fma_f32 v[72:73], v[74:75], v[72:73], v[76:77] neg_lo:[0,0,1] neg_hi:[0,0,1]
	v_mov_b32_e32 v73, v79
	s_delay_alu instid0(VALU_DEP_1)
	v_pk_add_f32 v[68:69], v[68:69], v[72:73]
	s_and_not1_b32 exec_lo, exec_lo, s0
	s_cbranch_execnz .LBB95_262
; %bb.263:
	s_or_b32 exec_lo, exec_lo, s0
.LBB95_264:
	s_delay_alu instid0(SALU_CYCLE_1) | instskip(SKIP_4) | instid1(VALU_DEP_1)
	s_or_b32 exec_lo, exec_lo, s12
	v_mov_b32_e32 v70, 0
	ds_load_b64 v[70:71], v70 offset:40
	s_wait_dscnt 0x0
	v_pk_mul_f32 v[72:73], v[68:69], v[70:71] op_sel:[1,1] op_sel_hi:[0,1]
	v_pk_fma_f32 v[74:75], v[68:69], v[70:71], v[72:73] op_sel_hi:[1,0,1]
	v_pk_fma_f32 v[68:69], v[68:69], v[70:71], v[72:73] neg_lo:[0,0,1] neg_hi:[0,0,1]
	s_delay_alu instid0(VALU_DEP_2)
	v_mov_b32_e32 v69, v75
	scratch_store_b64 off, v[68:69], off offset:40
.LBB95_265:
	s_wait_xcnt 0x0
	s_or_b32 exec_lo, exec_lo, s11
	scratch_load_b64 v[68:69], off, off offset:32
	v_cmp_lt_u32_e64 s0, 4, v0
	s_wait_loadcnt 0x0
	ds_store_b64 v1, v[68:69]
	s_wait_storecnt_dscnt 0x0
	s_barrier_signal -1
	s_barrier_wait -1
	s_wait_xcnt 0x0
	s_and_saveexec_b32 s10, s0
	s_cbranch_execz .LBB95_275
; %bb.266:
	s_and_not1_b32 vcc_lo, exec_lo, s3
	s_cbranch_vccnz .LBB95_268
; %bb.267:
	scratch_load_b64 v[68:69], v59, off
	ds_load_b64 v[70:71], v1
	s_wait_loadcnt_dscnt 0x0
	v_pk_mul_f32 v[72:73], v[70:71], v[68:69] op_sel:[1,1] op_sel_hi:[0,1]
	s_delay_alu instid0(VALU_DEP_1) | instskip(SKIP_1) | instid1(VALU_DEP_2)
	v_pk_fma_f32 v[74:75], v[70:71], v[68:69], v[72:73] op_sel_hi:[1,0,1]
	v_pk_fma_f32 v[68:69], v[70:71], v[68:69], v[72:73] neg_lo:[0,0,1] neg_hi:[0,0,1]
	v_mov_b32_e32 v69, v75
	s_cbranch_execz .LBB95_269
	s_branch .LBB95_270
.LBB95_268:
                                        ; implicit-def: $vgpr68_vgpr69
.LBB95_269:
	ds_load_b64 v[68:69], v1
.LBB95_270:
	s_and_saveexec_b32 s11, s1
	s_cbranch_execz .LBB95_274
; %bb.271:
	v_add_nc_u32_e32 v70, -5, v0
	s_movk_i32 s12, 0x128
	s_mov_b32 s1, 0
.LBB95_272:                             ; =>This Inner Loop Header: Depth=1
	scratch_load_b64 v[72:73], off, s9
	v_dual_mov_b32 v71, s12 :: v_dual_add_nc_u32 v70, -1, v70
	s_add_co_i32 s12, s12, 8
	s_wait_xcnt 0x0
	s_add_co_i32 s9, s9, 8
	ds_load_b64 v[74:75], v71
	v_cmp_eq_u32_e32 vcc_lo, 0, v70
	s_or_b32 s1, vcc_lo, s1
	s_wait_loadcnt_dscnt 0x0
	v_pk_mul_f32 v[76:77], v[74:75], v[72:73] op_sel:[1,1] op_sel_hi:[0,1]
	s_delay_alu instid0(VALU_DEP_1) | instskip(SKIP_1) | instid1(VALU_DEP_2)
	v_pk_fma_f32 v[78:79], v[74:75], v[72:73], v[76:77] op_sel_hi:[1,0,1]
	v_pk_fma_f32 v[72:73], v[74:75], v[72:73], v[76:77] neg_lo:[0,0,1] neg_hi:[0,0,1]
	v_mov_b32_e32 v73, v79
	s_delay_alu instid0(VALU_DEP_1)
	v_pk_add_f32 v[68:69], v[68:69], v[72:73]
	s_and_not1_b32 exec_lo, exec_lo, s1
	s_cbranch_execnz .LBB95_272
; %bb.273:
	s_or_b32 exec_lo, exec_lo, s1
.LBB95_274:
	s_delay_alu instid0(SALU_CYCLE_1) | instskip(SKIP_4) | instid1(VALU_DEP_1)
	s_or_b32 exec_lo, exec_lo, s11
	v_mov_b32_e32 v70, 0
	ds_load_b64 v[70:71], v70 offset:32
	s_wait_dscnt 0x0
	v_pk_mul_f32 v[72:73], v[68:69], v[70:71] op_sel:[1,1] op_sel_hi:[0,1]
	v_pk_fma_f32 v[74:75], v[68:69], v[70:71], v[72:73] op_sel_hi:[1,0,1]
	v_pk_fma_f32 v[68:69], v[68:69], v[70:71], v[72:73] neg_lo:[0,0,1] neg_hi:[0,0,1]
	s_delay_alu instid0(VALU_DEP_2)
	v_mov_b32_e32 v69, v75
	scratch_store_b64 off, v[68:69], off offset:32
.LBB95_275:
	s_wait_xcnt 0x0
	s_or_b32 exec_lo, exec_lo, s10
	scratch_load_b64 v[68:69], off, off offset:24
	v_cmp_lt_u32_e64 s1, 3, v0
	s_wait_loadcnt 0x0
	ds_store_b64 v1, v[68:69]
	s_wait_storecnt_dscnt 0x0
	s_barrier_signal -1
	s_barrier_wait -1
	s_wait_xcnt 0x0
	s_and_saveexec_b32 s9, s1
	s_cbranch_execz .LBB95_285
; %bb.276:
	s_and_not1_b32 vcc_lo, exec_lo, s3
	s_cbranch_vccnz .LBB95_278
; %bb.277:
	scratch_load_b64 v[68:69], v59, off
	ds_load_b64 v[70:71], v1
	s_wait_loadcnt_dscnt 0x0
	v_pk_mul_f32 v[72:73], v[70:71], v[68:69] op_sel:[1,1] op_sel_hi:[0,1]
	s_delay_alu instid0(VALU_DEP_1) | instskip(SKIP_1) | instid1(VALU_DEP_2)
	v_pk_fma_f32 v[74:75], v[70:71], v[68:69], v[72:73] op_sel_hi:[1,0,1]
	v_pk_fma_f32 v[68:69], v[70:71], v[68:69], v[72:73] neg_lo:[0,0,1] neg_hi:[0,0,1]
	v_mov_b32_e32 v69, v75
	s_cbranch_execz .LBB95_279
	s_branch .LBB95_280
.LBB95_278:
                                        ; implicit-def: $vgpr68_vgpr69
.LBB95_279:
	ds_load_b64 v[68:69], v1
.LBB95_280:
	s_and_saveexec_b32 s10, s0
	s_cbranch_execz .LBB95_284
; %bb.281:
	v_add_nc_u32_e32 v70, -4, v0
	s_movk_i32 s11, 0x120
	s_mov_b32 s0, 0
.LBB95_282:                             ; =>This Inner Loop Header: Depth=1
	scratch_load_b64 v[72:73], off, s2
	v_dual_mov_b32 v71, s11 :: v_dual_add_nc_u32 v70, -1, v70
	s_add_co_i32 s11, s11, 8
	s_wait_xcnt 0x0
	s_add_co_i32 s2, s2, 8
	ds_load_b64 v[74:75], v71
	v_cmp_eq_u32_e32 vcc_lo, 0, v70
	s_or_b32 s0, vcc_lo, s0
	s_wait_loadcnt_dscnt 0x0
	v_pk_mul_f32 v[76:77], v[74:75], v[72:73] op_sel:[1,1] op_sel_hi:[0,1]
	s_delay_alu instid0(VALU_DEP_1) | instskip(SKIP_1) | instid1(VALU_DEP_2)
	v_pk_fma_f32 v[78:79], v[74:75], v[72:73], v[76:77] op_sel_hi:[1,0,1]
	v_pk_fma_f32 v[72:73], v[74:75], v[72:73], v[76:77] neg_lo:[0,0,1] neg_hi:[0,0,1]
	v_mov_b32_e32 v73, v79
	s_delay_alu instid0(VALU_DEP_1)
	v_pk_add_f32 v[68:69], v[68:69], v[72:73]
	s_and_not1_b32 exec_lo, exec_lo, s0
	s_cbranch_execnz .LBB95_282
; %bb.283:
	s_or_b32 exec_lo, exec_lo, s0
.LBB95_284:
	s_delay_alu instid0(SALU_CYCLE_1) | instskip(SKIP_4) | instid1(VALU_DEP_1)
	s_or_b32 exec_lo, exec_lo, s10
	v_mov_b32_e32 v70, 0
	ds_load_b64 v[70:71], v70 offset:24
	s_wait_dscnt 0x0
	v_pk_mul_f32 v[72:73], v[68:69], v[70:71] op_sel:[1,1] op_sel_hi:[0,1]
	v_pk_fma_f32 v[74:75], v[68:69], v[70:71], v[72:73] op_sel_hi:[1,0,1]
	v_pk_fma_f32 v[68:69], v[68:69], v[70:71], v[72:73] neg_lo:[0,0,1] neg_hi:[0,0,1]
	s_delay_alu instid0(VALU_DEP_2)
	v_mov_b32_e32 v69, v75
	scratch_store_b64 off, v[68:69], off offset:24
.LBB95_285:
	s_wait_xcnt 0x0
	s_or_b32 exec_lo, exec_lo, s9
	scratch_load_b64 v[68:69], off, off offset:16
	v_cmp_lt_u32_e64 s2, 2, v0
	s_wait_loadcnt 0x0
	ds_store_b64 v1, v[68:69]
	s_wait_storecnt_dscnt 0x0
	s_barrier_signal -1
	s_barrier_wait -1
	s_wait_xcnt 0x0
	s_and_saveexec_b32 s0, s2
	s_cbranch_execz .LBB95_295
; %bb.286:
	s_and_not1_b32 vcc_lo, exec_lo, s3
	s_cbranch_vccnz .LBB95_288
; %bb.287:
	scratch_load_b64 v[68:69], v59, off
	ds_load_b64 v[70:71], v1
	s_wait_loadcnt_dscnt 0x0
	v_pk_mul_f32 v[72:73], v[70:71], v[68:69] op_sel:[1,1] op_sel_hi:[0,1]
	s_delay_alu instid0(VALU_DEP_1) | instskip(SKIP_1) | instid1(VALU_DEP_2)
	v_pk_fma_f32 v[74:75], v[70:71], v[68:69], v[72:73] op_sel_hi:[1,0,1]
	v_pk_fma_f32 v[68:69], v[70:71], v[68:69], v[72:73] neg_lo:[0,0,1] neg_hi:[0,0,1]
	v_mov_b32_e32 v69, v75
	s_cbranch_execz .LBB95_289
	s_branch .LBB95_290
.LBB95_288:
                                        ; implicit-def: $vgpr68_vgpr69
.LBB95_289:
	ds_load_b64 v[68:69], v1
.LBB95_290:
	s_and_saveexec_b32 s9, s1
	s_cbranch_execz .LBB95_294
; %bb.291:
	v_add_nc_u32_e32 v70, -3, v0
	s_movk_i32 s10, 0x118
	s_mov_b32 s1, 0
.LBB95_292:                             ; =>This Inner Loop Header: Depth=1
	scratch_load_b64 v[72:73], off, s8
	v_dual_mov_b32 v71, s10 :: v_dual_add_nc_u32 v70, -1, v70
	s_add_co_i32 s10, s10, 8
	s_wait_xcnt 0x0
	s_add_co_i32 s8, s8, 8
	ds_load_b64 v[74:75], v71
	v_cmp_eq_u32_e32 vcc_lo, 0, v70
	s_or_b32 s1, vcc_lo, s1
	s_wait_loadcnt_dscnt 0x0
	v_pk_mul_f32 v[76:77], v[74:75], v[72:73] op_sel:[1,1] op_sel_hi:[0,1]
	s_delay_alu instid0(VALU_DEP_1) | instskip(SKIP_1) | instid1(VALU_DEP_2)
	v_pk_fma_f32 v[78:79], v[74:75], v[72:73], v[76:77] op_sel_hi:[1,0,1]
	v_pk_fma_f32 v[72:73], v[74:75], v[72:73], v[76:77] neg_lo:[0,0,1] neg_hi:[0,0,1]
	v_mov_b32_e32 v73, v79
	s_delay_alu instid0(VALU_DEP_1)
	v_pk_add_f32 v[68:69], v[68:69], v[72:73]
	s_and_not1_b32 exec_lo, exec_lo, s1
	s_cbranch_execnz .LBB95_292
; %bb.293:
	s_or_b32 exec_lo, exec_lo, s1
.LBB95_294:
	s_delay_alu instid0(SALU_CYCLE_1) | instskip(SKIP_4) | instid1(VALU_DEP_1)
	s_or_b32 exec_lo, exec_lo, s9
	v_mov_b32_e32 v70, 0
	ds_load_b64 v[70:71], v70 offset:16
	s_wait_dscnt 0x0
	v_pk_mul_f32 v[72:73], v[68:69], v[70:71] op_sel:[1,1] op_sel_hi:[0,1]
	v_pk_fma_f32 v[74:75], v[68:69], v[70:71], v[72:73] op_sel_hi:[1,0,1]
	v_pk_fma_f32 v[68:69], v[68:69], v[70:71], v[72:73] neg_lo:[0,0,1] neg_hi:[0,0,1]
	s_delay_alu instid0(VALU_DEP_2)
	v_mov_b32_e32 v69, v75
	scratch_store_b64 off, v[68:69], off offset:16
.LBB95_295:
	s_wait_xcnt 0x0
	s_or_b32 exec_lo, exec_lo, s0
	scratch_load_b64 v[68:69], off, off offset:8
	v_cmp_lt_u32_e64 s0, 1, v0
	s_wait_loadcnt 0x0
	ds_store_b64 v1, v[68:69]
	s_wait_storecnt_dscnt 0x0
	s_barrier_signal -1
	s_barrier_wait -1
	s_wait_xcnt 0x0
	s_and_saveexec_b32 s1, s0
	s_cbranch_execz .LBB95_305
; %bb.296:
	s_and_not1_b32 vcc_lo, exec_lo, s3
	s_cbranch_vccnz .LBB95_298
; %bb.297:
	scratch_load_b64 v[68:69], v59, off
	ds_load_b64 v[70:71], v1
	s_wait_loadcnt_dscnt 0x0
	v_pk_mul_f32 v[72:73], v[70:71], v[68:69] op_sel:[1,1] op_sel_hi:[0,1]
	s_delay_alu instid0(VALU_DEP_1) | instskip(SKIP_1) | instid1(VALU_DEP_2)
	v_pk_fma_f32 v[74:75], v[70:71], v[68:69], v[72:73] op_sel_hi:[1,0,1]
	v_pk_fma_f32 v[68:69], v[70:71], v[68:69], v[72:73] neg_lo:[0,0,1] neg_hi:[0,0,1]
	v_mov_b32_e32 v69, v75
	s_cbranch_execz .LBB95_299
	s_branch .LBB95_300
.LBB95_298:
                                        ; implicit-def: $vgpr68_vgpr69
.LBB95_299:
	ds_load_b64 v[68:69], v1
.LBB95_300:
	s_and_saveexec_b32 s8, s2
	s_cbranch_execz .LBB95_304
; %bb.301:
	v_add_nc_u32_e32 v70, -2, v0
	s_movk_i32 s9, 0x110
	s_mov_b32 s2, 0
.LBB95_302:                             ; =>This Inner Loop Header: Depth=1
	scratch_load_b64 v[72:73], off, s5
	v_dual_mov_b32 v71, s9 :: v_dual_add_nc_u32 v70, -1, v70
	s_add_co_i32 s9, s9, 8
	s_wait_xcnt 0x0
	s_add_co_i32 s5, s5, 8
	ds_load_b64 v[74:75], v71
	v_cmp_eq_u32_e32 vcc_lo, 0, v70
	s_or_b32 s2, vcc_lo, s2
	s_wait_loadcnt_dscnt 0x0
	v_pk_mul_f32 v[76:77], v[74:75], v[72:73] op_sel:[1,1] op_sel_hi:[0,1]
	s_delay_alu instid0(VALU_DEP_1) | instskip(SKIP_1) | instid1(VALU_DEP_2)
	v_pk_fma_f32 v[78:79], v[74:75], v[72:73], v[76:77] op_sel_hi:[1,0,1]
	v_pk_fma_f32 v[72:73], v[74:75], v[72:73], v[76:77] neg_lo:[0,0,1] neg_hi:[0,0,1]
	v_mov_b32_e32 v73, v79
	s_delay_alu instid0(VALU_DEP_1)
	v_pk_add_f32 v[68:69], v[68:69], v[72:73]
	s_and_not1_b32 exec_lo, exec_lo, s2
	s_cbranch_execnz .LBB95_302
; %bb.303:
	s_or_b32 exec_lo, exec_lo, s2
.LBB95_304:
	s_delay_alu instid0(SALU_CYCLE_1) | instskip(SKIP_4) | instid1(VALU_DEP_1)
	s_or_b32 exec_lo, exec_lo, s8
	v_mov_b32_e32 v70, 0
	ds_load_b64 v[70:71], v70 offset:8
	s_wait_dscnt 0x0
	v_pk_mul_f32 v[72:73], v[68:69], v[70:71] op_sel:[1,1] op_sel_hi:[0,1]
	v_pk_fma_f32 v[74:75], v[68:69], v[70:71], v[72:73] op_sel_hi:[1,0,1]
	v_pk_fma_f32 v[68:69], v[68:69], v[70:71], v[72:73] neg_lo:[0,0,1] neg_hi:[0,0,1]
	s_delay_alu instid0(VALU_DEP_2)
	v_mov_b32_e32 v69, v75
	scratch_store_b64 off, v[68:69], off offset:8
.LBB95_305:
	s_wait_xcnt 0x0
	s_or_b32 exec_lo, exec_lo, s1
	scratch_load_b64 v[68:69], off, off
	s_mov_b32 s2, 0
	s_mov_b32 s1, 0
	s_mov_b32 s8, exec_lo
                                        ; implicit-def: $vgpr94
                                        ; implicit-def: $sgpr5
	s_wait_loadcnt 0x0
	ds_store_b64 v1, v[68:69]
	s_wait_storecnt_dscnt 0x0
	s_barrier_signal -1
	s_barrier_wait -1
	s_wait_xcnt 0x0
	v_cmpx_ne_u32_e32 0, v0
	s_cbranch_execz .LBB95_315
; %bb.306:
	s_and_not1_b32 vcc_lo, exec_lo, s3
	s_cbranch_vccnz .LBB95_308
; %bb.307:
	scratch_load_b64 v[70:71], v59, off
	ds_load_b64 v[72:73], v1
	s_wait_loadcnt_dscnt 0x0
	v_dual_mul_f32 v68, v73, v71 :: v_dual_mul_f32 v69, v72, v71
	s_delay_alu instid0(VALU_DEP_1)
	v_dual_fma_f32 v68, v72, v70, -v68 :: v_dual_fmac_f32 v69, v73, v70
	s_and_not1_b32 vcc_lo, exec_lo, s1
	s_cbranch_vccz .LBB95_309
	s_branch .LBB95_310
.LBB95_308:
                                        ; implicit-def: $vgpr68
.LBB95_309:
	ds_load_b64 v[68:69], v1
.LBB95_310:
	s_and_saveexec_b32 s1, s0
	s_cbranch_execz .LBB95_314
; %bb.311:
	v_add_nc_u32_e32 v70, -1, v0
	s_movk_i32 s5, 0x108
	s_mov_b32 s0, 0
.LBB95_312:                             ; =>This Inner Loop Header: Depth=1
	scratch_load_b64 v[72:73], off, s4
	v_mov_b32_e32 v71, s5
	s_add_co_i32 s5, s5, 8
	s_wait_xcnt 0x0
	s_add_co_i32 s4, s4, 8
	v_add_nc_u32_e32 v70, -1, v70
	ds_load_b64 v[74:75], v71
	v_cmp_eq_u32_e32 vcc_lo, 0, v70
	s_or_b32 s0, vcc_lo, s0
	s_wait_loadcnt_dscnt 0x0
	v_dual_mul_f32 v71, v75, v73 :: v_dual_mul_f32 v73, v74, v73
	s_delay_alu instid0(VALU_DEP_1) | instskip(NEXT) | instid1(VALU_DEP_1)
	v_dual_fma_f32 v71, v74, v72, -v71 :: v_dual_fmac_f32 v73, v75, v72
	v_dual_add_f32 v68, v68, v71 :: v_dual_add_f32 v69, v69, v73
	s_and_not1_b32 exec_lo, exec_lo, s0
	s_cbranch_execnz .LBB95_312
; %bb.313:
	s_or_b32 exec_lo, exec_lo, s0
.LBB95_314:
	s_delay_alu instid0(SALU_CYCLE_1)
	s_or_b32 exec_lo, exec_lo, s1
	v_mov_b32_e32 v70, 0
	s_mov_b32 s1, exec_lo
	s_or_b32 s5, 0, 4
	ds_load_b64 v[70:71], v70
	s_wait_dscnt 0x0
	v_dual_mul_f32 v72, v69, v71 :: v_dual_mul_f32 v94, v68, v71
	s_delay_alu instid0(VALU_DEP_1)
	v_dual_fma_f32 v68, v68, v70, -v72 :: v_dual_fmac_f32 v94, v69, v70
	scratch_store_b32 off, v68, off
.LBB95_315:
	s_wait_xcnt 0x0
	s_or_b32 exec_lo, exec_lo, s8
	s_delay_alu instid0(SALU_CYCLE_1)
	s_and_b32 vcc_lo, exec_lo, s2
	s_cbranch_vccz .LBB95_621
.LBB95_316:
	scratch_load_b64 v[68:69], off, off offset:8
	v_cmp_eq_u32_e64 s0, 0, v0
	s_wait_loadcnt 0x0
	ds_store_b64 v1, v[68:69]
	s_wait_storecnt_dscnt 0x0
	s_barrier_signal -1
	s_barrier_wait -1
	s_wait_xcnt 0x0
	s_and_saveexec_b32 s2, s0
	s_cbranch_execz .LBB95_322
; %bb.317:
	s_and_b32 vcc_lo, exec_lo, s3
	s_cbranch_vccz .LBB95_319
; %bb.318:
	scratch_load_b64 v[68:69], v59, off
	ds_load_b64 v[70:71], v1
	s_wait_loadcnt_dscnt 0x0
	v_pk_mul_f32 v[72:73], v[70:71], v[68:69] op_sel:[1,1] op_sel_hi:[0,1]
	v_pk_mul_f32 v[74:75], v[70:71], v[68:69] op_sel_hi:[1,0]
	s_delay_alu instid0(VALU_DEP_2) | instskip(NEXT) | instid1(VALU_DEP_2)
	v_pk_fma_f32 v[68:69], v[70:71], v[68:69], v[72:73] op_sel_hi:[1,0,1]
	v_sub_f32_e32 v68, v74, v72
	s_cbranch_execz .LBB95_320
	s_branch .LBB95_321
.LBB95_319:
                                        ; implicit-def: $vgpr69
.LBB95_320:
	ds_load_b64 v[68:69], v1
.LBB95_321:
	s_wait_dscnt 0x0
	v_dual_mov_b32 v70, 0 :: v_dual_mov_b32 v72, v69
	v_mov_b32_e32 v73, v68
	ds_load_b64 v[70:71], v70 offset:8
	s_wait_dscnt 0x0
	v_pk_mul_f32 v[72:73], v[72:73], v[70:71] op_sel:[0,1]
	s_delay_alu instid0(VALU_DEP_1) | instskip(SKIP_1) | instid1(VALU_DEP_2)
	v_pk_fma_f32 v[74:75], v[68:69], v[70:71], v[72:73] op_sel_hi:[1,0,1]
	v_pk_fma_f32 v[68:69], v[68:69], v[70:71], v[72:73] neg_lo:[0,0,1] neg_hi:[0,0,1]
	v_mov_b32_e32 v69, v75
	scratch_store_b64 off, v[68:69], off offset:8
.LBB95_322:
	s_wait_xcnt 0x0
	s_or_b32 exec_lo, exec_lo, s2
	scratch_load_b64 v[68:69], off, off offset:16
	v_cndmask_b32_e64 v70, 0, 1, s3
	s_mov_b32 s2, exec_lo
	s_wait_loadcnt 0x0
	ds_store_b64 v1, v[68:69]
	s_wait_storecnt_dscnt 0x0
	s_barrier_signal -1
	s_barrier_wait -1
	s_wait_xcnt 0x0
	v_cmpx_gt_u32_e32 2, v0
	s_cbranch_execz .LBB95_330
; %bb.323:
	s_and_not1_b32 vcc_lo, exec_lo, s3
	s_cbranch_vccnz .LBB95_325
; %bb.324:
	scratch_load_b64 v[68:69], v59, off
	ds_load_b64 v[72:73], v1
	s_wait_loadcnt_dscnt 0x0
	v_pk_mul_f32 v[74:75], v[72:73], v[68:69] op_sel:[1,1] op_sel_hi:[0,1]
	s_delay_alu instid0(VALU_DEP_1) | instskip(SKIP_1) | instid1(VALU_DEP_2)
	v_pk_fma_f32 v[76:77], v[72:73], v[68:69], v[74:75] op_sel_hi:[1,0,1]
	v_pk_fma_f32 v[68:69], v[72:73], v[68:69], v[74:75] neg_lo:[0,0,1] neg_hi:[0,0,1]
	v_mov_b32_e32 v69, v77
	s_cbranch_execz .LBB95_326
	s_branch .LBB95_327
.LBB95_325:
                                        ; implicit-def: $vgpr68_vgpr69
.LBB95_326:
	ds_load_b64 v[68:69], v1
.LBB95_327:
	s_and_saveexec_b32 s3, s0
	s_cbranch_execz .LBB95_329
; %bb.328:
	scratch_load_b64 v[72:73], off, off offset:8
	v_mov_b32_e32 v71, 0
	ds_load_b64 v[74:75], v71 offset:264
	s_wait_loadcnt_dscnt 0x0
	v_pk_mul_f32 v[76:77], v[74:75], v[72:73] op_sel:[1,1] op_sel_hi:[0,1]
	s_delay_alu instid0(VALU_DEP_1) | instskip(SKIP_1) | instid1(VALU_DEP_2)
	v_pk_fma_f32 v[78:79], v[74:75], v[72:73], v[76:77] op_sel_hi:[1,0,1]
	v_pk_fma_f32 v[72:73], v[74:75], v[72:73], v[76:77] neg_lo:[0,0,1] neg_hi:[0,0,1]
	v_mov_b32_e32 v73, v79
	s_delay_alu instid0(VALU_DEP_1)
	v_pk_add_f32 v[68:69], v[68:69], v[72:73]
.LBB95_329:
	s_or_b32 exec_lo, exec_lo, s3
	v_mov_b32_e32 v71, 0
	ds_load_b64 v[72:73], v71 offset:16
	s_wait_dscnt 0x0
	v_pk_mul_f32 v[74:75], v[68:69], v[72:73] op_sel:[1,1] op_sel_hi:[0,1]
	s_delay_alu instid0(VALU_DEP_1) | instskip(SKIP_1) | instid1(VALU_DEP_2)
	v_pk_fma_f32 v[76:77], v[68:69], v[72:73], v[74:75] op_sel_hi:[1,0,1]
	v_pk_fma_f32 v[68:69], v[68:69], v[72:73], v[74:75] neg_lo:[0,0,1] neg_hi:[0,0,1]
	v_mov_b32_e32 v69, v77
	scratch_store_b64 off, v[68:69], off offset:16
.LBB95_330:
	s_wait_xcnt 0x0
	s_or_b32 exec_lo, exec_lo, s2
	scratch_load_b64 v[68:69], off, off offset:24
	s_mov_b32 s2, exec_lo
	s_wait_loadcnt 0x0
	ds_store_b64 v1, v[68:69]
	s_wait_storecnt_dscnt 0x0
	s_barrier_signal -1
	s_barrier_wait -1
	s_wait_xcnt 0x0
	v_cmpx_gt_u32_e32 3, v0
	s_cbranch_execz .LBB95_340
; %bb.331:
	v_cmp_ne_u32_e32 vcc_lo, 1, v70
	s_cbranch_vccnz .LBB95_333
; %bb.332:
	scratch_load_b64 v[68:69], v59, off
	ds_load_b64 v[72:73], v1
	s_wait_loadcnt_dscnt 0x0
	v_pk_mul_f32 v[74:75], v[72:73], v[68:69] op_sel:[1,1] op_sel_hi:[0,1]
	s_delay_alu instid0(VALU_DEP_1) | instskip(SKIP_1) | instid1(VALU_DEP_2)
	v_pk_fma_f32 v[76:77], v[72:73], v[68:69], v[74:75] op_sel_hi:[1,0,1]
	v_pk_fma_f32 v[68:69], v[72:73], v[68:69], v[74:75] neg_lo:[0,0,1] neg_hi:[0,0,1]
	v_mov_b32_e32 v69, v77
	s_cbranch_execz .LBB95_334
	s_branch .LBB95_335
.LBB95_333:
                                        ; implicit-def: $vgpr68_vgpr69
.LBB95_334:
	ds_load_b64 v[68:69], v1
.LBB95_335:
	s_mov_b32 s3, exec_lo
	v_cmpx_ne_u32_e32 2, v0
	s_cbranch_execz .LBB95_339
; %bb.336:
	scratch_load_b64 v[72:73], v59, off offset:8
	ds_load_b64 v[74:75], v1 offset:8
	s_wait_loadcnt_dscnt 0x0
	v_pk_mul_f32 v[76:77], v[74:75], v[72:73] op_sel:[1,1] op_sel_hi:[0,1]
	s_delay_alu instid0(VALU_DEP_1) | instskip(SKIP_1) | instid1(VALU_DEP_2)
	v_pk_fma_f32 v[78:79], v[74:75], v[72:73], v[76:77] op_sel_hi:[1,0,1]
	v_pk_fma_f32 v[72:73], v[74:75], v[72:73], v[76:77] neg_lo:[0,0,1] neg_hi:[0,0,1]
	v_mov_b32_e32 v73, v79
	s_delay_alu instid0(VALU_DEP_1)
	v_pk_add_f32 v[68:69], v[68:69], v[72:73]
	s_and_saveexec_b32 s4, s0
	s_cbranch_execz .LBB95_338
; %bb.337:
	scratch_load_b64 v[72:73], off, off offset:16
	v_mov_b32_e32 v71, 0
	ds_load_b64 v[74:75], v71 offset:272
	s_wait_loadcnt_dscnt 0x0
	v_pk_mul_f32 v[76:77], v[74:75], v[72:73] op_sel:[1,1] op_sel_hi:[0,1]
	s_delay_alu instid0(VALU_DEP_1) | instskip(SKIP_1) | instid1(VALU_DEP_2)
	v_pk_fma_f32 v[78:79], v[74:75], v[72:73], v[76:77] op_sel_hi:[1,0,1]
	v_pk_fma_f32 v[72:73], v[74:75], v[72:73], v[76:77] neg_lo:[0,0,1] neg_hi:[0,0,1]
	v_mov_b32_e32 v73, v79
	s_delay_alu instid0(VALU_DEP_1)
	v_pk_add_f32 v[68:69], v[68:69], v[72:73]
.LBB95_338:
	s_or_b32 exec_lo, exec_lo, s4
.LBB95_339:
	s_delay_alu instid0(SALU_CYCLE_1) | instskip(SKIP_4) | instid1(VALU_DEP_1)
	s_or_b32 exec_lo, exec_lo, s3
	v_mov_b32_e32 v71, 0
	ds_load_b64 v[72:73], v71 offset:24
	s_wait_dscnt 0x0
	v_pk_mul_f32 v[74:75], v[68:69], v[72:73] op_sel:[1,1] op_sel_hi:[0,1]
	v_pk_fma_f32 v[76:77], v[68:69], v[72:73], v[74:75] op_sel_hi:[1,0,1]
	v_pk_fma_f32 v[68:69], v[68:69], v[72:73], v[74:75] neg_lo:[0,0,1] neg_hi:[0,0,1]
	s_delay_alu instid0(VALU_DEP_2)
	v_mov_b32_e32 v69, v77
	scratch_store_b64 off, v[68:69], off offset:24
.LBB95_340:
	s_wait_xcnt 0x0
	s_or_b32 exec_lo, exec_lo, s2
	scratch_load_b64 v[68:69], off, off offset:32
	s_mov_b32 s0, exec_lo
	s_wait_loadcnt 0x0
	ds_store_b64 v1, v[68:69]
	s_wait_storecnt_dscnt 0x0
	s_barrier_signal -1
	s_barrier_wait -1
	s_wait_xcnt 0x0
	v_cmpx_gt_u32_e32 4, v0
	s_cbranch_execz .LBB95_350
; %bb.341:
	v_cmp_ne_u32_e32 vcc_lo, 1, v70
	s_cbranch_vccnz .LBB95_343
; %bb.342:
	scratch_load_b64 v[68:69], v59, off
	ds_load_b64 v[72:73], v1
	s_wait_loadcnt_dscnt 0x0
	v_pk_mul_f32 v[74:75], v[72:73], v[68:69] op_sel:[1,1] op_sel_hi:[0,1]
	s_delay_alu instid0(VALU_DEP_1) | instskip(SKIP_1) | instid1(VALU_DEP_2)
	v_pk_fma_f32 v[76:77], v[72:73], v[68:69], v[74:75] op_sel_hi:[1,0,1]
	v_pk_fma_f32 v[68:69], v[72:73], v[68:69], v[74:75] neg_lo:[0,0,1] neg_hi:[0,0,1]
	v_mov_b32_e32 v69, v77
	s_cbranch_execz .LBB95_344
	s_branch .LBB95_345
.LBB95_343:
                                        ; implicit-def: $vgpr68_vgpr69
.LBB95_344:
	ds_load_b64 v[68:69], v1
.LBB95_345:
	s_mov_b32 s2, exec_lo
	v_cmpx_ne_u32_e32 3, v0
	s_cbranch_execz .LBB95_349
; %bb.346:
	v_add_nc_u32_e32 v71, 0x108, v58
	v_add3_u32 v72, 0, v58, 8
	v_mov_b32_e32 v73, v0
	s_mov_b32 s3, 0
.LBB95_347:                             ; =>This Inner Loop Header: Depth=1
	scratch_load_b64 v[74:75], v72, off
	ds_load_b64 v[76:77], v71
	s_wait_xcnt 0x0
	v_dual_add_nc_u32 v71, 8, v71 :: v_dual_add_nc_u32 v72, 8, v72
	s_wait_loadcnt_dscnt 0x0
	v_pk_mul_f32 v[78:79], v[76:77], v[74:75] op_sel:[1,1] op_sel_hi:[0,1]
	s_delay_alu instid0(VALU_DEP_1) | instskip(SKIP_2) | instid1(VALU_DEP_3)
	v_pk_fma_f32 v[80:81], v[76:77], v[74:75], v[78:79] op_sel_hi:[1,0,1]
	v_add_nc_u32_e32 v73, 1, v73
	v_pk_fma_f32 v[74:75], v[76:77], v[74:75], v[78:79] neg_lo:[0,0,1] neg_hi:[0,0,1]
	v_mov_b32_e32 v75, v81
	s_delay_alu instid0(VALU_DEP_3) | instskip(NEXT) | instid1(VALU_DEP_2)
	v_cmp_lt_u32_e32 vcc_lo, 2, v73
	v_pk_add_f32 v[68:69], v[68:69], v[74:75]
	s_or_b32 s3, vcc_lo, s3
	s_delay_alu instid0(SALU_CYCLE_1)
	s_and_not1_b32 exec_lo, exec_lo, s3
	s_cbranch_execnz .LBB95_347
; %bb.348:
	s_or_b32 exec_lo, exec_lo, s3
.LBB95_349:
	s_delay_alu instid0(SALU_CYCLE_1) | instskip(SKIP_4) | instid1(VALU_DEP_1)
	s_or_b32 exec_lo, exec_lo, s2
	v_mov_b32_e32 v71, 0
	ds_load_b64 v[72:73], v71 offset:32
	s_wait_dscnt 0x0
	v_pk_mul_f32 v[74:75], v[68:69], v[72:73] op_sel:[1,1] op_sel_hi:[0,1]
	v_pk_fma_f32 v[76:77], v[68:69], v[72:73], v[74:75] op_sel_hi:[1,0,1]
	v_pk_fma_f32 v[68:69], v[68:69], v[72:73], v[74:75] neg_lo:[0,0,1] neg_hi:[0,0,1]
	s_delay_alu instid0(VALU_DEP_2)
	v_mov_b32_e32 v69, v77
	scratch_store_b64 off, v[68:69], off offset:32
.LBB95_350:
	s_wait_xcnt 0x0
	s_or_b32 exec_lo, exec_lo, s0
	scratch_load_b64 v[68:69], off, off offset:40
	s_mov_b32 s0, exec_lo
	s_wait_loadcnt 0x0
	ds_store_b64 v1, v[68:69]
	s_wait_storecnt_dscnt 0x0
	s_barrier_signal -1
	s_barrier_wait -1
	s_wait_xcnt 0x0
	v_cmpx_gt_u32_e32 5, v0
	s_cbranch_execz .LBB95_360
; %bb.351:
	v_cmp_ne_u32_e32 vcc_lo, 1, v70
	s_cbranch_vccnz .LBB95_353
; %bb.352:
	scratch_load_b64 v[68:69], v59, off
	ds_load_b64 v[72:73], v1
	s_wait_loadcnt_dscnt 0x0
	v_pk_mul_f32 v[74:75], v[72:73], v[68:69] op_sel:[1,1] op_sel_hi:[0,1]
	s_delay_alu instid0(VALU_DEP_1) | instskip(SKIP_1) | instid1(VALU_DEP_2)
	v_pk_fma_f32 v[76:77], v[72:73], v[68:69], v[74:75] op_sel_hi:[1,0,1]
	v_pk_fma_f32 v[68:69], v[72:73], v[68:69], v[74:75] neg_lo:[0,0,1] neg_hi:[0,0,1]
	v_mov_b32_e32 v69, v77
	s_cbranch_execz .LBB95_354
	s_branch .LBB95_355
.LBB95_353:
                                        ; implicit-def: $vgpr68_vgpr69
.LBB95_354:
	ds_load_b64 v[68:69], v1
.LBB95_355:
	s_mov_b32 s2, exec_lo
	v_cmpx_ne_u32_e32 4, v0
	s_cbranch_execz .LBB95_359
; %bb.356:
	v_add_nc_u32_e32 v71, 0x108, v58
	v_add3_u32 v72, 0, v58, 8
	v_mov_b32_e32 v73, v0
	s_mov_b32 s3, 0
.LBB95_357:                             ; =>This Inner Loop Header: Depth=1
	scratch_load_b64 v[74:75], v72, off
	ds_load_b64 v[76:77], v71
	s_wait_xcnt 0x0
	v_dual_add_nc_u32 v71, 8, v71 :: v_dual_add_nc_u32 v72, 8, v72
	s_wait_loadcnt_dscnt 0x0
	v_pk_mul_f32 v[78:79], v[76:77], v[74:75] op_sel:[1,1] op_sel_hi:[0,1]
	s_delay_alu instid0(VALU_DEP_1) | instskip(SKIP_2) | instid1(VALU_DEP_3)
	v_pk_fma_f32 v[80:81], v[76:77], v[74:75], v[78:79] op_sel_hi:[1,0,1]
	v_add_nc_u32_e32 v73, 1, v73
	v_pk_fma_f32 v[74:75], v[76:77], v[74:75], v[78:79] neg_lo:[0,0,1] neg_hi:[0,0,1]
	v_mov_b32_e32 v75, v81
	s_delay_alu instid0(VALU_DEP_3) | instskip(NEXT) | instid1(VALU_DEP_2)
	v_cmp_lt_u32_e32 vcc_lo, 3, v73
	v_pk_add_f32 v[68:69], v[68:69], v[74:75]
	s_or_b32 s3, vcc_lo, s3
	s_delay_alu instid0(SALU_CYCLE_1)
	s_and_not1_b32 exec_lo, exec_lo, s3
	s_cbranch_execnz .LBB95_357
; %bb.358:
	s_or_b32 exec_lo, exec_lo, s3
.LBB95_359:
	s_delay_alu instid0(SALU_CYCLE_1) | instskip(SKIP_4) | instid1(VALU_DEP_1)
	s_or_b32 exec_lo, exec_lo, s2
	v_mov_b32_e32 v71, 0
	ds_load_b64 v[72:73], v71 offset:40
	s_wait_dscnt 0x0
	v_pk_mul_f32 v[74:75], v[68:69], v[72:73] op_sel:[1,1] op_sel_hi:[0,1]
	v_pk_fma_f32 v[76:77], v[68:69], v[72:73], v[74:75] op_sel_hi:[1,0,1]
	v_pk_fma_f32 v[68:69], v[68:69], v[72:73], v[74:75] neg_lo:[0,0,1] neg_hi:[0,0,1]
	s_delay_alu instid0(VALU_DEP_2)
	v_mov_b32_e32 v69, v77
	scratch_store_b64 off, v[68:69], off offset:40
.LBB95_360:
	s_wait_xcnt 0x0
	s_or_b32 exec_lo, exec_lo, s0
	scratch_load_b64 v[68:69], off, off offset:48
	s_mov_b32 s0, exec_lo
	s_wait_loadcnt 0x0
	ds_store_b64 v1, v[68:69]
	s_wait_storecnt_dscnt 0x0
	s_barrier_signal -1
	s_barrier_wait -1
	s_wait_xcnt 0x0
	v_cmpx_gt_u32_e32 6, v0
	s_cbranch_execz .LBB95_370
; %bb.361:
	v_cmp_ne_u32_e32 vcc_lo, 1, v70
	s_cbranch_vccnz .LBB95_363
; %bb.362:
	scratch_load_b64 v[68:69], v59, off
	ds_load_b64 v[72:73], v1
	s_wait_loadcnt_dscnt 0x0
	v_pk_mul_f32 v[74:75], v[72:73], v[68:69] op_sel:[1,1] op_sel_hi:[0,1]
	s_delay_alu instid0(VALU_DEP_1) | instskip(SKIP_1) | instid1(VALU_DEP_2)
	v_pk_fma_f32 v[76:77], v[72:73], v[68:69], v[74:75] op_sel_hi:[1,0,1]
	v_pk_fma_f32 v[68:69], v[72:73], v[68:69], v[74:75] neg_lo:[0,0,1] neg_hi:[0,0,1]
	v_mov_b32_e32 v69, v77
	s_cbranch_execz .LBB95_364
	s_branch .LBB95_365
.LBB95_363:
                                        ; implicit-def: $vgpr68_vgpr69
.LBB95_364:
	ds_load_b64 v[68:69], v1
.LBB95_365:
	s_mov_b32 s2, exec_lo
	v_cmpx_ne_u32_e32 5, v0
	s_cbranch_execz .LBB95_369
; %bb.366:
	v_add_nc_u32_e32 v71, 0x108, v58
	v_add3_u32 v72, 0, v58, 8
	v_mov_b32_e32 v73, v0
	s_mov_b32 s3, 0
.LBB95_367:                             ; =>This Inner Loop Header: Depth=1
	scratch_load_b64 v[74:75], v72, off
	ds_load_b64 v[76:77], v71
	s_wait_xcnt 0x0
	v_dual_add_nc_u32 v71, 8, v71 :: v_dual_add_nc_u32 v72, 8, v72
	s_wait_loadcnt_dscnt 0x0
	v_pk_mul_f32 v[78:79], v[76:77], v[74:75] op_sel:[1,1] op_sel_hi:[0,1]
	s_delay_alu instid0(VALU_DEP_1) | instskip(SKIP_2) | instid1(VALU_DEP_3)
	v_pk_fma_f32 v[80:81], v[76:77], v[74:75], v[78:79] op_sel_hi:[1,0,1]
	v_add_nc_u32_e32 v73, 1, v73
	v_pk_fma_f32 v[74:75], v[76:77], v[74:75], v[78:79] neg_lo:[0,0,1] neg_hi:[0,0,1]
	v_mov_b32_e32 v75, v81
	s_delay_alu instid0(VALU_DEP_3) | instskip(NEXT) | instid1(VALU_DEP_2)
	v_cmp_lt_u32_e32 vcc_lo, 4, v73
	v_pk_add_f32 v[68:69], v[68:69], v[74:75]
	s_or_b32 s3, vcc_lo, s3
	s_delay_alu instid0(SALU_CYCLE_1)
	s_and_not1_b32 exec_lo, exec_lo, s3
	s_cbranch_execnz .LBB95_367
; %bb.368:
	s_or_b32 exec_lo, exec_lo, s3
.LBB95_369:
	s_delay_alu instid0(SALU_CYCLE_1) | instskip(SKIP_4) | instid1(VALU_DEP_1)
	s_or_b32 exec_lo, exec_lo, s2
	v_mov_b32_e32 v71, 0
	ds_load_b64 v[72:73], v71 offset:48
	s_wait_dscnt 0x0
	v_pk_mul_f32 v[74:75], v[68:69], v[72:73] op_sel:[1,1] op_sel_hi:[0,1]
	v_pk_fma_f32 v[76:77], v[68:69], v[72:73], v[74:75] op_sel_hi:[1,0,1]
	v_pk_fma_f32 v[68:69], v[68:69], v[72:73], v[74:75] neg_lo:[0,0,1] neg_hi:[0,0,1]
	s_delay_alu instid0(VALU_DEP_2)
	v_mov_b32_e32 v69, v77
	scratch_store_b64 off, v[68:69], off offset:48
.LBB95_370:
	s_wait_xcnt 0x0
	s_or_b32 exec_lo, exec_lo, s0
	scratch_load_b64 v[68:69], off, off offset:56
	s_mov_b32 s0, exec_lo
	s_wait_loadcnt 0x0
	ds_store_b64 v1, v[68:69]
	s_wait_storecnt_dscnt 0x0
	s_barrier_signal -1
	s_barrier_wait -1
	s_wait_xcnt 0x0
	v_cmpx_gt_u32_e32 7, v0
	s_cbranch_execz .LBB95_380
; %bb.371:
	v_cmp_ne_u32_e32 vcc_lo, 1, v70
	s_cbranch_vccnz .LBB95_373
; %bb.372:
	scratch_load_b64 v[68:69], v59, off
	ds_load_b64 v[72:73], v1
	s_wait_loadcnt_dscnt 0x0
	v_pk_mul_f32 v[74:75], v[72:73], v[68:69] op_sel:[1,1] op_sel_hi:[0,1]
	s_delay_alu instid0(VALU_DEP_1) | instskip(SKIP_1) | instid1(VALU_DEP_2)
	v_pk_fma_f32 v[76:77], v[72:73], v[68:69], v[74:75] op_sel_hi:[1,0,1]
	v_pk_fma_f32 v[68:69], v[72:73], v[68:69], v[74:75] neg_lo:[0,0,1] neg_hi:[0,0,1]
	v_mov_b32_e32 v69, v77
	s_cbranch_execz .LBB95_374
	s_branch .LBB95_375
.LBB95_373:
                                        ; implicit-def: $vgpr68_vgpr69
.LBB95_374:
	ds_load_b64 v[68:69], v1
.LBB95_375:
	s_mov_b32 s2, exec_lo
	v_cmpx_ne_u32_e32 6, v0
	s_cbranch_execz .LBB95_379
; %bb.376:
	v_add_nc_u32_e32 v71, 0x108, v58
	v_add3_u32 v72, 0, v58, 8
	v_mov_b32_e32 v73, v0
	s_mov_b32 s3, 0
.LBB95_377:                             ; =>This Inner Loop Header: Depth=1
	scratch_load_b64 v[74:75], v72, off
	ds_load_b64 v[76:77], v71
	s_wait_xcnt 0x0
	v_dual_add_nc_u32 v71, 8, v71 :: v_dual_add_nc_u32 v72, 8, v72
	s_wait_loadcnt_dscnt 0x0
	v_pk_mul_f32 v[78:79], v[76:77], v[74:75] op_sel:[1,1] op_sel_hi:[0,1]
	s_delay_alu instid0(VALU_DEP_1) | instskip(SKIP_2) | instid1(VALU_DEP_3)
	v_pk_fma_f32 v[80:81], v[76:77], v[74:75], v[78:79] op_sel_hi:[1,0,1]
	v_add_nc_u32_e32 v73, 1, v73
	v_pk_fma_f32 v[74:75], v[76:77], v[74:75], v[78:79] neg_lo:[0,0,1] neg_hi:[0,0,1]
	v_mov_b32_e32 v75, v81
	s_delay_alu instid0(VALU_DEP_3) | instskip(NEXT) | instid1(VALU_DEP_2)
	v_cmp_lt_u32_e32 vcc_lo, 5, v73
	v_pk_add_f32 v[68:69], v[68:69], v[74:75]
	s_or_b32 s3, vcc_lo, s3
	s_delay_alu instid0(SALU_CYCLE_1)
	s_and_not1_b32 exec_lo, exec_lo, s3
	s_cbranch_execnz .LBB95_377
; %bb.378:
	s_or_b32 exec_lo, exec_lo, s3
.LBB95_379:
	s_delay_alu instid0(SALU_CYCLE_1) | instskip(SKIP_4) | instid1(VALU_DEP_1)
	s_or_b32 exec_lo, exec_lo, s2
	v_mov_b32_e32 v71, 0
	ds_load_b64 v[72:73], v71 offset:56
	s_wait_dscnt 0x0
	v_pk_mul_f32 v[74:75], v[68:69], v[72:73] op_sel:[1,1] op_sel_hi:[0,1]
	v_pk_fma_f32 v[76:77], v[68:69], v[72:73], v[74:75] op_sel_hi:[1,0,1]
	v_pk_fma_f32 v[68:69], v[68:69], v[72:73], v[74:75] neg_lo:[0,0,1] neg_hi:[0,0,1]
	s_delay_alu instid0(VALU_DEP_2)
	v_mov_b32_e32 v69, v77
	scratch_store_b64 off, v[68:69], off offset:56
.LBB95_380:
	s_wait_xcnt 0x0
	s_or_b32 exec_lo, exec_lo, s0
	scratch_load_b64 v[68:69], off, off offset:64
	s_mov_b32 s0, exec_lo
	s_wait_loadcnt 0x0
	ds_store_b64 v1, v[68:69]
	s_wait_storecnt_dscnt 0x0
	s_barrier_signal -1
	s_barrier_wait -1
	s_wait_xcnt 0x0
	v_cmpx_gt_u32_e32 8, v0
	s_cbranch_execz .LBB95_390
; %bb.381:
	v_cmp_ne_u32_e32 vcc_lo, 1, v70
	s_cbranch_vccnz .LBB95_383
; %bb.382:
	scratch_load_b64 v[68:69], v59, off
	ds_load_b64 v[72:73], v1
	s_wait_loadcnt_dscnt 0x0
	v_pk_mul_f32 v[74:75], v[72:73], v[68:69] op_sel:[1,1] op_sel_hi:[0,1]
	s_delay_alu instid0(VALU_DEP_1) | instskip(SKIP_1) | instid1(VALU_DEP_2)
	v_pk_fma_f32 v[76:77], v[72:73], v[68:69], v[74:75] op_sel_hi:[1,0,1]
	v_pk_fma_f32 v[68:69], v[72:73], v[68:69], v[74:75] neg_lo:[0,0,1] neg_hi:[0,0,1]
	v_mov_b32_e32 v69, v77
	s_cbranch_execz .LBB95_384
	s_branch .LBB95_385
.LBB95_383:
                                        ; implicit-def: $vgpr68_vgpr69
.LBB95_384:
	ds_load_b64 v[68:69], v1
.LBB95_385:
	s_mov_b32 s2, exec_lo
	v_cmpx_ne_u32_e32 7, v0
	s_cbranch_execz .LBB95_389
; %bb.386:
	v_add_nc_u32_e32 v71, 0x108, v58
	v_add3_u32 v72, 0, v58, 8
	v_mov_b32_e32 v73, v0
	s_mov_b32 s3, 0
.LBB95_387:                             ; =>This Inner Loop Header: Depth=1
	scratch_load_b64 v[74:75], v72, off
	ds_load_b64 v[76:77], v71
	s_wait_xcnt 0x0
	v_dual_add_nc_u32 v71, 8, v71 :: v_dual_add_nc_u32 v72, 8, v72
	s_wait_loadcnt_dscnt 0x0
	v_pk_mul_f32 v[78:79], v[76:77], v[74:75] op_sel:[1,1] op_sel_hi:[0,1]
	s_delay_alu instid0(VALU_DEP_1) | instskip(SKIP_2) | instid1(VALU_DEP_3)
	v_pk_fma_f32 v[80:81], v[76:77], v[74:75], v[78:79] op_sel_hi:[1,0,1]
	v_add_nc_u32_e32 v73, 1, v73
	v_pk_fma_f32 v[74:75], v[76:77], v[74:75], v[78:79] neg_lo:[0,0,1] neg_hi:[0,0,1]
	v_mov_b32_e32 v75, v81
	s_delay_alu instid0(VALU_DEP_3) | instskip(NEXT) | instid1(VALU_DEP_2)
	v_cmp_lt_u32_e32 vcc_lo, 6, v73
	v_pk_add_f32 v[68:69], v[68:69], v[74:75]
	s_or_b32 s3, vcc_lo, s3
	s_delay_alu instid0(SALU_CYCLE_1)
	s_and_not1_b32 exec_lo, exec_lo, s3
	s_cbranch_execnz .LBB95_387
; %bb.388:
	s_or_b32 exec_lo, exec_lo, s3
.LBB95_389:
	s_delay_alu instid0(SALU_CYCLE_1) | instskip(SKIP_4) | instid1(VALU_DEP_1)
	s_or_b32 exec_lo, exec_lo, s2
	v_mov_b32_e32 v71, 0
	ds_load_b64 v[72:73], v71 offset:64
	s_wait_dscnt 0x0
	v_pk_mul_f32 v[74:75], v[68:69], v[72:73] op_sel:[1,1] op_sel_hi:[0,1]
	v_pk_fma_f32 v[76:77], v[68:69], v[72:73], v[74:75] op_sel_hi:[1,0,1]
	v_pk_fma_f32 v[68:69], v[68:69], v[72:73], v[74:75] neg_lo:[0,0,1] neg_hi:[0,0,1]
	s_delay_alu instid0(VALU_DEP_2)
	v_mov_b32_e32 v69, v77
	scratch_store_b64 off, v[68:69], off offset:64
.LBB95_390:
	s_wait_xcnt 0x0
	s_or_b32 exec_lo, exec_lo, s0
	scratch_load_b64 v[68:69], off, off offset:72
	s_mov_b32 s0, exec_lo
	s_wait_loadcnt 0x0
	ds_store_b64 v1, v[68:69]
	s_wait_storecnt_dscnt 0x0
	s_barrier_signal -1
	s_barrier_wait -1
	s_wait_xcnt 0x0
	v_cmpx_gt_u32_e32 9, v0
	s_cbranch_execz .LBB95_400
; %bb.391:
	v_cmp_ne_u32_e32 vcc_lo, 1, v70
	s_cbranch_vccnz .LBB95_393
; %bb.392:
	scratch_load_b64 v[68:69], v59, off
	ds_load_b64 v[72:73], v1
	s_wait_loadcnt_dscnt 0x0
	v_pk_mul_f32 v[74:75], v[72:73], v[68:69] op_sel:[1,1] op_sel_hi:[0,1]
	s_delay_alu instid0(VALU_DEP_1) | instskip(SKIP_1) | instid1(VALU_DEP_2)
	v_pk_fma_f32 v[76:77], v[72:73], v[68:69], v[74:75] op_sel_hi:[1,0,1]
	v_pk_fma_f32 v[68:69], v[72:73], v[68:69], v[74:75] neg_lo:[0,0,1] neg_hi:[0,0,1]
	v_mov_b32_e32 v69, v77
	s_cbranch_execz .LBB95_394
	s_branch .LBB95_395
.LBB95_393:
                                        ; implicit-def: $vgpr68_vgpr69
.LBB95_394:
	ds_load_b64 v[68:69], v1
.LBB95_395:
	s_mov_b32 s2, exec_lo
	v_cmpx_ne_u32_e32 8, v0
	s_cbranch_execz .LBB95_399
; %bb.396:
	v_add_nc_u32_e32 v71, 0x108, v58
	v_add3_u32 v72, 0, v58, 8
	v_mov_b32_e32 v73, v0
	s_mov_b32 s3, 0
.LBB95_397:                             ; =>This Inner Loop Header: Depth=1
	scratch_load_b64 v[74:75], v72, off
	ds_load_b64 v[76:77], v71
	s_wait_xcnt 0x0
	v_dual_add_nc_u32 v71, 8, v71 :: v_dual_add_nc_u32 v72, 8, v72
	s_wait_loadcnt_dscnt 0x0
	v_pk_mul_f32 v[78:79], v[76:77], v[74:75] op_sel:[1,1] op_sel_hi:[0,1]
	s_delay_alu instid0(VALU_DEP_1) | instskip(SKIP_2) | instid1(VALU_DEP_3)
	v_pk_fma_f32 v[80:81], v[76:77], v[74:75], v[78:79] op_sel_hi:[1,0,1]
	v_add_nc_u32_e32 v73, 1, v73
	v_pk_fma_f32 v[74:75], v[76:77], v[74:75], v[78:79] neg_lo:[0,0,1] neg_hi:[0,0,1]
	v_mov_b32_e32 v75, v81
	s_delay_alu instid0(VALU_DEP_3) | instskip(NEXT) | instid1(VALU_DEP_2)
	v_cmp_lt_u32_e32 vcc_lo, 7, v73
	v_pk_add_f32 v[68:69], v[68:69], v[74:75]
	s_or_b32 s3, vcc_lo, s3
	s_delay_alu instid0(SALU_CYCLE_1)
	s_and_not1_b32 exec_lo, exec_lo, s3
	s_cbranch_execnz .LBB95_397
; %bb.398:
	s_or_b32 exec_lo, exec_lo, s3
.LBB95_399:
	s_delay_alu instid0(SALU_CYCLE_1) | instskip(SKIP_4) | instid1(VALU_DEP_1)
	s_or_b32 exec_lo, exec_lo, s2
	v_mov_b32_e32 v71, 0
	ds_load_b64 v[72:73], v71 offset:72
	s_wait_dscnt 0x0
	v_pk_mul_f32 v[74:75], v[68:69], v[72:73] op_sel:[1,1] op_sel_hi:[0,1]
	v_pk_fma_f32 v[76:77], v[68:69], v[72:73], v[74:75] op_sel_hi:[1,0,1]
	v_pk_fma_f32 v[68:69], v[68:69], v[72:73], v[74:75] neg_lo:[0,0,1] neg_hi:[0,0,1]
	s_delay_alu instid0(VALU_DEP_2)
	v_mov_b32_e32 v69, v77
	scratch_store_b64 off, v[68:69], off offset:72
.LBB95_400:
	s_wait_xcnt 0x0
	s_or_b32 exec_lo, exec_lo, s0
	scratch_load_b64 v[68:69], off, off offset:80
	s_mov_b32 s0, exec_lo
	s_wait_loadcnt 0x0
	ds_store_b64 v1, v[68:69]
	s_wait_storecnt_dscnt 0x0
	s_barrier_signal -1
	s_barrier_wait -1
	s_wait_xcnt 0x0
	v_cmpx_gt_u32_e32 10, v0
	s_cbranch_execz .LBB95_410
; %bb.401:
	v_cmp_ne_u32_e32 vcc_lo, 1, v70
	s_cbranch_vccnz .LBB95_403
; %bb.402:
	scratch_load_b64 v[68:69], v59, off
	ds_load_b64 v[72:73], v1
	s_wait_loadcnt_dscnt 0x0
	v_pk_mul_f32 v[74:75], v[72:73], v[68:69] op_sel:[1,1] op_sel_hi:[0,1]
	s_delay_alu instid0(VALU_DEP_1) | instskip(SKIP_1) | instid1(VALU_DEP_2)
	v_pk_fma_f32 v[76:77], v[72:73], v[68:69], v[74:75] op_sel_hi:[1,0,1]
	v_pk_fma_f32 v[68:69], v[72:73], v[68:69], v[74:75] neg_lo:[0,0,1] neg_hi:[0,0,1]
	v_mov_b32_e32 v69, v77
	s_cbranch_execz .LBB95_404
	s_branch .LBB95_405
.LBB95_403:
                                        ; implicit-def: $vgpr68_vgpr69
.LBB95_404:
	ds_load_b64 v[68:69], v1
.LBB95_405:
	s_mov_b32 s2, exec_lo
	v_cmpx_ne_u32_e32 9, v0
	s_cbranch_execz .LBB95_409
; %bb.406:
	v_add_nc_u32_e32 v71, 0x108, v58
	v_add3_u32 v72, 0, v58, 8
	v_mov_b32_e32 v73, v0
	s_mov_b32 s3, 0
.LBB95_407:                             ; =>This Inner Loop Header: Depth=1
	scratch_load_b64 v[74:75], v72, off
	ds_load_b64 v[76:77], v71
	s_wait_xcnt 0x0
	v_dual_add_nc_u32 v71, 8, v71 :: v_dual_add_nc_u32 v72, 8, v72
	s_wait_loadcnt_dscnt 0x0
	v_pk_mul_f32 v[78:79], v[76:77], v[74:75] op_sel:[1,1] op_sel_hi:[0,1]
	s_delay_alu instid0(VALU_DEP_1) | instskip(SKIP_2) | instid1(VALU_DEP_3)
	v_pk_fma_f32 v[80:81], v[76:77], v[74:75], v[78:79] op_sel_hi:[1,0,1]
	v_add_nc_u32_e32 v73, 1, v73
	v_pk_fma_f32 v[74:75], v[76:77], v[74:75], v[78:79] neg_lo:[0,0,1] neg_hi:[0,0,1]
	v_mov_b32_e32 v75, v81
	s_delay_alu instid0(VALU_DEP_3) | instskip(NEXT) | instid1(VALU_DEP_2)
	v_cmp_lt_u32_e32 vcc_lo, 8, v73
	v_pk_add_f32 v[68:69], v[68:69], v[74:75]
	s_or_b32 s3, vcc_lo, s3
	s_delay_alu instid0(SALU_CYCLE_1)
	s_and_not1_b32 exec_lo, exec_lo, s3
	s_cbranch_execnz .LBB95_407
; %bb.408:
	s_or_b32 exec_lo, exec_lo, s3
.LBB95_409:
	s_delay_alu instid0(SALU_CYCLE_1) | instskip(SKIP_4) | instid1(VALU_DEP_1)
	s_or_b32 exec_lo, exec_lo, s2
	v_mov_b32_e32 v71, 0
	ds_load_b64 v[72:73], v71 offset:80
	s_wait_dscnt 0x0
	v_pk_mul_f32 v[74:75], v[68:69], v[72:73] op_sel:[1,1] op_sel_hi:[0,1]
	v_pk_fma_f32 v[76:77], v[68:69], v[72:73], v[74:75] op_sel_hi:[1,0,1]
	v_pk_fma_f32 v[68:69], v[68:69], v[72:73], v[74:75] neg_lo:[0,0,1] neg_hi:[0,0,1]
	s_delay_alu instid0(VALU_DEP_2)
	v_mov_b32_e32 v69, v77
	scratch_store_b64 off, v[68:69], off offset:80
.LBB95_410:
	s_wait_xcnt 0x0
	s_or_b32 exec_lo, exec_lo, s0
	scratch_load_b64 v[68:69], off, off offset:88
	s_mov_b32 s0, exec_lo
	s_wait_loadcnt 0x0
	ds_store_b64 v1, v[68:69]
	s_wait_storecnt_dscnt 0x0
	s_barrier_signal -1
	s_barrier_wait -1
	s_wait_xcnt 0x0
	v_cmpx_gt_u32_e32 11, v0
	s_cbranch_execz .LBB95_420
; %bb.411:
	v_cmp_ne_u32_e32 vcc_lo, 1, v70
	s_cbranch_vccnz .LBB95_413
; %bb.412:
	scratch_load_b64 v[68:69], v59, off
	ds_load_b64 v[72:73], v1
	s_wait_loadcnt_dscnt 0x0
	v_pk_mul_f32 v[74:75], v[72:73], v[68:69] op_sel:[1,1] op_sel_hi:[0,1]
	s_delay_alu instid0(VALU_DEP_1) | instskip(SKIP_1) | instid1(VALU_DEP_2)
	v_pk_fma_f32 v[76:77], v[72:73], v[68:69], v[74:75] op_sel_hi:[1,0,1]
	v_pk_fma_f32 v[68:69], v[72:73], v[68:69], v[74:75] neg_lo:[0,0,1] neg_hi:[0,0,1]
	v_mov_b32_e32 v69, v77
	s_cbranch_execz .LBB95_414
	s_branch .LBB95_415
.LBB95_413:
                                        ; implicit-def: $vgpr68_vgpr69
.LBB95_414:
	ds_load_b64 v[68:69], v1
.LBB95_415:
	s_mov_b32 s2, exec_lo
	v_cmpx_ne_u32_e32 10, v0
	s_cbranch_execz .LBB95_419
; %bb.416:
	v_add_nc_u32_e32 v71, 0x108, v58
	v_add3_u32 v72, 0, v58, 8
	v_mov_b32_e32 v73, v0
	s_mov_b32 s3, 0
.LBB95_417:                             ; =>This Inner Loop Header: Depth=1
	scratch_load_b64 v[74:75], v72, off
	ds_load_b64 v[76:77], v71
	s_wait_xcnt 0x0
	v_dual_add_nc_u32 v71, 8, v71 :: v_dual_add_nc_u32 v72, 8, v72
	s_wait_loadcnt_dscnt 0x0
	v_pk_mul_f32 v[78:79], v[76:77], v[74:75] op_sel:[1,1] op_sel_hi:[0,1]
	s_delay_alu instid0(VALU_DEP_1) | instskip(SKIP_2) | instid1(VALU_DEP_3)
	v_pk_fma_f32 v[80:81], v[76:77], v[74:75], v[78:79] op_sel_hi:[1,0,1]
	v_add_nc_u32_e32 v73, 1, v73
	v_pk_fma_f32 v[74:75], v[76:77], v[74:75], v[78:79] neg_lo:[0,0,1] neg_hi:[0,0,1]
	v_mov_b32_e32 v75, v81
	s_delay_alu instid0(VALU_DEP_3) | instskip(NEXT) | instid1(VALU_DEP_2)
	v_cmp_lt_u32_e32 vcc_lo, 9, v73
	v_pk_add_f32 v[68:69], v[68:69], v[74:75]
	s_or_b32 s3, vcc_lo, s3
	s_delay_alu instid0(SALU_CYCLE_1)
	s_and_not1_b32 exec_lo, exec_lo, s3
	s_cbranch_execnz .LBB95_417
; %bb.418:
	s_or_b32 exec_lo, exec_lo, s3
.LBB95_419:
	s_delay_alu instid0(SALU_CYCLE_1) | instskip(SKIP_4) | instid1(VALU_DEP_1)
	s_or_b32 exec_lo, exec_lo, s2
	v_mov_b32_e32 v71, 0
	ds_load_b64 v[72:73], v71 offset:88
	s_wait_dscnt 0x0
	v_pk_mul_f32 v[74:75], v[68:69], v[72:73] op_sel:[1,1] op_sel_hi:[0,1]
	v_pk_fma_f32 v[76:77], v[68:69], v[72:73], v[74:75] op_sel_hi:[1,0,1]
	v_pk_fma_f32 v[68:69], v[68:69], v[72:73], v[74:75] neg_lo:[0,0,1] neg_hi:[0,0,1]
	s_delay_alu instid0(VALU_DEP_2)
	v_mov_b32_e32 v69, v77
	scratch_store_b64 off, v[68:69], off offset:88
.LBB95_420:
	s_wait_xcnt 0x0
	s_or_b32 exec_lo, exec_lo, s0
	scratch_load_b64 v[68:69], off, off offset:96
	s_mov_b32 s0, exec_lo
	s_wait_loadcnt 0x0
	ds_store_b64 v1, v[68:69]
	s_wait_storecnt_dscnt 0x0
	s_barrier_signal -1
	s_barrier_wait -1
	s_wait_xcnt 0x0
	v_cmpx_gt_u32_e32 12, v0
	s_cbranch_execz .LBB95_430
; %bb.421:
	v_cmp_ne_u32_e32 vcc_lo, 1, v70
	s_cbranch_vccnz .LBB95_423
; %bb.422:
	scratch_load_b64 v[68:69], v59, off
	ds_load_b64 v[72:73], v1
	s_wait_loadcnt_dscnt 0x0
	v_pk_mul_f32 v[74:75], v[72:73], v[68:69] op_sel:[1,1] op_sel_hi:[0,1]
	s_delay_alu instid0(VALU_DEP_1) | instskip(SKIP_1) | instid1(VALU_DEP_2)
	v_pk_fma_f32 v[76:77], v[72:73], v[68:69], v[74:75] op_sel_hi:[1,0,1]
	v_pk_fma_f32 v[68:69], v[72:73], v[68:69], v[74:75] neg_lo:[0,0,1] neg_hi:[0,0,1]
	v_mov_b32_e32 v69, v77
	s_cbranch_execz .LBB95_424
	s_branch .LBB95_425
.LBB95_423:
                                        ; implicit-def: $vgpr68_vgpr69
.LBB95_424:
	ds_load_b64 v[68:69], v1
.LBB95_425:
	s_mov_b32 s2, exec_lo
	v_cmpx_ne_u32_e32 11, v0
	s_cbranch_execz .LBB95_429
; %bb.426:
	v_add_nc_u32_e32 v71, 0x108, v58
	v_add3_u32 v72, 0, v58, 8
	v_mov_b32_e32 v73, v0
	s_mov_b32 s3, 0
.LBB95_427:                             ; =>This Inner Loop Header: Depth=1
	scratch_load_b64 v[74:75], v72, off
	ds_load_b64 v[76:77], v71
	s_wait_xcnt 0x0
	v_dual_add_nc_u32 v71, 8, v71 :: v_dual_add_nc_u32 v72, 8, v72
	s_wait_loadcnt_dscnt 0x0
	v_pk_mul_f32 v[78:79], v[76:77], v[74:75] op_sel:[1,1] op_sel_hi:[0,1]
	s_delay_alu instid0(VALU_DEP_1) | instskip(SKIP_2) | instid1(VALU_DEP_3)
	v_pk_fma_f32 v[80:81], v[76:77], v[74:75], v[78:79] op_sel_hi:[1,0,1]
	v_add_nc_u32_e32 v73, 1, v73
	v_pk_fma_f32 v[74:75], v[76:77], v[74:75], v[78:79] neg_lo:[0,0,1] neg_hi:[0,0,1]
	v_mov_b32_e32 v75, v81
	s_delay_alu instid0(VALU_DEP_3) | instskip(NEXT) | instid1(VALU_DEP_2)
	v_cmp_lt_u32_e32 vcc_lo, 10, v73
	v_pk_add_f32 v[68:69], v[68:69], v[74:75]
	s_or_b32 s3, vcc_lo, s3
	s_delay_alu instid0(SALU_CYCLE_1)
	s_and_not1_b32 exec_lo, exec_lo, s3
	s_cbranch_execnz .LBB95_427
; %bb.428:
	s_or_b32 exec_lo, exec_lo, s3
.LBB95_429:
	s_delay_alu instid0(SALU_CYCLE_1) | instskip(SKIP_4) | instid1(VALU_DEP_1)
	s_or_b32 exec_lo, exec_lo, s2
	v_mov_b32_e32 v71, 0
	ds_load_b64 v[72:73], v71 offset:96
	s_wait_dscnt 0x0
	v_pk_mul_f32 v[74:75], v[68:69], v[72:73] op_sel:[1,1] op_sel_hi:[0,1]
	v_pk_fma_f32 v[76:77], v[68:69], v[72:73], v[74:75] op_sel_hi:[1,0,1]
	v_pk_fma_f32 v[68:69], v[68:69], v[72:73], v[74:75] neg_lo:[0,0,1] neg_hi:[0,0,1]
	s_delay_alu instid0(VALU_DEP_2)
	v_mov_b32_e32 v69, v77
	scratch_store_b64 off, v[68:69], off offset:96
.LBB95_430:
	s_wait_xcnt 0x0
	s_or_b32 exec_lo, exec_lo, s0
	scratch_load_b64 v[68:69], off, off offset:104
	s_mov_b32 s0, exec_lo
	s_wait_loadcnt 0x0
	ds_store_b64 v1, v[68:69]
	s_wait_storecnt_dscnt 0x0
	s_barrier_signal -1
	s_barrier_wait -1
	s_wait_xcnt 0x0
	v_cmpx_gt_u32_e32 13, v0
	s_cbranch_execz .LBB95_440
; %bb.431:
	v_cmp_ne_u32_e32 vcc_lo, 1, v70
	s_cbranch_vccnz .LBB95_433
; %bb.432:
	scratch_load_b64 v[68:69], v59, off
	ds_load_b64 v[72:73], v1
	s_wait_loadcnt_dscnt 0x0
	v_pk_mul_f32 v[74:75], v[72:73], v[68:69] op_sel:[1,1] op_sel_hi:[0,1]
	s_delay_alu instid0(VALU_DEP_1) | instskip(SKIP_1) | instid1(VALU_DEP_2)
	v_pk_fma_f32 v[76:77], v[72:73], v[68:69], v[74:75] op_sel_hi:[1,0,1]
	v_pk_fma_f32 v[68:69], v[72:73], v[68:69], v[74:75] neg_lo:[0,0,1] neg_hi:[0,0,1]
	v_mov_b32_e32 v69, v77
	s_cbranch_execz .LBB95_434
	s_branch .LBB95_435
.LBB95_433:
                                        ; implicit-def: $vgpr68_vgpr69
.LBB95_434:
	ds_load_b64 v[68:69], v1
.LBB95_435:
	s_mov_b32 s2, exec_lo
	v_cmpx_ne_u32_e32 12, v0
	s_cbranch_execz .LBB95_439
; %bb.436:
	v_add_nc_u32_e32 v71, 0x108, v58
	v_add3_u32 v72, 0, v58, 8
	v_mov_b32_e32 v73, v0
	s_mov_b32 s3, 0
.LBB95_437:                             ; =>This Inner Loop Header: Depth=1
	scratch_load_b64 v[74:75], v72, off
	ds_load_b64 v[76:77], v71
	s_wait_xcnt 0x0
	v_dual_add_nc_u32 v71, 8, v71 :: v_dual_add_nc_u32 v72, 8, v72
	s_wait_loadcnt_dscnt 0x0
	v_pk_mul_f32 v[78:79], v[76:77], v[74:75] op_sel:[1,1] op_sel_hi:[0,1]
	s_delay_alu instid0(VALU_DEP_1) | instskip(SKIP_2) | instid1(VALU_DEP_3)
	v_pk_fma_f32 v[80:81], v[76:77], v[74:75], v[78:79] op_sel_hi:[1,0,1]
	v_add_nc_u32_e32 v73, 1, v73
	v_pk_fma_f32 v[74:75], v[76:77], v[74:75], v[78:79] neg_lo:[0,0,1] neg_hi:[0,0,1]
	v_mov_b32_e32 v75, v81
	s_delay_alu instid0(VALU_DEP_3) | instskip(NEXT) | instid1(VALU_DEP_2)
	v_cmp_lt_u32_e32 vcc_lo, 11, v73
	v_pk_add_f32 v[68:69], v[68:69], v[74:75]
	s_or_b32 s3, vcc_lo, s3
	s_delay_alu instid0(SALU_CYCLE_1)
	s_and_not1_b32 exec_lo, exec_lo, s3
	s_cbranch_execnz .LBB95_437
; %bb.438:
	s_or_b32 exec_lo, exec_lo, s3
.LBB95_439:
	s_delay_alu instid0(SALU_CYCLE_1) | instskip(SKIP_4) | instid1(VALU_DEP_1)
	s_or_b32 exec_lo, exec_lo, s2
	v_mov_b32_e32 v71, 0
	ds_load_b64 v[72:73], v71 offset:104
	s_wait_dscnt 0x0
	v_pk_mul_f32 v[74:75], v[68:69], v[72:73] op_sel:[1,1] op_sel_hi:[0,1]
	v_pk_fma_f32 v[76:77], v[68:69], v[72:73], v[74:75] op_sel_hi:[1,0,1]
	v_pk_fma_f32 v[68:69], v[68:69], v[72:73], v[74:75] neg_lo:[0,0,1] neg_hi:[0,0,1]
	s_delay_alu instid0(VALU_DEP_2)
	v_mov_b32_e32 v69, v77
	scratch_store_b64 off, v[68:69], off offset:104
.LBB95_440:
	s_wait_xcnt 0x0
	s_or_b32 exec_lo, exec_lo, s0
	scratch_load_b64 v[68:69], off, off offset:112
	s_mov_b32 s0, exec_lo
	s_wait_loadcnt 0x0
	ds_store_b64 v1, v[68:69]
	s_wait_storecnt_dscnt 0x0
	s_barrier_signal -1
	s_barrier_wait -1
	s_wait_xcnt 0x0
	v_cmpx_gt_u32_e32 14, v0
	s_cbranch_execz .LBB95_450
; %bb.441:
	v_cmp_ne_u32_e32 vcc_lo, 1, v70
	s_cbranch_vccnz .LBB95_443
; %bb.442:
	scratch_load_b64 v[68:69], v59, off
	ds_load_b64 v[72:73], v1
	s_wait_loadcnt_dscnt 0x0
	v_pk_mul_f32 v[74:75], v[72:73], v[68:69] op_sel:[1,1] op_sel_hi:[0,1]
	s_delay_alu instid0(VALU_DEP_1) | instskip(SKIP_1) | instid1(VALU_DEP_2)
	v_pk_fma_f32 v[76:77], v[72:73], v[68:69], v[74:75] op_sel_hi:[1,0,1]
	v_pk_fma_f32 v[68:69], v[72:73], v[68:69], v[74:75] neg_lo:[0,0,1] neg_hi:[0,0,1]
	v_mov_b32_e32 v69, v77
	s_cbranch_execz .LBB95_444
	s_branch .LBB95_445
.LBB95_443:
                                        ; implicit-def: $vgpr68_vgpr69
.LBB95_444:
	ds_load_b64 v[68:69], v1
.LBB95_445:
	s_mov_b32 s2, exec_lo
	v_cmpx_ne_u32_e32 13, v0
	s_cbranch_execz .LBB95_449
; %bb.446:
	v_add_nc_u32_e32 v71, 0x108, v58
	v_add3_u32 v72, 0, v58, 8
	v_mov_b32_e32 v73, v0
	s_mov_b32 s3, 0
.LBB95_447:                             ; =>This Inner Loop Header: Depth=1
	scratch_load_b64 v[74:75], v72, off
	ds_load_b64 v[76:77], v71
	s_wait_xcnt 0x0
	v_dual_add_nc_u32 v71, 8, v71 :: v_dual_add_nc_u32 v72, 8, v72
	s_wait_loadcnt_dscnt 0x0
	v_pk_mul_f32 v[78:79], v[76:77], v[74:75] op_sel:[1,1] op_sel_hi:[0,1]
	s_delay_alu instid0(VALU_DEP_1) | instskip(SKIP_2) | instid1(VALU_DEP_3)
	v_pk_fma_f32 v[80:81], v[76:77], v[74:75], v[78:79] op_sel_hi:[1,0,1]
	v_add_nc_u32_e32 v73, 1, v73
	v_pk_fma_f32 v[74:75], v[76:77], v[74:75], v[78:79] neg_lo:[0,0,1] neg_hi:[0,0,1]
	v_mov_b32_e32 v75, v81
	s_delay_alu instid0(VALU_DEP_3) | instskip(NEXT) | instid1(VALU_DEP_2)
	v_cmp_lt_u32_e32 vcc_lo, 12, v73
	v_pk_add_f32 v[68:69], v[68:69], v[74:75]
	s_or_b32 s3, vcc_lo, s3
	s_delay_alu instid0(SALU_CYCLE_1)
	s_and_not1_b32 exec_lo, exec_lo, s3
	s_cbranch_execnz .LBB95_447
; %bb.448:
	s_or_b32 exec_lo, exec_lo, s3
.LBB95_449:
	s_delay_alu instid0(SALU_CYCLE_1) | instskip(SKIP_4) | instid1(VALU_DEP_1)
	s_or_b32 exec_lo, exec_lo, s2
	v_mov_b32_e32 v71, 0
	ds_load_b64 v[72:73], v71 offset:112
	s_wait_dscnt 0x0
	v_pk_mul_f32 v[74:75], v[68:69], v[72:73] op_sel:[1,1] op_sel_hi:[0,1]
	v_pk_fma_f32 v[76:77], v[68:69], v[72:73], v[74:75] op_sel_hi:[1,0,1]
	v_pk_fma_f32 v[68:69], v[68:69], v[72:73], v[74:75] neg_lo:[0,0,1] neg_hi:[0,0,1]
	s_delay_alu instid0(VALU_DEP_2)
	v_mov_b32_e32 v69, v77
	scratch_store_b64 off, v[68:69], off offset:112
.LBB95_450:
	s_wait_xcnt 0x0
	s_or_b32 exec_lo, exec_lo, s0
	scratch_load_b64 v[68:69], off, off offset:120
	s_mov_b32 s0, exec_lo
	s_wait_loadcnt 0x0
	ds_store_b64 v1, v[68:69]
	s_wait_storecnt_dscnt 0x0
	s_barrier_signal -1
	s_barrier_wait -1
	s_wait_xcnt 0x0
	v_cmpx_gt_u32_e32 15, v0
	s_cbranch_execz .LBB95_460
; %bb.451:
	v_cmp_ne_u32_e32 vcc_lo, 1, v70
	s_cbranch_vccnz .LBB95_453
; %bb.452:
	scratch_load_b64 v[68:69], v59, off
	ds_load_b64 v[72:73], v1
	s_wait_loadcnt_dscnt 0x0
	v_pk_mul_f32 v[74:75], v[72:73], v[68:69] op_sel:[1,1] op_sel_hi:[0,1]
	s_delay_alu instid0(VALU_DEP_1) | instskip(SKIP_1) | instid1(VALU_DEP_2)
	v_pk_fma_f32 v[76:77], v[72:73], v[68:69], v[74:75] op_sel_hi:[1,0,1]
	v_pk_fma_f32 v[68:69], v[72:73], v[68:69], v[74:75] neg_lo:[0,0,1] neg_hi:[0,0,1]
	v_mov_b32_e32 v69, v77
	s_cbranch_execz .LBB95_454
	s_branch .LBB95_455
.LBB95_453:
                                        ; implicit-def: $vgpr68_vgpr69
.LBB95_454:
	ds_load_b64 v[68:69], v1
.LBB95_455:
	s_mov_b32 s2, exec_lo
	v_cmpx_ne_u32_e32 14, v0
	s_cbranch_execz .LBB95_459
; %bb.456:
	v_add_nc_u32_e32 v71, 0x108, v58
	v_add3_u32 v72, 0, v58, 8
	v_mov_b32_e32 v73, v0
	s_mov_b32 s3, 0
.LBB95_457:                             ; =>This Inner Loop Header: Depth=1
	scratch_load_b64 v[74:75], v72, off
	ds_load_b64 v[76:77], v71
	s_wait_xcnt 0x0
	v_dual_add_nc_u32 v71, 8, v71 :: v_dual_add_nc_u32 v72, 8, v72
	s_wait_loadcnt_dscnt 0x0
	v_pk_mul_f32 v[78:79], v[76:77], v[74:75] op_sel:[1,1] op_sel_hi:[0,1]
	s_delay_alu instid0(VALU_DEP_1) | instskip(SKIP_2) | instid1(VALU_DEP_3)
	v_pk_fma_f32 v[80:81], v[76:77], v[74:75], v[78:79] op_sel_hi:[1,0,1]
	v_add_nc_u32_e32 v73, 1, v73
	v_pk_fma_f32 v[74:75], v[76:77], v[74:75], v[78:79] neg_lo:[0,0,1] neg_hi:[0,0,1]
	v_mov_b32_e32 v75, v81
	s_delay_alu instid0(VALU_DEP_3) | instskip(NEXT) | instid1(VALU_DEP_2)
	v_cmp_lt_u32_e32 vcc_lo, 13, v73
	v_pk_add_f32 v[68:69], v[68:69], v[74:75]
	s_or_b32 s3, vcc_lo, s3
	s_delay_alu instid0(SALU_CYCLE_1)
	s_and_not1_b32 exec_lo, exec_lo, s3
	s_cbranch_execnz .LBB95_457
; %bb.458:
	s_or_b32 exec_lo, exec_lo, s3
.LBB95_459:
	s_delay_alu instid0(SALU_CYCLE_1) | instskip(SKIP_4) | instid1(VALU_DEP_1)
	s_or_b32 exec_lo, exec_lo, s2
	v_mov_b32_e32 v71, 0
	ds_load_b64 v[72:73], v71 offset:120
	s_wait_dscnt 0x0
	v_pk_mul_f32 v[74:75], v[68:69], v[72:73] op_sel:[1,1] op_sel_hi:[0,1]
	v_pk_fma_f32 v[76:77], v[68:69], v[72:73], v[74:75] op_sel_hi:[1,0,1]
	v_pk_fma_f32 v[68:69], v[68:69], v[72:73], v[74:75] neg_lo:[0,0,1] neg_hi:[0,0,1]
	s_delay_alu instid0(VALU_DEP_2)
	v_mov_b32_e32 v69, v77
	scratch_store_b64 off, v[68:69], off offset:120
.LBB95_460:
	s_wait_xcnt 0x0
	s_or_b32 exec_lo, exec_lo, s0
	scratch_load_b64 v[68:69], off, off offset:128
	s_mov_b32 s0, exec_lo
	s_wait_loadcnt 0x0
	ds_store_b64 v1, v[68:69]
	s_wait_storecnt_dscnt 0x0
	s_barrier_signal -1
	s_barrier_wait -1
	s_wait_xcnt 0x0
	v_cmpx_gt_u32_e32 16, v0
	s_cbranch_execz .LBB95_470
; %bb.461:
	v_cmp_ne_u32_e32 vcc_lo, 1, v70
	s_cbranch_vccnz .LBB95_463
; %bb.462:
	scratch_load_b64 v[68:69], v59, off
	ds_load_b64 v[72:73], v1
	s_wait_loadcnt_dscnt 0x0
	v_pk_mul_f32 v[74:75], v[72:73], v[68:69] op_sel:[1,1] op_sel_hi:[0,1]
	s_delay_alu instid0(VALU_DEP_1) | instskip(SKIP_1) | instid1(VALU_DEP_2)
	v_pk_fma_f32 v[76:77], v[72:73], v[68:69], v[74:75] op_sel_hi:[1,0,1]
	v_pk_fma_f32 v[68:69], v[72:73], v[68:69], v[74:75] neg_lo:[0,0,1] neg_hi:[0,0,1]
	v_mov_b32_e32 v69, v77
	s_cbranch_execz .LBB95_464
	s_branch .LBB95_465
.LBB95_463:
                                        ; implicit-def: $vgpr68_vgpr69
.LBB95_464:
	ds_load_b64 v[68:69], v1
.LBB95_465:
	s_mov_b32 s2, exec_lo
	v_cmpx_ne_u32_e32 15, v0
	s_cbranch_execz .LBB95_469
; %bb.466:
	v_add_nc_u32_e32 v71, 0x108, v58
	v_add3_u32 v72, 0, v58, 8
	v_mov_b32_e32 v73, v0
	s_mov_b32 s3, 0
.LBB95_467:                             ; =>This Inner Loop Header: Depth=1
	scratch_load_b64 v[74:75], v72, off
	ds_load_b64 v[76:77], v71
	s_wait_xcnt 0x0
	v_dual_add_nc_u32 v71, 8, v71 :: v_dual_add_nc_u32 v72, 8, v72
	s_wait_loadcnt_dscnt 0x0
	v_pk_mul_f32 v[78:79], v[76:77], v[74:75] op_sel:[1,1] op_sel_hi:[0,1]
	s_delay_alu instid0(VALU_DEP_1) | instskip(SKIP_2) | instid1(VALU_DEP_3)
	v_pk_fma_f32 v[80:81], v[76:77], v[74:75], v[78:79] op_sel_hi:[1,0,1]
	v_add_nc_u32_e32 v73, 1, v73
	v_pk_fma_f32 v[74:75], v[76:77], v[74:75], v[78:79] neg_lo:[0,0,1] neg_hi:[0,0,1]
	v_mov_b32_e32 v75, v81
	s_delay_alu instid0(VALU_DEP_3) | instskip(NEXT) | instid1(VALU_DEP_2)
	v_cmp_lt_u32_e32 vcc_lo, 14, v73
	v_pk_add_f32 v[68:69], v[68:69], v[74:75]
	s_or_b32 s3, vcc_lo, s3
	s_delay_alu instid0(SALU_CYCLE_1)
	s_and_not1_b32 exec_lo, exec_lo, s3
	s_cbranch_execnz .LBB95_467
; %bb.468:
	s_or_b32 exec_lo, exec_lo, s3
.LBB95_469:
	s_delay_alu instid0(SALU_CYCLE_1) | instskip(SKIP_4) | instid1(VALU_DEP_1)
	s_or_b32 exec_lo, exec_lo, s2
	v_mov_b32_e32 v71, 0
	ds_load_b64 v[72:73], v71 offset:128
	s_wait_dscnt 0x0
	v_pk_mul_f32 v[74:75], v[68:69], v[72:73] op_sel:[1,1] op_sel_hi:[0,1]
	v_pk_fma_f32 v[76:77], v[68:69], v[72:73], v[74:75] op_sel_hi:[1,0,1]
	v_pk_fma_f32 v[68:69], v[68:69], v[72:73], v[74:75] neg_lo:[0,0,1] neg_hi:[0,0,1]
	s_delay_alu instid0(VALU_DEP_2)
	v_mov_b32_e32 v69, v77
	scratch_store_b64 off, v[68:69], off offset:128
.LBB95_470:
	s_wait_xcnt 0x0
	s_or_b32 exec_lo, exec_lo, s0
	scratch_load_b64 v[68:69], off, off offset:136
	s_mov_b32 s0, exec_lo
	s_wait_loadcnt 0x0
	ds_store_b64 v1, v[68:69]
	s_wait_storecnt_dscnt 0x0
	s_barrier_signal -1
	s_barrier_wait -1
	s_wait_xcnt 0x0
	v_cmpx_gt_u32_e32 17, v0
	s_cbranch_execz .LBB95_480
; %bb.471:
	v_cmp_ne_u32_e32 vcc_lo, 1, v70
	s_cbranch_vccnz .LBB95_473
; %bb.472:
	scratch_load_b64 v[68:69], v59, off
	ds_load_b64 v[72:73], v1
	s_wait_loadcnt_dscnt 0x0
	v_pk_mul_f32 v[74:75], v[72:73], v[68:69] op_sel:[1,1] op_sel_hi:[0,1]
	s_delay_alu instid0(VALU_DEP_1) | instskip(SKIP_1) | instid1(VALU_DEP_2)
	v_pk_fma_f32 v[76:77], v[72:73], v[68:69], v[74:75] op_sel_hi:[1,0,1]
	v_pk_fma_f32 v[68:69], v[72:73], v[68:69], v[74:75] neg_lo:[0,0,1] neg_hi:[0,0,1]
	v_mov_b32_e32 v69, v77
	s_cbranch_execz .LBB95_474
	s_branch .LBB95_475
.LBB95_473:
                                        ; implicit-def: $vgpr68_vgpr69
.LBB95_474:
	ds_load_b64 v[68:69], v1
.LBB95_475:
	s_mov_b32 s2, exec_lo
	v_cmpx_ne_u32_e32 16, v0
	s_cbranch_execz .LBB95_479
; %bb.476:
	v_add_nc_u32_e32 v71, 0x108, v58
	v_add3_u32 v72, 0, v58, 8
	v_mov_b32_e32 v73, v0
	s_mov_b32 s3, 0
.LBB95_477:                             ; =>This Inner Loop Header: Depth=1
	scratch_load_b64 v[74:75], v72, off
	ds_load_b64 v[76:77], v71
	s_wait_xcnt 0x0
	v_dual_add_nc_u32 v71, 8, v71 :: v_dual_add_nc_u32 v72, 8, v72
	s_wait_loadcnt_dscnt 0x0
	v_pk_mul_f32 v[78:79], v[76:77], v[74:75] op_sel:[1,1] op_sel_hi:[0,1]
	s_delay_alu instid0(VALU_DEP_1) | instskip(SKIP_2) | instid1(VALU_DEP_3)
	v_pk_fma_f32 v[80:81], v[76:77], v[74:75], v[78:79] op_sel_hi:[1,0,1]
	v_add_nc_u32_e32 v73, 1, v73
	v_pk_fma_f32 v[74:75], v[76:77], v[74:75], v[78:79] neg_lo:[0,0,1] neg_hi:[0,0,1]
	v_mov_b32_e32 v75, v81
	s_delay_alu instid0(VALU_DEP_3) | instskip(NEXT) | instid1(VALU_DEP_2)
	v_cmp_lt_u32_e32 vcc_lo, 15, v73
	v_pk_add_f32 v[68:69], v[68:69], v[74:75]
	s_or_b32 s3, vcc_lo, s3
	s_delay_alu instid0(SALU_CYCLE_1)
	s_and_not1_b32 exec_lo, exec_lo, s3
	s_cbranch_execnz .LBB95_477
; %bb.478:
	s_or_b32 exec_lo, exec_lo, s3
.LBB95_479:
	s_delay_alu instid0(SALU_CYCLE_1) | instskip(SKIP_4) | instid1(VALU_DEP_1)
	s_or_b32 exec_lo, exec_lo, s2
	v_mov_b32_e32 v71, 0
	ds_load_b64 v[72:73], v71 offset:136
	s_wait_dscnt 0x0
	v_pk_mul_f32 v[74:75], v[68:69], v[72:73] op_sel:[1,1] op_sel_hi:[0,1]
	v_pk_fma_f32 v[76:77], v[68:69], v[72:73], v[74:75] op_sel_hi:[1,0,1]
	v_pk_fma_f32 v[68:69], v[68:69], v[72:73], v[74:75] neg_lo:[0,0,1] neg_hi:[0,0,1]
	s_delay_alu instid0(VALU_DEP_2)
	v_mov_b32_e32 v69, v77
	scratch_store_b64 off, v[68:69], off offset:136
.LBB95_480:
	s_wait_xcnt 0x0
	s_or_b32 exec_lo, exec_lo, s0
	scratch_load_b64 v[68:69], off, off offset:144
	s_mov_b32 s0, exec_lo
	s_wait_loadcnt 0x0
	ds_store_b64 v1, v[68:69]
	s_wait_storecnt_dscnt 0x0
	s_barrier_signal -1
	s_barrier_wait -1
	s_wait_xcnt 0x0
	v_cmpx_gt_u32_e32 18, v0
	s_cbranch_execz .LBB95_490
; %bb.481:
	v_cmp_ne_u32_e32 vcc_lo, 1, v70
	s_cbranch_vccnz .LBB95_483
; %bb.482:
	scratch_load_b64 v[68:69], v59, off
	ds_load_b64 v[72:73], v1
	s_wait_loadcnt_dscnt 0x0
	v_pk_mul_f32 v[74:75], v[72:73], v[68:69] op_sel:[1,1] op_sel_hi:[0,1]
	s_delay_alu instid0(VALU_DEP_1) | instskip(SKIP_1) | instid1(VALU_DEP_2)
	v_pk_fma_f32 v[76:77], v[72:73], v[68:69], v[74:75] op_sel_hi:[1,0,1]
	v_pk_fma_f32 v[68:69], v[72:73], v[68:69], v[74:75] neg_lo:[0,0,1] neg_hi:[0,0,1]
	v_mov_b32_e32 v69, v77
	s_cbranch_execz .LBB95_484
	s_branch .LBB95_485
.LBB95_483:
                                        ; implicit-def: $vgpr68_vgpr69
.LBB95_484:
	ds_load_b64 v[68:69], v1
.LBB95_485:
	s_mov_b32 s2, exec_lo
	v_cmpx_ne_u32_e32 17, v0
	s_cbranch_execz .LBB95_489
; %bb.486:
	v_add_nc_u32_e32 v71, 0x108, v58
	v_add3_u32 v72, 0, v58, 8
	v_mov_b32_e32 v73, v0
	s_mov_b32 s3, 0
.LBB95_487:                             ; =>This Inner Loop Header: Depth=1
	scratch_load_b64 v[74:75], v72, off
	ds_load_b64 v[76:77], v71
	s_wait_xcnt 0x0
	v_dual_add_nc_u32 v71, 8, v71 :: v_dual_add_nc_u32 v72, 8, v72
	s_wait_loadcnt_dscnt 0x0
	v_pk_mul_f32 v[78:79], v[76:77], v[74:75] op_sel:[1,1] op_sel_hi:[0,1]
	s_delay_alu instid0(VALU_DEP_1) | instskip(SKIP_2) | instid1(VALU_DEP_3)
	v_pk_fma_f32 v[80:81], v[76:77], v[74:75], v[78:79] op_sel_hi:[1,0,1]
	v_add_nc_u32_e32 v73, 1, v73
	v_pk_fma_f32 v[74:75], v[76:77], v[74:75], v[78:79] neg_lo:[0,0,1] neg_hi:[0,0,1]
	v_mov_b32_e32 v75, v81
	s_delay_alu instid0(VALU_DEP_3) | instskip(NEXT) | instid1(VALU_DEP_2)
	v_cmp_lt_u32_e32 vcc_lo, 16, v73
	v_pk_add_f32 v[68:69], v[68:69], v[74:75]
	s_or_b32 s3, vcc_lo, s3
	s_delay_alu instid0(SALU_CYCLE_1)
	s_and_not1_b32 exec_lo, exec_lo, s3
	s_cbranch_execnz .LBB95_487
; %bb.488:
	s_or_b32 exec_lo, exec_lo, s3
.LBB95_489:
	s_delay_alu instid0(SALU_CYCLE_1) | instskip(SKIP_4) | instid1(VALU_DEP_1)
	s_or_b32 exec_lo, exec_lo, s2
	v_mov_b32_e32 v71, 0
	ds_load_b64 v[72:73], v71 offset:144
	s_wait_dscnt 0x0
	v_pk_mul_f32 v[74:75], v[68:69], v[72:73] op_sel:[1,1] op_sel_hi:[0,1]
	v_pk_fma_f32 v[76:77], v[68:69], v[72:73], v[74:75] op_sel_hi:[1,0,1]
	v_pk_fma_f32 v[68:69], v[68:69], v[72:73], v[74:75] neg_lo:[0,0,1] neg_hi:[0,0,1]
	s_delay_alu instid0(VALU_DEP_2)
	v_mov_b32_e32 v69, v77
	scratch_store_b64 off, v[68:69], off offset:144
.LBB95_490:
	s_wait_xcnt 0x0
	s_or_b32 exec_lo, exec_lo, s0
	scratch_load_b64 v[68:69], off, off offset:152
	s_mov_b32 s0, exec_lo
	s_wait_loadcnt 0x0
	ds_store_b64 v1, v[68:69]
	s_wait_storecnt_dscnt 0x0
	s_barrier_signal -1
	s_barrier_wait -1
	s_wait_xcnt 0x0
	v_cmpx_gt_u32_e32 19, v0
	s_cbranch_execz .LBB95_500
; %bb.491:
	v_cmp_ne_u32_e32 vcc_lo, 1, v70
	s_cbranch_vccnz .LBB95_493
; %bb.492:
	scratch_load_b64 v[68:69], v59, off
	ds_load_b64 v[72:73], v1
	s_wait_loadcnt_dscnt 0x0
	v_pk_mul_f32 v[74:75], v[72:73], v[68:69] op_sel:[1,1] op_sel_hi:[0,1]
	s_delay_alu instid0(VALU_DEP_1) | instskip(SKIP_1) | instid1(VALU_DEP_2)
	v_pk_fma_f32 v[76:77], v[72:73], v[68:69], v[74:75] op_sel_hi:[1,0,1]
	v_pk_fma_f32 v[68:69], v[72:73], v[68:69], v[74:75] neg_lo:[0,0,1] neg_hi:[0,0,1]
	v_mov_b32_e32 v69, v77
	s_cbranch_execz .LBB95_494
	s_branch .LBB95_495
.LBB95_493:
                                        ; implicit-def: $vgpr68_vgpr69
.LBB95_494:
	ds_load_b64 v[68:69], v1
.LBB95_495:
	s_mov_b32 s2, exec_lo
	v_cmpx_ne_u32_e32 18, v0
	s_cbranch_execz .LBB95_499
; %bb.496:
	v_add_nc_u32_e32 v71, 0x108, v58
	v_add3_u32 v72, 0, v58, 8
	v_mov_b32_e32 v73, v0
	s_mov_b32 s3, 0
.LBB95_497:                             ; =>This Inner Loop Header: Depth=1
	scratch_load_b64 v[74:75], v72, off
	ds_load_b64 v[76:77], v71
	s_wait_xcnt 0x0
	v_dual_add_nc_u32 v71, 8, v71 :: v_dual_add_nc_u32 v72, 8, v72
	s_wait_loadcnt_dscnt 0x0
	v_pk_mul_f32 v[78:79], v[76:77], v[74:75] op_sel:[1,1] op_sel_hi:[0,1]
	s_delay_alu instid0(VALU_DEP_1) | instskip(SKIP_2) | instid1(VALU_DEP_3)
	v_pk_fma_f32 v[80:81], v[76:77], v[74:75], v[78:79] op_sel_hi:[1,0,1]
	v_add_nc_u32_e32 v73, 1, v73
	v_pk_fma_f32 v[74:75], v[76:77], v[74:75], v[78:79] neg_lo:[0,0,1] neg_hi:[0,0,1]
	v_mov_b32_e32 v75, v81
	s_delay_alu instid0(VALU_DEP_3) | instskip(NEXT) | instid1(VALU_DEP_2)
	v_cmp_lt_u32_e32 vcc_lo, 17, v73
	v_pk_add_f32 v[68:69], v[68:69], v[74:75]
	s_or_b32 s3, vcc_lo, s3
	s_delay_alu instid0(SALU_CYCLE_1)
	s_and_not1_b32 exec_lo, exec_lo, s3
	s_cbranch_execnz .LBB95_497
; %bb.498:
	s_or_b32 exec_lo, exec_lo, s3
.LBB95_499:
	s_delay_alu instid0(SALU_CYCLE_1) | instskip(SKIP_4) | instid1(VALU_DEP_1)
	s_or_b32 exec_lo, exec_lo, s2
	v_mov_b32_e32 v71, 0
	ds_load_b64 v[72:73], v71 offset:152
	s_wait_dscnt 0x0
	v_pk_mul_f32 v[74:75], v[68:69], v[72:73] op_sel:[1,1] op_sel_hi:[0,1]
	v_pk_fma_f32 v[76:77], v[68:69], v[72:73], v[74:75] op_sel_hi:[1,0,1]
	v_pk_fma_f32 v[68:69], v[68:69], v[72:73], v[74:75] neg_lo:[0,0,1] neg_hi:[0,0,1]
	s_delay_alu instid0(VALU_DEP_2)
	v_mov_b32_e32 v69, v77
	scratch_store_b64 off, v[68:69], off offset:152
.LBB95_500:
	s_wait_xcnt 0x0
	s_or_b32 exec_lo, exec_lo, s0
	scratch_load_b64 v[68:69], off, off offset:160
	s_mov_b32 s0, exec_lo
	s_wait_loadcnt 0x0
	ds_store_b64 v1, v[68:69]
	s_wait_storecnt_dscnt 0x0
	s_barrier_signal -1
	s_barrier_wait -1
	s_wait_xcnt 0x0
	v_cmpx_gt_u32_e32 20, v0
	s_cbranch_execz .LBB95_510
; %bb.501:
	v_cmp_ne_u32_e32 vcc_lo, 1, v70
	s_cbranch_vccnz .LBB95_503
; %bb.502:
	scratch_load_b64 v[68:69], v59, off
	ds_load_b64 v[72:73], v1
	s_wait_loadcnt_dscnt 0x0
	v_pk_mul_f32 v[74:75], v[72:73], v[68:69] op_sel:[1,1] op_sel_hi:[0,1]
	s_delay_alu instid0(VALU_DEP_1) | instskip(SKIP_1) | instid1(VALU_DEP_2)
	v_pk_fma_f32 v[76:77], v[72:73], v[68:69], v[74:75] op_sel_hi:[1,0,1]
	v_pk_fma_f32 v[68:69], v[72:73], v[68:69], v[74:75] neg_lo:[0,0,1] neg_hi:[0,0,1]
	v_mov_b32_e32 v69, v77
	s_cbranch_execz .LBB95_504
	s_branch .LBB95_505
.LBB95_503:
                                        ; implicit-def: $vgpr68_vgpr69
.LBB95_504:
	ds_load_b64 v[68:69], v1
.LBB95_505:
	s_mov_b32 s2, exec_lo
	v_cmpx_ne_u32_e32 19, v0
	s_cbranch_execz .LBB95_509
; %bb.506:
	v_add_nc_u32_e32 v71, 0x108, v58
	v_add3_u32 v72, 0, v58, 8
	v_mov_b32_e32 v73, v0
	s_mov_b32 s3, 0
.LBB95_507:                             ; =>This Inner Loop Header: Depth=1
	scratch_load_b64 v[74:75], v72, off
	ds_load_b64 v[76:77], v71
	s_wait_xcnt 0x0
	v_dual_add_nc_u32 v71, 8, v71 :: v_dual_add_nc_u32 v72, 8, v72
	s_wait_loadcnt_dscnt 0x0
	v_pk_mul_f32 v[78:79], v[76:77], v[74:75] op_sel:[1,1] op_sel_hi:[0,1]
	s_delay_alu instid0(VALU_DEP_1) | instskip(SKIP_2) | instid1(VALU_DEP_3)
	v_pk_fma_f32 v[80:81], v[76:77], v[74:75], v[78:79] op_sel_hi:[1,0,1]
	v_add_nc_u32_e32 v73, 1, v73
	v_pk_fma_f32 v[74:75], v[76:77], v[74:75], v[78:79] neg_lo:[0,0,1] neg_hi:[0,0,1]
	v_mov_b32_e32 v75, v81
	s_delay_alu instid0(VALU_DEP_3) | instskip(NEXT) | instid1(VALU_DEP_2)
	v_cmp_lt_u32_e32 vcc_lo, 18, v73
	v_pk_add_f32 v[68:69], v[68:69], v[74:75]
	s_or_b32 s3, vcc_lo, s3
	s_delay_alu instid0(SALU_CYCLE_1)
	s_and_not1_b32 exec_lo, exec_lo, s3
	s_cbranch_execnz .LBB95_507
; %bb.508:
	s_or_b32 exec_lo, exec_lo, s3
.LBB95_509:
	s_delay_alu instid0(SALU_CYCLE_1) | instskip(SKIP_4) | instid1(VALU_DEP_1)
	s_or_b32 exec_lo, exec_lo, s2
	v_mov_b32_e32 v71, 0
	ds_load_b64 v[72:73], v71 offset:160
	s_wait_dscnt 0x0
	v_pk_mul_f32 v[74:75], v[68:69], v[72:73] op_sel:[1,1] op_sel_hi:[0,1]
	v_pk_fma_f32 v[76:77], v[68:69], v[72:73], v[74:75] op_sel_hi:[1,0,1]
	v_pk_fma_f32 v[68:69], v[68:69], v[72:73], v[74:75] neg_lo:[0,0,1] neg_hi:[0,0,1]
	s_delay_alu instid0(VALU_DEP_2)
	v_mov_b32_e32 v69, v77
	scratch_store_b64 off, v[68:69], off offset:160
.LBB95_510:
	s_wait_xcnt 0x0
	s_or_b32 exec_lo, exec_lo, s0
	scratch_load_b64 v[68:69], off, off offset:168
	s_mov_b32 s0, exec_lo
	s_wait_loadcnt 0x0
	ds_store_b64 v1, v[68:69]
	s_wait_storecnt_dscnt 0x0
	s_barrier_signal -1
	s_barrier_wait -1
	s_wait_xcnt 0x0
	v_cmpx_gt_u32_e32 21, v0
	s_cbranch_execz .LBB95_520
; %bb.511:
	v_cmp_ne_u32_e32 vcc_lo, 1, v70
	s_cbranch_vccnz .LBB95_513
; %bb.512:
	scratch_load_b64 v[68:69], v59, off
	ds_load_b64 v[72:73], v1
	s_wait_loadcnt_dscnt 0x0
	v_pk_mul_f32 v[74:75], v[72:73], v[68:69] op_sel:[1,1] op_sel_hi:[0,1]
	s_delay_alu instid0(VALU_DEP_1) | instskip(SKIP_1) | instid1(VALU_DEP_2)
	v_pk_fma_f32 v[76:77], v[72:73], v[68:69], v[74:75] op_sel_hi:[1,0,1]
	v_pk_fma_f32 v[68:69], v[72:73], v[68:69], v[74:75] neg_lo:[0,0,1] neg_hi:[0,0,1]
	v_mov_b32_e32 v69, v77
	s_cbranch_execz .LBB95_514
	s_branch .LBB95_515
.LBB95_513:
                                        ; implicit-def: $vgpr68_vgpr69
.LBB95_514:
	ds_load_b64 v[68:69], v1
.LBB95_515:
	s_mov_b32 s2, exec_lo
	v_cmpx_ne_u32_e32 20, v0
	s_cbranch_execz .LBB95_519
; %bb.516:
	v_add_nc_u32_e32 v71, 0x108, v58
	v_add3_u32 v72, 0, v58, 8
	v_mov_b32_e32 v73, v0
	s_mov_b32 s3, 0
.LBB95_517:                             ; =>This Inner Loop Header: Depth=1
	scratch_load_b64 v[74:75], v72, off
	ds_load_b64 v[76:77], v71
	s_wait_xcnt 0x0
	v_dual_add_nc_u32 v71, 8, v71 :: v_dual_add_nc_u32 v72, 8, v72
	s_wait_loadcnt_dscnt 0x0
	v_pk_mul_f32 v[78:79], v[76:77], v[74:75] op_sel:[1,1] op_sel_hi:[0,1]
	s_delay_alu instid0(VALU_DEP_1) | instskip(SKIP_2) | instid1(VALU_DEP_3)
	v_pk_fma_f32 v[80:81], v[76:77], v[74:75], v[78:79] op_sel_hi:[1,0,1]
	v_add_nc_u32_e32 v73, 1, v73
	v_pk_fma_f32 v[74:75], v[76:77], v[74:75], v[78:79] neg_lo:[0,0,1] neg_hi:[0,0,1]
	v_mov_b32_e32 v75, v81
	s_delay_alu instid0(VALU_DEP_3) | instskip(NEXT) | instid1(VALU_DEP_2)
	v_cmp_lt_u32_e32 vcc_lo, 19, v73
	v_pk_add_f32 v[68:69], v[68:69], v[74:75]
	s_or_b32 s3, vcc_lo, s3
	s_delay_alu instid0(SALU_CYCLE_1)
	s_and_not1_b32 exec_lo, exec_lo, s3
	s_cbranch_execnz .LBB95_517
; %bb.518:
	s_or_b32 exec_lo, exec_lo, s3
.LBB95_519:
	s_delay_alu instid0(SALU_CYCLE_1) | instskip(SKIP_4) | instid1(VALU_DEP_1)
	s_or_b32 exec_lo, exec_lo, s2
	v_mov_b32_e32 v71, 0
	ds_load_b64 v[72:73], v71 offset:168
	s_wait_dscnt 0x0
	v_pk_mul_f32 v[74:75], v[68:69], v[72:73] op_sel:[1,1] op_sel_hi:[0,1]
	v_pk_fma_f32 v[76:77], v[68:69], v[72:73], v[74:75] op_sel_hi:[1,0,1]
	v_pk_fma_f32 v[68:69], v[68:69], v[72:73], v[74:75] neg_lo:[0,0,1] neg_hi:[0,0,1]
	s_delay_alu instid0(VALU_DEP_2)
	v_mov_b32_e32 v69, v77
	scratch_store_b64 off, v[68:69], off offset:168
.LBB95_520:
	s_wait_xcnt 0x0
	s_or_b32 exec_lo, exec_lo, s0
	scratch_load_b64 v[68:69], off, off offset:176
	s_mov_b32 s0, exec_lo
	s_wait_loadcnt 0x0
	ds_store_b64 v1, v[68:69]
	s_wait_storecnt_dscnt 0x0
	s_barrier_signal -1
	s_barrier_wait -1
	s_wait_xcnt 0x0
	v_cmpx_gt_u32_e32 22, v0
	s_cbranch_execz .LBB95_530
; %bb.521:
	v_cmp_ne_u32_e32 vcc_lo, 1, v70
	s_cbranch_vccnz .LBB95_523
; %bb.522:
	scratch_load_b64 v[68:69], v59, off
	ds_load_b64 v[72:73], v1
	s_wait_loadcnt_dscnt 0x0
	v_pk_mul_f32 v[74:75], v[72:73], v[68:69] op_sel:[1,1] op_sel_hi:[0,1]
	s_delay_alu instid0(VALU_DEP_1) | instskip(SKIP_1) | instid1(VALU_DEP_2)
	v_pk_fma_f32 v[76:77], v[72:73], v[68:69], v[74:75] op_sel_hi:[1,0,1]
	v_pk_fma_f32 v[68:69], v[72:73], v[68:69], v[74:75] neg_lo:[0,0,1] neg_hi:[0,0,1]
	v_mov_b32_e32 v69, v77
	s_cbranch_execz .LBB95_524
	s_branch .LBB95_525
.LBB95_523:
                                        ; implicit-def: $vgpr68_vgpr69
.LBB95_524:
	ds_load_b64 v[68:69], v1
.LBB95_525:
	s_mov_b32 s2, exec_lo
	v_cmpx_ne_u32_e32 21, v0
	s_cbranch_execz .LBB95_529
; %bb.526:
	v_add_nc_u32_e32 v71, 0x108, v58
	v_add3_u32 v72, 0, v58, 8
	v_mov_b32_e32 v73, v0
	s_mov_b32 s3, 0
.LBB95_527:                             ; =>This Inner Loop Header: Depth=1
	scratch_load_b64 v[74:75], v72, off
	ds_load_b64 v[76:77], v71
	s_wait_xcnt 0x0
	v_dual_add_nc_u32 v71, 8, v71 :: v_dual_add_nc_u32 v72, 8, v72
	s_wait_loadcnt_dscnt 0x0
	v_pk_mul_f32 v[78:79], v[76:77], v[74:75] op_sel:[1,1] op_sel_hi:[0,1]
	s_delay_alu instid0(VALU_DEP_1) | instskip(SKIP_2) | instid1(VALU_DEP_3)
	v_pk_fma_f32 v[80:81], v[76:77], v[74:75], v[78:79] op_sel_hi:[1,0,1]
	v_add_nc_u32_e32 v73, 1, v73
	v_pk_fma_f32 v[74:75], v[76:77], v[74:75], v[78:79] neg_lo:[0,0,1] neg_hi:[0,0,1]
	v_mov_b32_e32 v75, v81
	s_delay_alu instid0(VALU_DEP_3) | instskip(NEXT) | instid1(VALU_DEP_2)
	v_cmp_lt_u32_e32 vcc_lo, 20, v73
	v_pk_add_f32 v[68:69], v[68:69], v[74:75]
	s_or_b32 s3, vcc_lo, s3
	s_delay_alu instid0(SALU_CYCLE_1)
	s_and_not1_b32 exec_lo, exec_lo, s3
	s_cbranch_execnz .LBB95_527
; %bb.528:
	s_or_b32 exec_lo, exec_lo, s3
.LBB95_529:
	s_delay_alu instid0(SALU_CYCLE_1) | instskip(SKIP_4) | instid1(VALU_DEP_1)
	s_or_b32 exec_lo, exec_lo, s2
	v_mov_b32_e32 v71, 0
	ds_load_b64 v[72:73], v71 offset:176
	s_wait_dscnt 0x0
	v_pk_mul_f32 v[74:75], v[68:69], v[72:73] op_sel:[1,1] op_sel_hi:[0,1]
	v_pk_fma_f32 v[76:77], v[68:69], v[72:73], v[74:75] op_sel_hi:[1,0,1]
	v_pk_fma_f32 v[68:69], v[68:69], v[72:73], v[74:75] neg_lo:[0,0,1] neg_hi:[0,0,1]
	s_delay_alu instid0(VALU_DEP_2)
	v_mov_b32_e32 v69, v77
	scratch_store_b64 off, v[68:69], off offset:176
.LBB95_530:
	s_wait_xcnt 0x0
	s_or_b32 exec_lo, exec_lo, s0
	scratch_load_b64 v[68:69], off, off offset:184
	s_mov_b32 s0, exec_lo
	s_wait_loadcnt 0x0
	ds_store_b64 v1, v[68:69]
	s_wait_storecnt_dscnt 0x0
	s_barrier_signal -1
	s_barrier_wait -1
	s_wait_xcnt 0x0
	v_cmpx_gt_u32_e32 23, v0
	s_cbranch_execz .LBB95_540
; %bb.531:
	v_cmp_ne_u32_e32 vcc_lo, 1, v70
	s_cbranch_vccnz .LBB95_533
; %bb.532:
	scratch_load_b64 v[68:69], v59, off
	ds_load_b64 v[72:73], v1
	s_wait_loadcnt_dscnt 0x0
	v_pk_mul_f32 v[74:75], v[72:73], v[68:69] op_sel:[1,1] op_sel_hi:[0,1]
	s_delay_alu instid0(VALU_DEP_1) | instskip(SKIP_1) | instid1(VALU_DEP_2)
	v_pk_fma_f32 v[76:77], v[72:73], v[68:69], v[74:75] op_sel_hi:[1,0,1]
	v_pk_fma_f32 v[68:69], v[72:73], v[68:69], v[74:75] neg_lo:[0,0,1] neg_hi:[0,0,1]
	v_mov_b32_e32 v69, v77
	s_cbranch_execz .LBB95_534
	s_branch .LBB95_535
.LBB95_533:
                                        ; implicit-def: $vgpr68_vgpr69
.LBB95_534:
	ds_load_b64 v[68:69], v1
.LBB95_535:
	s_mov_b32 s2, exec_lo
	v_cmpx_ne_u32_e32 22, v0
	s_cbranch_execz .LBB95_539
; %bb.536:
	v_add_nc_u32_e32 v71, 0x108, v58
	v_add3_u32 v72, 0, v58, 8
	v_mov_b32_e32 v73, v0
	s_mov_b32 s3, 0
.LBB95_537:                             ; =>This Inner Loop Header: Depth=1
	scratch_load_b64 v[74:75], v72, off
	ds_load_b64 v[76:77], v71
	s_wait_xcnt 0x0
	v_dual_add_nc_u32 v71, 8, v71 :: v_dual_add_nc_u32 v72, 8, v72
	s_wait_loadcnt_dscnt 0x0
	v_pk_mul_f32 v[78:79], v[76:77], v[74:75] op_sel:[1,1] op_sel_hi:[0,1]
	s_delay_alu instid0(VALU_DEP_1) | instskip(SKIP_2) | instid1(VALU_DEP_3)
	v_pk_fma_f32 v[80:81], v[76:77], v[74:75], v[78:79] op_sel_hi:[1,0,1]
	v_add_nc_u32_e32 v73, 1, v73
	v_pk_fma_f32 v[74:75], v[76:77], v[74:75], v[78:79] neg_lo:[0,0,1] neg_hi:[0,0,1]
	v_mov_b32_e32 v75, v81
	s_delay_alu instid0(VALU_DEP_3) | instskip(NEXT) | instid1(VALU_DEP_2)
	v_cmp_lt_u32_e32 vcc_lo, 21, v73
	v_pk_add_f32 v[68:69], v[68:69], v[74:75]
	s_or_b32 s3, vcc_lo, s3
	s_delay_alu instid0(SALU_CYCLE_1)
	s_and_not1_b32 exec_lo, exec_lo, s3
	s_cbranch_execnz .LBB95_537
; %bb.538:
	s_or_b32 exec_lo, exec_lo, s3
.LBB95_539:
	s_delay_alu instid0(SALU_CYCLE_1) | instskip(SKIP_4) | instid1(VALU_DEP_1)
	s_or_b32 exec_lo, exec_lo, s2
	v_mov_b32_e32 v71, 0
	ds_load_b64 v[72:73], v71 offset:184
	s_wait_dscnt 0x0
	v_pk_mul_f32 v[74:75], v[68:69], v[72:73] op_sel:[1,1] op_sel_hi:[0,1]
	v_pk_fma_f32 v[76:77], v[68:69], v[72:73], v[74:75] op_sel_hi:[1,0,1]
	v_pk_fma_f32 v[68:69], v[68:69], v[72:73], v[74:75] neg_lo:[0,0,1] neg_hi:[0,0,1]
	s_delay_alu instid0(VALU_DEP_2)
	v_mov_b32_e32 v69, v77
	scratch_store_b64 off, v[68:69], off offset:184
.LBB95_540:
	s_wait_xcnt 0x0
	s_or_b32 exec_lo, exec_lo, s0
	scratch_load_b64 v[68:69], off, off offset:192
	s_mov_b32 s0, exec_lo
	s_wait_loadcnt 0x0
	ds_store_b64 v1, v[68:69]
	s_wait_storecnt_dscnt 0x0
	s_barrier_signal -1
	s_barrier_wait -1
	s_wait_xcnt 0x0
	v_cmpx_gt_u32_e32 24, v0
	s_cbranch_execz .LBB95_550
; %bb.541:
	v_cmp_ne_u32_e32 vcc_lo, 1, v70
	s_cbranch_vccnz .LBB95_543
; %bb.542:
	scratch_load_b64 v[68:69], v59, off
	ds_load_b64 v[72:73], v1
	s_wait_loadcnt_dscnt 0x0
	v_pk_mul_f32 v[74:75], v[72:73], v[68:69] op_sel:[1,1] op_sel_hi:[0,1]
	s_delay_alu instid0(VALU_DEP_1) | instskip(SKIP_1) | instid1(VALU_DEP_2)
	v_pk_fma_f32 v[76:77], v[72:73], v[68:69], v[74:75] op_sel_hi:[1,0,1]
	v_pk_fma_f32 v[68:69], v[72:73], v[68:69], v[74:75] neg_lo:[0,0,1] neg_hi:[0,0,1]
	v_mov_b32_e32 v69, v77
	s_cbranch_execz .LBB95_544
	s_branch .LBB95_545
.LBB95_543:
                                        ; implicit-def: $vgpr68_vgpr69
.LBB95_544:
	ds_load_b64 v[68:69], v1
.LBB95_545:
	s_mov_b32 s2, exec_lo
	v_cmpx_ne_u32_e32 23, v0
	s_cbranch_execz .LBB95_549
; %bb.546:
	v_add_nc_u32_e32 v71, 0x108, v58
	v_add3_u32 v72, 0, v58, 8
	v_mov_b32_e32 v73, v0
	s_mov_b32 s3, 0
.LBB95_547:                             ; =>This Inner Loop Header: Depth=1
	scratch_load_b64 v[74:75], v72, off
	ds_load_b64 v[76:77], v71
	s_wait_xcnt 0x0
	v_dual_add_nc_u32 v71, 8, v71 :: v_dual_add_nc_u32 v72, 8, v72
	s_wait_loadcnt_dscnt 0x0
	v_pk_mul_f32 v[78:79], v[76:77], v[74:75] op_sel:[1,1] op_sel_hi:[0,1]
	s_delay_alu instid0(VALU_DEP_1) | instskip(SKIP_2) | instid1(VALU_DEP_3)
	v_pk_fma_f32 v[80:81], v[76:77], v[74:75], v[78:79] op_sel_hi:[1,0,1]
	v_add_nc_u32_e32 v73, 1, v73
	v_pk_fma_f32 v[74:75], v[76:77], v[74:75], v[78:79] neg_lo:[0,0,1] neg_hi:[0,0,1]
	v_mov_b32_e32 v75, v81
	s_delay_alu instid0(VALU_DEP_3) | instskip(NEXT) | instid1(VALU_DEP_2)
	v_cmp_lt_u32_e32 vcc_lo, 22, v73
	v_pk_add_f32 v[68:69], v[68:69], v[74:75]
	s_or_b32 s3, vcc_lo, s3
	s_delay_alu instid0(SALU_CYCLE_1)
	s_and_not1_b32 exec_lo, exec_lo, s3
	s_cbranch_execnz .LBB95_547
; %bb.548:
	s_or_b32 exec_lo, exec_lo, s3
.LBB95_549:
	s_delay_alu instid0(SALU_CYCLE_1) | instskip(SKIP_4) | instid1(VALU_DEP_1)
	s_or_b32 exec_lo, exec_lo, s2
	v_mov_b32_e32 v71, 0
	ds_load_b64 v[72:73], v71 offset:192
	s_wait_dscnt 0x0
	v_pk_mul_f32 v[74:75], v[68:69], v[72:73] op_sel:[1,1] op_sel_hi:[0,1]
	v_pk_fma_f32 v[76:77], v[68:69], v[72:73], v[74:75] op_sel_hi:[1,0,1]
	v_pk_fma_f32 v[68:69], v[68:69], v[72:73], v[74:75] neg_lo:[0,0,1] neg_hi:[0,0,1]
	s_delay_alu instid0(VALU_DEP_2)
	v_mov_b32_e32 v69, v77
	scratch_store_b64 off, v[68:69], off offset:192
.LBB95_550:
	s_wait_xcnt 0x0
	s_or_b32 exec_lo, exec_lo, s0
	scratch_load_b64 v[68:69], off, off offset:200
	s_mov_b32 s0, exec_lo
	s_wait_loadcnt 0x0
	ds_store_b64 v1, v[68:69]
	s_wait_storecnt_dscnt 0x0
	s_barrier_signal -1
	s_barrier_wait -1
	s_wait_xcnt 0x0
	v_cmpx_gt_u32_e32 25, v0
	s_cbranch_execz .LBB95_560
; %bb.551:
	v_cmp_ne_u32_e32 vcc_lo, 1, v70
	s_cbranch_vccnz .LBB95_553
; %bb.552:
	scratch_load_b64 v[68:69], v59, off
	ds_load_b64 v[72:73], v1
	s_wait_loadcnt_dscnt 0x0
	v_pk_mul_f32 v[74:75], v[72:73], v[68:69] op_sel:[1,1] op_sel_hi:[0,1]
	s_delay_alu instid0(VALU_DEP_1) | instskip(SKIP_1) | instid1(VALU_DEP_2)
	v_pk_fma_f32 v[76:77], v[72:73], v[68:69], v[74:75] op_sel_hi:[1,0,1]
	v_pk_fma_f32 v[68:69], v[72:73], v[68:69], v[74:75] neg_lo:[0,0,1] neg_hi:[0,0,1]
	v_mov_b32_e32 v69, v77
	s_cbranch_execz .LBB95_554
	s_branch .LBB95_555
.LBB95_553:
                                        ; implicit-def: $vgpr68_vgpr69
.LBB95_554:
	ds_load_b64 v[68:69], v1
.LBB95_555:
	s_mov_b32 s2, exec_lo
	v_cmpx_ne_u32_e32 24, v0
	s_cbranch_execz .LBB95_559
; %bb.556:
	v_add_nc_u32_e32 v71, 0x108, v58
	v_add3_u32 v72, 0, v58, 8
	v_mov_b32_e32 v73, v0
	s_mov_b32 s3, 0
.LBB95_557:                             ; =>This Inner Loop Header: Depth=1
	scratch_load_b64 v[74:75], v72, off
	ds_load_b64 v[76:77], v71
	s_wait_xcnt 0x0
	v_dual_add_nc_u32 v71, 8, v71 :: v_dual_add_nc_u32 v72, 8, v72
	s_wait_loadcnt_dscnt 0x0
	v_pk_mul_f32 v[78:79], v[76:77], v[74:75] op_sel:[1,1] op_sel_hi:[0,1]
	s_delay_alu instid0(VALU_DEP_1) | instskip(SKIP_2) | instid1(VALU_DEP_3)
	v_pk_fma_f32 v[80:81], v[76:77], v[74:75], v[78:79] op_sel_hi:[1,0,1]
	v_add_nc_u32_e32 v73, 1, v73
	v_pk_fma_f32 v[74:75], v[76:77], v[74:75], v[78:79] neg_lo:[0,0,1] neg_hi:[0,0,1]
	v_mov_b32_e32 v75, v81
	s_delay_alu instid0(VALU_DEP_3) | instskip(NEXT) | instid1(VALU_DEP_2)
	v_cmp_lt_u32_e32 vcc_lo, 23, v73
	v_pk_add_f32 v[68:69], v[68:69], v[74:75]
	s_or_b32 s3, vcc_lo, s3
	s_delay_alu instid0(SALU_CYCLE_1)
	s_and_not1_b32 exec_lo, exec_lo, s3
	s_cbranch_execnz .LBB95_557
; %bb.558:
	s_or_b32 exec_lo, exec_lo, s3
.LBB95_559:
	s_delay_alu instid0(SALU_CYCLE_1) | instskip(SKIP_4) | instid1(VALU_DEP_1)
	s_or_b32 exec_lo, exec_lo, s2
	v_mov_b32_e32 v71, 0
	ds_load_b64 v[72:73], v71 offset:200
	s_wait_dscnt 0x0
	v_pk_mul_f32 v[74:75], v[68:69], v[72:73] op_sel:[1,1] op_sel_hi:[0,1]
	v_pk_fma_f32 v[76:77], v[68:69], v[72:73], v[74:75] op_sel_hi:[1,0,1]
	v_pk_fma_f32 v[68:69], v[68:69], v[72:73], v[74:75] neg_lo:[0,0,1] neg_hi:[0,0,1]
	s_delay_alu instid0(VALU_DEP_2)
	v_mov_b32_e32 v69, v77
	scratch_store_b64 off, v[68:69], off offset:200
.LBB95_560:
	s_wait_xcnt 0x0
	s_or_b32 exec_lo, exec_lo, s0
	scratch_load_b64 v[68:69], off, off offset:208
	s_mov_b32 s0, exec_lo
	s_wait_loadcnt 0x0
	ds_store_b64 v1, v[68:69]
	s_wait_storecnt_dscnt 0x0
	s_barrier_signal -1
	s_barrier_wait -1
	s_wait_xcnt 0x0
	v_cmpx_gt_u32_e32 26, v0
	s_cbranch_execz .LBB95_570
; %bb.561:
	v_cmp_ne_u32_e32 vcc_lo, 1, v70
	s_cbranch_vccnz .LBB95_563
; %bb.562:
	scratch_load_b64 v[68:69], v59, off
	ds_load_b64 v[72:73], v1
	s_wait_loadcnt_dscnt 0x0
	v_pk_mul_f32 v[74:75], v[72:73], v[68:69] op_sel:[1,1] op_sel_hi:[0,1]
	s_delay_alu instid0(VALU_DEP_1) | instskip(SKIP_1) | instid1(VALU_DEP_2)
	v_pk_fma_f32 v[76:77], v[72:73], v[68:69], v[74:75] op_sel_hi:[1,0,1]
	v_pk_fma_f32 v[68:69], v[72:73], v[68:69], v[74:75] neg_lo:[0,0,1] neg_hi:[0,0,1]
	v_mov_b32_e32 v69, v77
	s_cbranch_execz .LBB95_564
	s_branch .LBB95_565
.LBB95_563:
                                        ; implicit-def: $vgpr68_vgpr69
.LBB95_564:
	ds_load_b64 v[68:69], v1
.LBB95_565:
	s_mov_b32 s2, exec_lo
	v_cmpx_ne_u32_e32 25, v0
	s_cbranch_execz .LBB95_569
; %bb.566:
	v_add_nc_u32_e32 v71, 0x108, v58
	v_add3_u32 v72, 0, v58, 8
	v_mov_b32_e32 v73, v0
	s_mov_b32 s3, 0
.LBB95_567:                             ; =>This Inner Loop Header: Depth=1
	scratch_load_b64 v[74:75], v72, off
	ds_load_b64 v[76:77], v71
	s_wait_xcnt 0x0
	v_dual_add_nc_u32 v71, 8, v71 :: v_dual_add_nc_u32 v72, 8, v72
	s_wait_loadcnt_dscnt 0x0
	v_pk_mul_f32 v[78:79], v[76:77], v[74:75] op_sel:[1,1] op_sel_hi:[0,1]
	s_delay_alu instid0(VALU_DEP_1) | instskip(SKIP_2) | instid1(VALU_DEP_3)
	v_pk_fma_f32 v[80:81], v[76:77], v[74:75], v[78:79] op_sel_hi:[1,0,1]
	v_add_nc_u32_e32 v73, 1, v73
	v_pk_fma_f32 v[74:75], v[76:77], v[74:75], v[78:79] neg_lo:[0,0,1] neg_hi:[0,0,1]
	v_mov_b32_e32 v75, v81
	s_delay_alu instid0(VALU_DEP_3) | instskip(NEXT) | instid1(VALU_DEP_2)
	v_cmp_lt_u32_e32 vcc_lo, 24, v73
	v_pk_add_f32 v[68:69], v[68:69], v[74:75]
	s_or_b32 s3, vcc_lo, s3
	s_delay_alu instid0(SALU_CYCLE_1)
	s_and_not1_b32 exec_lo, exec_lo, s3
	s_cbranch_execnz .LBB95_567
; %bb.568:
	s_or_b32 exec_lo, exec_lo, s3
.LBB95_569:
	s_delay_alu instid0(SALU_CYCLE_1) | instskip(SKIP_4) | instid1(VALU_DEP_1)
	s_or_b32 exec_lo, exec_lo, s2
	v_mov_b32_e32 v71, 0
	ds_load_b64 v[72:73], v71 offset:208
	s_wait_dscnt 0x0
	v_pk_mul_f32 v[74:75], v[68:69], v[72:73] op_sel:[1,1] op_sel_hi:[0,1]
	v_pk_fma_f32 v[76:77], v[68:69], v[72:73], v[74:75] op_sel_hi:[1,0,1]
	v_pk_fma_f32 v[68:69], v[68:69], v[72:73], v[74:75] neg_lo:[0,0,1] neg_hi:[0,0,1]
	s_delay_alu instid0(VALU_DEP_2)
	v_mov_b32_e32 v69, v77
	scratch_store_b64 off, v[68:69], off offset:208
.LBB95_570:
	s_wait_xcnt 0x0
	s_or_b32 exec_lo, exec_lo, s0
	scratch_load_b64 v[68:69], off, off offset:216
	s_mov_b32 s0, exec_lo
	s_wait_loadcnt 0x0
	ds_store_b64 v1, v[68:69]
	s_wait_storecnt_dscnt 0x0
	s_barrier_signal -1
	s_barrier_wait -1
	s_wait_xcnt 0x0
	v_cmpx_gt_u32_e32 27, v0
	s_cbranch_execz .LBB95_580
; %bb.571:
	v_cmp_ne_u32_e32 vcc_lo, 1, v70
	s_cbranch_vccnz .LBB95_573
; %bb.572:
	scratch_load_b64 v[68:69], v59, off
	ds_load_b64 v[72:73], v1
	s_wait_loadcnt_dscnt 0x0
	v_pk_mul_f32 v[74:75], v[72:73], v[68:69] op_sel:[1,1] op_sel_hi:[0,1]
	s_delay_alu instid0(VALU_DEP_1) | instskip(SKIP_1) | instid1(VALU_DEP_2)
	v_pk_fma_f32 v[76:77], v[72:73], v[68:69], v[74:75] op_sel_hi:[1,0,1]
	v_pk_fma_f32 v[68:69], v[72:73], v[68:69], v[74:75] neg_lo:[0,0,1] neg_hi:[0,0,1]
	v_mov_b32_e32 v69, v77
	s_cbranch_execz .LBB95_574
	s_branch .LBB95_575
.LBB95_573:
                                        ; implicit-def: $vgpr68_vgpr69
.LBB95_574:
	ds_load_b64 v[68:69], v1
.LBB95_575:
	s_mov_b32 s2, exec_lo
	v_cmpx_ne_u32_e32 26, v0
	s_cbranch_execz .LBB95_579
; %bb.576:
	v_add_nc_u32_e32 v71, 0x108, v58
	v_add3_u32 v72, 0, v58, 8
	v_mov_b32_e32 v73, v0
	s_mov_b32 s3, 0
.LBB95_577:                             ; =>This Inner Loop Header: Depth=1
	scratch_load_b64 v[74:75], v72, off
	ds_load_b64 v[76:77], v71
	s_wait_xcnt 0x0
	v_dual_add_nc_u32 v71, 8, v71 :: v_dual_add_nc_u32 v72, 8, v72
	s_wait_loadcnt_dscnt 0x0
	v_pk_mul_f32 v[78:79], v[76:77], v[74:75] op_sel:[1,1] op_sel_hi:[0,1]
	s_delay_alu instid0(VALU_DEP_1) | instskip(SKIP_2) | instid1(VALU_DEP_3)
	v_pk_fma_f32 v[80:81], v[76:77], v[74:75], v[78:79] op_sel_hi:[1,0,1]
	v_add_nc_u32_e32 v73, 1, v73
	v_pk_fma_f32 v[74:75], v[76:77], v[74:75], v[78:79] neg_lo:[0,0,1] neg_hi:[0,0,1]
	v_mov_b32_e32 v75, v81
	s_delay_alu instid0(VALU_DEP_3) | instskip(NEXT) | instid1(VALU_DEP_2)
	v_cmp_lt_u32_e32 vcc_lo, 25, v73
	v_pk_add_f32 v[68:69], v[68:69], v[74:75]
	s_or_b32 s3, vcc_lo, s3
	s_delay_alu instid0(SALU_CYCLE_1)
	s_and_not1_b32 exec_lo, exec_lo, s3
	s_cbranch_execnz .LBB95_577
; %bb.578:
	s_or_b32 exec_lo, exec_lo, s3
.LBB95_579:
	s_delay_alu instid0(SALU_CYCLE_1) | instskip(SKIP_4) | instid1(VALU_DEP_1)
	s_or_b32 exec_lo, exec_lo, s2
	v_mov_b32_e32 v71, 0
	ds_load_b64 v[72:73], v71 offset:216
	s_wait_dscnt 0x0
	v_pk_mul_f32 v[74:75], v[68:69], v[72:73] op_sel:[1,1] op_sel_hi:[0,1]
	v_pk_fma_f32 v[76:77], v[68:69], v[72:73], v[74:75] op_sel_hi:[1,0,1]
	v_pk_fma_f32 v[68:69], v[68:69], v[72:73], v[74:75] neg_lo:[0,0,1] neg_hi:[0,0,1]
	s_delay_alu instid0(VALU_DEP_2)
	v_mov_b32_e32 v69, v77
	scratch_store_b64 off, v[68:69], off offset:216
.LBB95_580:
	s_wait_xcnt 0x0
	s_or_b32 exec_lo, exec_lo, s0
	scratch_load_b64 v[68:69], off, off offset:224
	s_mov_b32 s0, exec_lo
	s_wait_loadcnt 0x0
	ds_store_b64 v1, v[68:69]
	s_wait_storecnt_dscnt 0x0
	s_barrier_signal -1
	s_barrier_wait -1
	s_wait_xcnt 0x0
	v_cmpx_gt_u32_e32 28, v0
	s_cbranch_execz .LBB95_590
; %bb.581:
	v_cmp_ne_u32_e32 vcc_lo, 1, v70
	s_cbranch_vccnz .LBB95_583
; %bb.582:
	scratch_load_b64 v[68:69], v59, off
	ds_load_b64 v[72:73], v1
	s_wait_loadcnt_dscnt 0x0
	v_pk_mul_f32 v[74:75], v[72:73], v[68:69] op_sel:[1,1] op_sel_hi:[0,1]
	s_delay_alu instid0(VALU_DEP_1) | instskip(SKIP_1) | instid1(VALU_DEP_2)
	v_pk_fma_f32 v[76:77], v[72:73], v[68:69], v[74:75] op_sel_hi:[1,0,1]
	v_pk_fma_f32 v[68:69], v[72:73], v[68:69], v[74:75] neg_lo:[0,0,1] neg_hi:[0,0,1]
	v_mov_b32_e32 v69, v77
	s_cbranch_execz .LBB95_584
	s_branch .LBB95_585
.LBB95_583:
                                        ; implicit-def: $vgpr68_vgpr69
.LBB95_584:
	ds_load_b64 v[68:69], v1
.LBB95_585:
	s_mov_b32 s2, exec_lo
	v_cmpx_ne_u32_e32 27, v0
	s_cbranch_execz .LBB95_589
; %bb.586:
	v_add_nc_u32_e32 v71, 0x108, v58
	v_add3_u32 v72, 0, v58, 8
	v_mov_b32_e32 v73, v0
	s_mov_b32 s3, 0
.LBB95_587:                             ; =>This Inner Loop Header: Depth=1
	scratch_load_b64 v[74:75], v72, off
	ds_load_b64 v[76:77], v71
	s_wait_xcnt 0x0
	v_dual_add_nc_u32 v71, 8, v71 :: v_dual_add_nc_u32 v72, 8, v72
	s_wait_loadcnt_dscnt 0x0
	v_pk_mul_f32 v[78:79], v[76:77], v[74:75] op_sel:[1,1] op_sel_hi:[0,1]
	s_delay_alu instid0(VALU_DEP_1) | instskip(SKIP_2) | instid1(VALU_DEP_3)
	v_pk_fma_f32 v[80:81], v[76:77], v[74:75], v[78:79] op_sel_hi:[1,0,1]
	v_add_nc_u32_e32 v73, 1, v73
	v_pk_fma_f32 v[74:75], v[76:77], v[74:75], v[78:79] neg_lo:[0,0,1] neg_hi:[0,0,1]
	v_mov_b32_e32 v75, v81
	s_delay_alu instid0(VALU_DEP_3) | instskip(NEXT) | instid1(VALU_DEP_2)
	v_cmp_lt_u32_e32 vcc_lo, 26, v73
	v_pk_add_f32 v[68:69], v[68:69], v[74:75]
	s_or_b32 s3, vcc_lo, s3
	s_delay_alu instid0(SALU_CYCLE_1)
	s_and_not1_b32 exec_lo, exec_lo, s3
	s_cbranch_execnz .LBB95_587
; %bb.588:
	s_or_b32 exec_lo, exec_lo, s3
.LBB95_589:
	s_delay_alu instid0(SALU_CYCLE_1) | instskip(SKIP_4) | instid1(VALU_DEP_1)
	s_or_b32 exec_lo, exec_lo, s2
	v_mov_b32_e32 v71, 0
	ds_load_b64 v[72:73], v71 offset:224
	s_wait_dscnt 0x0
	v_pk_mul_f32 v[74:75], v[68:69], v[72:73] op_sel:[1,1] op_sel_hi:[0,1]
	v_pk_fma_f32 v[76:77], v[68:69], v[72:73], v[74:75] op_sel_hi:[1,0,1]
	v_pk_fma_f32 v[68:69], v[68:69], v[72:73], v[74:75] neg_lo:[0,0,1] neg_hi:[0,0,1]
	s_delay_alu instid0(VALU_DEP_2)
	v_mov_b32_e32 v69, v77
	scratch_store_b64 off, v[68:69], off offset:224
.LBB95_590:
	s_wait_xcnt 0x0
	s_or_b32 exec_lo, exec_lo, s0
	scratch_load_b64 v[68:69], off, off offset:232
	s_mov_b32 s0, exec_lo
	s_wait_loadcnt 0x0
	ds_store_b64 v1, v[68:69]
	s_wait_storecnt_dscnt 0x0
	s_barrier_signal -1
	s_barrier_wait -1
	s_wait_xcnt 0x0
	v_cmpx_gt_u32_e32 29, v0
	s_cbranch_execz .LBB95_600
; %bb.591:
	v_cmp_ne_u32_e32 vcc_lo, 1, v70
	s_cbranch_vccnz .LBB95_593
; %bb.592:
	scratch_load_b64 v[68:69], v59, off
	ds_load_b64 v[72:73], v1
	s_wait_loadcnt_dscnt 0x0
	v_pk_mul_f32 v[74:75], v[72:73], v[68:69] op_sel:[1,1] op_sel_hi:[0,1]
	s_delay_alu instid0(VALU_DEP_1) | instskip(SKIP_1) | instid1(VALU_DEP_2)
	v_pk_fma_f32 v[76:77], v[72:73], v[68:69], v[74:75] op_sel_hi:[1,0,1]
	v_pk_fma_f32 v[68:69], v[72:73], v[68:69], v[74:75] neg_lo:[0,0,1] neg_hi:[0,0,1]
	v_mov_b32_e32 v69, v77
	s_cbranch_execz .LBB95_594
	s_branch .LBB95_595
.LBB95_593:
                                        ; implicit-def: $vgpr68_vgpr69
.LBB95_594:
	ds_load_b64 v[68:69], v1
.LBB95_595:
	s_mov_b32 s2, exec_lo
	v_cmpx_ne_u32_e32 28, v0
	s_cbranch_execz .LBB95_599
; %bb.596:
	v_add_nc_u32_e32 v71, 0x108, v58
	v_add3_u32 v72, 0, v58, 8
	v_mov_b32_e32 v73, v0
	s_mov_b32 s3, 0
.LBB95_597:                             ; =>This Inner Loop Header: Depth=1
	scratch_load_b64 v[74:75], v72, off
	ds_load_b64 v[76:77], v71
	s_wait_xcnt 0x0
	v_dual_add_nc_u32 v71, 8, v71 :: v_dual_add_nc_u32 v72, 8, v72
	s_wait_loadcnt_dscnt 0x0
	v_pk_mul_f32 v[78:79], v[76:77], v[74:75] op_sel:[1,1] op_sel_hi:[0,1]
	s_delay_alu instid0(VALU_DEP_1) | instskip(SKIP_2) | instid1(VALU_DEP_3)
	v_pk_fma_f32 v[80:81], v[76:77], v[74:75], v[78:79] op_sel_hi:[1,0,1]
	v_add_nc_u32_e32 v73, 1, v73
	v_pk_fma_f32 v[74:75], v[76:77], v[74:75], v[78:79] neg_lo:[0,0,1] neg_hi:[0,0,1]
	v_mov_b32_e32 v75, v81
	s_delay_alu instid0(VALU_DEP_3) | instskip(NEXT) | instid1(VALU_DEP_2)
	v_cmp_lt_u32_e32 vcc_lo, 27, v73
	v_pk_add_f32 v[68:69], v[68:69], v[74:75]
	s_or_b32 s3, vcc_lo, s3
	s_delay_alu instid0(SALU_CYCLE_1)
	s_and_not1_b32 exec_lo, exec_lo, s3
	s_cbranch_execnz .LBB95_597
; %bb.598:
	s_or_b32 exec_lo, exec_lo, s3
.LBB95_599:
	s_delay_alu instid0(SALU_CYCLE_1) | instskip(SKIP_4) | instid1(VALU_DEP_1)
	s_or_b32 exec_lo, exec_lo, s2
	v_mov_b32_e32 v71, 0
	ds_load_b64 v[72:73], v71 offset:232
	s_wait_dscnt 0x0
	v_pk_mul_f32 v[74:75], v[68:69], v[72:73] op_sel:[1,1] op_sel_hi:[0,1]
	v_pk_fma_f32 v[76:77], v[68:69], v[72:73], v[74:75] op_sel_hi:[1,0,1]
	v_pk_fma_f32 v[68:69], v[68:69], v[72:73], v[74:75] neg_lo:[0,0,1] neg_hi:[0,0,1]
	s_delay_alu instid0(VALU_DEP_2)
	v_mov_b32_e32 v69, v77
	scratch_store_b64 off, v[68:69], off offset:232
.LBB95_600:
	s_wait_xcnt 0x0
	s_or_b32 exec_lo, exec_lo, s0
	scratch_load_b64 v[68:69], off, off offset:240
	v_cmp_gt_u32_e64 s0, 30, v0
	s_wait_loadcnt 0x0
	ds_store_b64 v1, v[68:69]
	s_wait_storecnt_dscnt 0x0
	s_barrier_signal -1
	s_barrier_wait -1
	s_wait_xcnt 0x0
	s_and_saveexec_b32 s2, s0
	s_cbranch_execz .LBB95_610
; %bb.601:
	v_cmp_ne_u32_e32 vcc_lo, 1, v70
	s_cbranch_vccnz .LBB95_603
; %bb.602:
	scratch_load_b64 v[68:69], v59, off
	ds_load_b64 v[72:73], v1
	s_wait_loadcnt_dscnt 0x0
	v_pk_mul_f32 v[74:75], v[72:73], v[68:69] op_sel:[1,1] op_sel_hi:[0,1]
	s_delay_alu instid0(VALU_DEP_1) | instskip(SKIP_1) | instid1(VALU_DEP_2)
	v_pk_fma_f32 v[76:77], v[72:73], v[68:69], v[74:75] op_sel_hi:[1,0,1]
	v_pk_fma_f32 v[68:69], v[72:73], v[68:69], v[74:75] neg_lo:[0,0,1] neg_hi:[0,0,1]
	v_mov_b32_e32 v69, v77
	s_cbranch_execz .LBB95_604
	s_branch .LBB95_605
.LBB95_603:
                                        ; implicit-def: $vgpr68_vgpr69
.LBB95_604:
	ds_load_b64 v[68:69], v1
.LBB95_605:
	s_mov_b32 s3, exec_lo
	v_cmpx_ne_u32_e32 29, v0
	s_cbranch_execz .LBB95_609
; %bb.606:
	v_add_nc_u32_e32 v71, 0x108, v58
	v_add3_u32 v72, 0, v58, 8
	v_mov_b32_e32 v73, v0
	s_mov_b32 s4, 0
.LBB95_607:                             ; =>This Inner Loop Header: Depth=1
	scratch_load_b64 v[74:75], v72, off
	ds_load_b64 v[76:77], v71
	s_wait_xcnt 0x0
	v_dual_add_nc_u32 v71, 8, v71 :: v_dual_add_nc_u32 v72, 8, v72
	s_wait_loadcnt_dscnt 0x0
	v_pk_mul_f32 v[78:79], v[76:77], v[74:75] op_sel:[1,1] op_sel_hi:[0,1]
	s_delay_alu instid0(VALU_DEP_1) | instskip(SKIP_2) | instid1(VALU_DEP_3)
	v_pk_fma_f32 v[80:81], v[76:77], v[74:75], v[78:79] op_sel_hi:[1,0,1]
	v_add_nc_u32_e32 v73, 1, v73
	v_pk_fma_f32 v[74:75], v[76:77], v[74:75], v[78:79] neg_lo:[0,0,1] neg_hi:[0,0,1]
	v_mov_b32_e32 v75, v81
	s_delay_alu instid0(VALU_DEP_3) | instskip(NEXT) | instid1(VALU_DEP_2)
	v_cmp_lt_u32_e32 vcc_lo, 28, v73
	v_pk_add_f32 v[68:69], v[68:69], v[74:75]
	s_or_b32 s4, vcc_lo, s4
	s_delay_alu instid0(SALU_CYCLE_1)
	s_and_not1_b32 exec_lo, exec_lo, s4
	s_cbranch_execnz .LBB95_607
; %bb.608:
	s_or_b32 exec_lo, exec_lo, s4
.LBB95_609:
	s_delay_alu instid0(SALU_CYCLE_1) | instskip(SKIP_4) | instid1(VALU_DEP_1)
	s_or_b32 exec_lo, exec_lo, s3
	v_mov_b32_e32 v71, 0
	ds_load_b64 v[72:73], v71 offset:240
	s_wait_dscnt 0x0
	v_pk_mul_f32 v[74:75], v[68:69], v[72:73] op_sel:[1,1] op_sel_hi:[0,1]
	v_pk_fma_f32 v[76:77], v[68:69], v[72:73], v[74:75] op_sel_hi:[1,0,1]
	v_pk_fma_f32 v[68:69], v[68:69], v[72:73], v[74:75] neg_lo:[0,0,1] neg_hi:[0,0,1]
	s_delay_alu instid0(VALU_DEP_2)
	v_mov_b32_e32 v69, v77
	scratch_store_b64 off, v[68:69], off offset:240
.LBB95_610:
	s_wait_xcnt 0x0
	s_or_b32 exec_lo, exec_lo, s2
	scratch_load_b64 v[68:69], off, off offset:248
	s_mov_b32 s2, exec_lo
                                        ; implicit-def: $vgpr94
                                        ; implicit-def: $sgpr5
	s_wait_loadcnt 0x0
	ds_store_b64 v1, v[68:69]
	s_wait_storecnt_dscnt 0x0
	s_barrier_signal -1
	s_barrier_wait -1
	s_wait_xcnt 0x0
	v_cmpx_ne_u32_e32 31, v0
	s_cbranch_execz .LBB95_620
; %bb.611:
	v_cmp_ne_u32_e32 vcc_lo, 1, v70
	s_cbranch_vccnz .LBB95_613
; %bb.612:
	scratch_load_b64 v[70:71], v59, off
	ds_load_b64 v[72:73], v1
	s_wait_loadcnt_dscnt 0x0
	v_dual_mul_f32 v59, v73, v71 :: v_dual_mul_f32 v69, v72, v71
	s_delay_alu instid0(VALU_DEP_1)
	v_dual_fma_f32 v68, v72, v70, -v59 :: v_dual_fmac_f32 v69, v73, v70
	s_cbranch_execz .LBB95_614
	s_branch .LBB95_615
.LBB95_613:
                                        ; implicit-def: $vgpr69
.LBB95_614:
	ds_load_b64 v[68:69], v1
.LBB95_615:
	s_and_saveexec_b32 s3, s0
	s_cbranch_execz .LBB95_619
; %bb.616:
	v_add_nc_u32_e32 v1, 0x108, v58
	v_add3_u32 v58, 0, v58, 8
	s_mov_b32 s0, 0
.LBB95_617:                             ; =>This Inner Loop Header: Depth=1
	scratch_load_b64 v[70:71], v58, off
	ds_load_b64 v[72:73], v1
	s_wait_loadcnt_dscnt 0x0
	v_dual_add_nc_u32 v1, 8, v1 :: v_dual_mul_f32 v59, v73, v71
	v_dual_mul_f32 v71, v72, v71 :: v_dual_add_nc_u32 v0, 1, v0
	s_delay_alu instid0(VALU_DEP_2) | instskip(NEXT) | instid1(VALU_DEP_2)
	v_fma_f32 v59, v72, v70, -v59
	v_fmac_f32_e32 v71, v73, v70
	s_delay_alu instid0(VALU_DEP_3) | instskip(NEXT) | instid1(VALU_DEP_3)
	v_cmp_lt_u32_e32 vcc_lo, 29, v0
	v_dual_add_nc_u32 v58, 8, v58 :: v_dual_add_f32 v68, v68, v59
	s_delay_alu instid0(VALU_DEP_3) | instskip(SKIP_1) | instid1(SALU_CYCLE_1)
	v_add_f32_e32 v69, v69, v71
	s_or_b32 s0, vcc_lo, s0
	s_and_not1_b32 exec_lo, exec_lo, s0
	s_cbranch_execnz .LBB95_617
; %bb.618:
	s_or_b32 exec_lo, exec_lo, s0
.LBB95_619:
	s_delay_alu instid0(SALU_CYCLE_1)
	s_or_b32 exec_lo, exec_lo, s3
	v_mov_b32_e32 v0, 0
	s_movk_i32 s5, 0xfc
	s_or_b32 s1, s1, exec_lo
	ds_load_b64 v[0:1], v0 offset:248
	s_wait_dscnt 0x0
	v_dual_mul_f32 v58, v69, v1 :: v_dual_mul_f32 v94, v68, v1
	s_delay_alu instid0(VALU_DEP_1) | instskip(NEXT) | instid1(VALU_DEP_2)
	v_fma_f32 v1, v68, v0, -v58
	v_fmac_f32_e32 v94, v69, v0
	scratch_store_b32 off, v1, off offset:248
.LBB95_620:
	s_wait_xcnt 0x0
	s_or_b32 exec_lo, exec_lo, s2
.LBB95_621:
	v_lshl_add_u64 v[92:93], v[6:7], 3, s[6:7]
	v_lshl_add_u64 v[90:91], v[8:9], 3, s[6:7]
	;; [unrolled: 1-line block ×30, first 2 shown]
	s_and_saveexec_b32 s0, s1
	s_cbranch_execz .LBB95_623
; %bb.622:
	scratch_store_b32 off, v94, s5
.LBB95_623:
	s_wait_xcnt 0x0
	s_or_b32 exec_lo, exec_lo, s0
	scratch_load_b64 v[36:37], off, off
	s_wait_loadcnt 0x0
	flat_store_b64 v[2:3], v[36:37]
	scratch_load_b64 v[2:3], off, off offset:8
	s_wait_loadcnt 0x0
	flat_store_b64 v[4:5], v[2:3]
	scratch_load_b64 v[2:3], off, off offset:16
	;; [unrolled: 3-line block ×31, first 2 shown]
	s_wait_loadcnt 0x0
	flat_store_b64 v[0:1], v[2:3]
.LBB95_624:
	s_sendmsg sendmsg(MSG_DEALLOC_VGPRS)
	s_endpgm
	.section	.rodata,"a",@progbits
	.p2align	6, 0x0
	.amdhsa_kernel _ZN9rocsolver6v33100L18trti2_kernel_smallILi32E19rocblas_complex_numIfEPKPS3_EEv13rocblas_fill_17rocblas_diagonal_T1_iil
		.amdhsa_group_segment_fixed_size 512
		.amdhsa_private_segment_fixed_size 272
		.amdhsa_kernarg_size 32
		.amdhsa_user_sgpr_count 2
		.amdhsa_user_sgpr_dispatch_ptr 0
		.amdhsa_user_sgpr_queue_ptr 0
		.amdhsa_user_sgpr_kernarg_segment_ptr 1
		.amdhsa_user_sgpr_dispatch_id 0
		.amdhsa_user_sgpr_kernarg_preload_length 0
		.amdhsa_user_sgpr_kernarg_preload_offset 0
		.amdhsa_user_sgpr_private_segment_size 0
		.amdhsa_wavefront_size32 1
		.amdhsa_uses_dynamic_stack 0
		.amdhsa_enable_private_segment 1
		.amdhsa_system_sgpr_workgroup_id_x 1
		.amdhsa_system_sgpr_workgroup_id_y 0
		.amdhsa_system_sgpr_workgroup_id_z 0
		.amdhsa_system_sgpr_workgroup_info 0
		.amdhsa_system_vgpr_workitem_id 0
		.amdhsa_next_free_vgpr 95
		.amdhsa_next_free_sgpr 38
		.amdhsa_named_barrier_count 0
		.amdhsa_reserve_vcc 1
		.amdhsa_float_round_mode_32 0
		.amdhsa_float_round_mode_16_64 0
		.amdhsa_float_denorm_mode_32 3
		.amdhsa_float_denorm_mode_16_64 3
		.amdhsa_fp16_overflow 0
		.amdhsa_memory_ordered 1
		.amdhsa_forward_progress 1
		.amdhsa_inst_pref_size 193
		.amdhsa_round_robin_scheduling 0
		.amdhsa_exception_fp_ieee_invalid_op 0
		.amdhsa_exception_fp_denorm_src 0
		.amdhsa_exception_fp_ieee_div_zero 0
		.amdhsa_exception_fp_ieee_overflow 0
		.amdhsa_exception_fp_ieee_underflow 0
		.amdhsa_exception_fp_ieee_inexact 0
		.amdhsa_exception_int_div_zero 0
	.end_amdhsa_kernel
	.section	.text._ZN9rocsolver6v33100L18trti2_kernel_smallILi32E19rocblas_complex_numIfEPKPS3_EEv13rocblas_fill_17rocblas_diagonal_T1_iil,"axG",@progbits,_ZN9rocsolver6v33100L18trti2_kernel_smallILi32E19rocblas_complex_numIfEPKPS3_EEv13rocblas_fill_17rocblas_diagonal_T1_iil,comdat
.Lfunc_end95:
	.size	_ZN9rocsolver6v33100L18trti2_kernel_smallILi32E19rocblas_complex_numIfEPKPS3_EEv13rocblas_fill_17rocblas_diagonal_T1_iil, .Lfunc_end95-_ZN9rocsolver6v33100L18trti2_kernel_smallILi32E19rocblas_complex_numIfEPKPS3_EEv13rocblas_fill_17rocblas_diagonal_T1_iil
                                        ; -- End function
	.set _ZN9rocsolver6v33100L18trti2_kernel_smallILi32E19rocblas_complex_numIfEPKPS3_EEv13rocblas_fill_17rocblas_diagonal_T1_iil.num_vgpr, 95
	.set _ZN9rocsolver6v33100L18trti2_kernel_smallILi32E19rocblas_complex_numIfEPKPS3_EEv13rocblas_fill_17rocblas_diagonal_T1_iil.num_agpr, 0
	.set _ZN9rocsolver6v33100L18trti2_kernel_smallILi32E19rocblas_complex_numIfEPKPS3_EEv13rocblas_fill_17rocblas_diagonal_T1_iil.numbered_sgpr, 38
	.set _ZN9rocsolver6v33100L18trti2_kernel_smallILi32E19rocblas_complex_numIfEPKPS3_EEv13rocblas_fill_17rocblas_diagonal_T1_iil.num_named_barrier, 0
	.set _ZN9rocsolver6v33100L18trti2_kernel_smallILi32E19rocblas_complex_numIfEPKPS3_EEv13rocblas_fill_17rocblas_diagonal_T1_iil.private_seg_size, 272
	.set _ZN9rocsolver6v33100L18trti2_kernel_smallILi32E19rocblas_complex_numIfEPKPS3_EEv13rocblas_fill_17rocblas_diagonal_T1_iil.uses_vcc, 1
	.set _ZN9rocsolver6v33100L18trti2_kernel_smallILi32E19rocblas_complex_numIfEPKPS3_EEv13rocblas_fill_17rocblas_diagonal_T1_iil.uses_flat_scratch, 0
	.set _ZN9rocsolver6v33100L18trti2_kernel_smallILi32E19rocblas_complex_numIfEPKPS3_EEv13rocblas_fill_17rocblas_diagonal_T1_iil.has_dyn_sized_stack, 0
	.set _ZN9rocsolver6v33100L18trti2_kernel_smallILi32E19rocblas_complex_numIfEPKPS3_EEv13rocblas_fill_17rocblas_diagonal_T1_iil.has_recursion, 0
	.set _ZN9rocsolver6v33100L18trti2_kernel_smallILi32E19rocblas_complex_numIfEPKPS3_EEv13rocblas_fill_17rocblas_diagonal_T1_iil.has_indirect_call, 0
	.section	.AMDGPU.csdata,"",@progbits
; Kernel info:
; codeLenInByte = 24612
; TotalNumSgprs: 40
; NumVgprs: 95
; ScratchSize: 272
; MemoryBound: 0
; FloatMode: 240
; IeeeMode: 1
; LDSByteSize: 512 bytes/workgroup (compile time only)
; SGPRBlocks: 0
; VGPRBlocks: 5
; NumSGPRsForWavesPerEU: 40
; NumVGPRsForWavesPerEU: 95
; NamedBarCnt: 0
; Occupancy: 10
; WaveLimiterHint : 1
; COMPUTE_PGM_RSRC2:SCRATCH_EN: 1
; COMPUTE_PGM_RSRC2:USER_SGPR: 2
; COMPUTE_PGM_RSRC2:TRAP_HANDLER: 0
; COMPUTE_PGM_RSRC2:TGID_X_EN: 1
; COMPUTE_PGM_RSRC2:TGID_Y_EN: 0
; COMPUTE_PGM_RSRC2:TGID_Z_EN: 0
; COMPUTE_PGM_RSRC2:TIDIG_COMP_CNT: 0
	.section	.text._ZN9rocsolver6v33100L18trti2_kernel_smallILi33E19rocblas_complex_numIfEPKPS3_EEv13rocblas_fill_17rocblas_diagonal_T1_iil,"axG",@progbits,_ZN9rocsolver6v33100L18trti2_kernel_smallILi33E19rocblas_complex_numIfEPKPS3_EEv13rocblas_fill_17rocblas_diagonal_T1_iil,comdat
	.globl	_ZN9rocsolver6v33100L18trti2_kernel_smallILi33E19rocblas_complex_numIfEPKPS3_EEv13rocblas_fill_17rocblas_diagonal_T1_iil ; -- Begin function _ZN9rocsolver6v33100L18trti2_kernel_smallILi33E19rocblas_complex_numIfEPKPS3_EEv13rocblas_fill_17rocblas_diagonal_T1_iil
	.p2align	8
	.type	_ZN9rocsolver6v33100L18trti2_kernel_smallILi33E19rocblas_complex_numIfEPKPS3_EEv13rocblas_fill_17rocblas_diagonal_T1_iil,@function
_ZN9rocsolver6v33100L18trti2_kernel_smallILi33E19rocblas_complex_numIfEPKPS3_EEv13rocblas_fill_17rocblas_diagonal_T1_iil: ; @_ZN9rocsolver6v33100L18trti2_kernel_smallILi33E19rocblas_complex_numIfEPKPS3_EEv13rocblas_fill_17rocblas_diagonal_T1_iil
; %bb.0:
	s_mov_b32 s2, exec_lo
	v_cmpx_gt_u32_e32 33, v0
	s_cbranch_execz .LBB96_644
; %bb.1:
	s_clause 0x1
	s_load_b64 s[8:9], s[0:1], 0x10
	s_load_b128 s[4:7], s[0:1], 0x0
	s_wait_xcnt 0x0
	s_bfe_u32 s0, ttmp6, 0x4000c
	s_and_b32 s1, ttmp6, 15
	s_add_co_i32 s0, s0, 1
	s_getreg_b32 s2, hwreg(HW_REG_IB_STS2, 6, 4)
	s_mul_i32 s0, ttmp9, s0
	v_dual_mov_b32 v59, 0 :: v_dual_lshlrev_b32 v58, 3, v0
	s_add_co_i32 s0, s1, s0
	s_wait_kmcnt 0x0
	s_ashr_i32 s1, s8, 31
	s_cmp_eq_u32 s2, 0
	s_cselect_b32 s2, ttmp9, s0
	s_mov_b32 s0, s8
	s_ashr_i32 s3, s2, 31
	s_lshl_b64 s[0:1], s[0:1], 3
	s_lshl_b64 s[2:3], s[2:3], 3
	s_delay_alu instid0(SALU_CYCLE_1)
	s_add_nc_u64 s[2:3], s[6:7], s[2:3]
	s_load_b64 s[2:3], s[2:3], 0x0
	s_wait_kmcnt 0x0
	s_add_nc_u64 s[2:3], s[2:3], s[0:1]
	s_mov_b32 s0, s9
	flat_load_b64 v[6:7], v0, s[2:3] scale_offset
	v_add_nc_u64_e32 v[2:3], s[2:3], v[58:59]
	s_ashr_i32 s1, s9, 31
	s_cmp_lg_u32 s5, 0x84
	s_cselect_b32 s5, -1, 0
	s_delay_alu instid0(SALU_CYCLE_1) | instskip(NEXT) | instid1(VALU_DEP_1)
	s_and_b32 vcc_lo, exec_lo, s5
	v_lshl_add_u64 v[4:5], s[0:1], 3, v[2:3]
	s_mov_b32 s0, -1
	s_wait_loadcnt_dscnt 0x0
	scratch_store_b64 off, v[6:7], off
	flat_load_b64 v[8:9], v[4:5]
	s_wait_xcnt 0x1
	v_add3_u32 v6, s9, s9, v0
	s_wait_loadcnt_dscnt 0x0
	scratch_store_b64 off, v[8:9], off offset:8
	flat_load_b64 v[10:11], v6, s[2:3] scale_offset
	s_wait_xcnt 0x1
	v_add_nc_u32_e32 v8, s9, v6
	s_wait_loadcnt_dscnt 0x0
	scratch_store_b64 off, v[10:11], off offset:16
	flat_load_b64 v[12:13], v8, s[2:3] scale_offset
	s_wait_xcnt 0x1
	v_add_nc_u32_e32 v10, s9, v8
	;; [unrolled: 5-line block ×30, first 2 shown]
	s_wait_loadcnt_dscnt 0x0
	scratch_store_b64 off, v[70:71], off offset:248
	flat_load_b64 v[70:71], v68, s[2:3] scale_offset
	s_wait_loadcnt_dscnt 0x0
	scratch_store_b64 off, v[70:71], off offset:256
	s_cbranch_vccz .LBB96_7
; %bb.2:
	scratch_load_b64 v[70:71], v0, off scale_offset
                                        ; implicit-def: $vgpr75
                                        ; implicit-def: $vgpr72
	s_wait_loadcnt 0x0
	v_cmp_ngt_f32_e64 s0, |v70|, |v71|
	s_wait_xcnt 0x0
	s_and_saveexec_b32 s1, s0
	s_delay_alu instid0(SALU_CYCLE_1)
	s_xor_b32 s0, exec_lo, s1
	s_cbranch_execz .LBB96_4
; %bb.3:
	v_div_scale_f32 v1, null, v71, v71, v70
	v_div_scale_f32 v11, vcc_lo, v70, v71, v70
	s_delay_alu instid0(VALU_DEP_2) | instskip(SKIP_1) | instid1(TRANS32_DEP_1)
	v_rcp_f32_e32 v7, v1
	v_nop
	v_fma_f32 v9, -v1, v7, 1.0
	s_delay_alu instid0(VALU_DEP_1) | instskip(NEXT) | instid1(VALU_DEP_1)
	v_fmac_f32_e32 v7, v9, v7
	v_mul_f32_e32 v9, v11, v7
	s_delay_alu instid0(VALU_DEP_1) | instskip(NEXT) | instid1(VALU_DEP_1)
	v_fma_f32 v13, -v1, v9, v11
	v_fmac_f32_e32 v9, v13, v7
	s_delay_alu instid0(VALU_DEP_1) | instskip(NEXT) | instid1(VALU_DEP_1)
	v_fma_f32 v1, -v1, v9, v11
	v_div_fmas_f32 v1, v1, v7, v9
	s_delay_alu instid0(VALU_DEP_1) | instskip(NEXT) | instid1(VALU_DEP_1)
	v_div_fixup_f32 v1, v1, v71, v70
	v_fmac_f32_e32 v71, v70, v1
	s_delay_alu instid0(VALU_DEP_1) | instskip(NEXT) | instid1(VALU_DEP_1)
	v_div_scale_f32 v7, null, v71, v71, -1.0
	v_rcp_f32_e32 v9, v7
	v_nop
	s_delay_alu instid0(TRANS32_DEP_1) | instskip(NEXT) | instid1(VALU_DEP_1)
	v_fma_f32 v11, -v7, v9, 1.0
	v_fmac_f32_e32 v9, v11, v9
	v_div_scale_f32 v11, vcc_lo, -1.0, v71, -1.0
	s_delay_alu instid0(VALU_DEP_1) | instskip(NEXT) | instid1(VALU_DEP_1)
	v_mul_f32_e32 v13, v11, v9
	v_fma_f32 v15, -v7, v13, v11
	s_delay_alu instid0(VALU_DEP_1) | instskip(NEXT) | instid1(VALU_DEP_1)
	v_fmac_f32_e32 v13, v15, v9
	v_fma_f32 v7, -v7, v13, v11
	s_delay_alu instid0(VALU_DEP_1) | instskip(NEXT) | instid1(VALU_DEP_1)
	v_div_fmas_f32 v7, v7, v9, v13
	v_div_fixup_f32 v75, v7, v71, -1.0
                                        ; implicit-def: $vgpr70_vgpr71
	s_delay_alu instid0(VALU_DEP_1) | instskip(NEXT) | instid1(VALU_DEP_1)
	v_mul_f32_e32 v72, v1, v75
	v_xor_b32_e32 v74, 0x80000000, v72
.LBB96_4:
	s_or_saveexec_b32 s0, s0
	v_lshl_add_u32 v1, v0, 3, 0
	s_xor_b32 exec_lo, exec_lo, s0
	s_cbranch_execz .LBB96_6
; %bb.5:
	v_div_scale_f32 v7, null, v70, v70, v71
	v_div_scale_f32 v13, vcc_lo, v71, v70, v71
	s_delay_alu instid0(VALU_DEP_2) | instskip(SKIP_1) | instid1(TRANS32_DEP_1)
	v_rcp_f32_e32 v9, v7
	v_nop
	v_fma_f32 v11, -v7, v9, 1.0
	s_delay_alu instid0(VALU_DEP_1) | instskip(NEXT) | instid1(VALU_DEP_1)
	v_fmac_f32_e32 v9, v11, v9
	v_mul_f32_e32 v11, v13, v9
	s_delay_alu instid0(VALU_DEP_1) | instskip(NEXT) | instid1(VALU_DEP_1)
	v_fma_f32 v15, -v7, v11, v13
	v_fmac_f32_e32 v11, v15, v9
	s_delay_alu instid0(VALU_DEP_1) | instskip(NEXT) | instid1(VALU_DEP_1)
	v_fma_f32 v7, -v7, v11, v13
	v_div_fmas_f32 v7, v7, v9, v11
	s_delay_alu instid0(VALU_DEP_1) | instskip(NEXT) | instid1(VALU_DEP_1)
	v_div_fixup_f32 v7, v7, v70, v71
	v_fmac_f32_e32 v70, v71, v7
	s_delay_alu instid0(VALU_DEP_1) | instskip(SKIP_1) | instid1(VALU_DEP_2)
	v_div_scale_f32 v9, null, v70, v70, 1.0
	v_div_scale_f32 v15, vcc_lo, 1.0, v70, 1.0
	v_rcp_f32_e32 v11, v9
	v_nop
	s_delay_alu instid0(TRANS32_DEP_1) | instskip(NEXT) | instid1(VALU_DEP_1)
	v_fma_f32 v13, -v9, v11, 1.0
	v_fmac_f32_e32 v11, v13, v11
	s_delay_alu instid0(VALU_DEP_1) | instskip(NEXT) | instid1(VALU_DEP_1)
	v_mul_f32_e32 v13, v15, v11
	v_fma_f32 v17, -v9, v13, v15
	s_delay_alu instid0(VALU_DEP_1) | instskip(NEXT) | instid1(VALU_DEP_1)
	v_fmac_f32_e32 v13, v17, v11
	v_fma_f32 v9, -v9, v13, v15
	s_delay_alu instid0(VALU_DEP_1) | instskip(NEXT) | instid1(VALU_DEP_1)
	v_div_fmas_f32 v9, v9, v11, v13
	v_div_fixup_f32 v74, v9, v70, 1.0
	s_delay_alu instid0(VALU_DEP_1)
	v_xor_b32_e32 v72, 0x80000000, v74
	v_mul_f32_e64 v75, v7, -v74
.LBB96_6:
	s_or_b32 exec_lo, exec_lo, s0
	s_delay_alu instid0(VALU_DEP_1)
	v_xor_b32_e32 v73, 0x80000000, v75
	s_mov_b32 s0, 0
	scratch_store_b64 v1, v[74:75], off
	ds_store_b64 v58, v[72:73]
.LBB96_7:
	s_and_b32 vcc_lo, exec_lo, s0
	s_cbranch_vccz .LBB96_9
; %bb.8:
	s_mov_b64 s[0:1], 0xbf800000
	s_wait_xcnt 0x0
	v_mov_b64_e32 v[70:71], s[0:1]
	ds_store_b64 v58, v[70:71]
.LBB96_9:
	v_dual_ashrrev_i32 v7, 31, v6 :: v_dual_ashrrev_i32 v9, 31, v8
	v_dual_ashrrev_i32 v11, 31, v10 :: v_dual_ashrrev_i32 v13, 31, v12
	;; [unrolled: 1-line block ×15, first 2 shown]
	v_dual_ashrrev_i32 v69, 31, v68 :: v_dual_mov_b32 v59, v58
	s_wait_xcnt 0x0
	v_add_nc_u32_e32 v1, 0x110, v58
	s_cmp_eq_u32 s4, 0x79
	s_cbranch_scc1 .LBB96_13
; %bb.10:
	scratch_load_b64 v[70:71], off, off offset:248
	v_cmp_eq_u32_e64 s0, 32, v0
	s_movk_i32 s1, 0x48
	s_movk_i32 s14, 0x50
	;; [unrolled: 1-line block ×22, first 2 shown]
	s_wait_loadcnt 0x0
	ds_store_b64 v1, v[70:71]
	s_wait_storecnt_dscnt 0x0
	s_barrier_signal -1
	s_barrier_wait -1
	s_wait_xcnt 0x0
	s_and_saveexec_b32 s4, s0
	s_cbranch_execz .LBB96_17
; %bb.11:
	s_and_b32 vcc_lo, exec_lo, s5
	s_cbranch_vccz .LBB96_14
; %bb.12:
	scratch_load_b64 v[70:71], v59, off
	ds_load_b64 v[72:73], v1
	s_wait_loadcnt_dscnt 0x0
	v_pk_mul_f32 v[74:75], v[72:73], v[70:71] op_sel:[1,1] op_sel_hi:[0,1]
	v_pk_mul_f32 v[76:77], v[72:73], v[70:71] op_sel_hi:[1,0]
	s_delay_alu instid0(VALU_DEP_2) | instskip(NEXT) | instid1(VALU_DEP_2)
	v_pk_fma_f32 v[70:71], v[72:73], v[70:71], v[74:75] op_sel_hi:[1,0,1]
	v_sub_f32_e32 v70, v76, v74
	s_cbranch_execz .LBB96_15
	s_branch .LBB96_16
.LBB96_13:
	s_mov_b32 s1, 0
                                        ; implicit-def: $vgpr98
                                        ; implicit-def: $sgpr7
	s_cbranch_execnz .LBB96_326
	s_branch .LBB96_641
.LBB96_14:
                                        ; implicit-def: $vgpr71
.LBB96_15:
	ds_load_b64 v[70:71], v1
.LBB96_16:
	s_wait_dscnt 0x0
	v_dual_mov_b32 v72, 0 :: v_dual_mov_b32 v74, v71
	v_mov_b32_e32 v75, v70
	ds_load_b64 v[72:73], v72 offset:248
	s_wait_dscnt 0x0
	v_pk_mul_f32 v[74:75], v[74:75], v[72:73] op_sel:[0,1]
	s_delay_alu instid0(VALU_DEP_1) | instskip(SKIP_1) | instid1(VALU_DEP_2)
	v_pk_fma_f32 v[76:77], v[70:71], v[72:73], v[74:75] op_sel_hi:[1,0,1]
	v_pk_fma_f32 v[70:71], v[70:71], v[72:73], v[74:75] neg_lo:[0,0,1] neg_hi:[0,0,1]
	v_mov_b32_e32 v71, v77
	scratch_store_b64 off, v[70:71], off offset:248
.LBB96_17:
	s_wait_xcnt 0x0
	s_or_b32 exec_lo, exec_lo, s4
	scratch_load_b64 v[70:71], off, off offset:240
	s_mov_b32 s13, s1
	v_cmp_lt_u32_e64 s1, 30, v0
	s_or_b32 s4, 0, 8
	s_mov_b32 s6, 16
	s_mov_b32 s7, 24
	;; [unrolled: 1-line block ×7, first 2 shown]
	s_wait_loadcnt 0x0
	ds_store_b64 v1, v[70:71]
	s_wait_storecnt_dscnt 0x0
	s_barrier_signal -1
	s_barrier_wait -1
	s_wait_xcnt 0x0
	s_and_saveexec_b32 s36, s1
	s_cbranch_execz .LBB96_25
; %bb.18:
	s_and_not1_b32 vcc_lo, exec_lo, s5
	s_cbranch_vccnz .LBB96_20
; %bb.19:
	scratch_load_b64 v[70:71], v59, off
	ds_load_b64 v[72:73], v1
	s_wait_loadcnt_dscnt 0x0
	v_pk_mul_f32 v[74:75], v[72:73], v[70:71] op_sel:[1,1] op_sel_hi:[0,1]
	s_delay_alu instid0(VALU_DEP_1) | instskip(SKIP_1) | instid1(VALU_DEP_2)
	v_pk_fma_f32 v[76:77], v[72:73], v[70:71], v[74:75] op_sel_hi:[1,0,1]
	v_pk_fma_f32 v[70:71], v[72:73], v[70:71], v[74:75] neg_lo:[0,0,1] neg_hi:[0,0,1]
	v_mov_b32_e32 v71, v77
	s_cbranch_execz .LBB96_21
	s_branch .LBB96_22
.LBB96_20:
                                        ; implicit-def: $vgpr70_vgpr71
.LBB96_21:
	ds_load_b64 v[70:71], v1
.LBB96_22:
	s_and_saveexec_b32 s37, s0
	s_cbranch_execz .LBB96_24
; %bb.23:
	scratch_load_b64 v[72:73], off, off offset:248
	v_mov_b32_e32 v74, 0
	ds_load_b64 v[74:75], v74 offset:520
	s_wait_loadcnt_dscnt 0x0
	v_pk_mul_f32 v[76:77], v[74:75], v[72:73] op_sel:[1,1] op_sel_hi:[0,1]
	s_delay_alu instid0(VALU_DEP_1) | instskip(SKIP_1) | instid1(VALU_DEP_2)
	v_pk_fma_f32 v[78:79], v[74:75], v[72:73], v[76:77] op_sel_hi:[1,0,1]
	v_pk_fma_f32 v[72:73], v[74:75], v[72:73], v[76:77] neg_lo:[0,0,1] neg_hi:[0,0,1]
	v_mov_b32_e32 v73, v79
	s_delay_alu instid0(VALU_DEP_1)
	v_pk_add_f32 v[70:71], v[70:71], v[72:73]
.LBB96_24:
	s_or_b32 exec_lo, exec_lo, s37
	v_mov_b32_e32 v72, 0
	ds_load_b64 v[72:73], v72 offset:240
	s_wait_dscnt 0x0
	v_pk_mul_f32 v[74:75], v[70:71], v[72:73] op_sel:[1,1] op_sel_hi:[0,1]
	s_delay_alu instid0(VALU_DEP_1) | instskip(SKIP_1) | instid1(VALU_DEP_2)
	v_pk_fma_f32 v[76:77], v[70:71], v[72:73], v[74:75] op_sel_hi:[1,0,1]
	v_pk_fma_f32 v[70:71], v[70:71], v[72:73], v[74:75] neg_lo:[0,0,1] neg_hi:[0,0,1]
	v_mov_b32_e32 v71, v77
	scratch_store_b64 off, v[70:71], off offset:240
.LBB96_25:
	s_wait_xcnt 0x0
	s_or_b32 exec_lo, exec_lo, s36
	scratch_load_b64 v[70:71], off, off offset:232
	v_cmp_lt_u32_e64 s0, 29, v0
	s_wait_loadcnt 0x0
	ds_store_b64 v1, v[70:71]
	s_wait_storecnt_dscnt 0x0
	s_barrier_signal -1
	s_barrier_wait -1
	s_wait_xcnt 0x0
	s_and_saveexec_b32 s36, s0
	s_cbranch_execz .LBB96_35
; %bb.26:
	s_and_not1_b32 vcc_lo, exec_lo, s5
	s_cbranch_vccnz .LBB96_28
; %bb.27:
	scratch_load_b64 v[70:71], v59, off
	ds_load_b64 v[72:73], v1
	s_wait_loadcnt_dscnt 0x0
	v_pk_mul_f32 v[74:75], v[72:73], v[70:71] op_sel:[1,1] op_sel_hi:[0,1]
	s_delay_alu instid0(VALU_DEP_1) | instskip(SKIP_1) | instid1(VALU_DEP_2)
	v_pk_fma_f32 v[76:77], v[72:73], v[70:71], v[74:75] op_sel_hi:[1,0,1]
	v_pk_fma_f32 v[70:71], v[72:73], v[70:71], v[74:75] neg_lo:[0,0,1] neg_hi:[0,0,1]
	v_mov_b32_e32 v71, v77
	s_cbranch_execz .LBB96_29
	s_branch .LBB96_30
.LBB96_28:
                                        ; implicit-def: $vgpr70_vgpr71
.LBB96_29:
	ds_load_b64 v[70:71], v1
.LBB96_30:
	s_and_saveexec_b32 s37, s1
	s_cbranch_execz .LBB96_34
; %bb.31:
	v_subrev_nc_u32_e32 v72, 30, v0
	s_movk_i32 s38, 0x200
	s_mov_b32 s1, 0
.LBB96_32:                              ; =>This Inner Loop Header: Depth=1
	scratch_load_b64 v[74:75], off, s35
	v_dual_mov_b32 v73, s38 :: v_dual_add_nc_u32 v72, -1, v72
	s_add_co_i32 s38, s38, 8
	s_wait_xcnt 0x0
	s_add_co_i32 s35, s35, 8
	ds_load_b64 v[76:77], v73
	v_cmp_eq_u32_e32 vcc_lo, 0, v72
	s_or_b32 s1, vcc_lo, s1
	s_wait_loadcnt_dscnt 0x0
	v_pk_mul_f32 v[78:79], v[76:77], v[74:75] op_sel:[1,1] op_sel_hi:[0,1]
	s_delay_alu instid0(VALU_DEP_1) | instskip(SKIP_1) | instid1(VALU_DEP_2)
	v_pk_fma_f32 v[80:81], v[76:77], v[74:75], v[78:79] op_sel_hi:[1,0,1]
	v_pk_fma_f32 v[74:75], v[76:77], v[74:75], v[78:79] neg_lo:[0,0,1] neg_hi:[0,0,1]
	v_mov_b32_e32 v75, v81
	s_delay_alu instid0(VALU_DEP_1)
	v_pk_add_f32 v[70:71], v[70:71], v[74:75]
	s_and_not1_b32 exec_lo, exec_lo, s1
	s_cbranch_execnz .LBB96_32
; %bb.33:
	s_or_b32 exec_lo, exec_lo, s1
.LBB96_34:
	s_delay_alu instid0(SALU_CYCLE_1) | instskip(SKIP_4) | instid1(VALU_DEP_1)
	s_or_b32 exec_lo, exec_lo, s37
	v_mov_b32_e32 v72, 0
	ds_load_b64 v[72:73], v72 offset:232
	s_wait_dscnt 0x0
	v_pk_mul_f32 v[74:75], v[70:71], v[72:73] op_sel:[1,1] op_sel_hi:[0,1]
	v_pk_fma_f32 v[76:77], v[70:71], v[72:73], v[74:75] op_sel_hi:[1,0,1]
	v_pk_fma_f32 v[70:71], v[70:71], v[72:73], v[74:75] neg_lo:[0,0,1] neg_hi:[0,0,1]
	s_delay_alu instid0(VALU_DEP_2)
	v_mov_b32_e32 v71, v77
	scratch_store_b64 off, v[70:71], off offset:232
.LBB96_35:
	s_wait_xcnt 0x0
	s_or_b32 exec_lo, exec_lo, s36
	scratch_load_b64 v[70:71], off, off offset:224
	v_cmp_lt_u32_e64 s1, 28, v0
	s_wait_loadcnt 0x0
	ds_store_b64 v1, v[70:71]
	s_wait_storecnt_dscnt 0x0
	s_barrier_signal -1
	s_barrier_wait -1
	s_wait_xcnt 0x0
	s_and_saveexec_b32 s35, s1
	s_cbranch_execz .LBB96_45
; %bb.36:
	s_and_not1_b32 vcc_lo, exec_lo, s5
	s_cbranch_vccnz .LBB96_38
; %bb.37:
	scratch_load_b64 v[70:71], v59, off
	ds_load_b64 v[72:73], v1
	s_wait_loadcnt_dscnt 0x0
	v_pk_mul_f32 v[74:75], v[72:73], v[70:71] op_sel:[1,1] op_sel_hi:[0,1]
	s_delay_alu instid0(VALU_DEP_1) | instskip(SKIP_1) | instid1(VALU_DEP_2)
	v_pk_fma_f32 v[76:77], v[72:73], v[70:71], v[74:75] op_sel_hi:[1,0,1]
	v_pk_fma_f32 v[70:71], v[72:73], v[70:71], v[74:75] neg_lo:[0,0,1] neg_hi:[0,0,1]
	v_mov_b32_e32 v71, v77
	s_cbranch_execz .LBB96_39
	s_branch .LBB96_40
.LBB96_38:
                                        ; implicit-def: $vgpr70_vgpr71
.LBB96_39:
	ds_load_b64 v[70:71], v1
.LBB96_40:
	s_and_saveexec_b32 s36, s0
	s_cbranch_execz .LBB96_44
; %bb.41:
	v_subrev_nc_u32_e32 v72, 29, v0
	s_movk_i32 s37, 0x1f8
	s_mov_b32 s0, 0
.LBB96_42:                              ; =>This Inner Loop Header: Depth=1
	scratch_load_b64 v[74:75], off, s34
	v_dual_mov_b32 v73, s37 :: v_dual_add_nc_u32 v72, -1, v72
	s_add_co_i32 s37, s37, 8
	s_wait_xcnt 0x0
	s_add_co_i32 s34, s34, 8
	ds_load_b64 v[76:77], v73
	v_cmp_eq_u32_e32 vcc_lo, 0, v72
	s_or_b32 s0, vcc_lo, s0
	s_wait_loadcnt_dscnt 0x0
	v_pk_mul_f32 v[78:79], v[76:77], v[74:75] op_sel:[1,1] op_sel_hi:[0,1]
	s_delay_alu instid0(VALU_DEP_1) | instskip(SKIP_1) | instid1(VALU_DEP_2)
	v_pk_fma_f32 v[80:81], v[76:77], v[74:75], v[78:79] op_sel_hi:[1,0,1]
	v_pk_fma_f32 v[74:75], v[76:77], v[74:75], v[78:79] neg_lo:[0,0,1] neg_hi:[0,0,1]
	v_mov_b32_e32 v75, v81
	s_delay_alu instid0(VALU_DEP_1)
	v_pk_add_f32 v[70:71], v[70:71], v[74:75]
	s_and_not1_b32 exec_lo, exec_lo, s0
	s_cbranch_execnz .LBB96_42
; %bb.43:
	s_or_b32 exec_lo, exec_lo, s0
.LBB96_44:
	s_delay_alu instid0(SALU_CYCLE_1) | instskip(SKIP_4) | instid1(VALU_DEP_1)
	s_or_b32 exec_lo, exec_lo, s36
	v_mov_b32_e32 v72, 0
	ds_load_b64 v[72:73], v72 offset:224
	s_wait_dscnt 0x0
	v_pk_mul_f32 v[74:75], v[70:71], v[72:73] op_sel:[1,1] op_sel_hi:[0,1]
	v_pk_fma_f32 v[76:77], v[70:71], v[72:73], v[74:75] op_sel_hi:[1,0,1]
	v_pk_fma_f32 v[70:71], v[70:71], v[72:73], v[74:75] neg_lo:[0,0,1] neg_hi:[0,0,1]
	s_delay_alu instid0(VALU_DEP_2)
	v_mov_b32_e32 v71, v77
	scratch_store_b64 off, v[70:71], off offset:224
.LBB96_45:
	s_wait_xcnt 0x0
	s_or_b32 exec_lo, exec_lo, s35
	scratch_load_b64 v[70:71], off, off offset:216
	v_cmp_lt_u32_e64 s0, 27, v0
	s_wait_loadcnt 0x0
	ds_store_b64 v1, v[70:71]
	s_wait_storecnt_dscnt 0x0
	s_barrier_signal -1
	s_barrier_wait -1
	s_wait_xcnt 0x0
	s_and_saveexec_b32 s34, s0
	s_cbranch_execz .LBB96_55
; %bb.46:
	s_and_not1_b32 vcc_lo, exec_lo, s5
	s_cbranch_vccnz .LBB96_48
; %bb.47:
	scratch_load_b64 v[70:71], v59, off
	ds_load_b64 v[72:73], v1
	s_wait_loadcnt_dscnt 0x0
	v_pk_mul_f32 v[74:75], v[72:73], v[70:71] op_sel:[1,1] op_sel_hi:[0,1]
	s_delay_alu instid0(VALU_DEP_1) | instskip(SKIP_1) | instid1(VALU_DEP_2)
	v_pk_fma_f32 v[76:77], v[72:73], v[70:71], v[74:75] op_sel_hi:[1,0,1]
	v_pk_fma_f32 v[70:71], v[72:73], v[70:71], v[74:75] neg_lo:[0,0,1] neg_hi:[0,0,1]
	v_mov_b32_e32 v71, v77
	s_cbranch_execz .LBB96_49
	s_branch .LBB96_50
.LBB96_48:
                                        ; implicit-def: $vgpr70_vgpr71
.LBB96_49:
	ds_load_b64 v[70:71], v1
.LBB96_50:
	s_and_saveexec_b32 s35, s1
	s_cbranch_execz .LBB96_54
; %bb.51:
	v_subrev_nc_u32_e32 v72, 28, v0
	s_movk_i32 s36, 0x1f0
	s_mov_b32 s1, 0
.LBB96_52:                              ; =>This Inner Loop Header: Depth=1
	scratch_load_b64 v[74:75], off, s33
	v_dual_mov_b32 v73, s36 :: v_dual_add_nc_u32 v72, -1, v72
	s_add_co_i32 s36, s36, 8
	s_wait_xcnt 0x0
	s_add_co_i32 s33, s33, 8
	ds_load_b64 v[76:77], v73
	v_cmp_eq_u32_e32 vcc_lo, 0, v72
	s_or_b32 s1, vcc_lo, s1
	s_wait_loadcnt_dscnt 0x0
	v_pk_mul_f32 v[78:79], v[76:77], v[74:75] op_sel:[1,1] op_sel_hi:[0,1]
	s_delay_alu instid0(VALU_DEP_1) | instskip(SKIP_1) | instid1(VALU_DEP_2)
	v_pk_fma_f32 v[80:81], v[76:77], v[74:75], v[78:79] op_sel_hi:[1,0,1]
	v_pk_fma_f32 v[74:75], v[76:77], v[74:75], v[78:79] neg_lo:[0,0,1] neg_hi:[0,0,1]
	v_mov_b32_e32 v75, v81
	s_delay_alu instid0(VALU_DEP_1)
	v_pk_add_f32 v[70:71], v[70:71], v[74:75]
	s_and_not1_b32 exec_lo, exec_lo, s1
	s_cbranch_execnz .LBB96_52
; %bb.53:
	s_or_b32 exec_lo, exec_lo, s1
.LBB96_54:
	s_delay_alu instid0(SALU_CYCLE_1) | instskip(SKIP_4) | instid1(VALU_DEP_1)
	s_or_b32 exec_lo, exec_lo, s35
	v_mov_b32_e32 v72, 0
	ds_load_b64 v[72:73], v72 offset:216
	s_wait_dscnt 0x0
	v_pk_mul_f32 v[74:75], v[70:71], v[72:73] op_sel:[1,1] op_sel_hi:[0,1]
	v_pk_fma_f32 v[76:77], v[70:71], v[72:73], v[74:75] op_sel_hi:[1,0,1]
	v_pk_fma_f32 v[70:71], v[70:71], v[72:73], v[74:75] neg_lo:[0,0,1] neg_hi:[0,0,1]
	s_delay_alu instid0(VALU_DEP_2)
	v_mov_b32_e32 v71, v77
	scratch_store_b64 off, v[70:71], off offset:216
.LBB96_55:
	s_wait_xcnt 0x0
	s_or_b32 exec_lo, exec_lo, s34
	scratch_load_b64 v[70:71], off, off offset:208
	v_cmp_lt_u32_e64 s1, 26, v0
	s_wait_loadcnt 0x0
	ds_store_b64 v1, v[70:71]
	s_wait_storecnt_dscnt 0x0
	s_barrier_signal -1
	s_barrier_wait -1
	s_wait_xcnt 0x0
	s_and_saveexec_b32 s33, s1
	s_cbranch_execz .LBB96_65
; %bb.56:
	s_and_not1_b32 vcc_lo, exec_lo, s5
	s_cbranch_vccnz .LBB96_58
; %bb.57:
	scratch_load_b64 v[70:71], v59, off
	ds_load_b64 v[72:73], v1
	s_wait_loadcnt_dscnt 0x0
	v_pk_mul_f32 v[74:75], v[72:73], v[70:71] op_sel:[1,1] op_sel_hi:[0,1]
	s_delay_alu instid0(VALU_DEP_1) | instskip(SKIP_1) | instid1(VALU_DEP_2)
	v_pk_fma_f32 v[76:77], v[72:73], v[70:71], v[74:75] op_sel_hi:[1,0,1]
	v_pk_fma_f32 v[70:71], v[72:73], v[70:71], v[74:75] neg_lo:[0,0,1] neg_hi:[0,0,1]
	v_mov_b32_e32 v71, v77
	s_cbranch_execz .LBB96_59
	s_branch .LBB96_60
.LBB96_58:
                                        ; implicit-def: $vgpr70_vgpr71
.LBB96_59:
	ds_load_b64 v[70:71], v1
.LBB96_60:
	s_and_saveexec_b32 s34, s0
	s_cbranch_execz .LBB96_64
; %bb.61:
	v_subrev_nc_u32_e32 v72, 27, v0
	s_movk_i32 s35, 0x1e8
	s_mov_b32 s0, 0
.LBB96_62:                              ; =>This Inner Loop Header: Depth=1
	scratch_load_b64 v[74:75], off, s31
	v_dual_mov_b32 v73, s35 :: v_dual_add_nc_u32 v72, -1, v72
	s_add_co_i32 s35, s35, 8
	s_wait_xcnt 0x0
	s_add_co_i32 s31, s31, 8
	ds_load_b64 v[76:77], v73
	v_cmp_eq_u32_e32 vcc_lo, 0, v72
	s_or_b32 s0, vcc_lo, s0
	s_wait_loadcnt_dscnt 0x0
	v_pk_mul_f32 v[78:79], v[76:77], v[74:75] op_sel:[1,1] op_sel_hi:[0,1]
	s_delay_alu instid0(VALU_DEP_1) | instskip(SKIP_1) | instid1(VALU_DEP_2)
	v_pk_fma_f32 v[80:81], v[76:77], v[74:75], v[78:79] op_sel_hi:[1,0,1]
	v_pk_fma_f32 v[74:75], v[76:77], v[74:75], v[78:79] neg_lo:[0,0,1] neg_hi:[0,0,1]
	v_mov_b32_e32 v75, v81
	s_delay_alu instid0(VALU_DEP_1)
	v_pk_add_f32 v[70:71], v[70:71], v[74:75]
	s_and_not1_b32 exec_lo, exec_lo, s0
	s_cbranch_execnz .LBB96_62
; %bb.63:
	s_or_b32 exec_lo, exec_lo, s0
.LBB96_64:
	s_delay_alu instid0(SALU_CYCLE_1) | instskip(SKIP_4) | instid1(VALU_DEP_1)
	s_or_b32 exec_lo, exec_lo, s34
	v_mov_b32_e32 v72, 0
	ds_load_b64 v[72:73], v72 offset:208
	s_wait_dscnt 0x0
	v_pk_mul_f32 v[74:75], v[70:71], v[72:73] op_sel:[1,1] op_sel_hi:[0,1]
	v_pk_fma_f32 v[76:77], v[70:71], v[72:73], v[74:75] op_sel_hi:[1,0,1]
	v_pk_fma_f32 v[70:71], v[70:71], v[72:73], v[74:75] neg_lo:[0,0,1] neg_hi:[0,0,1]
	s_delay_alu instid0(VALU_DEP_2)
	v_mov_b32_e32 v71, v77
	scratch_store_b64 off, v[70:71], off offset:208
.LBB96_65:
	s_wait_xcnt 0x0
	s_or_b32 exec_lo, exec_lo, s33
	scratch_load_b64 v[70:71], off, off offset:200
	v_cmp_lt_u32_e64 s0, 25, v0
	s_wait_loadcnt 0x0
	ds_store_b64 v1, v[70:71]
	s_wait_storecnt_dscnt 0x0
	s_barrier_signal -1
	s_barrier_wait -1
	s_wait_xcnt 0x0
	s_and_saveexec_b32 s31, s0
	s_cbranch_execz .LBB96_75
; %bb.66:
	s_and_not1_b32 vcc_lo, exec_lo, s5
	s_cbranch_vccnz .LBB96_68
; %bb.67:
	scratch_load_b64 v[70:71], v59, off
	ds_load_b64 v[72:73], v1
	s_wait_loadcnt_dscnt 0x0
	v_pk_mul_f32 v[74:75], v[72:73], v[70:71] op_sel:[1,1] op_sel_hi:[0,1]
	s_delay_alu instid0(VALU_DEP_1) | instskip(SKIP_1) | instid1(VALU_DEP_2)
	v_pk_fma_f32 v[76:77], v[72:73], v[70:71], v[74:75] op_sel_hi:[1,0,1]
	v_pk_fma_f32 v[70:71], v[72:73], v[70:71], v[74:75] neg_lo:[0,0,1] neg_hi:[0,0,1]
	v_mov_b32_e32 v71, v77
	s_cbranch_execz .LBB96_69
	s_branch .LBB96_70
.LBB96_68:
                                        ; implicit-def: $vgpr70_vgpr71
.LBB96_69:
	ds_load_b64 v[70:71], v1
.LBB96_70:
	s_and_saveexec_b32 s33, s1
	s_cbranch_execz .LBB96_74
; %bb.71:
	v_subrev_nc_u32_e32 v72, 26, v0
	s_movk_i32 s34, 0x1e0
	s_mov_b32 s1, 0
.LBB96_72:                              ; =>This Inner Loop Header: Depth=1
	scratch_load_b64 v[74:75], off, s30
	v_dual_mov_b32 v73, s34 :: v_dual_add_nc_u32 v72, -1, v72
	s_add_co_i32 s34, s34, 8
	s_wait_xcnt 0x0
	s_add_co_i32 s30, s30, 8
	ds_load_b64 v[76:77], v73
	v_cmp_eq_u32_e32 vcc_lo, 0, v72
	s_or_b32 s1, vcc_lo, s1
	s_wait_loadcnt_dscnt 0x0
	v_pk_mul_f32 v[78:79], v[76:77], v[74:75] op_sel:[1,1] op_sel_hi:[0,1]
	s_delay_alu instid0(VALU_DEP_1) | instskip(SKIP_1) | instid1(VALU_DEP_2)
	v_pk_fma_f32 v[80:81], v[76:77], v[74:75], v[78:79] op_sel_hi:[1,0,1]
	v_pk_fma_f32 v[74:75], v[76:77], v[74:75], v[78:79] neg_lo:[0,0,1] neg_hi:[0,0,1]
	v_mov_b32_e32 v75, v81
	s_delay_alu instid0(VALU_DEP_1)
	v_pk_add_f32 v[70:71], v[70:71], v[74:75]
	s_and_not1_b32 exec_lo, exec_lo, s1
	s_cbranch_execnz .LBB96_72
; %bb.73:
	s_or_b32 exec_lo, exec_lo, s1
.LBB96_74:
	s_delay_alu instid0(SALU_CYCLE_1) | instskip(SKIP_4) | instid1(VALU_DEP_1)
	s_or_b32 exec_lo, exec_lo, s33
	v_mov_b32_e32 v72, 0
	ds_load_b64 v[72:73], v72 offset:200
	s_wait_dscnt 0x0
	v_pk_mul_f32 v[74:75], v[70:71], v[72:73] op_sel:[1,1] op_sel_hi:[0,1]
	v_pk_fma_f32 v[76:77], v[70:71], v[72:73], v[74:75] op_sel_hi:[1,0,1]
	v_pk_fma_f32 v[70:71], v[70:71], v[72:73], v[74:75] neg_lo:[0,0,1] neg_hi:[0,0,1]
	s_delay_alu instid0(VALU_DEP_2)
	v_mov_b32_e32 v71, v77
	scratch_store_b64 off, v[70:71], off offset:200
.LBB96_75:
	s_wait_xcnt 0x0
	s_or_b32 exec_lo, exec_lo, s31
	scratch_load_b64 v[70:71], off, off offset:192
	v_cmp_lt_u32_e64 s1, 24, v0
	s_wait_loadcnt 0x0
	ds_store_b64 v1, v[70:71]
	s_wait_storecnt_dscnt 0x0
	s_barrier_signal -1
	s_barrier_wait -1
	s_wait_xcnt 0x0
	s_and_saveexec_b32 s30, s1
	s_cbranch_execz .LBB96_85
; %bb.76:
	s_and_not1_b32 vcc_lo, exec_lo, s5
	s_cbranch_vccnz .LBB96_78
; %bb.77:
	scratch_load_b64 v[70:71], v59, off
	ds_load_b64 v[72:73], v1
	s_wait_loadcnt_dscnt 0x0
	v_pk_mul_f32 v[74:75], v[72:73], v[70:71] op_sel:[1,1] op_sel_hi:[0,1]
	s_delay_alu instid0(VALU_DEP_1) | instskip(SKIP_1) | instid1(VALU_DEP_2)
	v_pk_fma_f32 v[76:77], v[72:73], v[70:71], v[74:75] op_sel_hi:[1,0,1]
	v_pk_fma_f32 v[70:71], v[72:73], v[70:71], v[74:75] neg_lo:[0,0,1] neg_hi:[0,0,1]
	v_mov_b32_e32 v71, v77
	s_cbranch_execz .LBB96_79
	s_branch .LBB96_80
.LBB96_78:
                                        ; implicit-def: $vgpr70_vgpr71
.LBB96_79:
	ds_load_b64 v[70:71], v1
.LBB96_80:
	s_and_saveexec_b32 s31, s0
	s_cbranch_execz .LBB96_84
; %bb.81:
	v_subrev_nc_u32_e32 v72, 25, v0
	s_movk_i32 s33, 0x1d8
	s_mov_b32 s0, 0
.LBB96_82:                              ; =>This Inner Loop Header: Depth=1
	scratch_load_b64 v[74:75], off, s29
	v_dual_mov_b32 v73, s33 :: v_dual_add_nc_u32 v72, -1, v72
	s_add_co_i32 s33, s33, 8
	s_wait_xcnt 0x0
	s_add_co_i32 s29, s29, 8
	ds_load_b64 v[76:77], v73
	v_cmp_eq_u32_e32 vcc_lo, 0, v72
	s_or_b32 s0, vcc_lo, s0
	s_wait_loadcnt_dscnt 0x0
	v_pk_mul_f32 v[78:79], v[76:77], v[74:75] op_sel:[1,1] op_sel_hi:[0,1]
	s_delay_alu instid0(VALU_DEP_1) | instskip(SKIP_1) | instid1(VALU_DEP_2)
	v_pk_fma_f32 v[80:81], v[76:77], v[74:75], v[78:79] op_sel_hi:[1,0,1]
	v_pk_fma_f32 v[74:75], v[76:77], v[74:75], v[78:79] neg_lo:[0,0,1] neg_hi:[0,0,1]
	v_mov_b32_e32 v75, v81
	s_delay_alu instid0(VALU_DEP_1)
	v_pk_add_f32 v[70:71], v[70:71], v[74:75]
	s_and_not1_b32 exec_lo, exec_lo, s0
	s_cbranch_execnz .LBB96_82
; %bb.83:
	s_or_b32 exec_lo, exec_lo, s0
.LBB96_84:
	s_delay_alu instid0(SALU_CYCLE_1) | instskip(SKIP_4) | instid1(VALU_DEP_1)
	s_or_b32 exec_lo, exec_lo, s31
	v_mov_b32_e32 v72, 0
	ds_load_b64 v[72:73], v72 offset:192
	s_wait_dscnt 0x0
	v_pk_mul_f32 v[74:75], v[70:71], v[72:73] op_sel:[1,1] op_sel_hi:[0,1]
	v_pk_fma_f32 v[76:77], v[70:71], v[72:73], v[74:75] op_sel_hi:[1,0,1]
	v_pk_fma_f32 v[70:71], v[70:71], v[72:73], v[74:75] neg_lo:[0,0,1] neg_hi:[0,0,1]
	s_delay_alu instid0(VALU_DEP_2)
	v_mov_b32_e32 v71, v77
	scratch_store_b64 off, v[70:71], off offset:192
.LBB96_85:
	s_wait_xcnt 0x0
	s_or_b32 exec_lo, exec_lo, s30
	scratch_load_b64 v[70:71], off, off offset:184
	v_cmp_lt_u32_e64 s0, 23, v0
	s_wait_loadcnt 0x0
	ds_store_b64 v1, v[70:71]
	s_wait_storecnt_dscnt 0x0
	s_barrier_signal -1
	s_barrier_wait -1
	s_wait_xcnt 0x0
	s_and_saveexec_b32 s29, s0
	s_cbranch_execz .LBB96_95
; %bb.86:
	s_and_not1_b32 vcc_lo, exec_lo, s5
	s_cbranch_vccnz .LBB96_88
; %bb.87:
	scratch_load_b64 v[70:71], v59, off
	ds_load_b64 v[72:73], v1
	s_wait_loadcnt_dscnt 0x0
	v_pk_mul_f32 v[74:75], v[72:73], v[70:71] op_sel:[1,1] op_sel_hi:[0,1]
	s_delay_alu instid0(VALU_DEP_1) | instskip(SKIP_1) | instid1(VALU_DEP_2)
	v_pk_fma_f32 v[76:77], v[72:73], v[70:71], v[74:75] op_sel_hi:[1,0,1]
	v_pk_fma_f32 v[70:71], v[72:73], v[70:71], v[74:75] neg_lo:[0,0,1] neg_hi:[0,0,1]
	v_mov_b32_e32 v71, v77
	s_cbranch_execz .LBB96_89
	s_branch .LBB96_90
.LBB96_88:
                                        ; implicit-def: $vgpr70_vgpr71
.LBB96_89:
	ds_load_b64 v[70:71], v1
.LBB96_90:
	s_and_saveexec_b32 s30, s1
	s_cbranch_execz .LBB96_94
; %bb.91:
	v_subrev_nc_u32_e32 v72, 24, v0
	s_movk_i32 s31, 0x1d0
	s_mov_b32 s1, 0
.LBB96_92:                              ; =>This Inner Loop Header: Depth=1
	scratch_load_b64 v[74:75], off, s28
	v_dual_mov_b32 v73, s31 :: v_dual_add_nc_u32 v72, -1, v72
	s_add_co_i32 s31, s31, 8
	s_wait_xcnt 0x0
	s_add_co_i32 s28, s28, 8
	ds_load_b64 v[76:77], v73
	v_cmp_eq_u32_e32 vcc_lo, 0, v72
	s_or_b32 s1, vcc_lo, s1
	s_wait_loadcnt_dscnt 0x0
	v_pk_mul_f32 v[78:79], v[76:77], v[74:75] op_sel:[1,1] op_sel_hi:[0,1]
	s_delay_alu instid0(VALU_DEP_1) | instskip(SKIP_1) | instid1(VALU_DEP_2)
	v_pk_fma_f32 v[80:81], v[76:77], v[74:75], v[78:79] op_sel_hi:[1,0,1]
	v_pk_fma_f32 v[74:75], v[76:77], v[74:75], v[78:79] neg_lo:[0,0,1] neg_hi:[0,0,1]
	v_mov_b32_e32 v75, v81
	s_delay_alu instid0(VALU_DEP_1)
	v_pk_add_f32 v[70:71], v[70:71], v[74:75]
	s_and_not1_b32 exec_lo, exec_lo, s1
	s_cbranch_execnz .LBB96_92
; %bb.93:
	s_or_b32 exec_lo, exec_lo, s1
.LBB96_94:
	s_delay_alu instid0(SALU_CYCLE_1) | instskip(SKIP_4) | instid1(VALU_DEP_1)
	s_or_b32 exec_lo, exec_lo, s30
	v_mov_b32_e32 v72, 0
	ds_load_b64 v[72:73], v72 offset:184
	s_wait_dscnt 0x0
	v_pk_mul_f32 v[74:75], v[70:71], v[72:73] op_sel:[1,1] op_sel_hi:[0,1]
	v_pk_fma_f32 v[76:77], v[70:71], v[72:73], v[74:75] op_sel_hi:[1,0,1]
	v_pk_fma_f32 v[70:71], v[70:71], v[72:73], v[74:75] neg_lo:[0,0,1] neg_hi:[0,0,1]
	s_delay_alu instid0(VALU_DEP_2)
	v_mov_b32_e32 v71, v77
	scratch_store_b64 off, v[70:71], off offset:184
.LBB96_95:
	s_wait_xcnt 0x0
	s_or_b32 exec_lo, exec_lo, s29
	scratch_load_b64 v[70:71], off, off offset:176
	v_cmp_lt_u32_e64 s1, 22, v0
	s_wait_loadcnt 0x0
	ds_store_b64 v1, v[70:71]
	s_wait_storecnt_dscnt 0x0
	s_barrier_signal -1
	s_barrier_wait -1
	s_wait_xcnt 0x0
	s_and_saveexec_b32 s28, s1
	s_cbranch_execz .LBB96_105
; %bb.96:
	s_and_not1_b32 vcc_lo, exec_lo, s5
	s_cbranch_vccnz .LBB96_98
; %bb.97:
	scratch_load_b64 v[70:71], v59, off
	ds_load_b64 v[72:73], v1
	s_wait_loadcnt_dscnt 0x0
	v_pk_mul_f32 v[74:75], v[72:73], v[70:71] op_sel:[1,1] op_sel_hi:[0,1]
	s_delay_alu instid0(VALU_DEP_1) | instskip(SKIP_1) | instid1(VALU_DEP_2)
	v_pk_fma_f32 v[76:77], v[72:73], v[70:71], v[74:75] op_sel_hi:[1,0,1]
	v_pk_fma_f32 v[70:71], v[72:73], v[70:71], v[74:75] neg_lo:[0,0,1] neg_hi:[0,0,1]
	v_mov_b32_e32 v71, v77
	s_cbranch_execz .LBB96_99
	s_branch .LBB96_100
.LBB96_98:
                                        ; implicit-def: $vgpr70_vgpr71
.LBB96_99:
	ds_load_b64 v[70:71], v1
.LBB96_100:
	s_and_saveexec_b32 s29, s0
	s_cbranch_execz .LBB96_104
; %bb.101:
	v_subrev_nc_u32_e32 v72, 23, v0
	s_movk_i32 s30, 0x1c8
	s_mov_b32 s0, 0
.LBB96_102:                             ; =>This Inner Loop Header: Depth=1
	scratch_load_b64 v[74:75], off, s27
	v_dual_mov_b32 v73, s30 :: v_dual_add_nc_u32 v72, -1, v72
	s_add_co_i32 s30, s30, 8
	s_wait_xcnt 0x0
	s_add_co_i32 s27, s27, 8
	ds_load_b64 v[76:77], v73
	v_cmp_eq_u32_e32 vcc_lo, 0, v72
	s_or_b32 s0, vcc_lo, s0
	s_wait_loadcnt_dscnt 0x0
	v_pk_mul_f32 v[78:79], v[76:77], v[74:75] op_sel:[1,1] op_sel_hi:[0,1]
	s_delay_alu instid0(VALU_DEP_1) | instskip(SKIP_1) | instid1(VALU_DEP_2)
	v_pk_fma_f32 v[80:81], v[76:77], v[74:75], v[78:79] op_sel_hi:[1,0,1]
	v_pk_fma_f32 v[74:75], v[76:77], v[74:75], v[78:79] neg_lo:[0,0,1] neg_hi:[0,0,1]
	v_mov_b32_e32 v75, v81
	s_delay_alu instid0(VALU_DEP_1)
	v_pk_add_f32 v[70:71], v[70:71], v[74:75]
	s_and_not1_b32 exec_lo, exec_lo, s0
	s_cbranch_execnz .LBB96_102
; %bb.103:
	s_or_b32 exec_lo, exec_lo, s0
.LBB96_104:
	s_delay_alu instid0(SALU_CYCLE_1) | instskip(SKIP_4) | instid1(VALU_DEP_1)
	s_or_b32 exec_lo, exec_lo, s29
	v_mov_b32_e32 v72, 0
	ds_load_b64 v[72:73], v72 offset:176
	s_wait_dscnt 0x0
	v_pk_mul_f32 v[74:75], v[70:71], v[72:73] op_sel:[1,1] op_sel_hi:[0,1]
	v_pk_fma_f32 v[76:77], v[70:71], v[72:73], v[74:75] op_sel_hi:[1,0,1]
	v_pk_fma_f32 v[70:71], v[70:71], v[72:73], v[74:75] neg_lo:[0,0,1] neg_hi:[0,0,1]
	s_delay_alu instid0(VALU_DEP_2)
	v_mov_b32_e32 v71, v77
	scratch_store_b64 off, v[70:71], off offset:176
.LBB96_105:
	s_wait_xcnt 0x0
	s_or_b32 exec_lo, exec_lo, s28
	scratch_load_b64 v[70:71], off, off offset:168
	v_cmp_lt_u32_e64 s0, 21, v0
	s_wait_loadcnt 0x0
	ds_store_b64 v1, v[70:71]
	s_wait_storecnt_dscnt 0x0
	s_barrier_signal -1
	s_barrier_wait -1
	s_wait_xcnt 0x0
	s_and_saveexec_b32 s27, s0
	s_cbranch_execz .LBB96_115
; %bb.106:
	s_and_not1_b32 vcc_lo, exec_lo, s5
	s_cbranch_vccnz .LBB96_108
; %bb.107:
	scratch_load_b64 v[70:71], v59, off
	ds_load_b64 v[72:73], v1
	s_wait_loadcnt_dscnt 0x0
	v_pk_mul_f32 v[74:75], v[72:73], v[70:71] op_sel:[1,1] op_sel_hi:[0,1]
	s_delay_alu instid0(VALU_DEP_1) | instskip(SKIP_1) | instid1(VALU_DEP_2)
	v_pk_fma_f32 v[76:77], v[72:73], v[70:71], v[74:75] op_sel_hi:[1,0,1]
	v_pk_fma_f32 v[70:71], v[72:73], v[70:71], v[74:75] neg_lo:[0,0,1] neg_hi:[0,0,1]
	v_mov_b32_e32 v71, v77
	s_cbranch_execz .LBB96_109
	s_branch .LBB96_110
.LBB96_108:
                                        ; implicit-def: $vgpr70_vgpr71
.LBB96_109:
	ds_load_b64 v[70:71], v1
.LBB96_110:
	s_and_saveexec_b32 s28, s1
	s_cbranch_execz .LBB96_114
; %bb.111:
	v_subrev_nc_u32_e32 v72, 22, v0
	s_movk_i32 s29, 0x1c0
	s_mov_b32 s1, 0
.LBB96_112:                             ; =>This Inner Loop Header: Depth=1
	scratch_load_b64 v[74:75], off, s26
	v_dual_mov_b32 v73, s29 :: v_dual_add_nc_u32 v72, -1, v72
	s_add_co_i32 s29, s29, 8
	s_wait_xcnt 0x0
	s_add_co_i32 s26, s26, 8
	ds_load_b64 v[76:77], v73
	v_cmp_eq_u32_e32 vcc_lo, 0, v72
	s_or_b32 s1, vcc_lo, s1
	s_wait_loadcnt_dscnt 0x0
	v_pk_mul_f32 v[78:79], v[76:77], v[74:75] op_sel:[1,1] op_sel_hi:[0,1]
	s_delay_alu instid0(VALU_DEP_1) | instskip(SKIP_1) | instid1(VALU_DEP_2)
	v_pk_fma_f32 v[80:81], v[76:77], v[74:75], v[78:79] op_sel_hi:[1,0,1]
	v_pk_fma_f32 v[74:75], v[76:77], v[74:75], v[78:79] neg_lo:[0,0,1] neg_hi:[0,0,1]
	v_mov_b32_e32 v75, v81
	s_delay_alu instid0(VALU_DEP_1)
	v_pk_add_f32 v[70:71], v[70:71], v[74:75]
	s_and_not1_b32 exec_lo, exec_lo, s1
	s_cbranch_execnz .LBB96_112
; %bb.113:
	s_or_b32 exec_lo, exec_lo, s1
.LBB96_114:
	s_delay_alu instid0(SALU_CYCLE_1) | instskip(SKIP_4) | instid1(VALU_DEP_1)
	s_or_b32 exec_lo, exec_lo, s28
	v_mov_b32_e32 v72, 0
	ds_load_b64 v[72:73], v72 offset:168
	s_wait_dscnt 0x0
	v_pk_mul_f32 v[74:75], v[70:71], v[72:73] op_sel:[1,1] op_sel_hi:[0,1]
	v_pk_fma_f32 v[76:77], v[70:71], v[72:73], v[74:75] op_sel_hi:[1,0,1]
	v_pk_fma_f32 v[70:71], v[70:71], v[72:73], v[74:75] neg_lo:[0,0,1] neg_hi:[0,0,1]
	s_delay_alu instid0(VALU_DEP_2)
	v_mov_b32_e32 v71, v77
	scratch_store_b64 off, v[70:71], off offset:168
.LBB96_115:
	s_wait_xcnt 0x0
	s_or_b32 exec_lo, exec_lo, s27
	scratch_load_b64 v[70:71], off, off offset:160
	v_cmp_lt_u32_e64 s1, 20, v0
	s_wait_loadcnt 0x0
	ds_store_b64 v1, v[70:71]
	s_wait_storecnt_dscnt 0x0
	s_barrier_signal -1
	s_barrier_wait -1
	s_wait_xcnt 0x0
	s_and_saveexec_b32 s26, s1
	s_cbranch_execz .LBB96_125
; %bb.116:
	s_and_not1_b32 vcc_lo, exec_lo, s5
	s_cbranch_vccnz .LBB96_118
; %bb.117:
	scratch_load_b64 v[70:71], v59, off
	ds_load_b64 v[72:73], v1
	s_wait_loadcnt_dscnt 0x0
	v_pk_mul_f32 v[74:75], v[72:73], v[70:71] op_sel:[1,1] op_sel_hi:[0,1]
	s_delay_alu instid0(VALU_DEP_1) | instskip(SKIP_1) | instid1(VALU_DEP_2)
	v_pk_fma_f32 v[76:77], v[72:73], v[70:71], v[74:75] op_sel_hi:[1,0,1]
	v_pk_fma_f32 v[70:71], v[72:73], v[70:71], v[74:75] neg_lo:[0,0,1] neg_hi:[0,0,1]
	v_mov_b32_e32 v71, v77
	s_cbranch_execz .LBB96_119
	s_branch .LBB96_120
.LBB96_118:
                                        ; implicit-def: $vgpr70_vgpr71
.LBB96_119:
	ds_load_b64 v[70:71], v1
.LBB96_120:
	s_and_saveexec_b32 s27, s0
	s_cbranch_execz .LBB96_124
; %bb.121:
	v_subrev_nc_u32_e32 v72, 21, v0
	s_movk_i32 s28, 0x1b8
	s_mov_b32 s0, 0
.LBB96_122:                             ; =>This Inner Loop Header: Depth=1
	scratch_load_b64 v[74:75], off, s25
	v_dual_mov_b32 v73, s28 :: v_dual_add_nc_u32 v72, -1, v72
	s_add_co_i32 s28, s28, 8
	s_wait_xcnt 0x0
	s_add_co_i32 s25, s25, 8
	ds_load_b64 v[76:77], v73
	v_cmp_eq_u32_e32 vcc_lo, 0, v72
	s_or_b32 s0, vcc_lo, s0
	s_wait_loadcnt_dscnt 0x0
	v_pk_mul_f32 v[78:79], v[76:77], v[74:75] op_sel:[1,1] op_sel_hi:[0,1]
	s_delay_alu instid0(VALU_DEP_1) | instskip(SKIP_1) | instid1(VALU_DEP_2)
	v_pk_fma_f32 v[80:81], v[76:77], v[74:75], v[78:79] op_sel_hi:[1,0,1]
	v_pk_fma_f32 v[74:75], v[76:77], v[74:75], v[78:79] neg_lo:[0,0,1] neg_hi:[0,0,1]
	v_mov_b32_e32 v75, v81
	s_delay_alu instid0(VALU_DEP_1)
	v_pk_add_f32 v[70:71], v[70:71], v[74:75]
	s_and_not1_b32 exec_lo, exec_lo, s0
	s_cbranch_execnz .LBB96_122
; %bb.123:
	s_or_b32 exec_lo, exec_lo, s0
.LBB96_124:
	s_delay_alu instid0(SALU_CYCLE_1) | instskip(SKIP_4) | instid1(VALU_DEP_1)
	s_or_b32 exec_lo, exec_lo, s27
	v_mov_b32_e32 v72, 0
	ds_load_b64 v[72:73], v72 offset:160
	s_wait_dscnt 0x0
	v_pk_mul_f32 v[74:75], v[70:71], v[72:73] op_sel:[1,1] op_sel_hi:[0,1]
	v_pk_fma_f32 v[76:77], v[70:71], v[72:73], v[74:75] op_sel_hi:[1,0,1]
	v_pk_fma_f32 v[70:71], v[70:71], v[72:73], v[74:75] neg_lo:[0,0,1] neg_hi:[0,0,1]
	s_delay_alu instid0(VALU_DEP_2)
	v_mov_b32_e32 v71, v77
	scratch_store_b64 off, v[70:71], off offset:160
.LBB96_125:
	s_wait_xcnt 0x0
	s_or_b32 exec_lo, exec_lo, s26
	scratch_load_b64 v[70:71], off, off offset:152
	v_cmp_lt_u32_e64 s0, 19, v0
	s_wait_loadcnt 0x0
	ds_store_b64 v1, v[70:71]
	s_wait_storecnt_dscnt 0x0
	s_barrier_signal -1
	s_barrier_wait -1
	s_wait_xcnt 0x0
	s_and_saveexec_b32 s25, s0
	s_cbranch_execz .LBB96_135
; %bb.126:
	s_and_not1_b32 vcc_lo, exec_lo, s5
	s_cbranch_vccnz .LBB96_128
; %bb.127:
	scratch_load_b64 v[70:71], v59, off
	ds_load_b64 v[72:73], v1
	s_wait_loadcnt_dscnt 0x0
	v_pk_mul_f32 v[74:75], v[72:73], v[70:71] op_sel:[1,1] op_sel_hi:[0,1]
	s_delay_alu instid0(VALU_DEP_1) | instskip(SKIP_1) | instid1(VALU_DEP_2)
	v_pk_fma_f32 v[76:77], v[72:73], v[70:71], v[74:75] op_sel_hi:[1,0,1]
	v_pk_fma_f32 v[70:71], v[72:73], v[70:71], v[74:75] neg_lo:[0,0,1] neg_hi:[0,0,1]
	v_mov_b32_e32 v71, v77
	s_cbranch_execz .LBB96_129
	s_branch .LBB96_130
.LBB96_128:
                                        ; implicit-def: $vgpr70_vgpr71
.LBB96_129:
	ds_load_b64 v[70:71], v1
.LBB96_130:
	s_and_saveexec_b32 s26, s1
	s_cbranch_execz .LBB96_134
; %bb.131:
	v_subrev_nc_u32_e32 v72, 20, v0
	s_movk_i32 s27, 0x1b0
	s_mov_b32 s1, 0
.LBB96_132:                             ; =>This Inner Loop Header: Depth=1
	scratch_load_b64 v[74:75], off, s24
	v_dual_mov_b32 v73, s27 :: v_dual_add_nc_u32 v72, -1, v72
	s_add_co_i32 s27, s27, 8
	s_wait_xcnt 0x0
	s_add_co_i32 s24, s24, 8
	ds_load_b64 v[76:77], v73
	v_cmp_eq_u32_e32 vcc_lo, 0, v72
	s_or_b32 s1, vcc_lo, s1
	s_wait_loadcnt_dscnt 0x0
	v_pk_mul_f32 v[78:79], v[76:77], v[74:75] op_sel:[1,1] op_sel_hi:[0,1]
	s_delay_alu instid0(VALU_DEP_1) | instskip(SKIP_1) | instid1(VALU_DEP_2)
	v_pk_fma_f32 v[80:81], v[76:77], v[74:75], v[78:79] op_sel_hi:[1,0,1]
	v_pk_fma_f32 v[74:75], v[76:77], v[74:75], v[78:79] neg_lo:[0,0,1] neg_hi:[0,0,1]
	v_mov_b32_e32 v75, v81
	s_delay_alu instid0(VALU_DEP_1)
	v_pk_add_f32 v[70:71], v[70:71], v[74:75]
	s_and_not1_b32 exec_lo, exec_lo, s1
	s_cbranch_execnz .LBB96_132
; %bb.133:
	s_or_b32 exec_lo, exec_lo, s1
.LBB96_134:
	s_delay_alu instid0(SALU_CYCLE_1) | instskip(SKIP_4) | instid1(VALU_DEP_1)
	s_or_b32 exec_lo, exec_lo, s26
	v_mov_b32_e32 v72, 0
	ds_load_b64 v[72:73], v72 offset:152
	s_wait_dscnt 0x0
	v_pk_mul_f32 v[74:75], v[70:71], v[72:73] op_sel:[1,1] op_sel_hi:[0,1]
	v_pk_fma_f32 v[76:77], v[70:71], v[72:73], v[74:75] op_sel_hi:[1,0,1]
	v_pk_fma_f32 v[70:71], v[70:71], v[72:73], v[74:75] neg_lo:[0,0,1] neg_hi:[0,0,1]
	s_delay_alu instid0(VALU_DEP_2)
	v_mov_b32_e32 v71, v77
	scratch_store_b64 off, v[70:71], off offset:152
.LBB96_135:
	s_wait_xcnt 0x0
	s_or_b32 exec_lo, exec_lo, s25
	scratch_load_b64 v[70:71], off, off offset:144
	v_cmp_lt_u32_e64 s1, 18, v0
	s_wait_loadcnt 0x0
	ds_store_b64 v1, v[70:71]
	s_wait_storecnt_dscnt 0x0
	s_barrier_signal -1
	s_barrier_wait -1
	s_wait_xcnt 0x0
	s_and_saveexec_b32 s24, s1
	s_cbranch_execz .LBB96_145
; %bb.136:
	s_and_not1_b32 vcc_lo, exec_lo, s5
	s_cbranch_vccnz .LBB96_138
; %bb.137:
	scratch_load_b64 v[70:71], v59, off
	ds_load_b64 v[72:73], v1
	s_wait_loadcnt_dscnt 0x0
	v_pk_mul_f32 v[74:75], v[72:73], v[70:71] op_sel:[1,1] op_sel_hi:[0,1]
	s_delay_alu instid0(VALU_DEP_1) | instskip(SKIP_1) | instid1(VALU_DEP_2)
	v_pk_fma_f32 v[76:77], v[72:73], v[70:71], v[74:75] op_sel_hi:[1,0,1]
	v_pk_fma_f32 v[70:71], v[72:73], v[70:71], v[74:75] neg_lo:[0,0,1] neg_hi:[0,0,1]
	v_mov_b32_e32 v71, v77
	s_cbranch_execz .LBB96_139
	s_branch .LBB96_140
.LBB96_138:
                                        ; implicit-def: $vgpr70_vgpr71
.LBB96_139:
	ds_load_b64 v[70:71], v1
.LBB96_140:
	s_and_saveexec_b32 s25, s0
	s_cbranch_execz .LBB96_144
; %bb.141:
	v_subrev_nc_u32_e32 v72, 19, v0
	s_movk_i32 s26, 0x1a8
	s_mov_b32 s0, 0
.LBB96_142:                             ; =>This Inner Loop Header: Depth=1
	scratch_load_b64 v[74:75], off, s23
	v_dual_mov_b32 v73, s26 :: v_dual_add_nc_u32 v72, -1, v72
	s_add_co_i32 s26, s26, 8
	s_wait_xcnt 0x0
	s_add_co_i32 s23, s23, 8
	ds_load_b64 v[76:77], v73
	v_cmp_eq_u32_e32 vcc_lo, 0, v72
	s_or_b32 s0, vcc_lo, s0
	s_wait_loadcnt_dscnt 0x0
	v_pk_mul_f32 v[78:79], v[76:77], v[74:75] op_sel:[1,1] op_sel_hi:[0,1]
	s_delay_alu instid0(VALU_DEP_1) | instskip(SKIP_1) | instid1(VALU_DEP_2)
	v_pk_fma_f32 v[80:81], v[76:77], v[74:75], v[78:79] op_sel_hi:[1,0,1]
	v_pk_fma_f32 v[74:75], v[76:77], v[74:75], v[78:79] neg_lo:[0,0,1] neg_hi:[0,0,1]
	v_mov_b32_e32 v75, v81
	s_delay_alu instid0(VALU_DEP_1)
	v_pk_add_f32 v[70:71], v[70:71], v[74:75]
	s_and_not1_b32 exec_lo, exec_lo, s0
	s_cbranch_execnz .LBB96_142
; %bb.143:
	s_or_b32 exec_lo, exec_lo, s0
.LBB96_144:
	s_delay_alu instid0(SALU_CYCLE_1) | instskip(SKIP_4) | instid1(VALU_DEP_1)
	s_or_b32 exec_lo, exec_lo, s25
	v_mov_b32_e32 v72, 0
	ds_load_b64 v[72:73], v72 offset:144
	s_wait_dscnt 0x0
	v_pk_mul_f32 v[74:75], v[70:71], v[72:73] op_sel:[1,1] op_sel_hi:[0,1]
	v_pk_fma_f32 v[76:77], v[70:71], v[72:73], v[74:75] op_sel_hi:[1,0,1]
	v_pk_fma_f32 v[70:71], v[70:71], v[72:73], v[74:75] neg_lo:[0,0,1] neg_hi:[0,0,1]
	s_delay_alu instid0(VALU_DEP_2)
	v_mov_b32_e32 v71, v77
	scratch_store_b64 off, v[70:71], off offset:144
.LBB96_145:
	s_wait_xcnt 0x0
	s_or_b32 exec_lo, exec_lo, s24
	scratch_load_b64 v[70:71], off, off offset:136
	v_cmp_lt_u32_e64 s0, 17, v0
	s_wait_loadcnt 0x0
	ds_store_b64 v1, v[70:71]
	s_wait_storecnt_dscnt 0x0
	s_barrier_signal -1
	s_barrier_wait -1
	s_wait_xcnt 0x0
	s_and_saveexec_b32 s23, s0
	s_cbranch_execz .LBB96_155
; %bb.146:
	s_and_not1_b32 vcc_lo, exec_lo, s5
	s_cbranch_vccnz .LBB96_148
; %bb.147:
	scratch_load_b64 v[70:71], v59, off
	ds_load_b64 v[72:73], v1
	s_wait_loadcnt_dscnt 0x0
	v_pk_mul_f32 v[74:75], v[72:73], v[70:71] op_sel:[1,1] op_sel_hi:[0,1]
	s_delay_alu instid0(VALU_DEP_1) | instskip(SKIP_1) | instid1(VALU_DEP_2)
	v_pk_fma_f32 v[76:77], v[72:73], v[70:71], v[74:75] op_sel_hi:[1,0,1]
	v_pk_fma_f32 v[70:71], v[72:73], v[70:71], v[74:75] neg_lo:[0,0,1] neg_hi:[0,0,1]
	v_mov_b32_e32 v71, v77
	s_cbranch_execz .LBB96_149
	s_branch .LBB96_150
.LBB96_148:
                                        ; implicit-def: $vgpr70_vgpr71
.LBB96_149:
	ds_load_b64 v[70:71], v1
.LBB96_150:
	s_and_saveexec_b32 s24, s1
	s_cbranch_execz .LBB96_154
; %bb.151:
	v_subrev_nc_u32_e32 v72, 18, v0
	s_movk_i32 s25, 0x1a0
	s_mov_b32 s1, 0
.LBB96_152:                             ; =>This Inner Loop Header: Depth=1
	scratch_load_b64 v[74:75], off, s22
	v_dual_mov_b32 v73, s25 :: v_dual_add_nc_u32 v72, -1, v72
	s_add_co_i32 s25, s25, 8
	s_wait_xcnt 0x0
	s_add_co_i32 s22, s22, 8
	ds_load_b64 v[76:77], v73
	v_cmp_eq_u32_e32 vcc_lo, 0, v72
	s_or_b32 s1, vcc_lo, s1
	s_wait_loadcnt_dscnt 0x0
	v_pk_mul_f32 v[78:79], v[76:77], v[74:75] op_sel:[1,1] op_sel_hi:[0,1]
	s_delay_alu instid0(VALU_DEP_1) | instskip(SKIP_1) | instid1(VALU_DEP_2)
	v_pk_fma_f32 v[80:81], v[76:77], v[74:75], v[78:79] op_sel_hi:[1,0,1]
	v_pk_fma_f32 v[74:75], v[76:77], v[74:75], v[78:79] neg_lo:[0,0,1] neg_hi:[0,0,1]
	v_mov_b32_e32 v75, v81
	s_delay_alu instid0(VALU_DEP_1)
	v_pk_add_f32 v[70:71], v[70:71], v[74:75]
	s_and_not1_b32 exec_lo, exec_lo, s1
	s_cbranch_execnz .LBB96_152
; %bb.153:
	s_or_b32 exec_lo, exec_lo, s1
.LBB96_154:
	s_delay_alu instid0(SALU_CYCLE_1) | instskip(SKIP_4) | instid1(VALU_DEP_1)
	s_or_b32 exec_lo, exec_lo, s24
	v_mov_b32_e32 v72, 0
	ds_load_b64 v[72:73], v72 offset:136
	s_wait_dscnt 0x0
	v_pk_mul_f32 v[74:75], v[70:71], v[72:73] op_sel:[1,1] op_sel_hi:[0,1]
	v_pk_fma_f32 v[76:77], v[70:71], v[72:73], v[74:75] op_sel_hi:[1,0,1]
	v_pk_fma_f32 v[70:71], v[70:71], v[72:73], v[74:75] neg_lo:[0,0,1] neg_hi:[0,0,1]
	s_delay_alu instid0(VALU_DEP_2)
	v_mov_b32_e32 v71, v77
	scratch_store_b64 off, v[70:71], off offset:136
.LBB96_155:
	s_wait_xcnt 0x0
	s_or_b32 exec_lo, exec_lo, s23
	scratch_load_b64 v[70:71], off, off offset:128
	v_cmp_lt_u32_e64 s1, 16, v0
	s_wait_loadcnt 0x0
	ds_store_b64 v1, v[70:71]
	s_wait_storecnt_dscnt 0x0
	s_barrier_signal -1
	s_barrier_wait -1
	s_wait_xcnt 0x0
	s_and_saveexec_b32 s22, s1
	s_cbranch_execz .LBB96_165
; %bb.156:
	s_and_not1_b32 vcc_lo, exec_lo, s5
	s_cbranch_vccnz .LBB96_158
; %bb.157:
	scratch_load_b64 v[70:71], v59, off
	ds_load_b64 v[72:73], v1
	s_wait_loadcnt_dscnt 0x0
	v_pk_mul_f32 v[74:75], v[72:73], v[70:71] op_sel:[1,1] op_sel_hi:[0,1]
	s_delay_alu instid0(VALU_DEP_1) | instskip(SKIP_1) | instid1(VALU_DEP_2)
	v_pk_fma_f32 v[76:77], v[72:73], v[70:71], v[74:75] op_sel_hi:[1,0,1]
	v_pk_fma_f32 v[70:71], v[72:73], v[70:71], v[74:75] neg_lo:[0,0,1] neg_hi:[0,0,1]
	v_mov_b32_e32 v71, v77
	s_cbranch_execz .LBB96_159
	s_branch .LBB96_160
.LBB96_158:
                                        ; implicit-def: $vgpr70_vgpr71
.LBB96_159:
	ds_load_b64 v[70:71], v1
.LBB96_160:
	s_and_saveexec_b32 s23, s0
	s_cbranch_execz .LBB96_164
; %bb.161:
	v_subrev_nc_u32_e32 v72, 17, v0
	s_movk_i32 s24, 0x198
	s_mov_b32 s0, 0
.LBB96_162:                             ; =>This Inner Loop Header: Depth=1
	scratch_load_b64 v[74:75], off, s21
	v_dual_mov_b32 v73, s24 :: v_dual_add_nc_u32 v72, -1, v72
	s_add_co_i32 s24, s24, 8
	s_wait_xcnt 0x0
	s_add_co_i32 s21, s21, 8
	ds_load_b64 v[76:77], v73
	v_cmp_eq_u32_e32 vcc_lo, 0, v72
	s_or_b32 s0, vcc_lo, s0
	s_wait_loadcnt_dscnt 0x0
	v_pk_mul_f32 v[78:79], v[76:77], v[74:75] op_sel:[1,1] op_sel_hi:[0,1]
	s_delay_alu instid0(VALU_DEP_1) | instskip(SKIP_1) | instid1(VALU_DEP_2)
	v_pk_fma_f32 v[80:81], v[76:77], v[74:75], v[78:79] op_sel_hi:[1,0,1]
	v_pk_fma_f32 v[74:75], v[76:77], v[74:75], v[78:79] neg_lo:[0,0,1] neg_hi:[0,0,1]
	v_mov_b32_e32 v75, v81
	s_delay_alu instid0(VALU_DEP_1)
	v_pk_add_f32 v[70:71], v[70:71], v[74:75]
	s_and_not1_b32 exec_lo, exec_lo, s0
	s_cbranch_execnz .LBB96_162
; %bb.163:
	s_or_b32 exec_lo, exec_lo, s0
.LBB96_164:
	s_delay_alu instid0(SALU_CYCLE_1) | instskip(SKIP_4) | instid1(VALU_DEP_1)
	s_or_b32 exec_lo, exec_lo, s23
	v_mov_b32_e32 v72, 0
	ds_load_b64 v[72:73], v72 offset:128
	s_wait_dscnt 0x0
	v_pk_mul_f32 v[74:75], v[70:71], v[72:73] op_sel:[1,1] op_sel_hi:[0,1]
	v_pk_fma_f32 v[76:77], v[70:71], v[72:73], v[74:75] op_sel_hi:[1,0,1]
	v_pk_fma_f32 v[70:71], v[70:71], v[72:73], v[74:75] neg_lo:[0,0,1] neg_hi:[0,0,1]
	s_delay_alu instid0(VALU_DEP_2)
	v_mov_b32_e32 v71, v77
	scratch_store_b64 off, v[70:71], off offset:128
.LBB96_165:
	s_wait_xcnt 0x0
	s_or_b32 exec_lo, exec_lo, s22
	scratch_load_b64 v[70:71], off, off offset:120
	v_cmp_lt_u32_e64 s0, 15, v0
	s_wait_loadcnt 0x0
	ds_store_b64 v1, v[70:71]
	s_wait_storecnt_dscnt 0x0
	s_barrier_signal -1
	s_barrier_wait -1
	s_wait_xcnt 0x0
	s_and_saveexec_b32 s21, s0
	s_cbranch_execz .LBB96_175
; %bb.166:
	s_and_not1_b32 vcc_lo, exec_lo, s5
	s_cbranch_vccnz .LBB96_168
; %bb.167:
	scratch_load_b64 v[70:71], v59, off
	ds_load_b64 v[72:73], v1
	s_wait_loadcnt_dscnt 0x0
	v_pk_mul_f32 v[74:75], v[72:73], v[70:71] op_sel:[1,1] op_sel_hi:[0,1]
	s_delay_alu instid0(VALU_DEP_1) | instskip(SKIP_1) | instid1(VALU_DEP_2)
	v_pk_fma_f32 v[76:77], v[72:73], v[70:71], v[74:75] op_sel_hi:[1,0,1]
	v_pk_fma_f32 v[70:71], v[72:73], v[70:71], v[74:75] neg_lo:[0,0,1] neg_hi:[0,0,1]
	v_mov_b32_e32 v71, v77
	s_cbranch_execz .LBB96_169
	s_branch .LBB96_170
.LBB96_168:
                                        ; implicit-def: $vgpr70_vgpr71
.LBB96_169:
	ds_load_b64 v[70:71], v1
.LBB96_170:
	s_and_saveexec_b32 s22, s1
	s_cbranch_execz .LBB96_174
; %bb.171:
	v_add_nc_u32_e32 v72, -16, v0
	s_movk_i32 s23, 0x190
	s_mov_b32 s1, 0
.LBB96_172:                             ; =>This Inner Loop Header: Depth=1
	scratch_load_b64 v[74:75], off, s20
	v_dual_mov_b32 v73, s23 :: v_dual_add_nc_u32 v72, -1, v72
	s_add_co_i32 s23, s23, 8
	s_wait_xcnt 0x0
	s_add_co_i32 s20, s20, 8
	ds_load_b64 v[76:77], v73
	v_cmp_eq_u32_e32 vcc_lo, 0, v72
	s_or_b32 s1, vcc_lo, s1
	s_wait_loadcnt_dscnt 0x0
	v_pk_mul_f32 v[78:79], v[76:77], v[74:75] op_sel:[1,1] op_sel_hi:[0,1]
	s_delay_alu instid0(VALU_DEP_1) | instskip(SKIP_1) | instid1(VALU_DEP_2)
	v_pk_fma_f32 v[80:81], v[76:77], v[74:75], v[78:79] op_sel_hi:[1,0,1]
	v_pk_fma_f32 v[74:75], v[76:77], v[74:75], v[78:79] neg_lo:[0,0,1] neg_hi:[0,0,1]
	v_mov_b32_e32 v75, v81
	s_delay_alu instid0(VALU_DEP_1)
	v_pk_add_f32 v[70:71], v[70:71], v[74:75]
	s_and_not1_b32 exec_lo, exec_lo, s1
	s_cbranch_execnz .LBB96_172
; %bb.173:
	s_or_b32 exec_lo, exec_lo, s1
.LBB96_174:
	s_delay_alu instid0(SALU_CYCLE_1) | instskip(SKIP_4) | instid1(VALU_DEP_1)
	s_or_b32 exec_lo, exec_lo, s22
	v_mov_b32_e32 v72, 0
	ds_load_b64 v[72:73], v72 offset:120
	s_wait_dscnt 0x0
	v_pk_mul_f32 v[74:75], v[70:71], v[72:73] op_sel:[1,1] op_sel_hi:[0,1]
	v_pk_fma_f32 v[76:77], v[70:71], v[72:73], v[74:75] op_sel_hi:[1,0,1]
	v_pk_fma_f32 v[70:71], v[70:71], v[72:73], v[74:75] neg_lo:[0,0,1] neg_hi:[0,0,1]
	s_delay_alu instid0(VALU_DEP_2)
	v_mov_b32_e32 v71, v77
	scratch_store_b64 off, v[70:71], off offset:120
.LBB96_175:
	s_wait_xcnt 0x0
	s_or_b32 exec_lo, exec_lo, s21
	scratch_load_b64 v[70:71], off, off offset:112
	v_cmp_lt_u32_e64 s1, 14, v0
	s_wait_loadcnt 0x0
	ds_store_b64 v1, v[70:71]
	s_wait_storecnt_dscnt 0x0
	s_barrier_signal -1
	s_barrier_wait -1
	s_wait_xcnt 0x0
	s_and_saveexec_b32 s20, s1
	s_cbranch_execz .LBB96_185
; %bb.176:
	s_and_not1_b32 vcc_lo, exec_lo, s5
	s_cbranch_vccnz .LBB96_178
; %bb.177:
	scratch_load_b64 v[70:71], v59, off
	ds_load_b64 v[72:73], v1
	s_wait_loadcnt_dscnt 0x0
	v_pk_mul_f32 v[74:75], v[72:73], v[70:71] op_sel:[1,1] op_sel_hi:[0,1]
	s_delay_alu instid0(VALU_DEP_1) | instskip(SKIP_1) | instid1(VALU_DEP_2)
	v_pk_fma_f32 v[76:77], v[72:73], v[70:71], v[74:75] op_sel_hi:[1,0,1]
	v_pk_fma_f32 v[70:71], v[72:73], v[70:71], v[74:75] neg_lo:[0,0,1] neg_hi:[0,0,1]
	v_mov_b32_e32 v71, v77
	s_cbranch_execz .LBB96_179
	s_branch .LBB96_180
.LBB96_178:
                                        ; implicit-def: $vgpr70_vgpr71
.LBB96_179:
	ds_load_b64 v[70:71], v1
.LBB96_180:
	s_and_saveexec_b32 s21, s0
	s_cbranch_execz .LBB96_184
; %bb.181:
	v_add_nc_u32_e32 v72, -15, v0
	s_movk_i32 s22, 0x188
	s_mov_b32 s0, 0
.LBB96_182:                             ; =>This Inner Loop Header: Depth=1
	scratch_load_b64 v[74:75], off, s19
	v_dual_mov_b32 v73, s22 :: v_dual_add_nc_u32 v72, -1, v72
	s_add_co_i32 s22, s22, 8
	s_wait_xcnt 0x0
	s_add_co_i32 s19, s19, 8
	ds_load_b64 v[76:77], v73
	v_cmp_eq_u32_e32 vcc_lo, 0, v72
	s_or_b32 s0, vcc_lo, s0
	s_wait_loadcnt_dscnt 0x0
	v_pk_mul_f32 v[78:79], v[76:77], v[74:75] op_sel:[1,1] op_sel_hi:[0,1]
	s_delay_alu instid0(VALU_DEP_1) | instskip(SKIP_1) | instid1(VALU_DEP_2)
	v_pk_fma_f32 v[80:81], v[76:77], v[74:75], v[78:79] op_sel_hi:[1,0,1]
	v_pk_fma_f32 v[74:75], v[76:77], v[74:75], v[78:79] neg_lo:[0,0,1] neg_hi:[0,0,1]
	v_mov_b32_e32 v75, v81
	s_delay_alu instid0(VALU_DEP_1)
	v_pk_add_f32 v[70:71], v[70:71], v[74:75]
	s_and_not1_b32 exec_lo, exec_lo, s0
	s_cbranch_execnz .LBB96_182
; %bb.183:
	s_or_b32 exec_lo, exec_lo, s0
.LBB96_184:
	s_delay_alu instid0(SALU_CYCLE_1) | instskip(SKIP_4) | instid1(VALU_DEP_1)
	s_or_b32 exec_lo, exec_lo, s21
	v_mov_b32_e32 v72, 0
	ds_load_b64 v[72:73], v72 offset:112
	s_wait_dscnt 0x0
	v_pk_mul_f32 v[74:75], v[70:71], v[72:73] op_sel:[1,1] op_sel_hi:[0,1]
	v_pk_fma_f32 v[76:77], v[70:71], v[72:73], v[74:75] op_sel_hi:[1,0,1]
	v_pk_fma_f32 v[70:71], v[70:71], v[72:73], v[74:75] neg_lo:[0,0,1] neg_hi:[0,0,1]
	s_delay_alu instid0(VALU_DEP_2)
	v_mov_b32_e32 v71, v77
	scratch_store_b64 off, v[70:71], off offset:112
.LBB96_185:
	s_wait_xcnt 0x0
	s_or_b32 exec_lo, exec_lo, s20
	scratch_load_b64 v[70:71], off, off offset:104
	v_cmp_lt_u32_e64 s0, 13, v0
	s_wait_loadcnt 0x0
	ds_store_b64 v1, v[70:71]
	s_wait_storecnt_dscnt 0x0
	s_barrier_signal -1
	s_barrier_wait -1
	s_wait_xcnt 0x0
	s_and_saveexec_b32 s19, s0
	s_cbranch_execz .LBB96_195
; %bb.186:
	s_and_not1_b32 vcc_lo, exec_lo, s5
	s_cbranch_vccnz .LBB96_188
; %bb.187:
	scratch_load_b64 v[70:71], v59, off
	ds_load_b64 v[72:73], v1
	s_wait_loadcnt_dscnt 0x0
	v_pk_mul_f32 v[74:75], v[72:73], v[70:71] op_sel:[1,1] op_sel_hi:[0,1]
	s_delay_alu instid0(VALU_DEP_1) | instskip(SKIP_1) | instid1(VALU_DEP_2)
	v_pk_fma_f32 v[76:77], v[72:73], v[70:71], v[74:75] op_sel_hi:[1,0,1]
	v_pk_fma_f32 v[70:71], v[72:73], v[70:71], v[74:75] neg_lo:[0,0,1] neg_hi:[0,0,1]
	v_mov_b32_e32 v71, v77
	s_cbranch_execz .LBB96_189
	s_branch .LBB96_190
.LBB96_188:
                                        ; implicit-def: $vgpr70_vgpr71
.LBB96_189:
	ds_load_b64 v[70:71], v1
.LBB96_190:
	s_and_saveexec_b32 s20, s1
	s_cbranch_execz .LBB96_194
; %bb.191:
	v_add_nc_u32_e32 v72, -14, v0
	s_movk_i32 s21, 0x180
	s_mov_b32 s1, 0
.LBB96_192:                             ; =>This Inner Loop Header: Depth=1
	scratch_load_b64 v[74:75], off, s18
	v_dual_mov_b32 v73, s21 :: v_dual_add_nc_u32 v72, -1, v72
	s_add_co_i32 s21, s21, 8
	s_wait_xcnt 0x0
	s_add_co_i32 s18, s18, 8
	ds_load_b64 v[76:77], v73
	v_cmp_eq_u32_e32 vcc_lo, 0, v72
	s_or_b32 s1, vcc_lo, s1
	s_wait_loadcnt_dscnt 0x0
	v_pk_mul_f32 v[78:79], v[76:77], v[74:75] op_sel:[1,1] op_sel_hi:[0,1]
	s_delay_alu instid0(VALU_DEP_1) | instskip(SKIP_1) | instid1(VALU_DEP_2)
	v_pk_fma_f32 v[80:81], v[76:77], v[74:75], v[78:79] op_sel_hi:[1,0,1]
	v_pk_fma_f32 v[74:75], v[76:77], v[74:75], v[78:79] neg_lo:[0,0,1] neg_hi:[0,0,1]
	v_mov_b32_e32 v75, v81
	s_delay_alu instid0(VALU_DEP_1)
	v_pk_add_f32 v[70:71], v[70:71], v[74:75]
	s_and_not1_b32 exec_lo, exec_lo, s1
	s_cbranch_execnz .LBB96_192
; %bb.193:
	s_or_b32 exec_lo, exec_lo, s1
.LBB96_194:
	s_delay_alu instid0(SALU_CYCLE_1) | instskip(SKIP_4) | instid1(VALU_DEP_1)
	s_or_b32 exec_lo, exec_lo, s20
	v_mov_b32_e32 v72, 0
	ds_load_b64 v[72:73], v72 offset:104
	s_wait_dscnt 0x0
	v_pk_mul_f32 v[74:75], v[70:71], v[72:73] op_sel:[1,1] op_sel_hi:[0,1]
	v_pk_fma_f32 v[76:77], v[70:71], v[72:73], v[74:75] op_sel_hi:[1,0,1]
	v_pk_fma_f32 v[70:71], v[70:71], v[72:73], v[74:75] neg_lo:[0,0,1] neg_hi:[0,0,1]
	s_delay_alu instid0(VALU_DEP_2)
	v_mov_b32_e32 v71, v77
	scratch_store_b64 off, v[70:71], off offset:104
.LBB96_195:
	s_wait_xcnt 0x0
	s_or_b32 exec_lo, exec_lo, s19
	scratch_load_b64 v[70:71], off, off offset:96
	v_cmp_lt_u32_e64 s1, 12, v0
	s_wait_loadcnt 0x0
	ds_store_b64 v1, v[70:71]
	s_wait_storecnt_dscnt 0x0
	s_barrier_signal -1
	s_barrier_wait -1
	s_wait_xcnt 0x0
	s_and_saveexec_b32 s18, s1
	s_cbranch_execz .LBB96_205
; %bb.196:
	s_and_not1_b32 vcc_lo, exec_lo, s5
	s_cbranch_vccnz .LBB96_198
; %bb.197:
	scratch_load_b64 v[70:71], v59, off
	ds_load_b64 v[72:73], v1
	s_wait_loadcnt_dscnt 0x0
	v_pk_mul_f32 v[74:75], v[72:73], v[70:71] op_sel:[1,1] op_sel_hi:[0,1]
	s_delay_alu instid0(VALU_DEP_1) | instskip(SKIP_1) | instid1(VALU_DEP_2)
	v_pk_fma_f32 v[76:77], v[72:73], v[70:71], v[74:75] op_sel_hi:[1,0,1]
	v_pk_fma_f32 v[70:71], v[72:73], v[70:71], v[74:75] neg_lo:[0,0,1] neg_hi:[0,0,1]
	v_mov_b32_e32 v71, v77
	s_cbranch_execz .LBB96_199
	s_branch .LBB96_200
.LBB96_198:
                                        ; implicit-def: $vgpr70_vgpr71
.LBB96_199:
	ds_load_b64 v[70:71], v1
.LBB96_200:
	s_and_saveexec_b32 s19, s0
	s_cbranch_execz .LBB96_204
; %bb.201:
	v_add_nc_u32_e32 v72, -13, v0
	s_movk_i32 s20, 0x178
	s_mov_b32 s0, 0
.LBB96_202:                             ; =>This Inner Loop Header: Depth=1
	scratch_load_b64 v[74:75], off, s17
	v_dual_mov_b32 v73, s20 :: v_dual_add_nc_u32 v72, -1, v72
	s_add_co_i32 s20, s20, 8
	s_wait_xcnt 0x0
	s_add_co_i32 s17, s17, 8
	ds_load_b64 v[76:77], v73
	v_cmp_eq_u32_e32 vcc_lo, 0, v72
	s_or_b32 s0, vcc_lo, s0
	s_wait_loadcnt_dscnt 0x0
	v_pk_mul_f32 v[78:79], v[76:77], v[74:75] op_sel:[1,1] op_sel_hi:[0,1]
	s_delay_alu instid0(VALU_DEP_1) | instskip(SKIP_1) | instid1(VALU_DEP_2)
	v_pk_fma_f32 v[80:81], v[76:77], v[74:75], v[78:79] op_sel_hi:[1,0,1]
	v_pk_fma_f32 v[74:75], v[76:77], v[74:75], v[78:79] neg_lo:[0,0,1] neg_hi:[0,0,1]
	v_mov_b32_e32 v75, v81
	s_delay_alu instid0(VALU_DEP_1)
	v_pk_add_f32 v[70:71], v[70:71], v[74:75]
	s_and_not1_b32 exec_lo, exec_lo, s0
	s_cbranch_execnz .LBB96_202
; %bb.203:
	s_or_b32 exec_lo, exec_lo, s0
.LBB96_204:
	s_delay_alu instid0(SALU_CYCLE_1) | instskip(SKIP_4) | instid1(VALU_DEP_1)
	s_or_b32 exec_lo, exec_lo, s19
	v_mov_b32_e32 v72, 0
	ds_load_b64 v[72:73], v72 offset:96
	s_wait_dscnt 0x0
	v_pk_mul_f32 v[74:75], v[70:71], v[72:73] op_sel:[1,1] op_sel_hi:[0,1]
	v_pk_fma_f32 v[76:77], v[70:71], v[72:73], v[74:75] op_sel_hi:[1,0,1]
	v_pk_fma_f32 v[70:71], v[70:71], v[72:73], v[74:75] neg_lo:[0,0,1] neg_hi:[0,0,1]
	s_delay_alu instid0(VALU_DEP_2)
	v_mov_b32_e32 v71, v77
	scratch_store_b64 off, v[70:71], off offset:96
.LBB96_205:
	s_wait_xcnt 0x0
	s_or_b32 exec_lo, exec_lo, s18
	scratch_load_b64 v[70:71], off, off offset:88
	v_cmp_lt_u32_e64 s0, 11, v0
	s_wait_loadcnt 0x0
	ds_store_b64 v1, v[70:71]
	s_wait_storecnt_dscnt 0x0
	s_barrier_signal -1
	s_barrier_wait -1
	s_wait_xcnt 0x0
	s_and_saveexec_b32 s17, s0
	s_cbranch_execz .LBB96_215
; %bb.206:
	s_and_not1_b32 vcc_lo, exec_lo, s5
	s_cbranch_vccnz .LBB96_208
; %bb.207:
	scratch_load_b64 v[70:71], v59, off
	ds_load_b64 v[72:73], v1
	s_wait_loadcnt_dscnt 0x0
	v_pk_mul_f32 v[74:75], v[72:73], v[70:71] op_sel:[1,1] op_sel_hi:[0,1]
	s_delay_alu instid0(VALU_DEP_1) | instskip(SKIP_1) | instid1(VALU_DEP_2)
	v_pk_fma_f32 v[76:77], v[72:73], v[70:71], v[74:75] op_sel_hi:[1,0,1]
	v_pk_fma_f32 v[70:71], v[72:73], v[70:71], v[74:75] neg_lo:[0,0,1] neg_hi:[0,0,1]
	v_mov_b32_e32 v71, v77
	s_cbranch_execz .LBB96_209
	s_branch .LBB96_210
.LBB96_208:
                                        ; implicit-def: $vgpr70_vgpr71
.LBB96_209:
	ds_load_b64 v[70:71], v1
.LBB96_210:
	s_and_saveexec_b32 s18, s1
	s_cbranch_execz .LBB96_214
; %bb.211:
	v_add_nc_u32_e32 v72, -12, v0
	s_movk_i32 s19, 0x170
	s_mov_b32 s1, 0
.LBB96_212:                             ; =>This Inner Loop Header: Depth=1
	scratch_load_b64 v[74:75], off, s16
	v_dual_mov_b32 v73, s19 :: v_dual_add_nc_u32 v72, -1, v72
	s_add_co_i32 s19, s19, 8
	s_wait_xcnt 0x0
	s_add_co_i32 s16, s16, 8
	ds_load_b64 v[76:77], v73
	v_cmp_eq_u32_e32 vcc_lo, 0, v72
	s_or_b32 s1, vcc_lo, s1
	s_wait_loadcnt_dscnt 0x0
	v_pk_mul_f32 v[78:79], v[76:77], v[74:75] op_sel:[1,1] op_sel_hi:[0,1]
	s_delay_alu instid0(VALU_DEP_1) | instskip(SKIP_1) | instid1(VALU_DEP_2)
	v_pk_fma_f32 v[80:81], v[76:77], v[74:75], v[78:79] op_sel_hi:[1,0,1]
	v_pk_fma_f32 v[74:75], v[76:77], v[74:75], v[78:79] neg_lo:[0,0,1] neg_hi:[0,0,1]
	v_mov_b32_e32 v75, v81
	s_delay_alu instid0(VALU_DEP_1)
	v_pk_add_f32 v[70:71], v[70:71], v[74:75]
	s_and_not1_b32 exec_lo, exec_lo, s1
	s_cbranch_execnz .LBB96_212
; %bb.213:
	s_or_b32 exec_lo, exec_lo, s1
.LBB96_214:
	s_delay_alu instid0(SALU_CYCLE_1) | instskip(SKIP_4) | instid1(VALU_DEP_1)
	s_or_b32 exec_lo, exec_lo, s18
	v_mov_b32_e32 v72, 0
	ds_load_b64 v[72:73], v72 offset:88
	s_wait_dscnt 0x0
	v_pk_mul_f32 v[74:75], v[70:71], v[72:73] op_sel:[1,1] op_sel_hi:[0,1]
	v_pk_fma_f32 v[76:77], v[70:71], v[72:73], v[74:75] op_sel_hi:[1,0,1]
	v_pk_fma_f32 v[70:71], v[70:71], v[72:73], v[74:75] neg_lo:[0,0,1] neg_hi:[0,0,1]
	s_delay_alu instid0(VALU_DEP_2)
	v_mov_b32_e32 v71, v77
	scratch_store_b64 off, v[70:71], off offset:88
.LBB96_215:
	s_wait_xcnt 0x0
	s_or_b32 exec_lo, exec_lo, s17
	scratch_load_b64 v[70:71], off, off offset:80
	v_cmp_lt_u32_e64 s1, 10, v0
	s_wait_loadcnt 0x0
	ds_store_b64 v1, v[70:71]
	s_wait_storecnt_dscnt 0x0
	s_barrier_signal -1
	s_barrier_wait -1
	s_wait_xcnt 0x0
	s_and_saveexec_b32 s16, s1
	s_cbranch_execz .LBB96_225
; %bb.216:
	s_and_not1_b32 vcc_lo, exec_lo, s5
	s_cbranch_vccnz .LBB96_218
; %bb.217:
	scratch_load_b64 v[70:71], v59, off
	ds_load_b64 v[72:73], v1
	s_wait_loadcnt_dscnt 0x0
	v_pk_mul_f32 v[74:75], v[72:73], v[70:71] op_sel:[1,1] op_sel_hi:[0,1]
	s_delay_alu instid0(VALU_DEP_1) | instskip(SKIP_1) | instid1(VALU_DEP_2)
	v_pk_fma_f32 v[76:77], v[72:73], v[70:71], v[74:75] op_sel_hi:[1,0,1]
	v_pk_fma_f32 v[70:71], v[72:73], v[70:71], v[74:75] neg_lo:[0,0,1] neg_hi:[0,0,1]
	v_mov_b32_e32 v71, v77
	s_cbranch_execz .LBB96_219
	s_branch .LBB96_220
.LBB96_218:
                                        ; implicit-def: $vgpr70_vgpr71
.LBB96_219:
	ds_load_b64 v[70:71], v1
.LBB96_220:
	s_and_saveexec_b32 s17, s0
	s_cbranch_execz .LBB96_224
; %bb.221:
	v_add_nc_u32_e32 v72, -11, v0
	s_movk_i32 s18, 0x168
	s_mov_b32 s0, 0
.LBB96_222:                             ; =>This Inner Loop Header: Depth=1
	scratch_load_b64 v[74:75], off, s15
	v_dual_mov_b32 v73, s18 :: v_dual_add_nc_u32 v72, -1, v72
	s_add_co_i32 s18, s18, 8
	s_wait_xcnt 0x0
	s_add_co_i32 s15, s15, 8
	ds_load_b64 v[76:77], v73
	v_cmp_eq_u32_e32 vcc_lo, 0, v72
	s_or_b32 s0, vcc_lo, s0
	s_wait_loadcnt_dscnt 0x0
	v_pk_mul_f32 v[78:79], v[76:77], v[74:75] op_sel:[1,1] op_sel_hi:[0,1]
	s_delay_alu instid0(VALU_DEP_1) | instskip(SKIP_1) | instid1(VALU_DEP_2)
	v_pk_fma_f32 v[80:81], v[76:77], v[74:75], v[78:79] op_sel_hi:[1,0,1]
	v_pk_fma_f32 v[74:75], v[76:77], v[74:75], v[78:79] neg_lo:[0,0,1] neg_hi:[0,0,1]
	v_mov_b32_e32 v75, v81
	s_delay_alu instid0(VALU_DEP_1)
	v_pk_add_f32 v[70:71], v[70:71], v[74:75]
	s_and_not1_b32 exec_lo, exec_lo, s0
	s_cbranch_execnz .LBB96_222
; %bb.223:
	s_or_b32 exec_lo, exec_lo, s0
.LBB96_224:
	s_delay_alu instid0(SALU_CYCLE_1) | instskip(SKIP_4) | instid1(VALU_DEP_1)
	s_or_b32 exec_lo, exec_lo, s17
	v_mov_b32_e32 v72, 0
	ds_load_b64 v[72:73], v72 offset:80
	s_wait_dscnt 0x0
	v_pk_mul_f32 v[74:75], v[70:71], v[72:73] op_sel:[1,1] op_sel_hi:[0,1]
	v_pk_fma_f32 v[76:77], v[70:71], v[72:73], v[74:75] op_sel_hi:[1,0,1]
	v_pk_fma_f32 v[70:71], v[70:71], v[72:73], v[74:75] neg_lo:[0,0,1] neg_hi:[0,0,1]
	s_delay_alu instid0(VALU_DEP_2)
	v_mov_b32_e32 v71, v77
	scratch_store_b64 off, v[70:71], off offset:80
.LBB96_225:
	s_wait_xcnt 0x0
	s_or_b32 exec_lo, exec_lo, s16
	scratch_load_b64 v[70:71], off, off offset:72
	v_cmp_lt_u32_e64 s0, 9, v0
	s_wait_loadcnt 0x0
	ds_store_b64 v1, v[70:71]
	s_wait_storecnt_dscnt 0x0
	s_barrier_signal -1
	s_barrier_wait -1
	s_wait_xcnt 0x0
	s_and_saveexec_b32 s15, s0
	s_cbranch_execz .LBB96_235
; %bb.226:
	s_and_not1_b32 vcc_lo, exec_lo, s5
	s_cbranch_vccnz .LBB96_228
; %bb.227:
	scratch_load_b64 v[70:71], v59, off
	ds_load_b64 v[72:73], v1
	s_wait_loadcnt_dscnt 0x0
	v_pk_mul_f32 v[74:75], v[72:73], v[70:71] op_sel:[1,1] op_sel_hi:[0,1]
	s_delay_alu instid0(VALU_DEP_1) | instskip(SKIP_1) | instid1(VALU_DEP_2)
	v_pk_fma_f32 v[76:77], v[72:73], v[70:71], v[74:75] op_sel_hi:[1,0,1]
	v_pk_fma_f32 v[70:71], v[72:73], v[70:71], v[74:75] neg_lo:[0,0,1] neg_hi:[0,0,1]
	v_mov_b32_e32 v71, v77
	s_cbranch_execz .LBB96_229
	s_branch .LBB96_230
.LBB96_228:
                                        ; implicit-def: $vgpr70_vgpr71
.LBB96_229:
	ds_load_b64 v[70:71], v1
.LBB96_230:
	s_and_saveexec_b32 s16, s1
	s_cbranch_execz .LBB96_234
; %bb.231:
	v_add_nc_u32_e32 v72, -10, v0
	s_movk_i32 s17, 0x160
	s_mov_b32 s1, 0
.LBB96_232:                             ; =>This Inner Loop Header: Depth=1
	scratch_load_b64 v[74:75], off, s14
	v_dual_mov_b32 v73, s17 :: v_dual_add_nc_u32 v72, -1, v72
	s_add_co_i32 s17, s17, 8
	s_wait_xcnt 0x0
	s_add_co_i32 s14, s14, 8
	ds_load_b64 v[76:77], v73
	v_cmp_eq_u32_e32 vcc_lo, 0, v72
	s_or_b32 s1, vcc_lo, s1
	s_wait_loadcnt_dscnt 0x0
	v_pk_mul_f32 v[78:79], v[76:77], v[74:75] op_sel:[1,1] op_sel_hi:[0,1]
	s_delay_alu instid0(VALU_DEP_1) | instskip(SKIP_1) | instid1(VALU_DEP_2)
	v_pk_fma_f32 v[80:81], v[76:77], v[74:75], v[78:79] op_sel_hi:[1,0,1]
	v_pk_fma_f32 v[74:75], v[76:77], v[74:75], v[78:79] neg_lo:[0,0,1] neg_hi:[0,0,1]
	v_mov_b32_e32 v75, v81
	s_delay_alu instid0(VALU_DEP_1)
	v_pk_add_f32 v[70:71], v[70:71], v[74:75]
	s_and_not1_b32 exec_lo, exec_lo, s1
	s_cbranch_execnz .LBB96_232
; %bb.233:
	s_or_b32 exec_lo, exec_lo, s1
.LBB96_234:
	s_delay_alu instid0(SALU_CYCLE_1) | instskip(SKIP_4) | instid1(VALU_DEP_1)
	s_or_b32 exec_lo, exec_lo, s16
	v_mov_b32_e32 v72, 0
	ds_load_b64 v[72:73], v72 offset:72
	s_wait_dscnt 0x0
	v_pk_mul_f32 v[74:75], v[70:71], v[72:73] op_sel:[1,1] op_sel_hi:[0,1]
	v_pk_fma_f32 v[76:77], v[70:71], v[72:73], v[74:75] op_sel_hi:[1,0,1]
	v_pk_fma_f32 v[70:71], v[70:71], v[72:73], v[74:75] neg_lo:[0,0,1] neg_hi:[0,0,1]
	s_delay_alu instid0(VALU_DEP_2)
	v_mov_b32_e32 v71, v77
	scratch_store_b64 off, v[70:71], off offset:72
.LBB96_235:
	s_wait_xcnt 0x0
	s_or_b32 exec_lo, exec_lo, s15
	scratch_load_b64 v[70:71], off, off offset:64
	v_cmp_lt_u32_e64 s1, 8, v0
	s_wait_loadcnt 0x0
	ds_store_b64 v1, v[70:71]
	s_wait_storecnt_dscnt 0x0
	s_barrier_signal -1
	s_barrier_wait -1
	s_wait_xcnt 0x0
	s_and_saveexec_b32 s14, s1
	s_cbranch_execz .LBB96_245
; %bb.236:
	s_and_not1_b32 vcc_lo, exec_lo, s5
	s_cbranch_vccnz .LBB96_238
; %bb.237:
	scratch_load_b64 v[70:71], v59, off
	ds_load_b64 v[72:73], v1
	s_wait_loadcnt_dscnt 0x0
	v_pk_mul_f32 v[74:75], v[72:73], v[70:71] op_sel:[1,1] op_sel_hi:[0,1]
	s_delay_alu instid0(VALU_DEP_1) | instskip(SKIP_1) | instid1(VALU_DEP_2)
	v_pk_fma_f32 v[76:77], v[72:73], v[70:71], v[74:75] op_sel_hi:[1,0,1]
	v_pk_fma_f32 v[70:71], v[72:73], v[70:71], v[74:75] neg_lo:[0,0,1] neg_hi:[0,0,1]
	v_mov_b32_e32 v71, v77
	s_cbranch_execz .LBB96_239
	s_branch .LBB96_240
.LBB96_238:
                                        ; implicit-def: $vgpr70_vgpr71
.LBB96_239:
	ds_load_b64 v[70:71], v1
.LBB96_240:
	s_and_saveexec_b32 s15, s0
	s_cbranch_execz .LBB96_244
; %bb.241:
	v_add_nc_u32_e32 v72, -9, v0
	s_movk_i32 s16, 0x158
	s_mov_b32 s0, 0
.LBB96_242:                             ; =>This Inner Loop Header: Depth=1
	scratch_load_b64 v[74:75], off, s13
	v_dual_mov_b32 v73, s16 :: v_dual_add_nc_u32 v72, -1, v72
	s_add_co_i32 s16, s16, 8
	s_wait_xcnt 0x0
	s_add_co_i32 s13, s13, 8
	ds_load_b64 v[76:77], v73
	v_cmp_eq_u32_e32 vcc_lo, 0, v72
	s_or_b32 s0, vcc_lo, s0
	s_wait_loadcnt_dscnt 0x0
	v_pk_mul_f32 v[78:79], v[76:77], v[74:75] op_sel:[1,1] op_sel_hi:[0,1]
	s_delay_alu instid0(VALU_DEP_1) | instskip(SKIP_1) | instid1(VALU_DEP_2)
	v_pk_fma_f32 v[80:81], v[76:77], v[74:75], v[78:79] op_sel_hi:[1,0,1]
	v_pk_fma_f32 v[74:75], v[76:77], v[74:75], v[78:79] neg_lo:[0,0,1] neg_hi:[0,0,1]
	v_mov_b32_e32 v75, v81
	s_delay_alu instid0(VALU_DEP_1)
	v_pk_add_f32 v[70:71], v[70:71], v[74:75]
	s_and_not1_b32 exec_lo, exec_lo, s0
	s_cbranch_execnz .LBB96_242
; %bb.243:
	s_or_b32 exec_lo, exec_lo, s0
.LBB96_244:
	s_delay_alu instid0(SALU_CYCLE_1) | instskip(SKIP_4) | instid1(VALU_DEP_1)
	s_or_b32 exec_lo, exec_lo, s15
	v_mov_b32_e32 v72, 0
	ds_load_b64 v[72:73], v72 offset:64
	s_wait_dscnt 0x0
	v_pk_mul_f32 v[74:75], v[70:71], v[72:73] op_sel:[1,1] op_sel_hi:[0,1]
	v_pk_fma_f32 v[76:77], v[70:71], v[72:73], v[74:75] op_sel_hi:[1,0,1]
	v_pk_fma_f32 v[70:71], v[70:71], v[72:73], v[74:75] neg_lo:[0,0,1] neg_hi:[0,0,1]
	s_delay_alu instid0(VALU_DEP_2)
	v_mov_b32_e32 v71, v77
	scratch_store_b64 off, v[70:71], off offset:64
.LBB96_245:
	s_wait_xcnt 0x0
	s_or_b32 exec_lo, exec_lo, s14
	scratch_load_b64 v[70:71], off, off offset:56
	v_cmp_lt_u32_e64 s0, 7, v0
	s_wait_loadcnt 0x0
	ds_store_b64 v1, v[70:71]
	s_wait_storecnt_dscnt 0x0
	s_barrier_signal -1
	s_barrier_wait -1
	s_wait_xcnt 0x0
	s_and_saveexec_b32 s13, s0
	s_cbranch_execz .LBB96_255
; %bb.246:
	s_and_not1_b32 vcc_lo, exec_lo, s5
	s_cbranch_vccnz .LBB96_248
; %bb.247:
	scratch_load_b64 v[70:71], v59, off
	ds_load_b64 v[72:73], v1
	s_wait_loadcnt_dscnt 0x0
	v_pk_mul_f32 v[74:75], v[72:73], v[70:71] op_sel:[1,1] op_sel_hi:[0,1]
	s_delay_alu instid0(VALU_DEP_1) | instskip(SKIP_1) | instid1(VALU_DEP_2)
	v_pk_fma_f32 v[76:77], v[72:73], v[70:71], v[74:75] op_sel_hi:[1,0,1]
	v_pk_fma_f32 v[70:71], v[72:73], v[70:71], v[74:75] neg_lo:[0,0,1] neg_hi:[0,0,1]
	v_mov_b32_e32 v71, v77
	s_cbranch_execz .LBB96_249
	s_branch .LBB96_250
.LBB96_248:
                                        ; implicit-def: $vgpr70_vgpr71
.LBB96_249:
	ds_load_b64 v[70:71], v1
.LBB96_250:
	s_and_saveexec_b32 s14, s1
	s_cbranch_execz .LBB96_254
; %bb.251:
	v_add_nc_u32_e32 v72, -8, v0
	s_movk_i32 s15, 0x150
	s_mov_b32 s1, 0
.LBB96_252:                             ; =>This Inner Loop Header: Depth=1
	scratch_load_b64 v[74:75], off, s12
	v_dual_mov_b32 v73, s15 :: v_dual_add_nc_u32 v72, -1, v72
	s_add_co_i32 s15, s15, 8
	s_wait_xcnt 0x0
	s_add_co_i32 s12, s12, 8
	ds_load_b64 v[76:77], v73
	v_cmp_eq_u32_e32 vcc_lo, 0, v72
	s_or_b32 s1, vcc_lo, s1
	s_wait_loadcnt_dscnt 0x0
	v_pk_mul_f32 v[78:79], v[76:77], v[74:75] op_sel:[1,1] op_sel_hi:[0,1]
	s_delay_alu instid0(VALU_DEP_1) | instskip(SKIP_1) | instid1(VALU_DEP_2)
	v_pk_fma_f32 v[80:81], v[76:77], v[74:75], v[78:79] op_sel_hi:[1,0,1]
	v_pk_fma_f32 v[74:75], v[76:77], v[74:75], v[78:79] neg_lo:[0,0,1] neg_hi:[0,0,1]
	v_mov_b32_e32 v75, v81
	s_delay_alu instid0(VALU_DEP_1)
	v_pk_add_f32 v[70:71], v[70:71], v[74:75]
	s_and_not1_b32 exec_lo, exec_lo, s1
	s_cbranch_execnz .LBB96_252
; %bb.253:
	s_or_b32 exec_lo, exec_lo, s1
.LBB96_254:
	s_delay_alu instid0(SALU_CYCLE_1) | instskip(SKIP_4) | instid1(VALU_DEP_1)
	s_or_b32 exec_lo, exec_lo, s14
	v_mov_b32_e32 v72, 0
	ds_load_b64 v[72:73], v72 offset:56
	s_wait_dscnt 0x0
	v_pk_mul_f32 v[74:75], v[70:71], v[72:73] op_sel:[1,1] op_sel_hi:[0,1]
	v_pk_fma_f32 v[76:77], v[70:71], v[72:73], v[74:75] op_sel_hi:[1,0,1]
	v_pk_fma_f32 v[70:71], v[70:71], v[72:73], v[74:75] neg_lo:[0,0,1] neg_hi:[0,0,1]
	s_delay_alu instid0(VALU_DEP_2)
	v_mov_b32_e32 v71, v77
	scratch_store_b64 off, v[70:71], off offset:56
.LBB96_255:
	s_wait_xcnt 0x0
	s_or_b32 exec_lo, exec_lo, s13
	scratch_load_b64 v[70:71], off, off offset:48
	v_cmp_lt_u32_e64 s1, 6, v0
	s_wait_loadcnt 0x0
	ds_store_b64 v1, v[70:71]
	s_wait_storecnt_dscnt 0x0
	s_barrier_signal -1
	s_barrier_wait -1
	s_wait_xcnt 0x0
	s_and_saveexec_b32 s12, s1
	s_cbranch_execz .LBB96_265
; %bb.256:
	s_and_not1_b32 vcc_lo, exec_lo, s5
	s_cbranch_vccnz .LBB96_258
; %bb.257:
	scratch_load_b64 v[70:71], v59, off
	ds_load_b64 v[72:73], v1
	s_wait_loadcnt_dscnt 0x0
	v_pk_mul_f32 v[74:75], v[72:73], v[70:71] op_sel:[1,1] op_sel_hi:[0,1]
	s_delay_alu instid0(VALU_DEP_1) | instskip(SKIP_1) | instid1(VALU_DEP_2)
	v_pk_fma_f32 v[76:77], v[72:73], v[70:71], v[74:75] op_sel_hi:[1,0,1]
	v_pk_fma_f32 v[70:71], v[72:73], v[70:71], v[74:75] neg_lo:[0,0,1] neg_hi:[0,0,1]
	v_mov_b32_e32 v71, v77
	s_cbranch_execz .LBB96_259
	s_branch .LBB96_260
.LBB96_258:
                                        ; implicit-def: $vgpr70_vgpr71
.LBB96_259:
	ds_load_b64 v[70:71], v1
.LBB96_260:
	s_and_saveexec_b32 s13, s0
	s_cbranch_execz .LBB96_264
; %bb.261:
	v_add_nc_u32_e32 v72, -7, v0
	s_movk_i32 s14, 0x148
	s_mov_b32 s0, 0
.LBB96_262:                             ; =>This Inner Loop Header: Depth=1
	scratch_load_b64 v[74:75], off, s11
	v_dual_mov_b32 v73, s14 :: v_dual_add_nc_u32 v72, -1, v72
	s_add_co_i32 s14, s14, 8
	s_wait_xcnt 0x0
	s_add_co_i32 s11, s11, 8
	ds_load_b64 v[76:77], v73
	v_cmp_eq_u32_e32 vcc_lo, 0, v72
	s_or_b32 s0, vcc_lo, s0
	s_wait_loadcnt_dscnt 0x0
	v_pk_mul_f32 v[78:79], v[76:77], v[74:75] op_sel:[1,1] op_sel_hi:[0,1]
	s_delay_alu instid0(VALU_DEP_1) | instskip(SKIP_1) | instid1(VALU_DEP_2)
	v_pk_fma_f32 v[80:81], v[76:77], v[74:75], v[78:79] op_sel_hi:[1,0,1]
	v_pk_fma_f32 v[74:75], v[76:77], v[74:75], v[78:79] neg_lo:[0,0,1] neg_hi:[0,0,1]
	v_mov_b32_e32 v75, v81
	s_delay_alu instid0(VALU_DEP_1)
	v_pk_add_f32 v[70:71], v[70:71], v[74:75]
	s_and_not1_b32 exec_lo, exec_lo, s0
	s_cbranch_execnz .LBB96_262
; %bb.263:
	s_or_b32 exec_lo, exec_lo, s0
.LBB96_264:
	s_delay_alu instid0(SALU_CYCLE_1) | instskip(SKIP_4) | instid1(VALU_DEP_1)
	s_or_b32 exec_lo, exec_lo, s13
	v_mov_b32_e32 v72, 0
	ds_load_b64 v[72:73], v72 offset:48
	s_wait_dscnt 0x0
	v_pk_mul_f32 v[74:75], v[70:71], v[72:73] op_sel:[1,1] op_sel_hi:[0,1]
	v_pk_fma_f32 v[76:77], v[70:71], v[72:73], v[74:75] op_sel_hi:[1,0,1]
	v_pk_fma_f32 v[70:71], v[70:71], v[72:73], v[74:75] neg_lo:[0,0,1] neg_hi:[0,0,1]
	s_delay_alu instid0(VALU_DEP_2)
	v_mov_b32_e32 v71, v77
	scratch_store_b64 off, v[70:71], off offset:48
.LBB96_265:
	s_wait_xcnt 0x0
	s_or_b32 exec_lo, exec_lo, s12
	scratch_load_b64 v[70:71], off, off offset:40
	v_cmp_lt_u32_e64 s0, 5, v0
	s_wait_loadcnt 0x0
	ds_store_b64 v1, v[70:71]
	s_wait_storecnt_dscnt 0x0
	s_barrier_signal -1
	s_barrier_wait -1
	s_wait_xcnt 0x0
	s_and_saveexec_b32 s11, s0
	s_cbranch_execz .LBB96_275
; %bb.266:
	s_and_not1_b32 vcc_lo, exec_lo, s5
	s_cbranch_vccnz .LBB96_268
; %bb.267:
	scratch_load_b64 v[70:71], v59, off
	ds_load_b64 v[72:73], v1
	s_wait_loadcnt_dscnt 0x0
	v_pk_mul_f32 v[74:75], v[72:73], v[70:71] op_sel:[1,1] op_sel_hi:[0,1]
	s_delay_alu instid0(VALU_DEP_1) | instskip(SKIP_1) | instid1(VALU_DEP_2)
	v_pk_fma_f32 v[76:77], v[72:73], v[70:71], v[74:75] op_sel_hi:[1,0,1]
	v_pk_fma_f32 v[70:71], v[72:73], v[70:71], v[74:75] neg_lo:[0,0,1] neg_hi:[0,0,1]
	v_mov_b32_e32 v71, v77
	s_cbranch_execz .LBB96_269
	s_branch .LBB96_270
.LBB96_268:
                                        ; implicit-def: $vgpr70_vgpr71
.LBB96_269:
	ds_load_b64 v[70:71], v1
.LBB96_270:
	s_and_saveexec_b32 s12, s1
	s_cbranch_execz .LBB96_274
; %bb.271:
	v_add_nc_u32_e32 v72, -6, v0
	s_movk_i32 s13, 0x140
	s_mov_b32 s1, 0
.LBB96_272:                             ; =>This Inner Loop Header: Depth=1
	scratch_load_b64 v[74:75], off, s10
	v_dual_mov_b32 v73, s13 :: v_dual_add_nc_u32 v72, -1, v72
	s_add_co_i32 s13, s13, 8
	s_wait_xcnt 0x0
	s_add_co_i32 s10, s10, 8
	ds_load_b64 v[76:77], v73
	v_cmp_eq_u32_e32 vcc_lo, 0, v72
	s_or_b32 s1, vcc_lo, s1
	s_wait_loadcnt_dscnt 0x0
	v_pk_mul_f32 v[78:79], v[76:77], v[74:75] op_sel:[1,1] op_sel_hi:[0,1]
	s_delay_alu instid0(VALU_DEP_1) | instskip(SKIP_1) | instid1(VALU_DEP_2)
	v_pk_fma_f32 v[80:81], v[76:77], v[74:75], v[78:79] op_sel_hi:[1,0,1]
	v_pk_fma_f32 v[74:75], v[76:77], v[74:75], v[78:79] neg_lo:[0,0,1] neg_hi:[0,0,1]
	v_mov_b32_e32 v75, v81
	s_delay_alu instid0(VALU_DEP_1)
	v_pk_add_f32 v[70:71], v[70:71], v[74:75]
	s_and_not1_b32 exec_lo, exec_lo, s1
	s_cbranch_execnz .LBB96_272
; %bb.273:
	s_or_b32 exec_lo, exec_lo, s1
.LBB96_274:
	s_delay_alu instid0(SALU_CYCLE_1) | instskip(SKIP_4) | instid1(VALU_DEP_1)
	s_or_b32 exec_lo, exec_lo, s12
	v_mov_b32_e32 v72, 0
	ds_load_b64 v[72:73], v72 offset:40
	s_wait_dscnt 0x0
	v_pk_mul_f32 v[74:75], v[70:71], v[72:73] op_sel:[1,1] op_sel_hi:[0,1]
	v_pk_fma_f32 v[76:77], v[70:71], v[72:73], v[74:75] op_sel_hi:[1,0,1]
	v_pk_fma_f32 v[70:71], v[70:71], v[72:73], v[74:75] neg_lo:[0,0,1] neg_hi:[0,0,1]
	s_delay_alu instid0(VALU_DEP_2)
	v_mov_b32_e32 v71, v77
	scratch_store_b64 off, v[70:71], off offset:40
.LBB96_275:
	s_wait_xcnt 0x0
	s_or_b32 exec_lo, exec_lo, s11
	scratch_load_b64 v[70:71], off, off offset:32
	v_cmp_lt_u32_e64 s1, 4, v0
	s_wait_loadcnt 0x0
	ds_store_b64 v1, v[70:71]
	s_wait_storecnt_dscnt 0x0
	s_barrier_signal -1
	s_barrier_wait -1
	s_wait_xcnt 0x0
	s_and_saveexec_b32 s10, s1
	s_cbranch_execz .LBB96_285
; %bb.276:
	s_and_not1_b32 vcc_lo, exec_lo, s5
	s_cbranch_vccnz .LBB96_278
; %bb.277:
	scratch_load_b64 v[70:71], v59, off
	ds_load_b64 v[72:73], v1
	s_wait_loadcnt_dscnt 0x0
	v_pk_mul_f32 v[74:75], v[72:73], v[70:71] op_sel:[1,1] op_sel_hi:[0,1]
	s_delay_alu instid0(VALU_DEP_1) | instskip(SKIP_1) | instid1(VALU_DEP_2)
	v_pk_fma_f32 v[76:77], v[72:73], v[70:71], v[74:75] op_sel_hi:[1,0,1]
	v_pk_fma_f32 v[70:71], v[72:73], v[70:71], v[74:75] neg_lo:[0,0,1] neg_hi:[0,0,1]
	v_mov_b32_e32 v71, v77
	s_cbranch_execz .LBB96_279
	s_branch .LBB96_280
.LBB96_278:
                                        ; implicit-def: $vgpr70_vgpr71
.LBB96_279:
	ds_load_b64 v[70:71], v1
.LBB96_280:
	s_and_saveexec_b32 s11, s0
	s_cbranch_execz .LBB96_284
; %bb.281:
	v_add_nc_u32_e32 v72, -5, v0
	s_movk_i32 s12, 0x138
	s_mov_b32 s0, 0
.LBB96_282:                             ; =>This Inner Loop Header: Depth=1
	scratch_load_b64 v[74:75], off, s9
	v_dual_mov_b32 v73, s12 :: v_dual_add_nc_u32 v72, -1, v72
	s_add_co_i32 s12, s12, 8
	s_wait_xcnt 0x0
	s_add_co_i32 s9, s9, 8
	ds_load_b64 v[76:77], v73
	v_cmp_eq_u32_e32 vcc_lo, 0, v72
	s_or_b32 s0, vcc_lo, s0
	s_wait_loadcnt_dscnt 0x0
	v_pk_mul_f32 v[78:79], v[76:77], v[74:75] op_sel:[1,1] op_sel_hi:[0,1]
	s_delay_alu instid0(VALU_DEP_1) | instskip(SKIP_1) | instid1(VALU_DEP_2)
	v_pk_fma_f32 v[80:81], v[76:77], v[74:75], v[78:79] op_sel_hi:[1,0,1]
	v_pk_fma_f32 v[74:75], v[76:77], v[74:75], v[78:79] neg_lo:[0,0,1] neg_hi:[0,0,1]
	v_mov_b32_e32 v75, v81
	s_delay_alu instid0(VALU_DEP_1)
	v_pk_add_f32 v[70:71], v[70:71], v[74:75]
	s_and_not1_b32 exec_lo, exec_lo, s0
	s_cbranch_execnz .LBB96_282
; %bb.283:
	s_or_b32 exec_lo, exec_lo, s0
.LBB96_284:
	s_delay_alu instid0(SALU_CYCLE_1) | instskip(SKIP_4) | instid1(VALU_DEP_1)
	s_or_b32 exec_lo, exec_lo, s11
	v_mov_b32_e32 v72, 0
	ds_load_b64 v[72:73], v72 offset:32
	s_wait_dscnt 0x0
	v_pk_mul_f32 v[74:75], v[70:71], v[72:73] op_sel:[1,1] op_sel_hi:[0,1]
	v_pk_fma_f32 v[76:77], v[70:71], v[72:73], v[74:75] op_sel_hi:[1,0,1]
	v_pk_fma_f32 v[70:71], v[70:71], v[72:73], v[74:75] neg_lo:[0,0,1] neg_hi:[0,0,1]
	s_delay_alu instid0(VALU_DEP_2)
	v_mov_b32_e32 v71, v77
	scratch_store_b64 off, v[70:71], off offset:32
.LBB96_285:
	s_wait_xcnt 0x0
	s_or_b32 exec_lo, exec_lo, s10
	scratch_load_b64 v[70:71], off, off offset:24
	v_cmp_lt_u32_e64 s0, 3, v0
	s_wait_loadcnt 0x0
	ds_store_b64 v1, v[70:71]
	s_wait_storecnt_dscnt 0x0
	s_barrier_signal -1
	s_barrier_wait -1
	s_wait_xcnt 0x0
	s_and_saveexec_b32 s9, s0
	s_cbranch_execz .LBB96_295
; %bb.286:
	s_and_not1_b32 vcc_lo, exec_lo, s5
	s_cbranch_vccnz .LBB96_288
; %bb.287:
	scratch_load_b64 v[70:71], v59, off
	ds_load_b64 v[72:73], v1
	s_wait_loadcnt_dscnt 0x0
	v_pk_mul_f32 v[74:75], v[72:73], v[70:71] op_sel:[1,1] op_sel_hi:[0,1]
	s_delay_alu instid0(VALU_DEP_1) | instskip(SKIP_1) | instid1(VALU_DEP_2)
	v_pk_fma_f32 v[76:77], v[72:73], v[70:71], v[74:75] op_sel_hi:[1,0,1]
	v_pk_fma_f32 v[70:71], v[72:73], v[70:71], v[74:75] neg_lo:[0,0,1] neg_hi:[0,0,1]
	v_mov_b32_e32 v71, v77
	s_cbranch_execz .LBB96_289
	s_branch .LBB96_290
.LBB96_288:
                                        ; implicit-def: $vgpr70_vgpr71
.LBB96_289:
	ds_load_b64 v[70:71], v1
.LBB96_290:
	s_and_saveexec_b32 s10, s1
	s_cbranch_execz .LBB96_294
; %bb.291:
	v_add_nc_u32_e32 v72, -4, v0
	s_movk_i32 s11, 0x130
	s_mov_b32 s1, 0
.LBB96_292:                             ; =>This Inner Loop Header: Depth=1
	scratch_load_b64 v[74:75], off, s8
	v_dual_mov_b32 v73, s11 :: v_dual_add_nc_u32 v72, -1, v72
	s_add_co_i32 s11, s11, 8
	s_wait_xcnt 0x0
	s_add_co_i32 s8, s8, 8
	ds_load_b64 v[76:77], v73
	v_cmp_eq_u32_e32 vcc_lo, 0, v72
	s_or_b32 s1, vcc_lo, s1
	s_wait_loadcnt_dscnt 0x0
	v_pk_mul_f32 v[78:79], v[76:77], v[74:75] op_sel:[1,1] op_sel_hi:[0,1]
	s_delay_alu instid0(VALU_DEP_1) | instskip(SKIP_1) | instid1(VALU_DEP_2)
	v_pk_fma_f32 v[80:81], v[76:77], v[74:75], v[78:79] op_sel_hi:[1,0,1]
	v_pk_fma_f32 v[74:75], v[76:77], v[74:75], v[78:79] neg_lo:[0,0,1] neg_hi:[0,0,1]
	v_mov_b32_e32 v75, v81
	s_delay_alu instid0(VALU_DEP_1)
	v_pk_add_f32 v[70:71], v[70:71], v[74:75]
	s_and_not1_b32 exec_lo, exec_lo, s1
	s_cbranch_execnz .LBB96_292
; %bb.293:
	s_or_b32 exec_lo, exec_lo, s1
.LBB96_294:
	s_delay_alu instid0(SALU_CYCLE_1) | instskip(SKIP_4) | instid1(VALU_DEP_1)
	s_or_b32 exec_lo, exec_lo, s10
	v_mov_b32_e32 v72, 0
	ds_load_b64 v[72:73], v72 offset:24
	s_wait_dscnt 0x0
	v_pk_mul_f32 v[74:75], v[70:71], v[72:73] op_sel:[1,1] op_sel_hi:[0,1]
	v_pk_fma_f32 v[76:77], v[70:71], v[72:73], v[74:75] op_sel_hi:[1,0,1]
	v_pk_fma_f32 v[70:71], v[70:71], v[72:73], v[74:75] neg_lo:[0,0,1] neg_hi:[0,0,1]
	s_delay_alu instid0(VALU_DEP_2)
	v_mov_b32_e32 v71, v77
	scratch_store_b64 off, v[70:71], off offset:24
.LBB96_295:
	s_wait_xcnt 0x0
	s_or_b32 exec_lo, exec_lo, s9
	scratch_load_b64 v[70:71], off, off offset:16
	v_cmp_lt_u32_e64 s1, 2, v0
	s_wait_loadcnt 0x0
	ds_store_b64 v1, v[70:71]
	s_wait_storecnt_dscnt 0x0
	s_barrier_signal -1
	s_barrier_wait -1
	s_wait_xcnt 0x0
	s_and_saveexec_b32 s8, s1
	s_cbranch_execz .LBB96_305
; %bb.296:
	s_and_not1_b32 vcc_lo, exec_lo, s5
	s_cbranch_vccnz .LBB96_298
; %bb.297:
	scratch_load_b64 v[70:71], v59, off
	ds_load_b64 v[72:73], v1
	s_wait_loadcnt_dscnt 0x0
	v_pk_mul_f32 v[74:75], v[72:73], v[70:71] op_sel:[1,1] op_sel_hi:[0,1]
	s_delay_alu instid0(VALU_DEP_1) | instskip(SKIP_1) | instid1(VALU_DEP_2)
	v_pk_fma_f32 v[76:77], v[72:73], v[70:71], v[74:75] op_sel_hi:[1,0,1]
	v_pk_fma_f32 v[70:71], v[72:73], v[70:71], v[74:75] neg_lo:[0,0,1] neg_hi:[0,0,1]
	v_mov_b32_e32 v71, v77
	s_cbranch_execz .LBB96_299
	s_branch .LBB96_300
.LBB96_298:
                                        ; implicit-def: $vgpr70_vgpr71
.LBB96_299:
	ds_load_b64 v[70:71], v1
.LBB96_300:
	s_and_saveexec_b32 s9, s0
	s_cbranch_execz .LBB96_304
; %bb.301:
	v_add_nc_u32_e32 v72, -3, v0
	s_movk_i32 s10, 0x128
	s_mov_b32 s0, 0
.LBB96_302:                             ; =>This Inner Loop Header: Depth=1
	scratch_load_b64 v[74:75], off, s7
	v_dual_mov_b32 v73, s10 :: v_dual_add_nc_u32 v72, -1, v72
	s_add_co_i32 s10, s10, 8
	s_wait_xcnt 0x0
	s_add_co_i32 s7, s7, 8
	ds_load_b64 v[76:77], v73
	v_cmp_eq_u32_e32 vcc_lo, 0, v72
	s_or_b32 s0, vcc_lo, s0
	s_wait_loadcnt_dscnt 0x0
	v_pk_mul_f32 v[78:79], v[76:77], v[74:75] op_sel:[1,1] op_sel_hi:[0,1]
	s_delay_alu instid0(VALU_DEP_1) | instskip(SKIP_1) | instid1(VALU_DEP_2)
	v_pk_fma_f32 v[80:81], v[76:77], v[74:75], v[78:79] op_sel_hi:[1,0,1]
	v_pk_fma_f32 v[74:75], v[76:77], v[74:75], v[78:79] neg_lo:[0,0,1] neg_hi:[0,0,1]
	v_mov_b32_e32 v75, v81
	s_delay_alu instid0(VALU_DEP_1)
	v_pk_add_f32 v[70:71], v[70:71], v[74:75]
	s_and_not1_b32 exec_lo, exec_lo, s0
	s_cbranch_execnz .LBB96_302
; %bb.303:
	s_or_b32 exec_lo, exec_lo, s0
.LBB96_304:
	s_delay_alu instid0(SALU_CYCLE_1) | instskip(SKIP_4) | instid1(VALU_DEP_1)
	s_or_b32 exec_lo, exec_lo, s9
	v_mov_b32_e32 v72, 0
	ds_load_b64 v[72:73], v72 offset:16
	s_wait_dscnt 0x0
	v_pk_mul_f32 v[74:75], v[70:71], v[72:73] op_sel:[1,1] op_sel_hi:[0,1]
	v_pk_fma_f32 v[76:77], v[70:71], v[72:73], v[74:75] op_sel_hi:[1,0,1]
	v_pk_fma_f32 v[70:71], v[70:71], v[72:73], v[74:75] neg_lo:[0,0,1] neg_hi:[0,0,1]
	s_delay_alu instid0(VALU_DEP_2)
	v_mov_b32_e32 v71, v77
	scratch_store_b64 off, v[70:71], off offset:16
.LBB96_305:
	s_wait_xcnt 0x0
	s_or_b32 exec_lo, exec_lo, s8
	scratch_load_b64 v[70:71], off, off offset:8
	v_cmp_lt_u32_e64 s0, 1, v0
	s_wait_loadcnt 0x0
	ds_store_b64 v1, v[70:71]
	s_wait_storecnt_dscnt 0x0
	s_barrier_signal -1
	s_barrier_wait -1
	s_wait_xcnt 0x0
	s_and_saveexec_b32 s7, s0
	s_cbranch_execz .LBB96_315
; %bb.306:
	s_and_not1_b32 vcc_lo, exec_lo, s5
	s_cbranch_vccnz .LBB96_308
; %bb.307:
	scratch_load_b64 v[70:71], v59, off
	ds_load_b64 v[72:73], v1
	s_wait_loadcnt_dscnt 0x0
	v_pk_mul_f32 v[74:75], v[72:73], v[70:71] op_sel:[1,1] op_sel_hi:[0,1]
	s_delay_alu instid0(VALU_DEP_1) | instskip(SKIP_1) | instid1(VALU_DEP_2)
	v_pk_fma_f32 v[76:77], v[72:73], v[70:71], v[74:75] op_sel_hi:[1,0,1]
	v_pk_fma_f32 v[70:71], v[72:73], v[70:71], v[74:75] neg_lo:[0,0,1] neg_hi:[0,0,1]
	v_mov_b32_e32 v71, v77
	s_cbranch_execz .LBB96_309
	s_branch .LBB96_310
.LBB96_308:
                                        ; implicit-def: $vgpr70_vgpr71
.LBB96_309:
	ds_load_b64 v[70:71], v1
.LBB96_310:
	s_and_saveexec_b32 s8, s1
	s_cbranch_execz .LBB96_314
; %bb.311:
	v_add_nc_u32_e32 v72, -2, v0
	s_movk_i32 s9, 0x120
	s_mov_b32 s1, 0
.LBB96_312:                             ; =>This Inner Loop Header: Depth=1
	scratch_load_b64 v[74:75], off, s6
	v_dual_mov_b32 v73, s9 :: v_dual_add_nc_u32 v72, -1, v72
	s_add_co_i32 s9, s9, 8
	s_wait_xcnt 0x0
	s_add_co_i32 s6, s6, 8
	ds_load_b64 v[76:77], v73
	v_cmp_eq_u32_e32 vcc_lo, 0, v72
	s_or_b32 s1, vcc_lo, s1
	s_wait_loadcnt_dscnt 0x0
	v_pk_mul_f32 v[78:79], v[76:77], v[74:75] op_sel:[1,1] op_sel_hi:[0,1]
	s_delay_alu instid0(VALU_DEP_1) | instskip(SKIP_1) | instid1(VALU_DEP_2)
	v_pk_fma_f32 v[80:81], v[76:77], v[74:75], v[78:79] op_sel_hi:[1,0,1]
	v_pk_fma_f32 v[74:75], v[76:77], v[74:75], v[78:79] neg_lo:[0,0,1] neg_hi:[0,0,1]
	v_mov_b32_e32 v75, v81
	s_delay_alu instid0(VALU_DEP_1)
	v_pk_add_f32 v[70:71], v[70:71], v[74:75]
	s_and_not1_b32 exec_lo, exec_lo, s1
	s_cbranch_execnz .LBB96_312
; %bb.313:
	s_or_b32 exec_lo, exec_lo, s1
.LBB96_314:
	s_delay_alu instid0(SALU_CYCLE_1) | instskip(SKIP_4) | instid1(VALU_DEP_1)
	s_or_b32 exec_lo, exec_lo, s8
	v_mov_b32_e32 v72, 0
	ds_load_b64 v[72:73], v72 offset:8
	s_wait_dscnt 0x0
	v_pk_mul_f32 v[74:75], v[70:71], v[72:73] op_sel:[1,1] op_sel_hi:[0,1]
	v_pk_fma_f32 v[76:77], v[70:71], v[72:73], v[74:75] op_sel_hi:[1,0,1]
	v_pk_fma_f32 v[70:71], v[70:71], v[72:73], v[74:75] neg_lo:[0,0,1] neg_hi:[0,0,1]
	s_delay_alu instid0(VALU_DEP_2)
	v_mov_b32_e32 v71, v77
	scratch_store_b64 off, v[70:71], off offset:8
.LBB96_315:
	s_wait_xcnt 0x0
	s_or_b32 exec_lo, exec_lo, s7
	scratch_load_b64 v[70:71], off, off
	s_mov_b32 s6, 0
	s_mov_b32 s1, 0
	s_mov_b32 s8, exec_lo
                                        ; implicit-def: $vgpr98
                                        ; implicit-def: $sgpr7
	s_wait_loadcnt 0x0
	ds_store_b64 v1, v[70:71]
	s_wait_storecnt_dscnt 0x0
	s_barrier_signal -1
	s_barrier_wait -1
	s_wait_xcnt 0x0
	v_cmpx_ne_u32_e32 0, v0
	s_cbranch_execz .LBB96_325
; %bb.316:
	s_and_not1_b32 vcc_lo, exec_lo, s5
	s_cbranch_vccnz .LBB96_318
; %bb.317:
	scratch_load_b64 v[72:73], v59, off
	ds_load_b64 v[74:75], v1
	s_wait_loadcnt_dscnt 0x0
	v_dual_mul_f32 v70, v75, v73 :: v_dual_mul_f32 v71, v74, v73
	s_delay_alu instid0(VALU_DEP_1)
	v_dual_fma_f32 v70, v74, v72, -v70 :: v_dual_fmac_f32 v71, v75, v72
	s_and_not1_b32 vcc_lo, exec_lo, s1
	s_cbranch_vccz .LBB96_319
	s_branch .LBB96_320
.LBB96_318:
                                        ; implicit-def: $vgpr70
.LBB96_319:
	ds_load_b64 v[70:71], v1
.LBB96_320:
	s_and_saveexec_b32 s1, s0
	s_cbranch_execz .LBB96_324
; %bb.321:
	v_add_nc_u32_e32 v72, -1, v0
	s_movk_i32 s7, 0x118
	s_mov_b32 s0, 0
.LBB96_322:                             ; =>This Inner Loop Header: Depth=1
	scratch_load_b64 v[74:75], off, s4
	v_mov_b32_e32 v73, s7
	s_add_co_i32 s7, s7, 8
	s_wait_xcnt 0x0
	s_add_co_i32 s4, s4, 8
	v_add_nc_u32_e32 v72, -1, v72
	ds_load_b64 v[76:77], v73
	v_cmp_eq_u32_e32 vcc_lo, 0, v72
	s_or_b32 s0, vcc_lo, s0
	s_wait_loadcnt_dscnt 0x0
	v_dual_mul_f32 v73, v77, v75 :: v_dual_mul_f32 v75, v76, v75
	s_delay_alu instid0(VALU_DEP_1) | instskip(NEXT) | instid1(VALU_DEP_1)
	v_dual_fma_f32 v73, v76, v74, -v73 :: v_dual_fmac_f32 v75, v77, v74
	v_dual_add_f32 v70, v70, v73 :: v_dual_add_f32 v71, v71, v75
	s_and_not1_b32 exec_lo, exec_lo, s0
	s_cbranch_execnz .LBB96_322
; %bb.323:
	s_or_b32 exec_lo, exec_lo, s0
.LBB96_324:
	s_delay_alu instid0(SALU_CYCLE_1)
	s_or_b32 exec_lo, exec_lo, s1
	v_mov_b32_e32 v72, 0
	s_mov_b32 s1, exec_lo
	s_or_b32 s7, 0, 4
	ds_load_b64 v[72:73], v72
	s_wait_dscnt 0x0
	v_dual_mul_f32 v74, v71, v73 :: v_dual_mul_f32 v98, v70, v73
	s_delay_alu instid0(VALU_DEP_1) | instskip(NEXT) | instid1(VALU_DEP_2)
	v_fma_f32 v70, v70, v72, -v74
	v_fmac_f32_e32 v98, v71, v72
	scratch_store_b32 off, v70, off
.LBB96_325:
	s_wait_xcnt 0x0
	s_or_b32 exec_lo, exec_lo, s8
	s_delay_alu instid0(SALU_CYCLE_1)
	s_and_b32 vcc_lo, exec_lo, s6
	s_cbranch_vccz .LBB96_641
.LBB96_326:
	scratch_load_b64 v[70:71], off, off offset:8
	v_cmp_eq_u32_e64 s0, 0, v0
	s_wait_loadcnt 0x0
	ds_store_b64 v1, v[70:71]
	s_wait_storecnt_dscnt 0x0
	s_barrier_signal -1
	s_barrier_wait -1
	s_wait_xcnt 0x0
	s_and_saveexec_b32 s4, s0
	s_cbranch_execz .LBB96_332
; %bb.327:
	s_and_b32 vcc_lo, exec_lo, s5
	s_cbranch_vccz .LBB96_329
; %bb.328:
	scratch_load_b64 v[70:71], v59, off
	ds_load_b64 v[72:73], v1
	s_wait_loadcnt_dscnt 0x0
	v_pk_mul_f32 v[74:75], v[72:73], v[70:71] op_sel:[1,1] op_sel_hi:[0,1]
	v_pk_mul_f32 v[76:77], v[72:73], v[70:71] op_sel_hi:[1,0]
	s_delay_alu instid0(VALU_DEP_2) | instskip(NEXT) | instid1(VALU_DEP_2)
	v_pk_fma_f32 v[70:71], v[72:73], v[70:71], v[74:75] op_sel_hi:[1,0,1]
	v_sub_f32_e32 v70, v76, v74
	s_cbranch_execz .LBB96_330
	s_branch .LBB96_331
.LBB96_329:
                                        ; implicit-def: $vgpr71
.LBB96_330:
	ds_load_b64 v[70:71], v1
.LBB96_331:
	s_wait_dscnt 0x0
	v_dual_mov_b32 v72, 0 :: v_dual_mov_b32 v74, v71
	v_mov_b32_e32 v75, v70
	ds_load_b64 v[72:73], v72 offset:8
	s_wait_dscnt 0x0
	v_pk_mul_f32 v[74:75], v[74:75], v[72:73] op_sel:[0,1]
	s_delay_alu instid0(VALU_DEP_1) | instskip(SKIP_1) | instid1(VALU_DEP_2)
	v_pk_fma_f32 v[76:77], v[70:71], v[72:73], v[74:75] op_sel_hi:[1,0,1]
	v_pk_fma_f32 v[70:71], v[70:71], v[72:73], v[74:75] neg_lo:[0,0,1] neg_hi:[0,0,1]
	v_mov_b32_e32 v71, v77
	scratch_store_b64 off, v[70:71], off offset:8
.LBB96_332:
	s_wait_xcnt 0x0
	s_or_b32 exec_lo, exec_lo, s4
	scratch_load_b64 v[70:71], off, off offset:16
	v_cndmask_b32_e64 v72, 0, 1, s5
	s_mov_b32 s4, exec_lo
	s_wait_loadcnt 0x0
	ds_store_b64 v1, v[70:71]
	s_wait_storecnt_dscnt 0x0
	s_barrier_signal -1
	s_barrier_wait -1
	s_wait_xcnt 0x0
	v_cmpx_gt_u32_e32 2, v0
	s_cbranch_execz .LBB96_340
; %bb.333:
	s_and_not1_b32 vcc_lo, exec_lo, s5
	s_cbranch_vccnz .LBB96_335
; %bb.334:
	scratch_load_b64 v[70:71], v59, off
	ds_load_b64 v[74:75], v1
	s_wait_loadcnt_dscnt 0x0
	v_pk_mul_f32 v[76:77], v[74:75], v[70:71] op_sel:[1,1] op_sel_hi:[0,1]
	s_delay_alu instid0(VALU_DEP_1) | instskip(SKIP_1) | instid1(VALU_DEP_2)
	v_pk_fma_f32 v[78:79], v[74:75], v[70:71], v[76:77] op_sel_hi:[1,0,1]
	v_pk_fma_f32 v[70:71], v[74:75], v[70:71], v[76:77] neg_lo:[0,0,1] neg_hi:[0,0,1]
	v_mov_b32_e32 v71, v79
	s_cbranch_execz .LBB96_336
	s_branch .LBB96_337
.LBB96_335:
                                        ; implicit-def: $vgpr70_vgpr71
.LBB96_336:
	ds_load_b64 v[70:71], v1
.LBB96_337:
	s_and_saveexec_b32 s5, s0
	s_cbranch_execz .LBB96_339
; %bb.338:
	scratch_load_b64 v[74:75], off, off offset:8
	v_mov_b32_e32 v73, 0
	ds_load_b64 v[76:77], v73 offset:280
	s_wait_loadcnt_dscnt 0x0
	v_pk_mul_f32 v[78:79], v[76:77], v[74:75] op_sel:[1,1] op_sel_hi:[0,1]
	s_delay_alu instid0(VALU_DEP_1) | instskip(SKIP_1) | instid1(VALU_DEP_2)
	v_pk_fma_f32 v[80:81], v[76:77], v[74:75], v[78:79] op_sel_hi:[1,0,1]
	v_pk_fma_f32 v[74:75], v[76:77], v[74:75], v[78:79] neg_lo:[0,0,1] neg_hi:[0,0,1]
	v_mov_b32_e32 v75, v81
	s_delay_alu instid0(VALU_DEP_1)
	v_pk_add_f32 v[70:71], v[70:71], v[74:75]
.LBB96_339:
	s_or_b32 exec_lo, exec_lo, s5
	v_mov_b32_e32 v73, 0
	ds_load_b64 v[74:75], v73 offset:16
	s_wait_dscnt 0x0
	v_pk_mul_f32 v[76:77], v[70:71], v[74:75] op_sel:[1,1] op_sel_hi:[0,1]
	s_delay_alu instid0(VALU_DEP_1) | instskip(SKIP_1) | instid1(VALU_DEP_2)
	v_pk_fma_f32 v[78:79], v[70:71], v[74:75], v[76:77] op_sel_hi:[1,0,1]
	v_pk_fma_f32 v[70:71], v[70:71], v[74:75], v[76:77] neg_lo:[0,0,1] neg_hi:[0,0,1]
	v_mov_b32_e32 v71, v79
	scratch_store_b64 off, v[70:71], off offset:16
.LBB96_340:
	s_wait_xcnt 0x0
	s_or_b32 exec_lo, exec_lo, s4
	scratch_load_b64 v[70:71], off, off offset:24
	s_mov_b32 s4, exec_lo
	s_wait_loadcnt 0x0
	ds_store_b64 v1, v[70:71]
	s_wait_storecnt_dscnt 0x0
	s_barrier_signal -1
	s_barrier_wait -1
	s_wait_xcnt 0x0
	v_cmpx_gt_u32_e32 3, v0
	s_cbranch_execz .LBB96_350
; %bb.341:
	v_cmp_ne_u32_e32 vcc_lo, 1, v72
	s_cbranch_vccnz .LBB96_343
; %bb.342:
	scratch_load_b64 v[70:71], v59, off
	ds_load_b64 v[74:75], v1
	s_wait_loadcnt_dscnt 0x0
	v_pk_mul_f32 v[76:77], v[74:75], v[70:71] op_sel:[1,1] op_sel_hi:[0,1]
	s_delay_alu instid0(VALU_DEP_1) | instskip(SKIP_1) | instid1(VALU_DEP_2)
	v_pk_fma_f32 v[78:79], v[74:75], v[70:71], v[76:77] op_sel_hi:[1,0,1]
	v_pk_fma_f32 v[70:71], v[74:75], v[70:71], v[76:77] neg_lo:[0,0,1] neg_hi:[0,0,1]
	v_mov_b32_e32 v71, v79
	s_cbranch_execz .LBB96_344
	s_branch .LBB96_345
.LBB96_343:
                                        ; implicit-def: $vgpr70_vgpr71
.LBB96_344:
	ds_load_b64 v[70:71], v1
.LBB96_345:
	s_mov_b32 s5, exec_lo
	v_cmpx_ne_u32_e32 2, v0
	s_cbranch_execz .LBB96_349
; %bb.346:
	scratch_load_b64 v[74:75], v59, off offset:8
	ds_load_b64 v[76:77], v1 offset:8
	s_wait_loadcnt_dscnt 0x0
	v_pk_mul_f32 v[78:79], v[76:77], v[74:75] op_sel:[1,1] op_sel_hi:[0,1]
	s_delay_alu instid0(VALU_DEP_1) | instskip(SKIP_1) | instid1(VALU_DEP_2)
	v_pk_fma_f32 v[80:81], v[76:77], v[74:75], v[78:79] op_sel_hi:[1,0,1]
	v_pk_fma_f32 v[74:75], v[76:77], v[74:75], v[78:79] neg_lo:[0,0,1] neg_hi:[0,0,1]
	v_mov_b32_e32 v75, v81
	s_delay_alu instid0(VALU_DEP_1)
	v_pk_add_f32 v[70:71], v[70:71], v[74:75]
	s_and_saveexec_b32 s6, s0
	s_cbranch_execz .LBB96_348
; %bb.347:
	scratch_load_b64 v[74:75], off, off offset:16
	v_mov_b32_e32 v73, 0
	ds_load_b64 v[76:77], v73 offset:288
	s_wait_loadcnt_dscnt 0x0
	v_pk_mul_f32 v[78:79], v[76:77], v[74:75] op_sel:[1,1] op_sel_hi:[0,1]
	s_delay_alu instid0(VALU_DEP_1) | instskip(SKIP_1) | instid1(VALU_DEP_2)
	v_pk_fma_f32 v[80:81], v[76:77], v[74:75], v[78:79] op_sel_hi:[1,0,1]
	v_pk_fma_f32 v[74:75], v[76:77], v[74:75], v[78:79] neg_lo:[0,0,1] neg_hi:[0,0,1]
	v_mov_b32_e32 v75, v81
	s_delay_alu instid0(VALU_DEP_1)
	v_pk_add_f32 v[70:71], v[70:71], v[74:75]
.LBB96_348:
	s_or_b32 exec_lo, exec_lo, s6
.LBB96_349:
	s_delay_alu instid0(SALU_CYCLE_1) | instskip(SKIP_4) | instid1(VALU_DEP_1)
	s_or_b32 exec_lo, exec_lo, s5
	v_mov_b32_e32 v73, 0
	ds_load_b64 v[74:75], v73 offset:24
	s_wait_dscnt 0x0
	v_pk_mul_f32 v[76:77], v[70:71], v[74:75] op_sel:[1,1] op_sel_hi:[0,1]
	v_pk_fma_f32 v[78:79], v[70:71], v[74:75], v[76:77] op_sel_hi:[1,0,1]
	v_pk_fma_f32 v[70:71], v[70:71], v[74:75], v[76:77] neg_lo:[0,0,1] neg_hi:[0,0,1]
	s_delay_alu instid0(VALU_DEP_2)
	v_mov_b32_e32 v71, v79
	scratch_store_b64 off, v[70:71], off offset:24
.LBB96_350:
	s_wait_xcnt 0x0
	s_or_b32 exec_lo, exec_lo, s4
	scratch_load_b64 v[70:71], off, off offset:32
	s_mov_b32 s0, exec_lo
	s_wait_loadcnt 0x0
	ds_store_b64 v1, v[70:71]
	s_wait_storecnt_dscnt 0x0
	s_barrier_signal -1
	s_barrier_wait -1
	s_wait_xcnt 0x0
	v_cmpx_gt_u32_e32 4, v0
	s_cbranch_execz .LBB96_360
; %bb.351:
	v_cmp_ne_u32_e32 vcc_lo, 1, v72
	s_cbranch_vccnz .LBB96_353
; %bb.352:
	scratch_load_b64 v[70:71], v59, off
	ds_load_b64 v[74:75], v1
	s_wait_loadcnt_dscnt 0x0
	v_pk_mul_f32 v[76:77], v[74:75], v[70:71] op_sel:[1,1] op_sel_hi:[0,1]
	s_delay_alu instid0(VALU_DEP_1) | instskip(SKIP_1) | instid1(VALU_DEP_2)
	v_pk_fma_f32 v[78:79], v[74:75], v[70:71], v[76:77] op_sel_hi:[1,0,1]
	v_pk_fma_f32 v[70:71], v[74:75], v[70:71], v[76:77] neg_lo:[0,0,1] neg_hi:[0,0,1]
	v_mov_b32_e32 v71, v79
	s_cbranch_execz .LBB96_354
	s_branch .LBB96_355
.LBB96_353:
                                        ; implicit-def: $vgpr70_vgpr71
.LBB96_354:
	ds_load_b64 v[70:71], v1
.LBB96_355:
	s_mov_b32 s4, exec_lo
	v_cmpx_ne_u32_e32 3, v0
	s_cbranch_execz .LBB96_359
; %bb.356:
	v_add_nc_u32_e32 v73, 0x118, v58
	v_add3_u32 v74, 0, v58, 8
	v_mov_b32_e32 v75, v0
	s_mov_b32 s5, 0
.LBB96_357:                             ; =>This Inner Loop Header: Depth=1
	scratch_load_b64 v[76:77], v74, off
	ds_load_b64 v[78:79], v73
	s_wait_xcnt 0x0
	v_dual_add_nc_u32 v73, 8, v73 :: v_dual_add_nc_u32 v74, 8, v74
	s_wait_loadcnt_dscnt 0x0
	v_pk_mul_f32 v[80:81], v[78:79], v[76:77] op_sel:[1,1] op_sel_hi:[0,1]
	s_delay_alu instid0(VALU_DEP_1) | instskip(SKIP_2) | instid1(VALU_DEP_3)
	v_pk_fma_f32 v[82:83], v[78:79], v[76:77], v[80:81] op_sel_hi:[1,0,1]
	v_add_nc_u32_e32 v75, 1, v75
	v_pk_fma_f32 v[76:77], v[78:79], v[76:77], v[80:81] neg_lo:[0,0,1] neg_hi:[0,0,1]
	v_mov_b32_e32 v77, v83
	s_delay_alu instid0(VALU_DEP_3) | instskip(NEXT) | instid1(VALU_DEP_2)
	v_cmp_lt_u32_e32 vcc_lo, 2, v75
	v_pk_add_f32 v[70:71], v[70:71], v[76:77]
	s_or_b32 s5, vcc_lo, s5
	s_delay_alu instid0(SALU_CYCLE_1)
	s_and_not1_b32 exec_lo, exec_lo, s5
	s_cbranch_execnz .LBB96_357
; %bb.358:
	s_or_b32 exec_lo, exec_lo, s5
.LBB96_359:
	s_delay_alu instid0(SALU_CYCLE_1) | instskip(SKIP_4) | instid1(VALU_DEP_1)
	s_or_b32 exec_lo, exec_lo, s4
	v_mov_b32_e32 v73, 0
	ds_load_b64 v[74:75], v73 offset:32
	s_wait_dscnt 0x0
	v_pk_mul_f32 v[76:77], v[70:71], v[74:75] op_sel:[1,1] op_sel_hi:[0,1]
	v_pk_fma_f32 v[78:79], v[70:71], v[74:75], v[76:77] op_sel_hi:[1,0,1]
	v_pk_fma_f32 v[70:71], v[70:71], v[74:75], v[76:77] neg_lo:[0,0,1] neg_hi:[0,0,1]
	s_delay_alu instid0(VALU_DEP_2)
	v_mov_b32_e32 v71, v79
	scratch_store_b64 off, v[70:71], off offset:32
.LBB96_360:
	s_wait_xcnt 0x0
	s_or_b32 exec_lo, exec_lo, s0
	scratch_load_b64 v[70:71], off, off offset:40
	s_mov_b32 s0, exec_lo
	s_wait_loadcnt 0x0
	ds_store_b64 v1, v[70:71]
	s_wait_storecnt_dscnt 0x0
	s_barrier_signal -1
	s_barrier_wait -1
	s_wait_xcnt 0x0
	v_cmpx_gt_u32_e32 5, v0
	s_cbranch_execz .LBB96_370
; %bb.361:
	v_cmp_ne_u32_e32 vcc_lo, 1, v72
	s_cbranch_vccnz .LBB96_363
; %bb.362:
	scratch_load_b64 v[70:71], v59, off
	ds_load_b64 v[74:75], v1
	s_wait_loadcnt_dscnt 0x0
	v_pk_mul_f32 v[76:77], v[74:75], v[70:71] op_sel:[1,1] op_sel_hi:[0,1]
	s_delay_alu instid0(VALU_DEP_1) | instskip(SKIP_1) | instid1(VALU_DEP_2)
	v_pk_fma_f32 v[78:79], v[74:75], v[70:71], v[76:77] op_sel_hi:[1,0,1]
	v_pk_fma_f32 v[70:71], v[74:75], v[70:71], v[76:77] neg_lo:[0,0,1] neg_hi:[0,0,1]
	v_mov_b32_e32 v71, v79
	s_cbranch_execz .LBB96_364
	s_branch .LBB96_365
.LBB96_363:
                                        ; implicit-def: $vgpr70_vgpr71
.LBB96_364:
	ds_load_b64 v[70:71], v1
.LBB96_365:
	s_mov_b32 s4, exec_lo
	v_cmpx_ne_u32_e32 4, v0
	s_cbranch_execz .LBB96_369
; %bb.366:
	v_add_nc_u32_e32 v73, 0x118, v58
	v_add3_u32 v74, 0, v58, 8
	v_mov_b32_e32 v75, v0
	s_mov_b32 s5, 0
.LBB96_367:                             ; =>This Inner Loop Header: Depth=1
	scratch_load_b64 v[76:77], v74, off
	ds_load_b64 v[78:79], v73
	s_wait_xcnt 0x0
	v_dual_add_nc_u32 v73, 8, v73 :: v_dual_add_nc_u32 v74, 8, v74
	s_wait_loadcnt_dscnt 0x0
	v_pk_mul_f32 v[80:81], v[78:79], v[76:77] op_sel:[1,1] op_sel_hi:[0,1]
	s_delay_alu instid0(VALU_DEP_1) | instskip(SKIP_2) | instid1(VALU_DEP_3)
	v_pk_fma_f32 v[82:83], v[78:79], v[76:77], v[80:81] op_sel_hi:[1,0,1]
	v_add_nc_u32_e32 v75, 1, v75
	v_pk_fma_f32 v[76:77], v[78:79], v[76:77], v[80:81] neg_lo:[0,0,1] neg_hi:[0,0,1]
	v_mov_b32_e32 v77, v83
	s_delay_alu instid0(VALU_DEP_3) | instskip(NEXT) | instid1(VALU_DEP_2)
	v_cmp_lt_u32_e32 vcc_lo, 3, v75
	v_pk_add_f32 v[70:71], v[70:71], v[76:77]
	s_or_b32 s5, vcc_lo, s5
	s_delay_alu instid0(SALU_CYCLE_1)
	s_and_not1_b32 exec_lo, exec_lo, s5
	s_cbranch_execnz .LBB96_367
; %bb.368:
	s_or_b32 exec_lo, exec_lo, s5
.LBB96_369:
	s_delay_alu instid0(SALU_CYCLE_1) | instskip(SKIP_4) | instid1(VALU_DEP_1)
	s_or_b32 exec_lo, exec_lo, s4
	v_mov_b32_e32 v73, 0
	ds_load_b64 v[74:75], v73 offset:40
	s_wait_dscnt 0x0
	v_pk_mul_f32 v[76:77], v[70:71], v[74:75] op_sel:[1,1] op_sel_hi:[0,1]
	v_pk_fma_f32 v[78:79], v[70:71], v[74:75], v[76:77] op_sel_hi:[1,0,1]
	v_pk_fma_f32 v[70:71], v[70:71], v[74:75], v[76:77] neg_lo:[0,0,1] neg_hi:[0,0,1]
	s_delay_alu instid0(VALU_DEP_2)
	v_mov_b32_e32 v71, v79
	scratch_store_b64 off, v[70:71], off offset:40
.LBB96_370:
	s_wait_xcnt 0x0
	s_or_b32 exec_lo, exec_lo, s0
	scratch_load_b64 v[70:71], off, off offset:48
	s_mov_b32 s0, exec_lo
	s_wait_loadcnt 0x0
	ds_store_b64 v1, v[70:71]
	s_wait_storecnt_dscnt 0x0
	s_barrier_signal -1
	s_barrier_wait -1
	s_wait_xcnt 0x0
	v_cmpx_gt_u32_e32 6, v0
	s_cbranch_execz .LBB96_380
; %bb.371:
	v_cmp_ne_u32_e32 vcc_lo, 1, v72
	s_cbranch_vccnz .LBB96_373
; %bb.372:
	scratch_load_b64 v[70:71], v59, off
	ds_load_b64 v[74:75], v1
	s_wait_loadcnt_dscnt 0x0
	v_pk_mul_f32 v[76:77], v[74:75], v[70:71] op_sel:[1,1] op_sel_hi:[0,1]
	s_delay_alu instid0(VALU_DEP_1) | instskip(SKIP_1) | instid1(VALU_DEP_2)
	v_pk_fma_f32 v[78:79], v[74:75], v[70:71], v[76:77] op_sel_hi:[1,0,1]
	v_pk_fma_f32 v[70:71], v[74:75], v[70:71], v[76:77] neg_lo:[0,0,1] neg_hi:[0,0,1]
	v_mov_b32_e32 v71, v79
	s_cbranch_execz .LBB96_374
	s_branch .LBB96_375
.LBB96_373:
                                        ; implicit-def: $vgpr70_vgpr71
.LBB96_374:
	ds_load_b64 v[70:71], v1
.LBB96_375:
	s_mov_b32 s4, exec_lo
	v_cmpx_ne_u32_e32 5, v0
	s_cbranch_execz .LBB96_379
; %bb.376:
	v_add_nc_u32_e32 v73, 0x118, v58
	v_add3_u32 v74, 0, v58, 8
	v_mov_b32_e32 v75, v0
	s_mov_b32 s5, 0
.LBB96_377:                             ; =>This Inner Loop Header: Depth=1
	scratch_load_b64 v[76:77], v74, off
	ds_load_b64 v[78:79], v73
	s_wait_xcnt 0x0
	v_dual_add_nc_u32 v73, 8, v73 :: v_dual_add_nc_u32 v74, 8, v74
	s_wait_loadcnt_dscnt 0x0
	v_pk_mul_f32 v[80:81], v[78:79], v[76:77] op_sel:[1,1] op_sel_hi:[0,1]
	s_delay_alu instid0(VALU_DEP_1) | instskip(SKIP_2) | instid1(VALU_DEP_3)
	v_pk_fma_f32 v[82:83], v[78:79], v[76:77], v[80:81] op_sel_hi:[1,0,1]
	v_add_nc_u32_e32 v75, 1, v75
	v_pk_fma_f32 v[76:77], v[78:79], v[76:77], v[80:81] neg_lo:[0,0,1] neg_hi:[0,0,1]
	v_mov_b32_e32 v77, v83
	s_delay_alu instid0(VALU_DEP_3) | instskip(NEXT) | instid1(VALU_DEP_2)
	v_cmp_lt_u32_e32 vcc_lo, 4, v75
	v_pk_add_f32 v[70:71], v[70:71], v[76:77]
	s_or_b32 s5, vcc_lo, s5
	s_delay_alu instid0(SALU_CYCLE_1)
	s_and_not1_b32 exec_lo, exec_lo, s5
	s_cbranch_execnz .LBB96_377
; %bb.378:
	s_or_b32 exec_lo, exec_lo, s5
.LBB96_379:
	s_delay_alu instid0(SALU_CYCLE_1) | instskip(SKIP_4) | instid1(VALU_DEP_1)
	s_or_b32 exec_lo, exec_lo, s4
	v_mov_b32_e32 v73, 0
	ds_load_b64 v[74:75], v73 offset:48
	s_wait_dscnt 0x0
	v_pk_mul_f32 v[76:77], v[70:71], v[74:75] op_sel:[1,1] op_sel_hi:[0,1]
	v_pk_fma_f32 v[78:79], v[70:71], v[74:75], v[76:77] op_sel_hi:[1,0,1]
	v_pk_fma_f32 v[70:71], v[70:71], v[74:75], v[76:77] neg_lo:[0,0,1] neg_hi:[0,0,1]
	s_delay_alu instid0(VALU_DEP_2)
	v_mov_b32_e32 v71, v79
	scratch_store_b64 off, v[70:71], off offset:48
.LBB96_380:
	s_wait_xcnt 0x0
	s_or_b32 exec_lo, exec_lo, s0
	scratch_load_b64 v[70:71], off, off offset:56
	s_mov_b32 s0, exec_lo
	s_wait_loadcnt 0x0
	ds_store_b64 v1, v[70:71]
	s_wait_storecnt_dscnt 0x0
	s_barrier_signal -1
	s_barrier_wait -1
	s_wait_xcnt 0x0
	v_cmpx_gt_u32_e32 7, v0
	s_cbranch_execz .LBB96_390
; %bb.381:
	v_cmp_ne_u32_e32 vcc_lo, 1, v72
	s_cbranch_vccnz .LBB96_383
; %bb.382:
	scratch_load_b64 v[70:71], v59, off
	ds_load_b64 v[74:75], v1
	s_wait_loadcnt_dscnt 0x0
	v_pk_mul_f32 v[76:77], v[74:75], v[70:71] op_sel:[1,1] op_sel_hi:[0,1]
	s_delay_alu instid0(VALU_DEP_1) | instskip(SKIP_1) | instid1(VALU_DEP_2)
	v_pk_fma_f32 v[78:79], v[74:75], v[70:71], v[76:77] op_sel_hi:[1,0,1]
	v_pk_fma_f32 v[70:71], v[74:75], v[70:71], v[76:77] neg_lo:[0,0,1] neg_hi:[0,0,1]
	v_mov_b32_e32 v71, v79
	s_cbranch_execz .LBB96_384
	s_branch .LBB96_385
.LBB96_383:
                                        ; implicit-def: $vgpr70_vgpr71
.LBB96_384:
	ds_load_b64 v[70:71], v1
.LBB96_385:
	s_mov_b32 s4, exec_lo
	v_cmpx_ne_u32_e32 6, v0
	s_cbranch_execz .LBB96_389
; %bb.386:
	v_add_nc_u32_e32 v73, 0x118, v58
	v_add3_u32 v74, 0, v58, 8
	v_mov_b32_e32 v75, v0
	s_mov_b32 s5, 0
.LBB96_387:                             ; =>This Inner Loop Header: Depth=1
	scratch_load_b64 v[76:77], v74, off
	ds_load_b64 v[78:79], v73
	s_wait_xcnt 0x0
	v_dual_add_nc_u32 v73, 8, v73 :: v_dual_add_nc_u32 v74, 8, v74
	s_wait_loadcnt_dscnt 0x0
	v_pk_mul_f32 v[80:81], v[78:79], v[76:77] op_sel:[1,1] op_sel_hi:[0,1]
	s_delay_alu instid0(VALU_DEP_1) | instskip(SKIP_2) | instid1(VALU_DEP_3)
	v_pk_fma_f32 v[82:83], v[78:79], v[76:77], v[80:81] op_sel_hi:[1,0,1]
	v_add_nc_u32_e32 v75, 1, v75
	v_pk_fma_f32 v[76:77], v[78:79], v[76:77], v[80:81] neg_lo:[0,0,1] neg_hi:[0,0,1]
	v_mov_b32_e32 v77, v83
	s_delay_alu instid0(VALU_DEP_3) | instskip(NEXT) | instid1(VALU_DEP_2)
	v_cmp_lt_u32_e32 vcc_lo, 5, v75
	v_pk_add_f32 v[70:71], v[70:71], v[76:77]
	s_or_b32 s5, vcc_lo, s5
	s_delay_alu instid0(SALU_CYCLE_1)
	s_and_not1_b32 exec_lo, exec_lo, s5
	s_cbranch_execnz .LBB96_387
; %bb.388:
	s_or_b32 exec_lo, exec_lo, s5
.LBB96_389:
	s_delay_alu instid0(SALU_CYCLE_1) | instskip(SKIP_4) | instid1(VALU_DEP_1)
	s_or_b32 exec_lo, exec_lo, s4
	v_mov_b32_e32 v73, 0
	ds_load_b64 v[74:75], v73 offset:56
	s_wait_dscnt 0x0
	v_pk_mul_f32 v[76:77], v[70:71], v[74:75] op_sel:[1,1] op_sel_hi:[0,1]
	v_pk_fma_f32 v[78:79], v[70:71], v[74:75], v[76:77] op_sel_hi:[1,0,1]
	v_pk_fma_f32 v[70:71], v[70:71], v[74:75], v[76:77] neg_lo:[0,0,1] neg_hi:[0,0,1]
	s_delay_alu instid0(VALU_DEP_2)
	v_mov_b32_e32 v71, v79
	scratch_store_b64 off, v[70:71], off offset:56
.LBB96_390:
	s_wait_xcnt 0x0
	s_or_b32 exec_lo, exec_lo, s0
	scratch_load_b64 v[70:71], off, off offset:64
	s_mov_b32 s0, exec_lo
	s_wait_loadcnt 0x0
	ds_store_b64 v1, v[70:71]
	s_wait_storecnt_dscnt 0x0
	s_barrier_signal -1
	s_barrier_wait -1
	s_wait_xcnt 0x0
	v_cmpx_gt_u32_e32 8, v0
	s_cbranch_execz .LBB96_400
; %bb.391:
	v_cmp_ne_u32_e32 vcc_lo, 1, v72
	s_cbranch_vccnz .LBB96_393
; %bb.392:
	scratch_load_b64 v[70:71], v59, off
	ds_load_b64 v[74:75], v1
	s_wait_loadcnt_dscnt 0x0
	v_pk_mul_f32 v[76:77], v[74:75], v[70:71] op_sel:[1,1] op_sel_hi:[0,1]
	s_delay_alu instid0(VALU_DEP_1) | instskip(SKIP_1) | instid1(VALU_DEP_2)
	v_pk_fma_f32 v[78:79], v[74:75], v[70:71], v[76:77] op_sel_hi:[1,0,1]
	v_pk_fma_f32 v[70:71], v[74:75], v[70:71], v[76:77] neg_lo:[0,0,1] neg_hi:[0,0,1]
	v_mov_b32_e32 v71, v79
	s_cbranch_execz .LBB96_394
	s_branch .LBB96_395
.LBB96_393:
                                        ; implicit-def: $vgpr70_vgpr71
.LBB96_394:
	ds_load_b64 v[70:71], v1
.LBB96_395:
	s_mov_b32 s4, exec_lo
	v_cmpx_ne_u32_e32 7, v0
	s_cbranch_execz .LBB96_399
; %bb.396:
	v_add_nc_u32_e32 v73, 0x118, v58
	v_add3_u32 v74, 0, v58, 8
	v_mov_b32_e32 v75, v0
	s_mov_b32 s5, 0
.LBB96_397:                             ; =>This Inner Loop Header: Depth=1
	scratch_load_b64 v[76:77], v74, off
	ds_load_b64 v[78:79], v73
	s_wait_xcnt 0x0
	v_dual_add_nc_u32 v73, 8, v73 :: v_dual_add_nc_u32 v74, 8, v74
	s_wait_loadcnt_dscnt 0x0
	v_pk_mul_f32 v[80:81], v[78:79], v[76:77] op_sel:[1,1] op_sel_hi:[0,1]
	s_delay_alu instid0(VALU_DEP_1) | instskip(SKIP_2) | instid1(VALU_DEP_3)
	v_pk_fma_f32 v[82:83], v[78:79], v[76:77], v[80:81] op_sel_hi:[1,0,1]
	v_add_nc_u32_e32 v75, 1, v75
	v_pk_fma_f32 v[76:77], v[78:79], v[76:77], v[80:81] neg_lo:[0,0,1] neg_hi:[0,0,1]
	v_mov_b32_e32 v77, v83
	s_delay_alu instid0(VALU_DEP_3) | instskip(NEXT) | instid1(VALU_DEP_2)
	v_cmp_lt_u32_e32 vcc_lo, 6, v75
	v_pk_add_f32 v[70:71], v[70:71], v[76:77]
	s_or_b32 s5, vcc_lo, s5
	s_delay_alu instid0(SALU_CYCLE_1)
	s_and_not1_b32 exec_lo, exec_lo, s5
	s_cbranch_execnz .LBB96_397
; %bb.398:
	s_or_b32 exec_lo, exec_lo, s5
.LBB96_399:
	s_delay_alu instid0(SALU_CYCLE_1) | instskip(SKIP_4) | instid1(VALU_DEP_1)
	s_or_b32 exec_lo, exec_lo, s4
	v_mov_b32_e32 v73, 0
	ds_load_b64 v[74:75], v73 offset:64
	s_wait_dscnt 0x0
	v_pk_mul_f32 v[76:77], v[70:71], v[74:75] op_sel:[1,1] op_sel_hi:[0,1]
	v_pk_fma_f32 v[78:79], v[70:71], v[74:75], v[76:77] op_sel_hi:[1,0,1]
	v_pk_fma_f32 v[70:71], v[70:71], v[74:75], v[76:77] neg_lo:[0,0,1] neg_hi:[0,0,1]
	s_delay_alu instid0(VALU_DEP_2)
	v_mov_b32_e32 v71, v79
	scratch_store_b64 off, v[70:71], off offset:64
.LBB96_400:
	s_wait_xcnt 0x0
	s_or_b32 exec_lo, exec_lo, s0
	scratch_load_b64 v[70:71], off, off offset:72
	s_mov_b32 s0, exec_lo
	s_wait_loadcnt 0x0
	ds_store_b64 v1, v[70:71]
	s_wait_storecnt_dscnt 0x0
	s_barrier_signal -1
	s_barrier_wait -1
	s_wait_xcnt 0x0
	v_cmpx_gt_u32_e32 9, v0
	s_cbranch_execz .LBB96_410
; %bb.401:
	v_cmp_ne_u32_e32 vcc_lo, 1, v72
	s_cbranch_vccnz .LBB96_403
; %bb.402:
	scratch_load_b64 v[70:71], v59, off
	ds_load_b64 v[74:75], v1
	s_wait_loadcnt_dscnt 0x0
	v_pk_mul_f32 v[76:77], v[74:75], v[70:71] op_sel:[1,1] op_sel_hi:[0,1]
	s_delay_alu instid0(VALU_DEP_1) | instskip(SKIP_1) | instid1(VALU_DEP_2)
	v_pk_fma_f32 v[78:79], v[74:75], v[70:71], v[76:77] op_sel_hi:[1,0,1]
	v_pk_fma_f32 v[70:71], v[74:75], v[70:71], v[76:77] neg_lo:[0,0,1] neg_hi:[0,0,1]
	v_mov_b32_e32 v71, v79
	s_cbranch_execz .LBB96_404
	s_branch .LBB96_405
.LBB96_403:
                                        ; implicit-def: $vgpr70_vgpr71
.LBB96_404:
	ds_load_b64 v[70:71], v1
.LBB96_405:
	s_mov_b32 s4, exec_lo
	v_cmpx_ne_u32_e32 8, v0
	s_cbranch_execz .LBB96_409
; %bb.406:
	v_add_nc_u32_e32 v73, 0x118, v58
	v_add3_u32 v74, 0, v58, 8
	v_mov_b32_e32 v75, v0
	s_mov_b32 s5, 0
.LBB96_407:                             ; =>This Inner Loop Header: Depth=1
	scratch_load_b64 v[76:77], v74, off
	ds_load_b64 v[78:79], v73
	s_wait_xcnt 0x0
	v_dual_add_nc_u32 v73, 8, v73 :: v_dual_add_nc_u32 v74, 8, v74
	s_wait_loadcnt_dscnt 0x0
	v_pk_mul_f32 v[80:81], v[78:79], v[76:77] op_sel:[1,1] op_sel_hi:[0,1]
	s_delay_alu instid0(VALU_DEP_1) | instskip(SKIP_2) | instid1(VALU_DEP_3)
	v_pk_fma_f32 v[82:83], v[78:79], v[76:77], v[80:81] op_sel_hi:[1,0,1]
	v_add_nc_u32_e32 v75, 1, v75
	v_pk_fma_f32 v[76:77], v[78:79], v[76:77], v[80:81] neg_lo:[0,0,1] neg_hi:[0,0,1]
	v_mov_b32_e32 v77, v83
	s_delay_alu instid0(VALU_DEP_3) | instskip(NEXT) | instid1(VALU_DEP_2)
	v_cmp_lt_u32_e32 vcc_lo, 7, v75
	v_pk_add_f32 v[70:71], v[70:71], v[76:77]
	s_or_b32 s5, vcc_lo, s5
	s_delay_alu instid0(SALU_CYCLE_1)
	s_and_not1_b32 exec_lo, exec_lo, s5
	s_cbranch_execnz .LBB96_407
; %bb.408:
	s_or_b32 exec_lo, exec_lo, s5
.LBB96_409:
	s_delay_alu instid0(SALU_CYCLE_1) | instskip(SKIP_4) | instid1(VALU_DEP_1)
	s_or_b32 exec_lo, exec_lo, s4
	v_mov_b32_e32 v73, 0
	ds_load_b64 v[74:75], v73 offset:72
	s_wait_dscnt 0x0
	v_pk_mul_f32 v[76:77], v[70:71], v[74:75] op_sel:[1,1] op_sel_hi:[0,1]
	v_pk_fma_f32 v[78:79], v[70:71], v[74:75], v[76:77] op_sel_hi:[1,0,1]
	v_pk_fma_f32 v[70:71], v[70:71], v[74:75], v[76:77] neg_lo:[0,0,1] neg_hi:[0,0,1]
	s_delay_alu instid0(VALU_DEP_2)
	v_mov_b32_e32 v71, v79
	scratch_store_b64 off, v[70:71], off offset:72
.LBB96_410:
	s_wait_xcnt 0x0
	s_or_b32 exec_lo, exec_lo, s0
	scratch_load_b64 v[70:71], off, off offset:80
	s_mov_b32 s0, exec_lo
	s_wait_loadcnt 0x0
	ds_store_b64 v1, v[70:71]
	s_wait_storecnt_dscnt 0x0
	s_barrier_signal -1
	s_barrier_wait -1
	s_wait_xcnt 0x0
	v_cmpx_gt_u32_e32 10, v0
	s_cbranch_execz .LBB96_420
; %bb.411:
	v_cmp_ne_u32_e32 vcc_lo, 1, v72
	s_cbranch_vccnz .LBB96_413
; %bb.412:
	scratch_load_b64 v[70:71], v59, off
	ds_load_b64 v[74:75], v1
	s_wait_loadcnt_dscnt 0x0
	v_pk_mul_f32 v[76:77], v[74:75], v[70:71] op_sel:[1,1] op_sel_hi:[0,1]
	s_delay_alu instid0(VALU_DEP_1) | instskip(SKIP_1) | instid1(VALU_DEP_2)
	v_pk_fma_f32 v[78:79], v[74:75], v[70:71], v[76:77] op_sel_hi:[1,0,1]
	v_pk_fma_f32 v[70:71], v[74:75], v[70:71], v[76:77] neg_lo:[0,0,1] neg_hi:[0,0,1]
	v_mov_b32_e32 v71, v79
	s_cbranch_execz .LBB96_414
	s_branch .LBB96_415
.LBB96_413:
                                        ; implicit-def: $vgpr70_vgpr71
.LBB96_414:
	ds_load_b64 v[70:71], v1
.LBB96_415:
	s_mov_b32 s4, exec_lo
	v_cmpx_ne_u32_e32 9, v0
	s_cbranch_execz .LBB96_419
; %bb.416:
	v_add_nc_u32_e32 v73, 0x118, v58
	v_add3_u32 v74, 0, v58, 8
	v_mov_b32_e32 v75, v0
	s_mov_b32 s5, 0
.LBB96_417:                             ; =>This Inner Loop Header: Depth=1
	scratch_load_b64 v[76:77], v74, off
	ds_load_b64 v[78:79], v73
	s_wait_xcnt 0x0
	v_dual_add_nc_u32 v73, 8, v73 :: v_dual_add_nc_u32 v74, 8, v74
	s_wait_loadcnt_dscnt 0x0
	v_pk_mul_f32 v[80:81], v[78:79], v[76:77] op_sel:[1,1] op_sel_hi:[0,1]
	s_delay_alu instid0(VALU_DEP_1) | instskip(SKIP_2) | instid1(VALU_DEP_3)
	v_pk_fma_f32 v[82:83], v[78:79], v[76:77], v[80:81] op_sel_hi:[1,0,1]
	v_add_nc_u32_e32 v75, 1, v75
	v_pk_fma_f32 v[76:77], v[78:79], v[76:77], v[80:81] neg_lo:[0,0,1] neg_hi:[0,0,1]
	v_mov_b32_e32 v77, v83
	s_delay_alu instid0(VALU_DEP_3) | instskip(NEXT) | instid1(VALU_DEP_2)
	v_cmp_lt_u32_e32 vcc_lo, 8, v75
	v_pk_add_f32 v[70:71], v[70:71], v[76:77]
	s_or_b32 s5, vcc_lo, s5
	s_delay_alu instid0(SALU_CYCLE_1)
	s_and_not1_b32 exec_lo, exec_lo, s5
	s_cbranch_execnz .LBB96_417
; %bb.418:
	s_or_b32 exec_lo, exec_lo, s5
.LBB96_419:
	s_delay_alu instid0(SALU_CYCLE_1) | instskip(SKIP_4) | instid1(VALU_DEP_1)
	s_or_b32 exec_lo, exec_lo, s4
	v_mov_b32_e32 v73, 0
	ds_load_b64 v[74:75], v73 offset:80
	s_wait_dscnt 0x0
	v_pk_mul_f32 v[76:77], v[70:71], v[74:75] op_sel:[1,1] op_sel_hi:[0,1]
	v_pk_fma_f32 v[78:79], v[70:71], v[74:75], v[76:77] op_sel_hi:[1,0,1]
	v_pk_fma_f32 v[70:71], v[70:71], v[74:75], v[76:77] neg_lo:[0,0,1] neg_hi:[0,0,1]
	s_delay_alu instid0(VALU_DEP_2)
	v_mov_b32_e32 v71, v79
	scratch_store_b64 off, v[70:71], off offset:80
.LBB96_420:
	s_wait_xcnt 0x0
	s_or_b32 exec_lo, exec_lo, s0
	scratch_load_b64 v[70:71], off, off offset:88
	s_mov_b32 s0, exec_lo
	s_wait_loadcnt 0x0
	ds_store_b64 v1, v[70:71]
	s_wait_storecnt_dscnt 0x0
	s_barrier_signal -1
	s_barrier_wait -1
	s_wait_xcnt 0x0
	v_cmpx_gt_u32_e32 11, v0
	s_cbranch_execz .LBB96_430
; %bb.421:
	v_cmp_ne_u32_e32 vcc_lo, 1, v72
	s_cbranch_vccnz .LBB96_423
; %bb.422:
	scratch_load_b64 v[70:71], v59, off
	ds_load_b64 v[74:75], v1
	s_wait_loadcnt_dscnt 0x0
	v_pk_mul_f32 v[76:77], v[74:75], v[70:71] op_sel:[1,1] op_sel_hi:[0,1]
	s_delay_alu instid0(VALU_DEP_1) | instskip(SKIP_1) | instid1(VALU_DEP_2)
	v_pk_fma_f32 v[78:79], v[74:75], v[70:71], v[76:77] op_sel_hi:[1,0,1]
	v_pk_fma_f32 v[70:71], v[74:75], v[70:71], v[76:77] neg_lo:[0,0,1] neg_hi:[0,0,1]
	v_mov_b32_e32 v71, v79
	s_cbranch_execz .LBB96_424
	s_branch .LBB96_425
.LBB96_423:
                                        ; implicit-def: $vgpr70_vgpr71
.LBB96_424:
	ds_load_b64 v[70:71], v1
.LBB96_425:
	s_mov_b32 s4, exec_lo
	v_cmpx_ne_u32_e32 10, v0
	s_cbranch_execz .LBB96_429
; %bb.426:
	v_add_nc_u32_e32 v73, 0x118, v58
	v_add3_u32 v74, 0, v58, 8
	v_mov_b32_e32 v75, v0
	s_mov_b32 s5, 0
.LBB96_427:                             ; =>This Inner Loop Header: Depth=1
	scratch_load_b64 v[76:77], v74, off
	ds_load_b64 v[78:79], v73
	s_wait_xcnt 0x0
	v_dual_add_nc_u32 v73, 8, v73 :: v_dual_add_nc_u32 v74, 8, v74
	s_wait_loadcnt_dscnt 0x0
	v_pk_mul_f32 v[80:81], v[78:79], v[76:77] op_sel:[1,1] op_sel_hi:[0,1]
	s_delay_alu instid0(VALU_DEP_1) | instskip(SKIP_2) | instid1(VALU_DEP_3)
	v_pk_fma_f32 v[82:83], v[78:79], v[76:77], v[80:81] op_sel_hi:[1,0,1]
	v_add_nc_u32_e32 v75, 1, v75
	v_pk_fma_f32 v[76:77], v[78:79], v[76:77], v[80:81] neg_lo:[0,0,1] neg_hi:[0,0,1]
	v_mov_b32_e32 v77, v83
	s_delay_alu instid0(VALU_DEP_3) | instskip(NEXT) | instid1(VALU_DEP_2)
	v_cmp_lt_u32_e32 vcc_lo, 9, v75
	v_pk_add_f32 v[70:71], v[70:71], v[76:77]
	s_or_b32 s5, vcc_lo, s5
	s_delay_alu instid0(SALU_CYCLE_1)
	s_and_not1_b32 exec_lo, exec_lo, s5
	s_cbranch_execnz .LBB96_427
; %bb.428:
	s_or_b32 exec_lo, exec_lo, s5
.LBB96_429:
	s_delay_alu instid0(SALU_CYCLE_1) | instskip(SKIP_4) | instid1(VALU_DEP_1)
	s_or_b32 exec_lo, exec_lo, s4
	v_mov_b32_e32 v73, 0
	ds_load_b64 v[74:75], v73 offset:88
	s_wait_dscnt 0x0
	v_pk_mul_f32 v[76:77], v[70:71], v[74:75] op_sel:[1,1] op_sel_hi:[0,1]
	v_pk_fma_f32 v[78:79], v[70:71], v[74:75], v[76:77] op_sel_hi:[1,0,1]
	v_pk_fma_f32 v[70:71], v[70:71], v[74:75], v[76:77] neg_lo:[0,0,1] neg_hi:[0,0,1]
	s_delay_alu instid0(VALU_DEP_2)
	v_mov_b32_e32 v71, v79
	scratch_store_b64 off, v[70:71], off offset:88
.LBB96_430:
	s_wait_xcnt 0x0
	s_or_b32 exec_lo, exec_lo, s0
	scratch_load_b64 v[70:71], off, off offset:96
	s_mov_b32 s0, exec_lo
	s_wait_loadcnt 0x0
	ds_store_b64 v1, v[70:71]
	s_wait_storecnt_dscnt 0x0
	s_barrier_signal -1
	s_barrier_wait -1
	s_wait_xcnt 0x0
	v_cmpx_gt_u32_e32 12, v0
	s_cbranch_execz .LBB96_440
; %bb.431:
	v_cmp_ne_u32_e32 vcc_lo, 1, v72
	s_cbranch_vccnz .LBB96_433
; %bb.432:
	scratch_load_b64 v[70:71], v59, off
	ds_load_b64 v[74:75], v1
	s_wait_loadcnt_dscnt 0x0
	v_pk_mul_f32 v[76:77], v[74:75], v[70:71] op_sel:[1,1] op_sel_hi:[0,1]
	s_delay_alu instid0(VALU_DEP_1) | instskip(SKIP_1) | instid1(VALU_DEP_2)
	v_pk_fma_f32 v[78:79], v[74:75], v[70:71], v[76:77] op_sel_hi:[1,0,1]
	v_pk_fma_f32 v[70:71], v[74:75], v[70:71], v[76:77] neg_lo:[0,0,1] neg_hi:[0,0,1]
	v_mov_b32_e32 v71, v79
	s_cbranch_execz .LBB96_434
	s_branch .LBB96_435
.LBB96_433:
                                        ; implicit-def: $vgpr70_vgpr71
.LBB96_434:
	ds_load_b64 v[70:71], v1
.LBB96_435:
	s_mov_b32 s4, exec_lo
	v_cmpx_ne_u32_e32 11, v0
	s_cbranch_execz .LBB96_439
; %bb.436:
	v_add_nc_u32_e32 v73, 0x118, v58
	v_add3_u32 v74, 0, v58, 8
	v_mov_b32_e32 v75, v0
	s_mov_b32 s5, 0
.LBB96_437:                             ; =>This Inner Loop Header: Depth=1
	scratch_load_b64 v[76:77], v74, off
	ds_load_b64 v[78:79], v73
	s_wait_xcnt 0x0
	v_dual_add_nc_u32 v73, 8, v73 :: v_dual_add_nc_u32 v74, 8, v74
	s_wait_loadcnt_dscnt 0x0
	v_pk_mul_f32 v[80:81], v[78:79], v[76:77] op_sel:[1,1] op_sel_hi:[0,1]
	s_delay_alu instid0(VALU_DEP_1) | instskip(SKIP_2) | instid1(VALU_DEP_3)
	v_pk_fma_f32 v[82:83], v[78:79], v[76:77], v[80:81] op_sel_hi:[1,0,1]
	v_add_nc_u32_e32 v75, 1, v75
	v_pk_fma_f32 v[76:77], v[78:79], v[76:77], v[80:81] neg_lo:[0,0,1] neg_hi:[0,0,1]
	v_mov_b32_e32 v77, v83
	s_delay_alu instid0(VALU_DEP_3) | instskip(NEXT) | instid1(VALU_DEP_2)
	v_cmp_lt_u32_e32 vcc_lo, 10, v75
	v_pk_add_f32 v[70:71], v[70:71], v[76:77]
	s_or_b32 s5, vcc_lo, s5
	s_delay_alu instid0(SALU_CYCLE_1)
	s_and_not1_b32 exec_lo, exec_lo, s5
	s_cbranch_execnz .LBB96_437
; %bb.438:
	s_or_b32 exec_lo, exec_lo, s5
.LBB96_439:
	s_delay_alu instid0(SALU_CYCLE_1) | instskip(SKIP_4) | instid1(VALU_DEP_1)
	s_or_b32 exec_lo, exec_lo, s4
	v_mov_b32_e32 v73, 0
	ds_load_b64 v[74:75], v73 offset:96
	s_wait_dscnt 0x0
	v_pk_mul_f32 v[76:77], v[70:71], v[74:75] op_sel:[1,1] op_sel_hi:[0,1]
	v_pk_fma_f32 v[78:79], v[70:71], v[74:75], v[76:77] op_sel_hi:[1,0,1]
	v_pk_fma_f32 v[70:71], v[70:71], v[74:75], v[76:77] neg_lo:[0,0,1] neg_hi:[0,0,1]
	s_delay_alu instid0(VALU_DEP_2)
	v_mov_b32_e32 v71, v79
	scratch_store_b64 off, v[70:71], off offset:96
.LBB96_440:
	s_wait_xcnt 0x0
	s_or_b32 exec_lo, exec_lo, s0
	scratch_load_b64 v[70:71], off, off offset:104
	s_mov_b32 s0, exec_lo
	s_wait_loadcnt 0x0
	ds_store_b64 v1, v[70:71]
	s_wait_storecnt_dscnt 0x0
	s_barrier_signal -1
	s_barrier_wait -1
	s_wait_xcnt 0x0
	v_cmpx_gt_u32_e32 13, v0
	s_cbranch_execz .LBB96_450
; %bb.441:
	v_cmp_ne_u32_e32 vcc_lo, 1, v72
	s_cbranch_vccnz .LBB96_443
; %bb.442:
	scratch_load_b64 v[70:71], v59, off
	ds_load_b64 v[74:75], v1
	s_wait_loadcnt_dscnt 0x0
	v_pk_mul_f32 v[76:77], v[74:75], v[70:71] op_sel:[1,1] op_sel_hi:[0,1]
	s_delay_alu instid0(VALU_DEP_1) | instskip(SKIP_1) | instid1(VALU_DEP_2)
	v_pk_fma_f32 v[78:79], v[74:75], v[70:71], v[76:77] op_sel_hi:[1,0,1]
	v_pk_fma_f32 v[70:71], v[74:75], v[70:71], v[76:77] neg_lo:[0,0,1] neg_hi:[0,0,1]
	v_mov_b32_e32 v71, v79
	s_cbranch_execz .LBB96_444
	s_branch .LBB96_445
.LBB96_443:
                                        ; implicit-def: $vgpr70_vgpr71
.LBB96_444:
	ds_load_b64 v[70:71], v1
.LBB96_445:
	s_mov_b32 s4, exec_lo
	v_cmpx_ne_u32_e32 12, v0
	s_cbranch_execz .LBB96_449
; %bb.446:
	v_add_nc_u32_e32 v73, 0x118, v58
	v_add3_u32 v74, 0, v58, 8
	v_mov_b32_e32 v75, v0
	s_mov_b32 s5, 0
.LBB96_447:                             ; =>This Inner Loop Header: Depth=1
	scratch_load_b64 v[76:77], v74, off
	ds_load_b64 v[78:79], v73
	s_wait_xcnt 0x0
	v_dual_add_nc_u32 v73, 8, v73 :: v_dual_add_nc_u32 v74, 8, v74
	s_wait_loadcnt_dscnt 0x0
	v_pk_mul_f32 v[80:81], v[78:79], v[76:77] op_sel:[1,1] op_sel_hi:[0,1]
	s_delay_alu instid0(VALU_DEP_1) | instskip(SKIP_2) | instid1(VALU_DEP_3)
	v_pk_fma_f32 v[82:83], v[78:79], v[76:77], v[80:81] op_sel_hi:[1,0,1]
	v_add_nc_u32_e32 v75, 1, v75
	v_pk_fma_f32 v[76:77], v[78:79], v[76:77], v[80:81] neg_lo:[0,0,1] neg_hi:[0,0,1]
	v_mov_b32_e32 v77, v83
	s_delay_alu instid0(VALU_DEP_3) | instskip(NEXT) | instid1(VALU_DEP_2)
	v_cmp_lt_u32_e32 vcc_lo, 11, v75
	v_pk_add_f32 v[70:71], v[70:71], v[76:77]
	s_or_b32 s5, vcc_lo, s5
	s_delay_alu instid0(SALU_CYCLE_1)
	s_and_not1_b32 exec_lo, exec_lo, s5
	s_cbranch_execnz .LBB96_447
; %bb.448:
	s_or_b32 exec_lo, exec_lo, s5
.LBB96_449:
	s_delay_alu instid0(SALU_CYCLE_1) | instskip(SKIP_4) | instid1(VALU_DEP_1)
	s_or_b32 exec_lo, exec_lo, s4
	v_mov_b32_e32 v73, 0
	ds_load_b64 v[74:75], v73 offset:104
	s_wait_dscnt 0x0
	v_pk_mul_f32 v[76:77], v[70:71], v[74:75] op_sel:[1,1] op_sel_hi:[0,1]
	v_pk_fma_f32 v[78:79], v[70:71], v[74:75], v[76:77] op_sel_hi:[1,0,1]
	v_pk_fma_f32 v[70:71], v[70:71], v[74:75], v[76:77] neg_lo:[0,0,1] neg_hi:[0,0,1]
	s_delay_alu instid0(VALU_DEP_2)
	v_mov_b32_e32 v71, v79
	scratch_store_b64 off, v[70:71], off offset:104
.LBB96_450:
	s_wait_xcnt 0x0
	s_or_b32 exec_lo, exec_lo, s0
	scratch_load_b64 v[70:71], off, off offset:112
	s_mov_b32 s0, exec_lo
	s_wait_loadcnt 0x0
	ds_store_b64 v1, v[70:71]
	s_wait_storecnt_dscnt 0x0
	s_barrier_signal -1
	s_barrier_wait -1
	s_wait_xcnt 0x0
	v_cmpx_gt_u32_e32 14, v0
	s_cbranch_execz .LBB96_460
; %bb.451:
	v_cmp_ne_u32_e32 vcc_lo, 1, v72
	s_cbranch_vccnz .LBB96_453
; %bb.452:
	scratch_load_b64 v[70:71], v59, off
	ds_load_b64 v[74:75], v1
	s_wait_loadcnt_dscnt 0x0
	v_pk_mul_f32 v[76:77], v[74:75], v[70:71] op_sel:[1,1] op_sel_hi:[0,1]
	s_delay_alu instid0(VALU_DEP_1) | instskip(SKIP_1) | instid1(VALU_DEP_2)
	v_pk_fma_f32 v[78:79], v[74:75], v[70:71], v[76:77] op_sel_hi:[1,0,1]
	v_pk_fma_f32 v[70:71], v[74:75], v[70:71], v[76:77] neg_lo:[0,0,1] neg_hi:[0,0,1]
	v_mov_b32_e32 v71, v79
	s_cbranch_execz .LBB96_454
	s_branch .LBB96_455
.LBB96_453:
                                        ; implicit-def: $vgpr70_vgpr71
.LBB96_454:
	ds_load_b64 v[70:71], v1
.LBB96_455:
	s_mov_b32 s4, exec_lo
	v_cmpx_ne_u32_e32 13, v0
	s_cbranch_execz .LBB96_459
; %bb.456:
	v_add_nc_u32_e32 v73, 0x118, v58
	v_add3_u32 v74, 0, v58, 8
	v_mov_b32_e32 v75, v0
	s_mov_b32 s5, 0
.LBB96_457:                             ; =>This Inner Loop Header: Depth=1
	scratch_load_b64 v[76:77], v74, off
	ds_load_b64 v[78:79], v73
	s_wait_xcnt 0x0
	v_dual_add_nc_u32 v73, 8, v73 :: v_dual_add_nc_u32 v74, 8, v74
	s_wait_loadcnt_dscnt 0x0
	v_pk_mul_f32 v[80:81], v[78:79], v[76:77] op_sel:[1,1] op_sel_hi:[0,1]
	s_delay_alu instid0(VALU_DEP_1) | instskip(SKIP_2) | instid1(VALU_DEP_3)
	v_pk_fma_f32 v[82:83], v[78:79], v[76:77], v[80:81] op_sel_hi:[1,0,1]
	v_add_nc_u32_e32 v75, 1, v75
	v_pk_fma_f32 v[76:77], v[78:79], v[76:77], v[80:81] neg_lo:[0,0,1] neg_hi:[0,0,1]
	v_mov_b32_e32 v77, v83
	s_delay_alu instid0(VALU_DEP_3) | instskip(NEXT) | instid1(VALU_DEP_2)
	v_cmp_lt_u32_e32 vcc_lo, 12, v75
	v_pk_add_f32 v[70:71], v[70:71], v[76:77]
	s_or_b32 s5, vcc_lo, s5
	s_delay_alu instid0(SALU_CYCLE_1)
	s_and_not1_b32 exec_lo, exec_lo, s5
	s_cbranch_execnz .LBB96_457
; %bb.458:
	s_or_b32 exec_lo, exec_lo, s5
.LBB96_459:
	s_delay_alu instid0(SALU_CYCLE_1) | instskip(SKIP_4) | instid1(VALU_DEP_1)
	s_or_b32 exec_lo, exec_lo, s4
	v_mov_b32_e32 v73, 0
	ds_load_b64 v[74:75], v73 offset:112
	s_wait_dscnt 0x0
	v_pk_mul_f32 v[76:77], v[70:71], v[74:75] op_sel:[1,1] op_sel_hi:[0,1]
	v_pk_fma_f32 v[78:79], v[70:71], v[74:75], v[76:77] op_sel_hi:[1,0,1]
	v_pk_fma_f32 v[70:71], v[70:71], v[74:75], v[76:77] neg_lo:[0,0,1] neg_hi:[0,0,1]
	s_delay_alu instid0(VALU_DEP_2)
	v_mov_b32_e32 v71, v79
	scratch_store_b64 off, v[70:71], off offset:112
.LBB96_460:
	s_wait_xcnt 0x0
	s_or_b32 exec_lo, exec_lo, s0
	scratch_load_b64 v[70:71], off, off offset:120
	s_mov_b32 s0, exec_lo
	s_wait_loadcnt 0x0
	ds_store_b64 v1, v[70:71]
	s_wait_storecnt_dscnt 0x0
	s_barrier_signal -1
	s_barrier_wait -1
	s_wait_xcnt 0x0
	v_cmpx_gt_u32_e32 15, v0
	s_cbranch_execz .LBB96_470
; %bb.461:
	v_cmp_ne_u32_e32 vcc_lo, 1, v72
	s_cbranch_vccnz .LBB96_463
; %bb.462:
	scratch_load_b64 v[70:71], v59, off
	ds_load_b64 v[74:75], v1
	s_wait_loadcnt_dscnt 0x0
	v_pk_mul_f32 v[76:77], v[74:75], v[70:71] op_sel:[1,1] op_sel_hi:[0,1]
	s_delay_alu instid0(VALU_DEP_1) | instskip(SKIP_1) | instid1(VALU_DEP_2)
	v_pk_fma_f32 v[78:79], v[74:75], v[70:71], v[76:77] op_sel_hi:[1,0,1]
	v_pk_fma_f32 v[70:71], v[74:75], v[70:71], v[76:77] neg_lo:[0,0,1] neg_hi:[0,0,1]
	v_mov_b32_e32 v71, v79
	s_cbranch_execz .LBB96_464
	s_branch .LBB96_465
.LBB96_463:
                                        ; implicit-def: $vgpr70_vgpr71
.LBB96_464:
	ds_load_b64 v[70:71], v1
.LBB96_465:
	s_mov_b32 s4, exec_lo
	v_cmpx_ne_u32_e32 14, v0
	s_cbranch_execz .LBB96_469
; %bb.466:
	v_add_nc_u32_e32 v73, 0x118, v58
	v_add3_u32 v74, 0, v58, 8
	v_mov_b32_e32 v75, v0
	s_mov_b32 s5, 0
.LBB96_467:                             ; =>This Inner Loop Header: Depth=1
	scratch_load_b64 v[76:77], v74, off
	ds_load_b64 v[78:79], v73
	s_wait_xcnt 0x0
	v_dual_add_nc_u32 v73, 8, v73 :: v_dual_add_nc_u32 v74, 8, v74
	s_wait_loadcnt_dscnt 0x0
	v_pk_mul_f32 v[80:81], v[78:79], v[76:77] op_sel:[1,1] op_sel_hi:[0,1]
	s_delay_alu instid0(VALU_DEP_1) | instskip(SKIP_2) | instid1(VALU_DEP_3)
	v_pk_fma_f32 v[82:83], v[78:79], v[76:77], v[80:81] op_sel_hi:[1,0,1]
	v_add_nc_u32_e32 v75, 1, v75
	v_pk_fma_f32 v[76:77], v[78:79], v[76:77], v[80:81] neg_lo:[0,0,1] neg_hi:[0,0,1]
	v_mov_b32_e32 v77, v83
	s_delay_alu instid0(VALU_DEP_3) | instskip(NEXT) | instid1(VALU_DEP_2)
	v_cmp_lt_u32_e32 vcc_lo, 13, v75
	v_pk_add_f32 v[70:71], v[70:71], v[76:77]
	s_or_b32 s5, vcc_lo, s5
	s_delay_alu instid0(SALU_CYCLE_1)
	s_and_not1_b32 exec_lo, exec_lo, s5
	s_cbranch_execnz .LBB96_467
; %bb.468:
	s_or_b32 exec_lo, exec_lo, s5
.LBB96_469:
	s_delay_alu instid0(SALU_CYCLE_1) | instskip(SKIP_4) | instid1(VALU_DEP_1)
	s_or_b32 exec_lo, exec_lo, s4
	v_mov_b32_e32 v73, 0
	ds_load_b64 v[74:75], v73 offset:120
	s_wait_dscnt 0x0
	v_pk_mul_f32 v[76:77], v[70:71], v[74:75] op_sel:[1,1] op_sel_hi:[0,1]
	v_pk_fma_f32 v[78:79], v[70:71], v[74:75], v[76:77] op_sel_hi:[1,0,1]
	v_pk_fma_f32 v[70:71], v[70:71], v[74:75], v[76:77] neg_lo:[0,0,1] neg_hi:[0,0,1]
	s_delay_alu instid0(VALU_DEP_2)
	v_mov_b32_e32 v71, v79
	scratch_store_b64 off, v[70:71], off offset:120
.LBB96_470:
	s_wait_xcnt 0x0
	s_or_b32 exec_lo, exec_lo, s0
	scratch_load_b64 v[70:71], off, off offset:128
	s_mov_b32 s0, exec_lo
	s_wait_loadcnt 0x0
	ds_store_b64 v1, v[70:71]
	s_wait_storecnt_dscnt 0x0
	s_barrier_signal -1
	s_barrier_wait -1
	s_wait_xcnt 0x0
	v_cmpx_gt_u32_e32 16, v0
	s_cbranch_execz .LBB96_480
; %bb.471:
	v_cmp_ne_u32_e32 vcc_lo, 1, v72
	s_cbranch_vccnz .LBB96_473
; %bb.472:
	scratch_load_b64 v[70:71], v59, off
	ds_load_b64 v[74:75], v1
	s_wait_loadcnt_dscnt 0x0
	v_pk_mul_f32 v[76:77], v[74:75], v[70:71] op_sel:[1,1] op_sel_hi:[0,1]
	s_delay_alu instid0(VALU_DEP_1) | instskip(SKIP_1) | instid1(VALU_DEP_2)
	v_pk_fma_f32 v[78:79], v[74:75], v[70:71], v[76:77] op_sel_hi:[1,0,1]
	v_pk_fma_f32 v[70:71], v[74:75], v[70:71], v[76:77] neg_lo:[0,0,1] neg_hi:[0,0,1]
	v_mov_b32_e32 v71, v79
	s_cbranch_execz .LBB96_474
	s_branch .LBB96_475
.LBB96_473:
                                        ; implicit-def: $vgpr70_vgpr71
.LBB96_474:
	ds_load_b64 v[70:71], v1
.LBB96_475:
	s_mov_b32 s4, exec_lo
	v_cmpx_ne_u32_e32 15, v0
	s_cbranch_execz .LBB96_479
; %bb.476:
	v_add_nc_u32_e32 v73, 0x118, v58
	v_add3_u32 v74, 0, v58, 8
	v_mov_b32_e32 v75, v0
	s_mov_b32 s5, 0
.LBB96_477:                             ; =>This Inner Loop Header: Depth=1
	scratch_load_b64 v[76:77], v74, off
	ds_load_b64 v[78:79], v73
	s_wait_xcnt 0x0
	v_dual_add_nc_u32 v73, 8, v73 :: v_dual_add_nc_u32 v74, 8, v74
	s_wait_loadcnt_dscnt 0x0
	v_pk_mul_f32 v[80:81], v[78:79], v[76:77] op_sel:[1,1] op_sel_hi:[0,1]
	s_delay_alu instid0(VALU_DEP_1) | instskip(SKIP_2) | instid1(VALU_DEP_3)
	v_pk_fma_f32 v[82:83], v[78:79], v[76:77], v[80:81] op_sel_hi:[1,0,1]
	v_add_nc_u32_e32 v75, 1, v75
	v_pk_fma_f32 v[76:77], v[78:79], v[76:77], v[80:81] neg_lo:[0,0,1] neg_hi:[0,0,1]
	v_mov_b32_e32 v77, v83
	s_delay_alu instid0(VALU_DEP_3) | instskip(NEXT) | instid1(VALU_DEP_2)
	v_cmp_lt_u32_e32 vcc_lo, 14, v75
	v_pk_add_f32 v[70:71], v[70:71], v[76:77]
	s_or_b32 s5, vcc_lo, s5
	s_delay_alu instid0(SALU_CYCLE_1)
	s_and_not1_b32 exec_lo, exec_lo, s5
	s_cbranch_execnz .LBB96_477
; %bb.478:
	s_or_b32 exec_lo, exec_lo, s5
.LBB96_479:
	s_delay_alu instid0(SALU_CYCLE_1) | instskip(SKIP_4) | instid1(VALU_DEP_1)
	s_or_b32 exec_lo, exec_lo, s4
	v_mov_b32_e32 v73, 0
	ds_load_b64 v[74:75], v73 offset:128
	s_wait_dscnt 0x0
	v_pk_mul_f32 v[76:77], v[70:71], v[74:75] op_sel:[1,1] op_sel_hi:[0,1]
	v_pk_fma_f32 v[78:79], v[70:71], v[74:75], v[76:77] op_sel_hi:[1,0,1]
	v_pk_fma_f32 v[70:71], v[70:71], v[74:75], v[76:77] neg_lo:[0,0,1] neg_hi:[0,0,1]
	s_delay_alu instid0(VALU_DEP_2)
	v_mov_b32_e32 v71, v79
	scratch_store_b64 off, v[70:71], off offset:128
.LBB96_480:
	s_wait_xcnt 0x0
	s_or_b32 exec_lo, exec_lo, s0
	scratch_load_b64 v[70:71], off, off offset:136
	s_mov_b32 s0, exec_lo
	s_wait_loadcnt 0x0
	ds_store_b64 v1, v[70:71]
	s_wait_storecnt_dscnt 0x0
	s_barrier_signal -1
	s_barrier_wait -1
	s_wait_xcnt 0x0
	v_cmpx_gt_u32_e32 17, v0
	s_cbranch_execz .LBB96_490
; %bb.481:
	v_cmp_ne_u32_e32 vcc_lo, 1, v72
	s_cbranch_vccnz .LBB96_483
; %bb.482:
	scratch_load_b64 v[70:71], v59, off
	ds_load_b64 v[74:75], v1
	s_wait_loadcnt_dscnt 0x0
	v_pk_mul_f32 v[76:77], v[74:75], v[70:71] op_sel:[1,1] op_sel_hi:[0,1]
	s_delay_alu instid0(VALU_DEP_1) | instskip(SKIP_1) | instid1(VALU_DEP_2)
	v_pk_fma_f32 v[78:79], v[74:75], v[70:71], v[76:77] op_sel_hi:[1,0,1]
	v_pk_fma_f32 v[70:71], v[74:75], v[70:71], v[76:77] neg_lo:[0,0,1] neg_hi:[0,0,1]
	v_mov_b32_e32 v71, v79
	s_cbranch_execz .LBB96_484
	s_branch .LBB96_485
.LBB96_483:
                                        ; implicit-def: $vgpr70_vgpr71
.LBB96_484:
	ds_load_b64 v[70:71], v1
.LBB96_485:
	s_mov_b32 s4, exec_lo
	v_cmpx_ne_u32_e32 16, v0
	s_cbranch_execz .LBB96_489
; %bb.486:
	v_add_nc_u32_e32 v73, 0x118, v58
	v_add3_u32 v74, 0, v58, 8
	v_mov_b32_e32 v75, v0
	s_mov_b32 s5, 0
.LBB96_487:                             ; =>This Inner Loop Header: Depth=1
	scratch_load_b64 v[76:77], v74, off
	ds_load_b64 v[78:79], v73
	s_wait_xcnt 0x0
	v_dual_add_nc_u32 v73, 8, v73 :: v_dual_add_nc_u32 v74, 8, v74
	s_wait_loadcnt_dscnt 0x0
	v_pk_mul_f32 v[80:81], v[78:79], v[76:77] op_sel:[1,1] op_sel_hi:[0,1]
	s_delay_alu instid0(VALU_DEP_1) | instskip(SKIP_2) | instid1(VALU_DEP_3)
	v_pk_fma_f32 v[82:83], v[78:79], v[76:77], v[80:81] op_sel_hi:[1,0,1]
	v_add_nc_u32_e32 v75, 1, v75
	v_pk_fma_f32 v[76:77], v[78:79], v[76:77], v[80:81] neg_lo:[0,0,1] neg_hi:[0,0,1]
	v_mov_b32_e32 v77, v83
	s_delay_alu instid0(VALU_DEP_3) | instskip(NEXT) | instid1(VALU_DEP_2)
	v_cmp_lt_u32_e32 vcc_lo, 15, v75
	v_pk_add_f32 v[70:71], v[70:71], v[76:77]
	s_or_b32 s5, vcc_lo, s5
	s_delay_alu instid0(SALU_CYCLE_1)
	s_and_not1_b32 exec_lo, exec_lo, s5
	s_cbranch_execnz .LBB96_487
; %bb.488:
	s_or_b32 exec_lo, exec_lo, s5
.LBB96_489:
	s_delay_alu instid0(SALU_CYCLE_1) | instskip(SKIP_4) | instid1(VALU_DEP_1)
	s_or_b32 exec_lo, exec_lo, s4
	v_mov_b32_e32 v73, 0
	ds_load_b64 v[74:75], v73 offset:136
	s_wait_dscnt 0x0
	v_pk_mul_f32 v[76:77], v[70:71], v[74:75] op_sel:[1,1] op_sel_hi:[0,1]
	v_pk_fma_f32 v[78:79], v[70:71], v[74:75], v[76:77] op_sel_hi:[1,0,1]
	v_pk_fma_f32 v[70:71], v[70:71], v[74:75], v[76:77] neg_lo:[0,0,1] neg_hi:[0,0,1]
	s_delay_alu instid0(VALU_DEP_2)
	v_mov_b32_e32 v71, v79
	scratch_store_b64 off, v[70:71], off offset:136
.LBB96_490:
	s_wait_xcnt 0x0
	s_or_b32 exec_lo, exec_lo, s0
	scratch_load_b64 v[70:71], off, off offset:144
	s_mov_b32 s0, exec_lo
	s_wait_loadcnt 0x0
	ds_store_b64 v1, v[70:71]
	s_wait_storecnt_dscnt 0x0
	s_barrier_signal -1
	s_barrier_wait -1
	s_wait_xcnt 0x0
	v_cmpx_gt_u32_e32 18, v0
	s_cbranch_execz .LBB96_500
; %bb.491:
	v_cmp_ne_u32_e32 vcc_lo, 1, v72
	s_cbranch_vccnz .LBB96_493
; %bb.492:
	scratch_load_b64 v[70:71], v59, off
	ds_load_b64 v[74:75], v1
	s_wait_loadcnt_dscnt 0x0
	v_pk_mul_f32 v[76:77], v[74:75], v[70:71] op_sel:[1,1] op_sel_hi:[0,1]
	s_delay_alu instid0(VALU_DEP_1) | instskip(SKIP_1) | instid1(VALU_DEP_2)
	v_pk_fma_f32 v[78:79], v[74:75], v[70:71], v[76:77] op_sel_hi:[1,0,1]
	v_pk_fma_f32 v[70:71], v[74:75], v[70:71], v[76:77] neg_lo:[0,0,1] neg_hi:[0,0,1]
	v_mov_b32_e32 v71, v79
	s_cbranch_execz .LBB96_494
	s_branch .LBB96_495
.LBB96_493:
                                        ; implicit-def: $vgpr70_vgpr71
.LBB96_494:
	ds_load_b64 v[70:71], v1
.LBB96_495:
	s_mov_b32 s4, exec_lo
	v_cmpx_ne_u32_e32 17, v0
	s_cbranch_execz .LBB96_499
; %bb.496:
	v_add_nc_u32_e32 v73, 0x118, v58
	v_add3_u32 v74, 0, v58, 8
	v_mov_b32_e32 v75, v0
	s_mov_b32 s5, 0
.LBB96_497:                             ; =>This Inner Loop Header: Depth=1
	scratch_load_b64 v[76:77], v74, off
	ds_load_b64 v[78:79], v73
	s_wait_xcnt 0x0
	v_dual_add_nc_u32 v73, 8, v73 :: v_dual_add_nc_u32 v74, 8, v74
	s_wait_loadcnt_dscnt 0x0
	v_pk_mul_f32 v[80:81], v[78:79], v[76:77] op_sel:[1,1] op_sel_hi:[0,1]
	s_delay_alu instid0(VALU_DEP_1) | instskip(SKIP_2) | instid1(VALU_DEP_3)
	v_pk_fma_f32 v[82:83], v[78:79], v[76:77], v[80:81] op_sel_hi:[1,0,1]
	v_add_nc_u32_e32 v75, 1, v75
	v_pk_fma_f32 v[76:77], v[78:79], v[76:77], v[80:81] neg_lo:[0,0,1] neg_hi:[0,0,1]
	v_mov_b32_e32 v77, v83
	s_delay_alu instid0(VALU_DEP_3) | instskip(NEXT) | instid1(VALU_DEP_2)
	v_cmp_lt_u32_e32 vcc_lo, 16, v75
	v_pk_add_f32 v[70:71], v[70:71], v[76:77]
	s_or_b32 s5, vcc_lo, s5
	s_delay_alu instid0(SALU_CYCLE_1)
	s_and_not1_b32 exec_lo, exec_lo, s5
	s_cbranch_execnz .LBB96_497
; %bb.498:
	s_or_b32 exec_lo, exec_lo, s5
.LBB96_499:
	s_delay_alu instid0(SALU_CYCLE_1) | instskip(SKIP_4) | instid1(VALU_DEP_1)
	s_or_b32 exec_lo, exec_lo, s4
	v_mov_b32_e32 v73, 0
	ds_load_b64 v[74:75], v73 offset:144
	s_wait_dscnt 0x0
	v_pk_mul_f32 v[76:77], v[70:71], v[74:75] op_sel:[1,1] op_sel_hi:[0,1]
	v_pk_fma_f32 v[78:79], v[70:71], v[74:75], v[76:77] op_sel_hi:[1,0,1]
	v_pk_fma_f32 v[70:71], v[70:71], v[74:75], v[76:77] neg_lo:[0,0,1] neg_hi:[0,0,1]
	s_delay_alu instid0(VALU_DEP_2)
	v_mov_b32_e32 v71, v79
	scratch_store_b64 off, v[70:71], off offset:144
.LBB96_500:
	s_wait_xcnt 0x0
	s_or_b32 exec_lo, exec_lo, s0
	scratch_load_b64 v[70:71], off, off offset:152
	s_mov_b32 s0, exec_lo
	s_wait_loadcnt 0x0
	ds_store_b64 v1, v[70:71]
	s_wait_storecnt_dscnt 0x0
	s_barrier_signal -1
	s_barrier_wait -1
	s_wait_xcnt 0x0
	v_cmpx_gt_u32_e32 19, v0
	s_cbranch_execz .LBB96_510
; %bb.501:
	v_cmp_ne_u32_e32 vcc_lo, 1, v72
	s_cbranch_vccnz .LBB96_503
; %bb.502:
	scratch_load_b64 v[70:71], v59, off
	ds_load_b64 v[74:75], v1
	s_wait_loadcnt_dscnt 0x0
	v_pk_mul_f32 v[76:77], v[74:75], v[70:71] op_sel:[1,1] op_sel_hi:[0,1]
	s_delay_alu instid0(VALU_DEP_1) | instskip(SKIP_1) | instid1(VALU_DEP_2)
	v_pk_fma_f32 v[78:79], v[74:75], v[70:71], v[76:77] op_sel_hi:[1,0,1]
	v_pk_fma_f32 v[70:71], v[74:75], v[70:71], v[76:77] neg_lo:[0,0,1] neg_hi:[0,0,1]
	v_mov_b32_e32 v71, v79
	s_cbranch_execz .LBB96_504
	s_branch .LBB96_505
.LBB96_503:
                                        ; implicit-def: $vgpr70_vgpr71
.LBB96_504:
	ds_load_b64 v[70:71], v1
.LBB96_505:
	s_mov_b32 s4, exec_lo
	v_cmpx_ne_u32_e32 18, v0
	s_cbranch_execz .LBB96_509
; %bb.506:
	v_add_nc_u32_e32 v73, 0x118, v58
	v_add3_u32 v74, 0, v58, 8
	v_mov_b32_e32 v75, v0
	s_mov_b32 s5, 0
.LBB96_507:                             ; =>This Inner Loop Header: Depth=1
	scratch_load_b64 v[76:77], v74, off
	ds_load_b64 v[78:79], v73
	s_wait_xcnt 0x0
	v_dual_add_nc_u32 v73, 8, v73 :: v_dual_add_nc_u32 v74, 8, v74
	s_wait_loadcnt_dscnt 0x0
	v_pk_mul_f32 v[80:81], v[78:79], v[76:77] op_sel:[1,1] op_sel_hi:[0,1]
	s_delay_alu instid0(VALU_DEP_1) | instskip(SKIP_2) | instid1(VALU_DEP_3)
	v_pk_fma_f32 v[82:83], v[78:79], v[76:77], v[80:81] op_sel_hi:[1,0,1]
	v_add_nc_u32_e32 v75, 1, v75
	v_pk_fma_f32 v[76:77], v[78:79], v[76:77], v[80:81] neg_lo:[0,0,1] neg_hi:[0,0,1]
	v_mov_b32_e32 v77, v83
	s_delay_alu instid0(VALU_DEP_3) | instskip(NEXT) | instid1(VALU_DEP_2)
	v_cmp_lt_u32_e32 vcc_lo, 17, v75
	v_pk_add_f32 v[70:71], v[70:71], v[76:77]
	s_or_b32 s5, vcc_lo, s5
	s_delay_alu instid0(SALU_CYCLE_1)
	s_and_not1_b32 exec_lo, exec_lo, s5
	s_cbranch_execnz .LBB96_507
; %bb.508:
	s_or_b32 exec_lo, exec_lo, s5
.LBB96_509:
	s_delay_alu instid0(SALU_CYCLE_1) | instskip(SKIP_4) | instid1(VALU_DEP_1)
	s_or_b32 exec_lo, exec_lo, s4
	v_mov_b32_e32 v73, 0
	ds_load_b64 v[74:75], v73 offset:152
	s_wait_dscnt 0x0
	v_pk_mul_f32 v[76:77], v[70:71], v[74:75] op_sel:[1,1] op_sel_hi:[0,1]
	v_pk_fma_f32 v[78:79], v[70:71], v[74:75], v[76:77] op_sel_hi:[1,0,1]
	v_pk_fma_f32 v[70:71], v[70:71], v[74:75], v[76:77] neg_lo:[0,0,1] neg_hi:[0,0,1]
	s_delay_alu instid0(VALU_DEP_2)
	v_mov_b32_e32 v71, v79
	scratch_store_b64 off, v[70:71], off offset:152
.LBB96_510:
	s_wait_xcnt 0x0
	s_or_b32 exec_lo, exec_lo, s0
	scratch_load_b64 v[70:71], off, off offset:160
	s_mov_b32 s0, exec_lo
	s_wait_loadcnt 0x0
	ds_store_b64 v1, v[70:71]
	s_wait_storecnt_dscnt 0x0
	s_barrier_signal -1
	s_barrier_wait -1
	s_wait_xcnt 0x0
	v_cmpx_gt_u32_e32 20, v0
	s_cbranch_execz .LBB96_520
; %bb.511:
	v_cmp_ne_u32_e32 vcc_lo, 1, v72
	s_cbranch_vccnz .LBB96_513
; %bb.512:
	scratch_load_b64 v[70:71], v59, off
	ds_load_b64 v[74:75], v1
	s_wait_loadcnt_dscnt 0x0
	v_pk_mul_f32 v[76:77], v[74:75], v[70:71] op_sel:[1,1] op_sel_hi:[0,1]
	s_delay_alu instid0(VALU_DEP_1) | instskip(SKIP_1) | instid1(VALU_DEP_2)
	v_pk_fma_f32 v[78:79], v[74:75], v[70:71], v[76:77] op_sel_hi:[1,0,1]
	v_pk_fma_f32 v[70:71], v[74:75], v[70:71], v[76:77] neg_lo:[0,0,1] neg_hi:[0,0,1]
	v_mov_b32_e32 v71, v79
	s_cbranch_execz .LBB96_514
	s_branch .LBB96_515
.LBB96_513:
                                        ; implicit-def: $vgpr70_vgpr71
.LBB96_514:
	ds_load_b64 v[70:71], v1
.LBB96_515:
	s_mov_b32 s4, exec_lo
	v_cmpx_ne_u32_e32 19, v0
	s_cbranch_execz .LBB96_519
; %bb.516:
	v_add_nc_u32_e32 v73, 0x118, v58
	v_add3_u32 v74, 0, v58, 8
	v_mov_b32_e32 v75, v0
	s_mov_b32 s5, 0
.LBB96_517:                             ; =>This Inner Loop Header: Depth=1
	scratch_load_b64 v[76:77], v74, off
	ds_load_b64 v[78:79], v73
	s_wait_xcnt 0x0
	v_dual_add_nc_u32 v73, 8, v73 :: v_dual_add_nc_u32 v74, 8, v74
	s_wait_loadcnt_dscnt 0x0
	v_pk_mul_f32 v[80:81], v[78:79], v[76:77] op_sel:[1,1] op_sel_hi:[0,1]
	s_delay_alu instid0(VALU_DEP_1) | instskip(SKIP_2) | instid1(VALU_DEP_3)
	v_pk_fma_f32 v[82:83], v[78:79], v[76:77], v[80:81] op_sel_hi:[1,0,1]
	v_add_nc_u32_e32 v75, 1, v75
	v_pk_fma_f32 v[76:77], v[78:79], v[76:77], v[80:81] neg_lo:[0,0,1] neg_hi:[0,0,1]
	v_mov_b32_e32 v77, v83
	s_delay_alu instid0(VALU_DEP_3) | instskip(NEXT) | instid1(VALU_DEP_2)
	v_cmp_lt_u32_e32 vcc_lo, 18, v75
	v_pk_add_f32 v[70:71], v[70:71], v[76:77]
	s_or_b32 s5, vcc_lo, s5
	s_delay_alu instid0(SALU_CYCLE_1)
	s_and_not1_b32 exec_lo, exec_lo, s5
	s_cbranch_execnz .LBB96_517
; %bb.518:
	s_or_b32 exec_lo, exec_lo, s5
.LBB96_519:
	s_delay_alu instid0(SALU_CYCLE_1) | instskip(SKIP_4) | instid1(VALU_DEP_1)
	s_or_b32 exec_lo, exec_lo, s4
	v_mov_b32_e32 v73, 0
	ds_load_b64 v[74:75], v73 offset:160
	s_wait_dscnt 0x0
	v_pk_mul_f32 v[76:77], v[70:71], v[74:75] op_sel:[1,1] op_sel_hi:[0,1]
	v_pk_fma_f32 v[78:79], v[70:71], v[74:75], v[76:77] op_sel_hi:[1,0,1]
	v_pk_fma_f32 v[70:71], v[70:71], v[74:75], v[76:77] neg_lo:[0,0,1] neg_hi:[0,0,1]
	s_delay_alu instid0(VALU_DEP_2)
	v_mov_b32_e32 v71, v79
	scratch_store_b64 off, v[70:71], off offset:160
.LBB96_520:
	s_wait_xcnt 0x0
	s_or_b32 exec_lo, exec_lo, s0
	scratch_load_b64 v[70:71], off, off offset:168
	s_mov_b32 s0, exec_lo
	s_wait_loadcnt 0x0
	ds_store_b64 v1, v[70:71]
	s_wait_storecnt_dscnt 0x0
	s_barrier_signal -1
	s_barrier_wait -1
	s_wait_xcnt 0x0
	v_cmpx_gt_u32_e32 21, v0
	s_cbranch_execz .LBB96_530
; %bb.521:
	v_cmp_ne_u32_e32 vcc_lo, 1, v72
	s_cbranch_vccnz .LBB96_523
; %bb.522:
	scratch_load_b64 v[70:71], v59, off
	ds_load_b64 v[74:75], v1
	s_wait_loadcnt_dscnt 0x0
	v_pk_mul_f32 v[76:77], v[74:75], v[70:71] op_sel:[1,1] op_sel_hi:[0,1]
	s_delay_alu instid0(VALU_DEP_1) | instskip(SKIP_1) | instid1(VALU_DEP_2)
	v_pk_fma_f32 v[78:79], v[74:75], v[70:71], v[76:77] op_sel_hi:[1,0,1]
	v_pk_fma_f32 v[70:71], v[74:75], v[70:71], v[76:77] neg_lo:[0,0,1] neg_hi:[0,0,1]
	v_mov_b32_e32 v71, v79
	s_cbranch_execz .LBB96_524
	s_branch .LBB96_525
.LBB96_523:
                                        ; implicit-def: $vgpr70_vgpr71
.LBB96_524:
	ds_load_b64 v[70:71], v1
.LBB96_525:
	s_mov_b32 s4, exec_lo
	v_cmpx_ne_u32_e32 20, v0
	s_cbranch_execz .LBB96_529
; %bb.526:
	v_add_nc_u32_e32 v73, 0x118, v58
	v_add3_u32 v74, 0, v58, 8
	v_mov_b32_e32 v75, v0
	s_mov_b32 s5, 0
.LBB96_527:                             ; =>This Inner Loop Header: Depth=1
	scratch_load_b64 v[76:77], v74, off
	ds_load_b64 v[78:79], v73
	s_wait_xcnt 0x0
	v_dual_add_nc_u32 v73, 8, v73 :: v_dual_add_nc_u32 v74, 8, v74
	s_wait_loadcnt_dscnt 0x0
	v_pk_mul_f32 v[80:81], v[78:79], v[76:77] op_sel:[1,1] op_sel_hi:[0,1]
	s_delay_alu instid0(VALU_DEP_1) | instskip(SKIP_2) | instid1(VALU_DEP_3)
	v_pk_fma_f32 v[82:83], v[78:79], v[76:77], v[80:81] op_sel_hi:[1,0,1]
	v_add_nc_u32_e32 v75, 1, v75
	v_pk_fma_f32 v[76:77], v[78:79], v[76:77], v[80:81] neg_lo:[0,0,1] neg_hi:[0,0,1]
	v_mov_b32_e32 v77, v83
	s_delay_alu instid0(VALU_DEP_3) | instskip(NEXT) | instid1(VALU_DEP_2)
	v_cmp_lt_u32_e32 vcc_lo, 19, v75
	v_pk_add_f32 v[70:71], v[70:71], v[76:77]
	s_or_b32 s5, vcc_lo, s5
	s_delay_alu instid0(SALU_CYCLE_1)
	s_and_not1_b32 exec_lo, exec_lo, s5
	s_cbranch_execnz .LBB96_527
; %bb.528:
	s_or_b32 exec_lo, exec_lo, s5
.LBB96_529:
	s_delay_alu instid0(SALU_CYCLE_1) | instskip(SKIP_4) | instid1(VALU_DEP_1)
	s_or_b32 exec_lo, exec_lo, s4
	v_mov_b32_e32 v73, 0
	ds_load_b64 v[74:75], v73 offset:168
	s_wait_dscnt 0x0
	v_pk_mul_f32 v[76:77], v[70:71], v[74:75] op_sel:[1,1] op_sel_hi:[0,1]
	v_pk_fma_f32 v[78:79], v[70:71], v[74:75], v[76:77] op_sel_hi:[1,0,1]
	v_pk_fma_f32 v[70:71], v[70:71], v[74:75], v[76:77] neg_lo:[0,0,1] neg_hi:[0,0,1]
	s_delay_alu instid0(VALU_DEP_2)
	v_mov_b32_e32 v71, v79
	scratch_store_b64 off, v[70:71], off offset:168
.LBB96_530:
	s_wait_xcnt 0x0
	s_or_b32 exec_lo, exec_lo, s0
	scratch_load_b64 v[70:71], off, off offset:176
	s_mov_b32 s0, exec_lo
	s_wait_loadcnt 0x0
	ds_store_b64 v1, v[70:71]
	s_wait_storecnt_dscnt 0x0
	s_barrier_signal -1
	s_barrier_wait -1
	s_wait_xcnt 0x0
	v_cmpx_gt_u32_e32 22, v0
	s_cbranch_execz .LBB96_540
; %bb.531:
	v_cmp_ne_u32_e32 vcc_lo, 1, v72
	s_cbranch_vccnz .LBB96_533
; %bb.532:
	scratch_load_b64 v[70:71], v59, off
	ds_load_b64 v[74:75], v1
	s_wait_loadcnt_dscnt 0x0
	v_pk_mul_f32 v[76:77], v[74:75], v[70:71] op_sel:[1,1] op_sel_hi:[0,1]
	s_delay_alu instid0(VALU_DEP_1) | instskip(SKIP_1) | instid1(VALU_DEP_2)
	v_pk_fma_f32 v[78:79], v[74:75], v[70:71], v[76:77] op_sel_hi:[1,0,1]
	v_pk_fma_f32 v[70:71], v[74:75], v[70:71], v[76:77] neg_lo:[0,0,1] neg_hi:[0,0,1]
	v_mov_b32_e32 v71, v79
	s_cbranch_execz .LBB96_534
	s_branch .LBB96_535
.LBB96_533:
                                        ; implicit-def: $vgpr70_vgpr71
.LBB96_534:
	ds_load_b64 v[70:71], v1
.LBB96_535:
	s_mov_b32 s4, exec_lo
	v_cmpx_ne_u32_e32 21, v0
	s_cbranch_execz .LBB96_539
; %bb.536:
	v_add_nc_u32_e32 v73, 0x118, v58
	v_add3_u32 v74, 0, v58, 8
	v_mov_b32_e32 v75, v0
	s_mov_b32 s5, 0
.LBB96_537:                             ; =>This Inner Loop Header: Depth=1
	scratch_load_b64 v[76:77], v74, off
	ds_load_b64 v[78:79], v73
	s_wait_xcnt 0x0
	v_dual_add_nc_u32 v73, 8, v73 :: v_dual_add_nc_u32 v74, 8, v74
	s_wait_loadcnt_dscnt 0x0
	v_pk_mul_f32 v[80:81], v[78:79], v[76:77] op_sel:[1,1] op_sel_hi:[0,1]
	s_delay_alu instid0(VALU_DEP_1) | instskip(SKIP_2) | instid1(VALU_DEP_3)
	v_pk_fma_f32 v[82:83], v[78:79], v[76:77], v[80:81] op_sel_hi:[1,0,1]
	v_add_nc_u32_e32 v75, 1, v75
	v_pk_fma_f32 v[76:77], v[78:79], v[76:77], v[80:81] neg_lo:[0,0,1] neg_hi:[0,0,1]
	v_mov_b32_e32 v77, v83
	s_delay_alu instid0(VALU_DEP_3) | instskip(NEXT) | instid1(VALU_DEP_2)
	v_cmp_lt_u32_e32 vcc_lo, 20, v75
	v_pk_add_f32 v[70:71], v[70:71], v[76:77]
	s_or_b32 s5, vcc_lo, s5
	s_delay_alu instid0(SALU_CYCLE_1)
	s_and_not1_b32 exec_lo, exec_lo, s5
	s_cbranch_execnz .LBB96_537
; %bb.538:
	s_or_b32 exec_lo, exec_lo, s5
.LBB96_539:
	s_delay_alu instid0(SALU_CYCLE_1) | instskip(SKIP_4) | instid1(VALU_DEP_1)
	s_or_b32 exec_lo, exec_lo, s4
	v_mov_b32_e32 v73, 0
	ds_load_b64 v[74:75], v73 offset:176
	s_wait_dscnt 0x0
	v_pk_mul_f32 v[76:77], v[70:71], v[74:75] op_sel:[1,1] op_sel_hi:[0,1]
	v_pk_fma_f32 v[78:79], v[70:71], v[74:75], v[76:77] op_sel_hi:[1,0,1]
	v_pk_fma_f32 v[70:71], v[70:71], v[74:75], v[76:77] neg_lo:[0,0,1] neg_hi:[0,0,1]
	s_delay_alu instid0(VALU_DEP_2)
	v_mov_b32_e32 v71, v79
	scratch_store_b64 off, v[70:71], off offset:176
.LBB96_540:
	s_wait_xcnt 0x0
	s_or_b32 exec_lo, exec_lo, s0
	scratch_load_b64 v[70:71], off, off offset:184
	s_mov_b32 s0, exec_lo
	s_wait_loadcnt 0x0
	ds_store_b64 v1, v[70:71]
	s_wait_storecnt_dscnt 0x0
	s_barrier_signal -1
	s_barrier_wait -1
	s_wait_xcnt 0x0
	v_cmpx_gt_u32_e32 23, v0
	s_cbranch_execz .LBB96_550
; %bb.541:
	v_cmp_ne_u32_e32 vcc_lo, 1, v72
	s_cbranch_vccnz .LBB96_543
; %bb.542:
	scratch_load_b64 v[70:71], v59, off
	ds_load_b64 v[74:75], v1
	s_wait_loadcnt_dscnt 0x0
	v_pk_mul_f32 v[76:77], v[74:75], v[70:71] op_sel:[1,1] op_sel_hi:[0,1]
	s_delay_alu instid0(VALU_DEP_1) | instskip(SKIP_1) | instid1(VALU_DEP_2)
	v_pk_fma_f32 v[78:79], v[74:75], v[70:71], v[76:77] op_sel_hi:[1,0,1]
	v_pk_fma_f32 v[70:71], v[74:75], v[70:71], v[76:77] neg_lo:[0,0,1] neg_hi:[0,0,1]
	v_mov_b32_e32 v71, v79
	s_cbranch_execz .LBB96_544
	s_branch .LBB96_545
.LBB96_543:
                                        ; implicit-def: $vgpr70_vgpr71
.LBB96_544:
	ds_load_b64 v[70:71], v1
.LBB96_545:
	s_mov_b32 s4, exec_lo
	v_cmpx_ne_u32_e32 22, v0
	s_cbranch_execz .LBB96_549
; %bb.546:
	v_add_nc_u32_e32 v73, 0x118, v58
	v_add3_u32 v74, 0, v58, 8
	v_mov_b32_e32 v75, v0
	s_mov_b32 s5, 0
.LBB96_547:                             ; =>This Inner Loop Header: Depth=1
	scratch_load_b64 v[76:77], v74, off
	ds_load_b64 v[78:79], v73
	s_wait_xcnt 0x0
	v_dual_add_nc_u32 v73, 8, v73 :: v_dual_add_nc_u32 v74, 8, v74
	s_wait_loadcnt_dscnt 0x0
	v_pk_mul_f32 v[80:81], v[78:79], v[76:77] op_sel:[1,1] op_sel_hi:[0,1]
	s_delay_alu instid0(VALU_DEP_1) | instskip(SKIP_2) | instid1(VALU_DEP_3)
	v_pk_fma_f32 v[82:83], v[78:79], v[76:77], v[80:81] op_sel_hi:[1,0,1]
	v_add_nc_u32_e32 v75, 1, v75
	v_pk_fma_f32 v[76:77], v[78:79], v[76:77], v[80:81] neg_lo:[0,0,1] neg_hi:[0,0,1]
	v_mov_b32_e32 v77, v83
	s_delay_alu instid0(VALU_DEP_3) | instskip(NEXT) | instid1(VALU_DEP_2)
	v_cmp_lt_u32_e32 vcc_lo, 21, v75
	v_pk_add_f32 v[70:71], v[70:71], v[76:77]
	s_or_b32 s5, vcc_lo, s5
	s_delay_alu instid0(SALU_CYCLE_1)
	s_and_not1_b32 exec_lo, exec_lo, s5
	s_cbranch_execnz .LBB96_547
; %bb.548:
	s_or_b32 exec_lo, exec_lo, s5
.LBB96_549:
	s_delay_alu instid0(SALU_CYCLE_1) | instskip(SKIP_4) | instid1(VALU_DEP_1)
	s_or_b32 exec_lo, exec_lo, s4
	v_mov_b32_e32 v73, 0
	ds_load_b64 v[74:75], v73 offset:184
	s_wait_dscnt 0x0
	v_pk_mul_f32 v[76:77], v[70:71], v[74:75] op_sel:[1,1] op_sel_hi:[0,1]
	v_pk_fma_f32 v[78:79], v[70:71], v[74:75], v[76:77] op_sel_hi:[1,0,1]
	v_pk_fma_f32 v[70:71], v[70:71], v[74:75], v[76:77] neg_lo:[0,0,1] neg_hi:[0,0,1]
	s_delay_alu instid0(VALU_DEP_2)
	v_mov_b32_e32 v71, v79
	scratch_store_b64 off, v[70:71], off offset:184
.LBB96_550:
	s_wait_xcnt 0x0
	s_or_b32 exec_lo, exec_lo, s0
	scratch_load_b64 v[70:71], off, off offset:192
	s_mov_b32 s0, exec_lo
	s_wait_loadcnt 0x0
	ds_store_b64 v1, v[70:71]
	s_wait_storecnt_dscnt 0x0
	s_barrier_signal -1
	s_barrier_wait -1
	s_wait_xcnt 0x0
	v_cmpx_gt_u32_e32 24, v0
	s_cbranch_execz .LBB96_560
; %bb.551:
	v_cmp_ne_u32_e32 vcc_lo, 1, v72
	s_cbranch_vccnz .LBB96_553
; %bb.552:
	scratch_load_b64 v[70:71], v59, off
	ds_load_b64 v[74:75], v1
	s_wait_loadcnt_dscnt 0x0
	v_pk_mul_f32 v[76:77], v[74:75], v[70:71] op_sel:[1,1] op_sel_hi:[0,1]
	s_delay_alu instid0(VALU_DEP_1) | instskip(SKIP_1) | instid1(VALU_DEP_2)
	v_pk_fma_f32 v[78:79], v[74:75], v[70:71], v[76:77] op_sel_hi:[1,0,1]
	v_pk_fma_f32 v[70:71], v[74:75], v[70:71], v[76:77] neg_lo:[0,0,1] neg_hi:[0,0,1]
	v_mov_b32_e32 v71, v79
	s_cbranch_execz .LBB96_554
	s_branch .LBB96_555
.LBB96_553:
                                        ; implicit-def: $vgpr70_vgpr71
.LBB96_554:
	ds_load_b64 v[70:71], v1
.LBB96_555:
	s_mov_b32 s4, exec_lo
	v_cmpx_ne_u32_e32 23, v0
	s_cbranch_execz .LBB96_559
; %bb.556:
	v_add_nc_u32_e32 v73, 0x118, v58
	v_add3_u32 v74, 0, v58, 8
	v_mov_b32_e32 v75, v0
	s_mov_b32 s5, 0
.LBB96_557:                             ; =>This Inner Loop Header: Depth=1
	scratch_load_b64 v[76:77], v74, off
	ds_load_b64 v[78:79], v73
	s_wait_xcnt 0x0
	v_dual_add_nc_u32 v73, 8, v73 :: v_dual_add_nc_u32 v74, 8, v74
	s_wait_loadcnt_dscnt 0x0
	v_pk_mul_f32 v[80:81], v[78:79], v[76:77] op_sel:[1,1] op_sel_hi:[0,1]
	s_delay_alu instid0(VALU_DEP_1) | instskip(SKIP_2) | instid1(VALU_DEP_3)
	v_pk_fma_f32 v[82:83], v[78:79], v[76:77], v[80:81] op_sel_hi:[1,0,1]
	v_add_nc_u32_e32 v75, 1, v75
	v_pk_fma_f32 v[76:77], v[78:79], v[76:77], v[80:81] neg_lo:[0,0,1] neg_hi:[0,0,1]
	v_mov_b32_e32 v77, v83
	s_delay_alu instid0(VALU_DEP_3) | instskip(NEXT) | instid1(VALU_DEP_2)
	v_cmp_lt_u32_e32 vcc_lo, 22, v75
	v_pk_add_f32 v[70:71], v[70:71], v[76:77]
	s_or_b32 s5, vcc_lo, s5
	s_delay_alu instid0(SALU_CYCLE_1)
	s_and_not1_b32 exec_lo, exec_lo, s5
	s_cbranch_execnz .LBB96_557
; %bb.558:
	s_or_b32 exec_lo, exec_lo, s5
.LBB96_559:
	s_delay_alu instid0(SALU_CYCLE_1) | instskip(SKIP_4) | instid1(VALU_DEP_1)
	s_or_b32 exec_lo, exec_lo, s4
	v_mov_b32_e32 v73, 0
	ds_load_b64 v[74:75], v73 offset:192
	s_wait_dscnt 0x0
	v_pk_mul_f32 v[76:77], v[70:71], v[74:75] op_sel:[1,1] op_sel_hi:[0,1]
	v_pk_fma_f32 v[78:79], v[70:71], v[74:75], v[76:77] op_sel_hi:[1,0,1]
	v_pk_fma_f32 v[70:71], v[70:71], v[74:75], v[76:77] neg_lo:[0,0,1] neg_hi:[0,0,1]
	s_delay_alu instid0(VALU_DEP_2)
	v_mov_b32_e32 v71, v79
	scratch_store_b64 off, v[70:71], off offset:192
.LBB96_560:
	s_wait_xcnt 0x0
	s_or_b32 exec_lo, exec_lo, s0
	scratch_load_b64 v[70:71], off, off offset:200
	s_mov_b32 s0, exec_lo
	s_wait_loadcnt 0x0
	ds_store_b64 v1, v[70:71]
	s_wait_storecnt_dscnt 0x0
	s_barrier_signal -1
	s_barrier_wait -1
	s_wait_xcnt 0x0
	v_cmpx_gt_u32_e32 25, v0
	s_cbranch_execz .LBB96_570
; %bb.561:
	v_cmp_ne_u32_e32 vcc_lo, 1, v72
	s_cbranch_vccnz .LBB96_563
; %bb.562:
	scratch_load_b64 v[70:71], v59, off
	ds_load_b64 v[74:75], v1
	s_wait_loadcnt_dscnt 0x0
	v_pk_mul_f32 v[76:77], v[74:75], v[70:71] op_sel:[1,1] op_sel_hi:[0,1]
	s_delay_alu instid0(VALU_DEP_1) | instskip(SKIP_1) | instid1(VALU_DEP_2)
	v_pk_fma_f32 v[78:79], v[74:75], v[70:71], v[76:77] op_sel_hi:[1,0,1]
	v_pk_fma_f32 v[70:71], v[74:75], v[70:71], v[76:77] neg_lo:[0,0,1] neg_hi:[0,0,1]
	v_mov_b32_e32 v71, v79
	s_cbranch_execz .LBB96_564
	s_branch .LBB96_565
.LBB96_563:
                                        ; implicit-def: $vgpr70_vgpr71
.LBB96_564:
	ds_load_b64 v[70:71], v1
.LBB96_565:
	s_mov_b32 s4, exec_lo
	v_cmpx_ne_u32_e32 24, v0
	s_cbranch_execz .LBB96_569
; %bb.566:
	v_add_nc_u32_e32 v73, 0x118, v58
	v_add3_u32 v74, 0, v58, 8
	v_mov_b32_e32 v75, v0
	s_mov_b32 s5, 0
.LBB96_567:                             ; =>This Inner Loop Header: Depth=1
	scratch_load_b64 v[76:77], v74, off
	ds_load_b64 v[78:79], v73
	s_wait_xcnt 0x0
	v_dual_add_nc_u32 v73, 8, v73 :: v_dual_add_nc_u32 v74, 8, v74
	s_wait_loadcnt_dscnt 0x0
	v_pk_mul_f32 v[80:81], v[78:79], v[76:77] op_sel:[1,1] op_sel_hi:[0,1]
	s_delay_alu instid0(VALU_DEP_1) | instskip(SKIP_2) | instid1(VALU_DEP_3)
	v_pk_fma_f32 v[82:83], v[78:79], v[76:77], v[80:81] op_sel_hi:[1,0,1]
	v_add_nc_u32_e32 v75, 1, v75
	v_pk_fma_f32 v[76:77], v[78:79], v[76:77], v[80:81] neg_lo:[0,0,1] neg_hi:[0,0,1]
	v_mov_b32_e32 v77, v83
	s_delay_alu instid0(VALU_DEP_3) | instskip(NEXT) | instid1(VALU_DEP_2)
	v_cmp_lt_u32_e32 vcc_lo, 23, v75
	v_pk_add_f32 v[70:71], v[70:71], v[76:77]
	s_or_b32 s5, vcc_lo, s5
	s_delay_alu instid0(SALU_CYCLE_1)
	s_and_not1_b32 exec_lo, exec_lo, s5
	s_cbranch_execnz .LBB96_567
; %bb.568:
	s_or_b32 exec_lo, exec_lo, s5
.LBB96_569:
	s_delay_alu instid0(SALU_CYCLE_1) | instskip(SKIP_4) | instid1(VALU_DEP_1)
	s_or_b32 exec_lo, exec_lo, s4
	v_mov_b32_e32 v73, 0
	ds_load_b64 v[74:75], v73 offset:200
	s_wait_dscnt 0x0
	v_pk_mul_f32 v[76:77], v[70:71], v[74:75] op_sel:[1,1] op_sel_hi:[0,1]
	v_pk_fma_f32 v[78:79], v[70:71], v[74:75], v[76:77] op_sel_hi:[1,0,1]
	v_pk_fma_f32 v[70:71], v[70:71], v[74:75], v[76:77] neg_lo:[0,0,1] neg_hi:[0,0,1]
	s_delay_alu instid0(VALU_DEP_2)
	v_mov_b32_e32 v71, v79
	scratch_store_b64 off, v[70:71], off offset:200
.LBB96_570:
	s_wait_xcnt 0x0
	s_or_b32 exec_lo, exec_lo, s0
	scratch_load_b64 v[70:71], off, off offset:208
	s_mov_b32 s0, exec_lo
	s_wait_loadcnt 0x0
	ds_store_b64 v1, v[70:71]
	s_wait_storecnt_dscnt 0x0
	s_barrier_signal -1
	s_barrier_wait -1
	s_wait_xcnt 0x0
	v_cmpx_gt_u32_e32 26, v0
	s_cbranch_execz .LBB96_580
; %bb.571:
	v_cmp_ne_u32_e32 vcc_lo, 1, v72
	s_cbranch_vccnz .LBB96_573
; %bb.572:
	scratch_load_b64 v[70:71], v59, off
	ds_load_b64 v[74:75], v1
	s_wait_loadcnt_dscnt 0x0
	v_pk_mul_f32 v[76:77], v[74:75], v[70:71] op_sel:[1,1] op_sel_hi:[0,1]
	s_delay_alu instid0(VALU_DEP_1) | instskip(SKIP_1) | instid1(VALU_DEP_2)
	v_pk_fma_f32 v[78:79], v[74:75], v[70:71], v[76:77] op_sel_hi:[1,0,1]
	v_pk_fma_f32 v[70:71], v[74:75], v[70:71], v[76:77] neg_lo:[0,0,1] neg_hi:[0,0,1]
	v_mov_b32_e32 v71, v79
	s_cbranch_execz .LBB96_574
	s_branch .LBB96_575
.LBB96_573:
                                        ; implicit-def: $vgpr70_vgpr71
.LBB96_574:
	ds_load_b64 v[70:71], v1
.LBB96_575:
	s_mov_b32 s4, exec_lo
	v_cmpx_ne_u32_e32 25, v0
	s_cbranch_execz .LBB96_579
; %bb.576:
	v_add_nc_u32_e32 v73, 0x118, v58
	v_add3_u32 v74, 0, v58, 8
	v_mov_b32_e32 v75, v0
	s_mov_b32 s5, 0
.LBB96_577:                             ; =>This Inner Loop Header: Depth=1
	scratch_load_b64 v[76:77], v74, off
	ds_load_b64 v[78:79], v73
	s_wait_xcnt 0x0
	v_dual_add_nc_u32 v73, 8, v73 :: v_dual_add_nc_u32 v74, 8, v74
	s_wait_loadcnt_dscnt 0x0
	v_pk_mul_f32 v[80:81], v[78:79], v[76:77] op_sel:[1,1] op_sel_hi:[0,1]
	s_delay_alu instid0(VALU_DEP_1) | instskip(SKIP_2) | instid1(VALU_DEP_3)
	v_pk_fma_f32 v[82:83], v[78:79], v[76:77], v[80:81] op_sel_hi:[1,0,1]
	v_add_nc_u32_e32 v75, 1, v75
	v_pk_fma_f32 v[76:77], v[78:79], v[76:77], v[80:81] neg_lo:[0,0,1] neg_hi:[0,0,1]
	v_mov_b32_e32 v77, v83
	s_delay_alu instid0(VALU_DEP_3) | instskip(NEXT) | instid1(VALU_DEP_2)
	v_cmp_lt_u32_e32 vcc_lo, 24, v75
	v_pk_add_f32 v[70:71], v[70:71], v[76:77]
	s_or_b32 s5, vcc_lo, s5
	s_delay_alu instid0(SALU_CYCLE_1)
	s_and_not1_b32 exec_lo, exec_lo, s5
	s_cbranch_execnz .LBB96_577
; %bb.578:
	s_or_b32 exec_lo, exec_lo, s5
.LBB96_579:
	s_delay_alu instid0(SALU_CYCLE_1) | instskip(SKIP_4) | instid1(VALU_DEP_1)
	s_or_b32 exec_lo, exec_lo, s4
	v_mov_b32_e32 v73, 0
	ds_load_b64 v[74:75], v73 offset:208
	s_wait_dscnt 0x0
	v_pk_mul_f32 v[76:77], v[70:71], v[74:75] op_sel:[1,1] op_sel_hi:[0,1]
	v_pk_fma_f32 v[78:79], v[70:71], v[74:75], v[76:77] op_sel_hi:[1,0,1]
	v_pk_fma_f32 v[70:71], v[70:71], v[74:75], v[76:77] neg_lo:[0,0,1] neg_hi:[0,0,1]
	s_delay_alu instid0(VALU_DEP_2)
	v_mov_b32_e32 v71, v79
	scratch_store_b64 off, v[70:71], off offset:208
.LBB96_580:
	s_wait_xcnt 0x0
	s_or_b32 exec_lo, exec_lo, s0
	scratch_load_b64 v[70:71], off, off offset:216
	s_mov_b32 s0, exec_lo
	s_wait_loadcnt 0x0
	ds_store_b64 v1, v[70:71]
	s_wait_storecnt_dscnt 0x0
	s_barrier_signal -1
	s_barrier_wait -1
	s_wait_xcnt 0x0
	v_cmpx_gt_u32_e32 27, v0
	s_cbranch_execz .LBB96_590
; %bb.581:
	v_cmp_ne_u32_e32 vcc_lo, 1, v72
	s_cbranch_vccnz .LBB96_583
; %bb.582:
	scratch_load_b64 v[70:71], v59, off
	ds_load_b64 v[74:75], v1
	s_wait_loadcnt_dscnt 0x0
	v_pk_mul_f32 v[76:77], v[74:75], v[70:71] op_sel:[1,1] op_sel_hi:[0,1]
	s_delay_alu instid0(VALU_DEP_1) | instskip(SKIP_1) | instid1(VALU_DEP_2)
	v_pk_fma_f32 v[78:79], v[74:75], v[70:71], v[76:77] op_sel_hi:[1,0,1]
	v_pk_fma_f32 v[70:71], v[74:75], v[70:71], v[76:77] neg_lo:[0,0,1] neg_hi:[0,0,1]
	v_mov_b32_e32 v71, v79
	s_cbranch_execz .LBB96_584
	s_branch .LBB96_585
.LBB96_583:
                                        ; implicit-def: $vgpr70_vgpr71
.LBB96_584:
	ds_load_b64 v[70:71], v1
.LBB96_585:
	s_mov_b32 s4, exec_lo
	v_cmpx_ne_u32_e32 26, v0
	s_cbranch_execz .LBB96_589
; %bb.586:
	v_add_nc_u32_e32 v73, 0x118, v58
	v_add3_u32 v74, 0, v58, 8
	v_mov_b32_e32 v75, v0
	s_mov_b32 s5, 0
.LBB96_587:                             ; =>This Inner Loop Header: Depth=1
	scratch_load_b64 v[76:77], v74, off
	ds_load_b64 v[78:79], v73
	s_wait_xcnt 0x0
	v_dual_add_nc_u32 v73, 8, v73 :: v_dual_add_nc_u32 v74, 8, v74
	s_wait_loadcnt_dscnt 0x0
	v_pk_mul_f32 v[80:81], v[78:79], v[76:77] op_sel:[1,1] op_sel_hi:[0,1]
	s_delay_alu instid0(VALU_DEP_1) | instskip(SKIP_2) | instid1(VALU_DEP_3)
	v_pk_fma_f32 v[82:83], v[78:79], v[76:77], v[80:81] op_sel_hi:[1,0,1]
	v_add_nc_u32_e32 v75, 1, v75
	v_pk_fma_f32 v[76:77], v[78:79], v[76:77], v[80:81] neg_lo:[0,0,1] neg_hi:[0,0,1]
	v_mov_b32_e32 v77, v83
	s_delay_alu instid0(VALU_DEP_3) | instskip(NEXT) | instid1(VALU_DEP_2)
	v_cmp_lt_u32_e32 vcc_lo, 25, v75
	v_pk_add_f32 v[70:71], v[70:71], v[76:77]
	s_or_b32 s5, vcc_lo, s5
	s_delay_alu instid0(SALU_CYCLE_1)
	s_and_not1_b32 exec_lo, exec_lo, s5
	s_cbranch_execnz .LBB96_587
; %bb.588:
	s_or_b32 exec_lo, exec_lo, s5
.LBB96_589:
	s_delay_alu instid0(SALU_CYCLE_1) | instskip(SKIP_4) | instid1(VALU_DEP_1)
	s_or_b32 exec_lo, exec_lo, s4
	v_mov_b32_e32 v73, 0
	ds_load_b64 v[74:75], v73 offset:216
	s_wait_dscnt 0x0
	v_pk_mul_f32 v[76:77], v[70:71], v[74:75] op_sel:[1,1] op_sel_hi:[0,1]
	v_pk_fma_f32 v[78:79], v[70:71], v[74:75], v[76:77] op_sel_hi:[1,0,1]
	v_pk_fma_f32 v[70:71], v[70:71], v[74:75], v[76:77] neg_lo:[0,0,1] neg_hi:[0,0,1]
	s_delay_alu instid0(VALU_DEP_2)
	v_mov_b32_e32 v71, v79
	scratch_store_b64 off, v[70:71], off offset:216
.LBB96_590:
	s_wait_xcnt 0x0
	s_or_b32 exec_lo, exec_lo, s0
	scratch_load_b64 v[70:71], off, off offset:224
	s_mov_b32 s0, exec_lo
	s_wait_loadcnt 0x0
	ds_store_b64 v1, v[70:71]
	s_wait_storecnt_dscnt 0x0
	s_barrier_signal -1
	s_barrier_wait -1
	s_wait_xcnt 0x0
	v_cmpx_gt_u32_e32 28, v0
	s_cbranch_execz .LBB96_600
; %bb.591:
	v_cmp_ne_u32_e32 vcc_lo, 1, v72
	s_cbranch_vccnz .LBB96_593
; %bb.592:
	scratch_load_b64 v[70:71], v59, off
	ds_load_b64 v[74:75], v1
	s_wait_loadcnt_dscnt 0x0
	v_pk_mul_f32 v[76:77], v[74:75], v[70:71] op_sel:[1,1] op_sel_hi:[0,1]
	s_delay_alu instid0(VALU_DEP_1) | instskip(SKIP_1) | instid1(VALU_DEP_2)
	v_pk_fma_f32 v[78:79], v[74:75], v[70:71], v[76:77] op_sel_hi:[1,0,1]
	v_pk_fma_f32 v[70:71], v[74:75], v[70:71], v[76:77] neg_lo:[0,0,1] neg_hi:[0,0,1]
	v_mov_b32_e32 v71, v79
	s_cbranch_execz .LBB96_594
	s_branch .LBB96_595
.LBB96_593:
                                        ; implicit-def: $vgpr70_vgpr71
.LBB96_594:
	ds_load_b64 v[70:71], v1
.LBB96_595:
	s_mov_b32 s4, exec_lo
	v_cmpx_ne_u32_e32 27, v0
	s_cbranch_execz .LBB96_599
; %bb.596:
	v_add_nc_u32_e32 v73, 0x118, v58
	v_add3_u32 v74, 0, v58, 8
	v_mov_b32_e32 v75, v0
	s_mov_b32 s5, 0
.LBB96_597:                             ; =>This Inner Loop Header: Depth=1
	scratch_load_b64 v[76:77], v74, off
	ds_load_b64 v[78:79], v73
	s_wait_xcnt 0x0
	v_dual_add_nc_u32 v73, 8, v73 :: v_dual_add_nc_u32 v74, 8, v74
	s_wait_loadcnt_dscnt 0x0
	v_pk_mul_f32 v[80:81], v[78:79], v[76:77] op_sel:[1,1] op_sel_hi:[0,1]
	s_delay_alu instid0(VALU_DEP_1) | instskip(SKIP_2) | instid1(VALU_DEP_3)
	v_pk_fma_f32 v[82:83], v[78:79], v[76:77], v[80:81] op_sel_hi:[1,0,1]
	v_add_nc_u32_e32 v75, 1, v75
	v_pk_fma_f32 v[76:77], v[78:79], v[76:77], v[80:81] neg_lo:[0,0,1] neg_hi:[0,0,1]
	v_mov_b32_e32 v77, v83
	s_delay_alu instid0(VALU_DEP_3) | instskip(NEXT) | instid1(VALU_DEP_2)
	v_cmp_lt_u32_e32 vcc_lo, 26, v75
	v_pk_add_f32 v[70:71], v[70:71], v[76:77]
	s_or_b32 s5, vcc_lo, s5
	s_delay_alu instid0(SALU_CYCLE_1)
	s_and_not1_b32 exec_lo, exec_lo, s5
	s_cbranch_execnz .LBB96_597
; %bb.598:
	s_or_b32 exec_lo, exec_lo, s5
.LBB96_599:
	s_delay_alu instid0(SALU_CYCLE_1) | instskip(SKIP_4) | instid1(VALU_DEP_1)
	s_or_b32 exec_lo, exec_lo, s4
	v_mov_b32_e32 v73, 0
	ds_load_b64 v[74:75], v73 offset:224
	s_wait_dscnt 0x0
	v_pk_mul_f32 v[76:77], v[70:71], v[74:75] op_sel:[1,1] op_sel_hi:[0,1]
	v_pk_fma_f32 v[78:79], v[70:71], v[74:75], v[76:77] op_sel_hi:[1,0,1]
	v_pk_fma_f32 v[70:71], v[70:71], v[74:75], v[76:77] neg_lo:[0,0,1] neg_hi:[0,0,1]
	s_delay_alu instid0(VALU_DEP_2)
	v_mov_b32_e32 v71, v79
	scratch_store_b64 off, v[70:71], off offset:224
.LBB96_600:
	s_wait_xcnt 0x0
	s_or_b32 exec_lo, exec_lo, s0
	scratch_load_b64 v[70:71], off, off offset:232
	s_mov_b32 s0, exec_lo
	s_wait_loadcnt 0x0
	ds_store_b64 v1, v[70:71]
	s_wait_storecnt_dscnt 0x0
	s_barrier_signal -1
	s_barrier_wait -1
	s_wait_xcnt 0x0
	v_cmpx_gt_u32_e32 29, v0
	s_cbranch_execz .LBB96_610
; %bb.601:
	v_cmp_ne_u32_e32 vcc_lo, 1, v72
	s_cbranch_vccnz .LBB96_603
; %bb.602:
	scratch_load_b64 v[70:71], v59, off
	ds_load_b64 v[74:75], v1
	s_wait_loadcnt_dscnt 0x0
	v_pk_mul_f32 v[76:77], v[74:75], v[70:71] op_sel:[1,1] op_sel_hi:[0,1]
	s_delay_alu instid0(VALU_DEP_1) | instskip(SKIP_1) | instid1(VALU_DEP_2)
	v_pk_fma_f32 v[78:79], v[74:75], v[70:71], v[76:77] op_sel_hi:[1,0,1]
	v_pk_fma_f32 v[70:71], v[74:75], v[70:71], v[76:77] neg_lo:[0,0,1] neg_hi:[0,0,1]
	v_mov_b32_e32 v71, v79
	s_cbranch_execz .LBB96_604
	s_branch .LBB96_605
.LBB96_603:
                                        ; implicit-def: $vgpr70_vgpr71
.LBB96_604:
	ds_load_b64 v[70:71], v1
.LBB96_605:
	s_mov_b32 s4, exec_lo
	v_cmpx_ne_u32_e32 28, v0
	s_cbranch_execz .LBB96_609
; %bb.606:
	v_add_nc_u32_e32 v73, 0x118, v58
	v_add3_u32 v74, 0, v58, 8
	v_mov_b32_e32 v75, v0
	s_mov_b32 s5, 0
.LBB96_607:                             ; =>This Inner Loop Header: Depth=1
	scratch_load_b64 v[76:77], v74, off
	ds_load_b64 v[78:79], v73
	s_wait_xcnt 0x0
	v_dual_add_nc_u32 v73, 8, v73 :: v_dual_add_nc_u32 v74, 8, v74
	s_wait_loadcnt_dscnt 0x0
	v_pk_mul_f32 v[80:81], v[78:79], v[76:77] op_sel:[1,1] op_sel_hi:[0,1]
	s_delay_alu instid0(VALU_DEP_1) | instskip(SKIP_2) | instid1(VALU_DEP_3)
	v_pk_fma_f32 v[82:83], v[78:79], v[76:77], v[80:81] op_sel_hi:[1,0,1]
	v_add_nc_u32_e32 v75, 1, v75
	v_pk_fma_f32 v[76:77], v[78:79], v[76:77], v[80:81] neg_lo:[0,0,1] neg_hi:[0,0,1]
	v_mov_b32_e32 v77, v83
	s_delay_alu instid0(VALU_DEP_3) | instskip(NEXT) | instid1(VALU_DEP_2)
	v_cmp_lt_u32_e32 vcc_lo, 27, v75
	v_pk_add_f32 v[70:71], v[70:71], v[76:77]
	s_or_b32 s5, vcc_lo, s5
	s_delay_alu instid0(SALU_CYCLE_1)
	s_and_not1_b32 exec_lo, exec_lo, s5
	s_cbranch_execnz .LBB96_607
; %bb.608:
	s_or_b32 exec_lo, exec_lo, s5
.LBB96_609:
	s_delay_alu instid0(SALU_CYCLE_1) | instskip(SKIP_4) | instid1(VALU_DEP_1)
	s_or_b32 exec_lo, exec_lo, s4
	v_mov_b32_e32 v73, 0
	ds_load_b64 v[74:75], v73 offset:232
	s_wait_dscnt 0x0
	v_pk_mul_f32 v[76:77], v[70:71], v[74:75] op_sel:[1,1] op_sel_hi:[0,1]
	v_pk_fma_f32 v[78:79], v[70:71], v[74:75], v[76:77] op_sel_hi:[1,0,1]
	v_pk_fma_f32 v[70:71], v[70:71], v[74:75], v[76:77] neg_lo:[0,0,1] neg_hi:[0,0,1]
	s_delay_alu instid0(VALU_DEP_2)
	v_mov_b32_e32 v71, v79
	scratch_store_b64 off, v[70:71], off offset:232
.LBB96_610:
	s_wait_xcnt 0x0
	s_or_b32 exec_lo, exec_lo, s0
	scratch_load_b64 v[70:71], off, off offset:240
	s_mov_b32 s0, exec_lo
	s_wait_loadcnt 0x0
	ds_store_b64 v1, v[70:71]
	s_wait_storecnt_dscnt 0x0
	s_barrier_signal -1
	s_barrier_wait -1
	s_wait_xcnt 0x0
	v_cmpx_gt_u32_e32 30, v0
	s_cbranch_execz .LBB96_620
; %bb.611:
	v_cmp_ne_u32_e32 vcc_lo, 1, v72
	s_cbranch_vccnz .LBB96_613
; %bb.612:
	scratch_load_b64 v[70:71], v59, off
	ds_load_b64 v[74:75], v1
	s_wait_loadcnt_dscnt 0x0
	v_pk_mul_f32 v[76:77], v[74:75], v[70:71] op_sel:[1,1] op_sel_hi:[0,1]
	s_delay_alu instid0(VALU_DEP_1) | instskip(SKIP_1) | instid1(VALU_DEP_2)
	v_pk_fma_f32 v[78:79], v[74:75], v[70:71], v[76:77] op_sel_hi:[1,0,1]
	v_pk_fma_f32 v[70:71], v[74:75], v[70:71], v[76:77] neg_lo:[0,0,1] neg_hi:[0,0,1]
	v_mov_b32_e32 v71, v79
	s_cbranch_execz .LBB96_614
	s_branch .LBB96_615
.LBB96_613:
                                        ; implicit-def: $vgpr70_vgpr71
.LBB96_614:
	ds_load_b64 v[70:71], v1
.LBB96_615:
	s_mov_b32 s4, exec_lo
	v_cmpx_ne_u32_e32 29, v0
	s_cbranch_execz .LBB96_619
; %bb.616:
	v_add_nc_u32_e32 v73, 0x118, v58
	v_add3_u32 v74, 0, v58, 8
	v_mov_b32_e32 v75, v0
	s_mov_b32 s5, 0
.LBB96_617:                             ; =>This Inner Loop Header: Depth=1
	scratch_load_b64 v[76:77], v74, off
	ds_load_b64 v[78:79], v73
	s_wait_xcnt 0x0
	v_dual_add_nc_u32 v73, 8, v73 :: v_dual_add_nc_u32 v74, 8, v74
	s_wait_loadcnt_dscnt 0x0
	v_pk_mul_f32 v[80:81], v[78:79], v[76:77] op_sel:[1,1] op_sel_hi:[0,1]
	s_delay_alu instid0(VALU_DEP_1) | instskip(SKIP_2) | instid1(VALU_DEP_3)
	v_pk_fma_f32 v[82:83], v[78:79], v[76:77], v[80:81] op_sel_hi:[1,0,1]
	v_add_nc_u32_e32 v75, 1, v75
	v_pk_fma_f32 v[76:77], v[78:79], v[76:77], v[80:81] neg_lo:[0,0,1] neg_hi:[0,0,1]
	v_mov_b32_e32 v77, v83
	s_delay_alu instid0(VALU_DEP_3) | instskip(NEXT) | instid1(VALU_DEP_2)
	v_cmp_lt_u32_e32 vcc_lo, 28, v75
	v_pk_add_f32 v[70:71], v[70:71], v[76:77]
	s_or_b32 s5, vcc_lo, s5
	s_delay_alu instid0(SALU_CYCLE_1)
	s_and_not1_b32 exec_lo, exec_lo, s5
	s_cbranch_execnz .LBB96_617
; %bb.618:
	s_or_b32 exec_lo, exec_lo, s5
.LBB96_619:
	s_delay_alu instid0(SALU_CYCLE_1) | instskip(SKIP_4) | instid1(VALU_DEP_1)
	s_or_b32 exec_lo, exec_lo, s4
	v_mov_b32_e32 v73, 0
	ds_load_b64 v[74:75], v73 offset:240
	s_wait_dscnt 0x0
	v_pk_mul_f32 v[76:77], v[70:71], v[74:75] op_sel:[1,1] op_sel_hi:[0,1]
	v_pk_fma_f32 v[78:79], v[70:71], v[74:75], v[76:77] op_sel_hi:[1,0,1]
	v_pk_fma_f32 v[70:71], v[70:71], v[74:75], v[76:77] neg_lo:[0,0,1] neg_hi:[0,0,1]
	s_delay_alu instid0(VALU_DEP_2)
	v_mov_b32_e32 v71, v79
	scratch_store_b64 off, v[70:71], off offset:240
.LBB96_620:
	s_wait_xcnt 0x0
	s_or_b32 exec_lo, exec_lo, s0
	scratch_load_b64 v[70:71], off, off offset:248
	v_cmp_gt_u32_e64 s0, 31, v0
	s_wait_loadcnt 0x0
	ds_store_b64 v1, v[70:71]
	s_wait_storecnt_dscnt 0x0
	s_barrier_signal -1
	s_barrier_wait -1
	s_wait_xcnt 0x0
	s_and_saveexec_b32 s4, s0
	s_cbranch_execz .LBB96_630
; %bb.621:
	v_cmp_ne_u32_e32 vcc_lo, 1, v72
	s_cbranch_vccnz .LBB96_623
; %bb.622:
	scratch_load_b64 v[70:71], v59, off
	ds_load_b64 v[74:75], v1
	s_wait_loadcnt_dscnt 0x0
	v_pk_mul_f32 v[76:77], v[74:75], v[70:71] op_sel:[1,1] op_sel_hi:[0,1]
	s_delay_alu instid0(VALU_DEP_1) | instskip(SKIP_1) | instid1(VALU_DEP_2)
	v_pk_fma_f32 v[78:79], v[74:75], v[70:71], v[76:77] op_sel_hi:[1,0,1]
	v_pk_fma_f32 v[70:71], v[74:75], v[70:71], v[76:77] neg_lo:[0,0,1] neg_hi:[0,0,1]
	v_mov_b32_e32 v71, v79
	s_cbranch_execz .LBB96_624
	s_branch .LBB96_625
.LBB96_623:
                                        ; implicit-def: $vgpr70_vgpr71
.LBB96_624:
	ds_load_b64 v[70:71], v1
.LBB96_625:
	s_mov_b32 s5, exec_lo
	v_cmpx_ne_u32_e32 30, v0
	s_cbranch_execz .LBB96_629
; %bb.626:
	v_add_nc_u32_e32 v73, 0x118, v58
	v_add3_u32 v74, 0, v58, 8
	v_mov_b32_e32 v75, v0
	s_mov_b32 s6, 0
.LBB96_627:                             ; =>This Inner Loop Header: Depth=1
	scratch_load_b64 v[76:77], v74, off
	ds_load_b64 v[78:79], v73
	s_wait_xcnt 0x0
	v_dual_add_nc_u32 v73, 8, v73 :: v_dual_add_nc_u32 v74, 8, v74
	s_wait_loadcnt_dscnt 0x0
	v_pk_mul_f32 v[80:81], v[78:79], v[76:77] op_sel:[1,1] op_sel_hi:[0,1]
	s_delay_alu instid0(VALU_DEP_1) | instskip(SKIP_2) | instid1(VALU_DEP_3)
	v_pk_fma_f32 v[82:83], v[78:79], v[76:77], v[80:81] op_sel_hi:[1,0,1]
	v_add_nc_u32_e32 v75, 1, v75
	v_pk_fma_f32 v[76:77], v[78:79], v[76:77], v[80:81] neg_lo:[0,0,1] neg_hi:[0,0,1]
	v_mov_b32_e32 v77, v83
	s_delay_alu instid0(VALU_DEP_3) | instskip(NEXT) | instid1(VALU_DEP_2)
	v_cmp_lt_u32_e32 vcc_lo, 29, v75
	v_pk_add_f32 v[70:71], v[70:71], v[76:77]
	s_or_b32 s6, vcc_lo, s6
	s_delay_alu instid0(SALU_CYCLE_1)
	s_and_not1_b32 exec_lo, exec_lo, s6
	s_cbranch_execnz .LBB96_627
; %bb.628:
	s_or_b32 exec_lo, exec_lo, s6
.LBB96_629:
	s_delay_alu instid0(SALU_CYCLE_1) | instskip(SKIP_4) | instid1(VALU_DEP_1)
	s_or_b32 exec_lo, exec_lo, s5
	v_mov_b32_e32 v73, 0
	ds_load_b64 v[74:75], v73 offset:248
	s_wait_dscnt 0x0
	v_pk_mul_f32 v[76:77], v[70:71], v[74:75] op_sel:[1,1] op_sel_hi:[0,1]
	v_pk_fma_f32 v[78:79], v[70:71], v[74:75], v[76:77] op_sel_hi:[1,0,1]
	v_pk_fma_f32 v[70:71], v[70:71], v[74:75], v[76:77] neg_lo:[0,0,1] neg_hi:[0,0,1]
	s_delay_alu instid0(VALU_DEP_2)
	v_mov_b32_e32 v71, v79
	scratch_store_b64 off, v[70:71], off offset:248
.LBB96_630:
	s_wait_xcnt 0x0
	s_or_b32 exec_lo, exec_lo, s4
	scratch_load_b64 v[70:71], off, off offset:256
	s_mov_b32 s4, exec_lo
                                        ; implicit-def: $vgpr98
                                        ; implicit-def: $sgpr7
	s_wait_loadcnt 0x0
	ds_store_b64 v1, v[70:71]
	s_wait_storecnt_dscnt 0x0
	s_barrier_signal -1
	s_barrier_wait -1
	s_wait_xcnt 0x0
	v_cmpx_ne_u32_e32 32, v0
	s_cbranch_execz .LBB96_640
; %bb.631:
	v_cmp_ne_u32_e32 vcc_lo, 1, v72
	s_cbranch_vccnz .LBB96_633
; %bb.632:
	scratch_load_b64 v[72:73], v59, off
	ds_load_b64 v[74:75], v1
	s_wait_loadcnt_dscnt 0x0
	v_dual_mul_f32 v59, v75, v73 :: v_dual_mul_f32 v71, v74, v73
	s_delay_alu instid0(VALU_DEP_1) | instskip(NEXT) | instid1(VALU_DEP_2)
	v_fma_f32 v70, v74, v72, -v59
	v_fmac_f32_e32 v71, v75, v72
	s_cbranch_execz .LBB96_634
	s_branch .LBB96_635
.LBB96_633:
                                        ; implicit-def: $vgpr71
.LBB96_634:
	ds_load_b64 v[70:71], v1
.LBB96_635:
	s_and_saveexec_b32 s5, s0
	s_cbranch_execz .LBB96_639
; %bb.636:
	v_add_nc_u32_e32 v1, 0x118, v58
	v_add3_u32 v58, 0, v58, 8
	s_mov_b32 s0, 0
.LBB96_637:                             ; =>This Inner Loop Header: Depth=1
	scratch_load_b64 v[72:73], v58, off
	ds_load_b64 v[74:75], v1
	v_dual_add_nc_u32 v0, 1, v0 :: v_dual_add_nc_u32 v1, 8, v1
	s_delay_alu instid0(VALU_DEP_1) | instskip(SKIP_3) | instid1(VALU_DEP_1)
	v_cmp_lt_u32_e32 vcc_lo, 30, v0
	s_or_b32 s0, vcc_lo, s0
	s_wait_loadcnt_dscnt 0x0
	v_dual_mul_f32 v59, v75, v73 :: v_dual_mul_f32 v73, v74, v73
	v_dual_fma_f32 v59, v74, v72, -v59 :: v_dual_fmac_f32 v73, v75, v72
	s_delay_alu instid0(VALU_DEP_1) | instskip(NEXT) | instid1(VALU_DEP_2)
	v_dual_add_nc_u32 v58, 8, v58 :: v_dual_add_f32 v70, v70, v59
	v_add_f32_e32 v71, v71, v73
	s_and_not1_b32 exec_lo, exec_lo, s0
	s_cbranch_execnz .LBB96_637
; %bb.638:
	s_or_b32 exec_lo, exec_lo, s0
.LBB96_639:
	s_delay_alu instid0(SALU_CYCLE_1)
	s_or_b32 exec_lo, exec_lo, s5
	v_mov_b32_e32 v0, 0
	s_movk_i32 s7, 0x104
	s_or_b32 s1, s1, exec_lo
	ds_load_b64 v[0:1], v0 offset:256
	s_wait_dscnt 0x0
	v_dual_mul_f32 v58, v71, v1 :: v_dual_mul_f32 v98, v70, v1
	s_delay_alu instid0(VALU_DEP_1) | instskip(NEXT) | instid1(VALU_DEP_2)
	v_fma_f32 v1, v70, v0, -v58
	v_fmac_f32_e32 v98, v71, v0
	scratch_store_b32 off, v1, off offset:256
.LBB96_640:
	s_wait_xcnt 0x0
	s_or_b32 exec_lo, exec_lo, s4
.LBB96_641:
	v_lshl_add_u64 v[96:97], v[6:7], 3, s[2:3]
	v_lshl_add_u64 v[94:95], v[8:9], 3, s[2:3]
	;; [unrolled: 1-line block ×31, first 2 shown]
	s_and_saveexec_b32 s0, s1
	s_cbranch_execz .LBB96_643
; %bb.642:
	scratch_store_b32 off, v98, s7
.LBB96_643:
	s_wait_xcnt 0x0
	s_or_b32 exec_lo, exec_lo, s0
	scratch_load_b64 v[36:37], off, off
	s_wait_loadcnt 0x0
	flat_store_b64 v[2:3], v[36:37]
	scratch_load_b64 v[2:3], off, off offset:8
	s_wait_loadcnt 0x0
	flat_store_b64 v[4:5], v[2:3]
	scratch_load_b64 v[2:3], off, off offset:16
	;; [unrolled: 3-line block ×32, first 2 shown]
	s_wait_loadcnt 0x0
	flat_store_b64 v[0:1], v[2:3]
.LBB96_644:
	s_sendmsg sendmsg(MSG_DEALLOC_VGPRS)
	s_endpgm
	.section	.rodata,"a",@progbits
	.p2align	6, 0x0
	.amdhsa_kernel _ZN9rocsolver6v33100L18trti2_kernel_smallILi33E19rocblas_complex_numIfEPKPS3_EEv13rocblas_fill_17rocblas_diagonal_T1_iil
		.amdhsa_group_segment_fixed_size 536
		.amdhsa_private_segment_fixed_size 272
		.amdhsa_kernarg_size 32
		.amdhsa_user_sgpr_count 2
		.amdhsa_user_sgpr_dispatch_ptr 0
		.amdhsa_user_sgpr_queue_ptr 0
		.amdhsa_user_sgpr_kernarg_segment_ptr 1
		.amdhsa_user_sgpr_dispatch_id 0
		.amdhsa_user_sgpr_kernarg_preload_length 0
		.amdhsa_user_sgpr_kernarg_preload_offset 0
		.amdhsa_user_sgpr_private_segment_size 0
		.amdhsa_wavefront_size32 1
		.amdhsa_uses_dynamic_stack 0
		.amdhsa_enable_private_segment 1
		.amdhsa_system_sgpr_workgroup_id_x 1
		.amdhsa_system_sgpr_workgroup_id_y 0
		.amdhsa_system_sgpr_workgroup_id_z 0
		.amdhsa_system_sgpr_workgroup_info 0
		.amdhsa_system_vgpr_workitem_id 0
		.amdhsa_next_free_vgpr 99
		.amdhsa_next_free_sgpr 39
		.amdhsa_named_barrier_count 0
		.amdhsa_reserve_vcc 1
		.amdhsa_float_round_mode_32 0
		.amdhsa_float_round_mode_16_64 0
		.amdhsa_float_denorm_mode_32 3
		.amdhsa_float_denorm_mode_16_64 3
		.amdhsa_fp16_overflow 0
		.amdhsa_memory_ordered 1
		.amdhsa_forward_progress 1
		.amdhsa_inst_pref_size 199
		.amdhsa_round_robin_scheduling 0
		.amdhsa_exception_fp_ieee_invalid_op 0
		.amdhsa_exception_fp_denorm_src 0
		.amdhsa_exception_fp_ieee_div_zero 0
		.amdhsa_exception_fp_ieee_overflow 0
		.amdhsa_exception_fp_ieee_underflow 0
		.amdhsa_exception_fp_ieee_inexact 0
		.amdhsa_exception_int_div_zero 0
	.end_amdhsa_kernel
	.section	.text._ZN9rocsolver6v33100L18trti2_kernel_smallILi33E19rocblas_complex_numIfEPKPS3_EEv13rocblas_fill_17rocblas_diagonal_T1_iil,"axG",@progbits,_ZN9rocsolver6v33100L18trti2_kernel_smallILi33E19rocblas_complex_numIfEPKPS3_EEv13rocblas_fill_17rocblas_diagonal_T1_iil,comdat
.Lfunc_end96:
	.size	_ZN9rocsolver6v33100L18trti2_kernel_smallILi33E19rocblas_complex_numIfEPKPS3_EEv13rocblas_fill_17rocblas_diagonal_T1_iil, .Lfunc_end96-_ZN9rocsolver6v33100L18trti2_kernel_smallILi33E19rocblas_complex_numIfEPKPS3_EEv13rocblas_fill_17rocblas_diagonal_T1_iil
                                        ; -- End function
	.set _ZN9rocsolver6v33100L18trti2_kernel_smallILi33E19rocblas_complex_numIfEPKPS3_EEv13rocblas_fill_17rocblas_diagonal_T1_iil.num_vgpr, 99
	.set _ZN9rocsolver6v33100L18trti2_kernel_smallILi33E19rocblas_complex_numIfEPKPS3_EEv13rocblas_fill_17rocblas_diagonal_T1_iil.num_agpr, 0
	.set _ZN9rocsolver6v33100L18trti2_kernel_smallILi33E19rocblas_complex_numIfEPKPS3_EEv13rocblas_fill_17rocblas_diagonal_T1_iil.numbered_sgpr, 39
	.set _ZN9rocsolver6v33100L18trti2_kernel_smallILi33E19rocblas_complex_numIfEPKPS3_EEv13rocblas_fill_17rocblas_diagonal_T1_iil.num_named_barrier, 0
	.set _ZN9rocsolver6v33100L18trti2_kernel_smallILi33E19rocblas_complex_numIfEPKPS3_EEv13rocblas_fill_17rocblas_diagonal_T1_iil.private_seg_size, 272
	.set _ZN9rocsolver6v33100L18trti2_kernel_smallILi33E19rocblas_complex_numIfEPKPS3_EEv13rocblas_fill_17rocblas_diagonal_T1_iil.uses_vcc, 1
	.set _ZN9rocsolver6v33100L18trti2_kernel_smallILi33E19rocblas_complex_numIfEPKPS3_EEv13rocblas_fill_17rocblas_diagonal_T1_iil.uses_flat_scratch, 0
	.set _ZN9rocsolver6v33100L18trti2_kernel_smallILi33E19rocblas_complex_numIfEPKPS3_EEv13rocblas_fill_17rocblas_diagonal_T1_iil.has_dyn_sized_stack, 0
	.set _ZN9rocsolver6v33100L18trti2_kernel_smallILi33E19rocblas_complex_numIfEPKPS3_EEv13rocblas_fill_17rocblas_diagonal_T1_iil.has_recursion, 0
	.set _ZN9rocsolver6v33100L18trti2_kernel_smallILi33E19rocblas_complex_numIfEPKPS3_EEv13rocblas_fill_17rocblas_diagonal_T1_iil.has_indirect_call, 0
	.section	.AMDGPU.csdata,"",@progbits
; Kernel info:
; codeLenInByte = 25388
; TotalNumSgprs: 41
; NumVgprs: 99
; ScratchSize: 272
; MemoryBound: 0
; FloatMode: 240
; IeeeMode: 1
; LDSByteSize: 536 bytes/workgroup (compile time only)
; SGPRBlocks: 0
; VGPRBlocks: 6
; NumSGPRsForWavesPerEU: 41
; NumVGPRsForWavesPerEU: 99
; NamedBarCnt: 0
; Occupancy: 9
; WaveLimiterHint : 1
; COMPUTE_PGM_RSRC2:SCRATCH_EN: 1
; COMPUTE_PGM_RSRC2:USER_SGPR: 2
; COMPUTE_PGM_RSRC2:TRAP_HANDLER: 0
; COMPUTE_PGM_RSRC2:TGID_X_EN: 1
; COMPUTE_PGM_RSRC2:TGID_Y_EN: 0
; COMPUTE_PGM_RSRC2:TGID_Z_EN: 0
; COMPUTE_PGM_RSRC2:TIDIG_COMP_CNT: 0
	.section	.text._ZN9rocsolver6v33100L18trti2_kernel_smallILi34E19rocblas_complex_numIfEPKPS3_EEv13rocblas_fill_17rocblas_diagonal_T1_iil,"axG",@progbits,_ZN9rocsolver6v33100L18trti2_kernel_smallILi34E19rocblas_complex_numIfEPKPS3_EEv13rocblas_fill_17rocblas_diagonal_T1_iil,comdat
	.globl	_ZN9rocsolver6v33100L18trti2_kernel_smallILi34E19rocblas_complex_numIfEPKPS3_EEv13rocblas_fill_17rocblas_diagonal_T1_iil ; -- Begin function _ZN9rocsolver6v33100L18trti2_kernel_smallILi34E19rocblas_complex_numIfEPKPS3_EEv13rocblas_fill_17rocblas_diagonal_T1_iil
	.p2align	8
	.type	_ZN9rocsolver6v33100L18trti2_kernel_smallILi34E19rocblas_complex_numIfEPKPS3_EEv13rocblas_fill_17rocblas_diagonal_T1_iil,@function
_ZN9rocsolver6v33100L18trti2_kernel_smallILi34E19rocblas_complex_numIfEPKPS3_EEv13rocblas_fill_17rocblas_diagonal_T1_iil: ; @_ZN9rocsolver6v33100L18trti2_kernel_smallILi34E19rocblas_complex_numIfEPKPS3_EEv13rocblas_fill_17rocblas_diagonal_T1_iil
; %bb.0:
	s_mov_b32 s2, exec_lo
	v_cmpx_gt_u32_e32 34, v0
	s_cbranch_execz .LBB97_664
; %bb.1:
	s_clause 0x1
	s_load_b64 s[2:3], s[0:1], 0x10
	s_load_b128 s[4:7], s[0:1], 0x0
	s_wait_xcnt 0x0
	s_bfe_u32 s0, ttmp6, 0x4000c
	s_and_b32 s1, ttmp6, 15
	s_add_co_i32 s0, s0, 1
	s_getreg_b32 s8, hwreg(HW_REG_IB_STS2, 6, 4)
	s_mul_i32 s0, ttmp9, s0
	v_dual_mov_b32 v59, 0 :: v_dual_lshlrev_b32 v58, 3, v0
	s_add_co_i32 s0, s1, s0
	s_wait_kmcnt 0x0
	s_ashr_i32 s1, s2, 31
	s_cmp_eq_u32 s8, 0
	s_cselect_b32 s8, ttmp9, s0
	s_mov_b32 s0, s2
	s_ashr_i32 s9, s8, 31
	s_lshl_b64 s[0:1], s[0:1], 3
	s_lshl_b64 s[8:9], s[8:9], 3
	s_delay_alu instid0(SALU_CYCLE_1)
	s_add_nc_u64 s[6:7], s[6:7], s[8:9]
	s_load_b64 s[6:7], s[6:7], 0x0
	s_wait_kmcnt 0x0
	s_add_nc_u64 s[6:7], s[6:7], s[0:1]
	s_mov_b32 s0, s3
	flat_load_b64 v[6:7], v0, s[6:7] scale_offset
	v_add_nc_u64_e32 v[2:3], s[6:7], v[58:59]
	s_ashr_i32 s1, s3, 31
	s_cmp_lg_u32 s5, 0x84
	s_delay_alu instid0(VALU_DEP_1)
	v_lshl_add_u64 v[4:5], s[0:1], 3, v[2:3]
	s_mov_b32 s0, -1
	s_wait_loadcnt_dscnt 0x0
	scratch_store_b64 off, v[6:7], off
	flat_load_b64 v[8:9], v[4:5]
	s_wait_xcnt 0x1
	v_add3_u32 v6, s3, s3, v0
	s_wait_loadcnt_dscnt 0x0
	scratch_store_b64 off, v[8:9], off offset:8
	flat_load_b64 v[10:11], v6, s[6:7] scale_offset
	s_wait_xcnt 0x1
	v_add_nc_u32_e32 v8, s3, v6
	s_wait_loadcnt_dscnt 0x0
	scratch_store_b64 off, v[10:11], off offset:16
	flat_load_b64 v[12:13], v8, s[6:7] scale_offset
	s_wait_xcnt 0x1
	v_add_nc_u32_e32 v10, s3, v8
	;; [unrolled: 5-line block ×31, first 2 shown]
	s_cselect_b32 s3, -1, 0
	s_delay_alu instid0(SALU_CYCLE_1)
	s_and_b32 vcc_lo, exec_lo, s3
	s_wait_loadcnt_dscnt 0x0
	scratch_store_b64 off, v[72:73], off offset:256
	flat_load_b64 v[72:73], v70, s[6:7] scale_offset
	s_wait_loadcnt_dscnt 0x0
	scratch_store_b64 off, v[72:73], off offset:264
	s_cbranch_vccz .LBB97_7
; %bb.2:
	scratch_load_b64 v[72:73], v0, off scale_offset
                                        ; implicit-def: $vgpr77
                                        ; implicit-def: $vgpr74
	s_wait_loadcnt 0x0
	v_cmp_ngt_f32_e64 s0, |v72|, |v73|
	s_wait_xcnt 0x0
	s_and_saveexec_b32 s1, s0
	s_delay_alu instid0(SALU_CYCLE_1)
	s_xor_b32 s0, exec_lo, s1
	s_cbranch_execz .LBB97_4
; %bb.3:
	v_div_scale_f32 v1, null, v73, v73, v72
	v_div_scale_f32 v11, vcc_lo, v72, v73, v72
	s_delay_alu instid0(VALU_DEP_2) | instskip(SKIP_1) | instid1(TRANS32_DEP_1)
	v_rcp_f32_e32 v7, v1
	v_nop
	v_fma_f32 v9, -v1, v7, 1.0
	s_delay_alu instid0(VALU_DEP_1) | instskip(NEXT) | instid1(VALU_DEP_1)
	v_fmac_f32_e32 v7, v9, v7
	v_mul_f32_e32 v9, v11, v7
	s_delay_alu instid0(VALU_DEP_1) | instskip(NEXT) | instid1(VALU_DEP_1)
	v_fma_f32 v13, -v1, v9, v11
	v_fmac_f32_e32 v9, v13, v7
	s_delay_alu instid0(VALU_DEP_1) | instskip(NEXT) | instid1(VALU_DEP_1)
	v_fma_f32 v1, -v1, v9, v11
	v_div_fmas_f32 v1, v1, v7, v9
	s_delay_alu instid0(VALU_DEP_1) | instskip(NEXT) | instid1(VALU_DEP_1)
	v_div_fixup_f32 v1, v1, v73, v72
	v_fmac_f32_e32 v73, v72, v1
	s_delay_alu instid0(VALU_DEP_1) | instskip(NEXT) | instid1(VALU_DEP_1)
	v_div_scale_f32 v7, null, v73, v73, -1.0
	v_rcp_f32_e32 v9, v7
	v_nop
	s_delay_alu instid0(TRANS32_DEP_1) | instskip(NEXT) | instid1(VALU_DEP_1)
	v_fma_f32 v11, -v7, v9, 1.0
	v_fmac_f32_e32 v9, v11, v9
	v_div_scale_f32 v11, vcc_lo, -1.0, v73, -1.0
	s_delay_alu instid0(VALU_DEP_1) | instskip(NEXT) | instid1(VALU_DEP_1)
	v_mul_f32_e32 v13, v11, v9
	v_fma_f32 v15, -v7, v13, v11
	s_delay_alu instid0(VALU_DEP_1) | instskip(NEXT) | instid1(VALU_DEP_1)
	v_fmac_f32_e32 v13, v15, v9
	v_fma_f32 v7, -v7, v13, v11
	s_delay_alu instid0(VALU_DEP_1) | instskip(NEXT) | instid1(VALU_DEP_1)
	v_div_fmas_f32 v7, v7, v9, v13
	v_div_fixup_f32 v77, v7, v73, -1.0
                                        ; implicit-def: $vgpr72_vgpr73
	s_delay_alu instid0(VALU_DEP_1) | instskip(NEXT) | instid1(VALU_DEP_1)
	v_mul_f32_e32 v74, v1, v77
	v_xor_b32_e32 v76, 0x80000000, v74
.LBB97_4:
	s_or_saveexec_b32 s0, s0
	v_lshl_add_u32 v1, v0, 3, 0
	s_xor_b32 exec_lo, exec_lo, s0
	s_cbranch_execz .LBB97_6
; %bb.5:
	v_div_scale_f32 v7, null, v72, v72, v73
	v_div_scale_f32 v13, vcc_lo, v73, v72, v73
	s_delay_alu instid0(VALU_DEP_2) | instskip(SKIP_1) | instid1(TRANS32_DEP_1)
	v_rcp_f32_e32 v9, v7
	v_nop
	v_fma_f32 v11, -v7, v9, 1.0
	s_delay_alu instid0(VALU_DEP_1) | instskip(NEXT) | instid1(VALU_DEP_1)
	v_fmac_f32_e32 v9, v11, v9
	v_mul_f32_e32 v11, v13, v9
	s_delay_alu instid0(VALU_DEP_1) | instskip(NEXT) | instid1(VALU_DEP_1)
	v_fma_f32 v15, -v7, v11, v13
	v_fmac_f32_e32 v11, v15, v9
	s_delay_alu instid0(VALU_DEP_1) | instskip(NEXT) | instid1(VALU_DEP_1)
	v_fma_f32 v7, -v7, v11, v13
	v_div_fmas_f32 v7, v7, v9, v11
	s_delay_alu instid0(VALU_DEP_1) | instskip(NEXT) | instid1(VALU_DEP_1)
	v_div_fixup_f32 v7, v7, v72, v73
	v_fmac_f32_e32 v72, v73, v7
	s_delay_alu instid0(VALU_DEP_1) | instskip(SKIP_1) | instid1(VALU_DEP_2)
	v_div_scale_f32 v9, null, v72, v72, 1.0
	v_div_scale_f32 v15, vcc_lo, 1.0, v72, 1.0
	v_rcp_f32_e32 v11, v9
	v_nop
	s_delay_alu instid0(TRANS32_DEP_1) | instskip(NEXT) | instid1(VALU_DEP_1)
	v_fma_f32 v13, -v9, v11, 1.0
	v_fmac_f32_e32 v11, v13, v11
	s_delay_alu instid0(VALU_DEP_1) | instskip(NEXT) | instid1(VALU_DEP_1)
	v_mul_f32_e32 v13, v15, v11
	v_fma_f32 v17, -v9, v13, v15
	s_delay_alu instid0(VALU_DEP_1) | instskip(NEXT) | instid1(VALU_DEP_1)
	v_fmac_f32_e32 v13, v17, v11
	v_fma_f32 v9, -v9, v13, v15
	s_delay_alu instid0(VALU_DEP_1) | instskip(NEXT) | instid1(VALU_DEP_1)
	v_div_fmas_f32 v9, v9, v11, v13
	v_div_fixup_f32 v76, v9, v72, 1.0
	s_delay_alu instid0(VALU_DEP_1)
	v_xor_b32_e32 v74, 0x80000000, v76
	v_mul_f32_e64 v77, v7, -v76
.LBB97_6:
	s_or_b32 exec_lo, exec_lo, s0
	s_delay_alu instid0(VALU_DEP_1)
	v_xor_b32_e32 v75, 0x80000000, v77
	s_mov_b32 s0, 0
	scratch_store_b64 v1, v[76:77], off
	ds_store_b64 v58, v[74:75]
.LBB97_7:
	s_and_b32 vcc_lo, exec_lo, s0
	s_cbranch_vccz .LBB97_9
; %bb.8:
	s_mov_b64 s[0:1], 0xbf800000
	s_wait_xcnt 0x0
	v_mov_b64_e32 v[72:73], s[0:1]
	ds_store_b64 v58, v[72:73]
.LBB97_9:
	v_dual_ashrrev_i32 v7, 31, v6 :: v_dual_ashrrev_i32 v9, 31, v8
	v_dual_ashrrev_i32 v11, 31, v10 :: v_dual_ashrrev_i32 v13, 31, v12
	;; [unrolled: 1-line block ×16, first 2 shown]
	s_wait_xcnt 0x0
	v_add_nc_u32_e32 v1, 0x110, v58
	v_mov_b32_e32 v59, v58
	s_cmp_eq_u32 s4, 0x79
	s_cbranch_scc1 .LBB97_13
; %bb.10:
	scratch_load_b64 v[72:73], off, off offset:256
	v_cmp_eq_u32_e64 s0, 33, v0
	s_movk_i32 s1, 0x48
	s_movk_i32 s14, 0x50
	;; [unrolled: 1-line block ×23, first 2 shown]
	s_wait_loadcnt 0x0
	ds_store_b64 v1, v[72:73]
	s_wait_storecnt_dscnt 0x0
	s_barrier_signal -1
	s_barrier_wait -1
	s_wait_xcnt 0x0
	s_and_saveexec_b32 s2, s0
	s_cbranch_execz .LBB97_17
; %bb.11:
	s_and_b32 vcc_lo, exec_lo, s3
	s_cbranch_vccz .LBB97_14
; %bb.12:
	scratch_load_b64 v[72:73], v59, off
	ds_load_b64 v[74:75], v1
	s_wait_loadcnt_dscnt 0x0
	v_pk_mul_f32 v[76:77], v[74:75], v[72:73] op_sel:[1,1] op_sel_hi:[0,1]
	v_pk_mul_f32 v[78:79], v[74:75], v[72:73] op_sel_hi:[1,0]
	s_delay_alu instid0(VALU_DEP_2) | instskip(NEXT) | instid1(VALU_DEP_2)
	v_pk_fma_f32 v[72:73], v[74:75], v[72:73], v[76:77] op_sel_hi:[1,0,1]
	v_sub_f32_e32 v72, v78, v76
	s_cbranch_execz .LBB97_15
	s_branch .LBB97_16
.LBB97_13:
	s_mov_b32 s1, 0
                                        ; implicit-def: $vgpr100
                                        ; implicit-def: $sgpr5
	s_cbranch_execnz .LBB97_336
	s_branch .LBB97_661
.LBB97_14:
                                        ; implicit-def: $vgpr73
.LBB97_15:
	ds_load_b64 v[72:73], v1
.LBB97_16:
	s_wait_dscnt 0x0
	v_dual_mov_b32 v74, 0 :: v_dual_mov_b32 v76, v73
	v_mov_b32_e32 v77, v72
	ds_load_b64 v[74:75], v74 offset:256
	s_wait_dscnt 0x0
	v_pk_mul_f32 v[76:77], v[76:77], v[74:75] op_sel:[0,1]
	s_delay_alu instid0(VALU_DEP_1) | instskip(SKIP_1) | instid1(VALU_DEP_2)
	v_pk_fma_f32 v[78:79], v[72:73], v[74:75], v[76:77] op_sel_hi:[1,0,1]
	v_pk_fma_f32 v[72:73], v[72:73], v[74:75], v[76:77] neg_lo:[0,0,1] neg_hi:[0,0,1]
	v_mov_b32_e32 v73, v79
	scratch_store_b64 off, v[72:73], off offset:256
.LBB97_17:
	s_wait_xcnt 0x0
	s_or_b32 exec_lo, exec_lo, s2
	scratch_load_b64 v[72:73], off, off offset:248
	s_mov_b32 s13, s1
	v_cmp_lt_u32_e64 s1, 31, v0
	s_or_b32 s4, 0, 8
	s_mov_b32 s5, 16
	s_mov_b32 s8, 24
	;; [unrolled: 1-line block ×7, first 2 shown]
	s_wait_loadcnt 0x0
	ds_store_b64 v1, v[72:73]
	s_wait_storecnt_dscnt 0x0
	s_barrier_signal -1
	s_barrier_wait -1
	s_wait_xcnt 0x0
	s_and_saveexec_b32 s37, s1
	s_cbranch_execz .LBB97_25
; %bb.18:
	s_and_not1_b32 vcc_lo, exec_lo, s3
	s_cbranch_vccnz .LBB97_20
; %bb.19:
	scratch_load_b64 v[72:73], v59, off
	ds_load_b64 v[74:75], v1
	s_wait_loadcnt_dscnt 0x0
	v_pk_mul_f32 v[76:77], v[74:75], v[72:73] op_sel:[1,1] op_sel_hi:[0,1]
	s_delay_alu instid0(VALU_DEP_1) | instskip(SKIP_1) | instid1(VALU_DEP_2)
	v_pk_fma_f32 v[78:79], v[74:75], v[72:73], v[76:77] op_sel_hi:[1,0,1]
	v_pk_fma_f32 v[72:73], v[74:75], v[72:73], v[76:77] neg_lo:[0,0,1] neg_hi:[0,0,1]
	v_mov_b32_e32 v73, v79
	s_cbranch_execz .LBB97_21
	s_branch .LBB97_22
.LBB97_20:
                                        ; implicit-def: $vgpr72_vgpr73
.LBB97_21:
	ds_load_b64 v[72:73], v1
.LBB97_22:
	s_and_saveexec_b32 s38, s0
	s_cbranch_execz .LBB97_24
; %bb.23:
	scratch_load_b64 v[74:75], off, off offset:256
	v_mov_b32_e32 v76, 0
	ds_load_b64 v[76:77], v76 offset:528
	s_wait_loadcnt_dscnt 0x0
	v_pk_mul_f32 v[78:79], v[76:77], v[74:75] op_sel:[1,1] op_sel_hi:[0,1]
	s_delay_alu instid0(VALU_DEP_1) | instskip(SKIP_1) | instid1(VALU_DEP_2)
	v_pk_fma_f32 v[80:81], v[76:77], v[74:75], v[78:79] op_sel_hi:[1,0,1]
	v_pk_fma_f32 v[74:75], v[76:77], v[74:75], v[78:79] neg_lo:[0,0,1] neg_hi:[0,0,1]
	v_mov_b32_e32 v75, v81
	s_delay_alu instid0(VALU_DEP_1)
	v_pk_add_f32 v[72:73], v[72:73], v[74:75]
.LBB97_24:
	s_or_b32 exec_lo, exec_lo, s38
	v_mov_b32_e32 v74, 0
	ds_load_b64 v[74:75], v74 offset:248
	s_wait_dscnt 0x0
	v_pk_mul_f32 v[76:77], v[72:73], v[74:75] op_sel:[1,1] op_sel_hi:[0,1]
	s_delay_alu instid0(VALU_DEP_1) | instskip(SKIP_1) | instid1(VALU_DEP_2)
	v_pk_fma_f32 v[78:79], v[72:73], v[74:75], v[76:77] op_sel_hi:[1,0,1]
	v_pk_fma_f32 v[72:73], v[72:73], v[74:75], v[76:77] neg_lo:[0,0,1] neg_hi:[0,0,1]
	v_mov_b32_e32 v73, v79
	scratch_store_b64 off, v[72:73], off offset:248
.LBB97_25:
	s_wait_xcnt 0x0
	s_or_b32 exec_lo, exec_lo, s37
	scratch_load_b64 v[72:73], off, off offset:240
	v_cmp_lt_u32_e64 s0, 30, v0
	s_wait_loadcnt 0x0
	ds_store_b64 v1, v[72:73]
	s_wait_storecnt_dscnt 0x0
	s_barrier_signal -1
	s_barrier_wait -1
	s_wait_xcnt 0x0
	s_and_saveexec_b32 s37, s0
	s_cbranch_execz .LBB97_35
; %bb.26:
	s_and_not1_b32 vcc_lo, exec_lo, s3
	s_cbranch_vccnz .LBB97_28
; %bb.27:
	scratch_load_b64 v[72:73], v59, off
	ds_load_b64 v[74:75], v1
	s_wait_loadcnt_dscnt 0x0
	v_pk_mul_f32 v[76:77], v[74:75], v[72:73] op_sel:[1,1] op_sel_hi:[0,1]
	s_delay_alu instid0(VALU_DEP_1) | instskip(SKIP_1) | instid1(VALU_DEP_2)
	v_pk_fma_f32 v[78:79], v[74:75], v[72:73], v[76:77] op_sel_hi:[1,0,1]
	v_pk_fma_f32 v[72:73], v[74:75], v[72:73], v[76:77] neg_lo:[0,0,1] neg_hi:[0,0,1]
	v_mov_b32_e32 v73, v79
	s_cbranch_execz .LBB97_29
	s_branch .LBB97_30
.LBB97_28:
                                        ; implicit-def: $vgpr72_vgpr73
.LBB97_29:
	ds_load_b64 v[72:73], v1
.LBB97_30:
	s_and_saveexec_b32 s38, s1
	s_cbranch_execz .LBB97_34
; %bb.31:
	v_subrev_nc_u32_e32 v74, 31, v0
	s_movk_i32 s39, 0x208
	s_mov_b32 s1, 0
.LBB97_32:                              ; =>This Inner Loop Header: Depth=1
	scratch_load_b64 v[76:77], off, s36
	v_dual_mov_b32 v75, s39 :: v_dual_add_nc_u32 v74, -1, v74
	s_add_co_i32 s39, s39, 8
	s_wait_xcnt 0x0
	s_add_co_i32 s36, s36, 8
	ds_load_b64 v[78:79], v75
	v_cmp_eq_u32_e32 vcc_lo, 0, v74
	s_or_b32 s1, vcc_lo, s1
	s_wait_loadcnt_dscnt 0x0
	v_pk_mul_f32 v[80:81], v[78:79], v[76:77] op_sel:[1,1] op_sel_hi:[0,1]
	s_delay_alu instid0(VALU_DEP_1) | instskip(SKIP_1) | instid1(VALU_DEP_2)
	v_pk_fma_f32 v[82:83], v[78:79], v[76:77], v[80:81] op_sel_hi:[1,0,1]
	v_pk_fma_f32 v[76:77], v[78:79], v[76:77], v[80:81] neg_lo:[0,0,1] neg_hi:[0,0,1]
	v_mov_b32_e32 v77, v83
	s_delay_alu instid0(VALU_DEP_1)
	v_pk_add_f32 v[72:73], v[72:73], v[76:77]
	s_and_not1_b32 exec_lo, exec_lo, s1
	s_cbranch_execnz .LBB97_32
; %bb.33:
	s_or_b32 exec_lo, exec_lo, s1
.LBB97_34:
	s_delay_alu instid0(SALU_CYCLE_1) | instskip(SKIP_4) | instid1(VALU_DEP_1)
	s_or_b32 exec_lo, exec_lo, s38
	v_mov_b32_e32 v74, 0
	ds_load_b64 v[74:75], v74 offset:240
	s_wait_dscnt 0x0
	v_pk_mul_f32 v[76:77], v[72:73], v[74:75] op_sel:[1,1] op_sel_hi:[0,1]
	v_pk_fma_f32 v[78:79], v[72:73], v[74:75], v[76:77] op_sel_hi:[1,0,1]
	v_pk_fma_f32 v[72:73], v[72:73], v[74:75], v[76:77] neg_lo:[0,0,1] neg_hi:[0,0,1]
	s_delay_alu instid0(VALU_DEP_2)
	v_mov_b32_e32 v73, v79
	scratch_store_b64 off, v[72:73], off offset:240
.LBB97_35:
	s_wait_xcnt 0x0
	s_or_b32 exec_lo, exec_lo, s37
	scratch_load_b64 v[72:73], off, off offset:232
	v_cmp_lt_u32_e64 s1, 29, v0
	s_wait_loadcnt 0x0
	ds_store_b64 v1, v[72:73]
	s_wait_storecnt_dscnt 0x0
	s_barrier_signal -1
	s_barrier_wait -1
	s_wait_xcnt 0x0
	s_and_saveexec_b32 s36, s1
	s_cbranch_execz .LBB97_45
; %bb.36:
	s_and_not1_b32 vcc_lo, exec_lo, s3
	s_cbranch_vccnz .LBB97_38
; %bb.37:
	scratch_load_b64 v[72:73], v59, off
	ds_load_b64 v[74:75], v1
	s_wait_loadcnt_dscnt 0x0
	v_pk_mul_f32 v[76:77], v[74:75], v[72:73] op_sel:[1,1] op_sel_hi:[0,1]
	s_delay_alu instid0(VALU_DEP_1) | instskip(SKIP_1) | instid1(VALU_DEP_2)
	v_pk_fma_f32 v[78:79], v[74:75], v[72:73], v[76:77] op_sel_hi:[1,0,1]
	v_pk_fma_f32 v[72:73], v[74:75], v[72:73], v[76:77] neg_lo:[0,0,1] neg_hi:[0,0,1]
	v_mov_b32_e32 v73, v79
	s_cbranch_execz .LBB97_39
	s_branch .LBB97_40
.LBB97_38:
                                        ; implicit-def: $vgpr72_vgpr73
.LBB97_39:
	ds_load_b64 v[72:73], v1
.LBB97_40:
	s_and_saveexec_b32 s37, s0
	s_cbranch_execz .LBB97_44
; %bb.41:
	v_subrev_nc_u32_e32 v74, 30, v0
	s_movk_i32 s38, 0x200
	s_mov_b32 s0, 0
.LBB97_42:                              ; =>This Inner Loop Header: Depth=1
	scratch_load_b64 v[76:77], off, s35
	v_dual_mov_b32 v75, s38 :: v_dual_add_nc_u32 v74, -1, v74
	s_add_co_i32 s38, s38, 8
	s_wait_xcnt 0x0
	s_add_co_i32 s35, s35, 8
	ds_load_b64 v[78:79], v75
	v_cmp_eq_u32_e32 vcc_lo, 0, v74
	s_or_b32 s0, vcc_lo, s0
	s_wait_loadcnt_dscnt 0x0
	v_pk_mul_f32 v[80:81], v[78:79], v[76:77] op_sel:[1,1] op_sel_hi:[0,1]
	s_delay_alu instid0(VALU_DEP_1) | instskip(SKIP_1) | instid1(VALU_DEP_2)
	v_pk_fma_f32 v[82:83], v[78:79], v[76:77], v[80:81] op_sel_hi:[1,0,1]
	v_pk_fma_f32 v[76:77], v[78:79], v[76:77], v[80:81] neg_lo:[0,0,1] neg_hi:[0,0,1]
	v_mov_b32_e32 v77, v83
	s_delay_alu instid0(VALU_DEP_1)
	v_pk_add_f32 v[72:73], v[72:73], v[76:77]
	s_and_not1_b32 exec_lo, exec_lo, s0
	s_cbranch_execnz .LBB97_42
; %bb.43:
	s_or_b32 exec_lo, exec_lo, s0
.LBB97_44:
	s_delay_alu instid0(SALU_CYCLE_1) | instskip(SKIP_4) | instid1(VALU_DEP_1)
	s_or_b32 exec_lo, exec_lo, s37
	v_mov_b32_e32 v74, 0
	ds_load_b64 v[74:75], v74 offset:232
	s_wait_dscnt 0x0
	v_pk_mul_f32 v[76:77], v[72:73], v[74:75] op_sel:[1,1] op_sel_hi:[0,1]
	v_pk_fma_f32 v[78:79], v[72:73], v[74:75], v[76:77] op_sel_hi:[1,0,1]
	v_pk_fma_f32 v[72:73], v[72:73], v[74:75], v[76:77] neg_lo:[0,0,1] neg_hi:[0,0,1]
	s_delay_alu instid0(VALU_DEP_2)
	v_mov_b32_e32 v73, v79
	scratch_store_b64 off, v[72:73], off offset:232
.LBB97_45:
	s_wait_xcnt 0x0
	s_or_b32 exec_lo, exec_lo, s36
	scratch_load_b64 v[72:73], off, off offset:224
	v_cmp_lt_u32_e64 s0, 28, v0
	s_wait_loadcnt 0x0
	ds_store_b64 v1, v[72:73]
	s_wait_storecnt_dscnt 0x0
	s_barrier_signal -1
	s_barrier_wait -1
	s_wait_xcnt 0x0
	s_and_saveexec_b32 s35, s0
	s_cbranch_execz .LBB97_55
; %bb.46:
	s_and_not1_b32 vcc_lo, exec_lo, s3
	s_cbranch_vccnz .LBB97_48
; %bb.47:
	scratch_load_b64 v[72:73], v59, off
	ds_load_b64 v[74:75], v1
	s_wait_loadcnt_dscnt 0x0
	v_pk_mul_f32 v[76:77], v[74:75], v[72:73] op_sel:[1,1] op_sel_hi:[0,1]
	s_delay_alu instid0(VALU_DEP_1) | instskip(SKIP_1) | instid1(VALU_DEP_2)
	v_pk_fma_f32 v[78:79], v[74:75], v[72:73], v[76:77] op_sel_hi:[1,0,1]
	v_pk_fma_f32 v[72:73], v[74:75], v[72:73], v[76:77] neg_lo:[0,0,1] neg_hi:[0,0,1]
	v_mov_b32_e32 v73, v79
	s_cbranch_execz .LBB97_49
	s_branch .LBB97_50
.LBB97_48:
                                        ; implicit-def: $vgpr72_vgpr73
.LBB97_49:
	ds_load_b64 v[72:73], v1
.LBB97_50:
	s_and_saveexec_b32 s36, s1
	s_cbranch_execz .LBB97_54
; %bb.51:
	v_subrev_nc_u32_e32 v74, 29, v0
	s_movk_i32 s37, 0x1f8
	s_mov_b32 s1, 0
.LBB97_52:                              ; =>This Inner Loop Header: Depth=1
	scratch_load_b64 v[76:77], off, s34
	v_dual_mov_b32 v75, s37 :: v_dual_add_nc_u32 v74, -1, v74
	s_add_co_i32 s37, s37, 8
	s_wait_xcnt 0x0
	s_add_co_i32 s34, s34, 8
	ds_load_b64 v[78:79], v75
	v_cmp_eq_u32_e32 vcc_lo, 0, v74
	s_or_b32 s1, vcc_lo, s1
	s_wait_loadcnt_dscnt 0x0
	v_pk_mul_f32 v[80:81], v[78:79], v[76:77] op_sel:[1,1] op_sel_hi:[0,1]
	s_delay_alu instid0(VALU_DEP_1) | instskip(SKIP_1) | instid1(VALU_DEP_2)
	v_pk_fma_f32 v[82:83], v[78:79], v[76:77], v[80:81] op_sel_hi:[1,0,1]
	v_pk_fma_f32 v[76:77], v[78:79], v[76:77], v[80:81] neg_lo:[0,0,1] neg_hi:[0,0,1]
	v_mov_b32_e32 v77, v83
	s_delay_alu instid0(VALU_DEP_1)
	v_pk_add_f32 v[72:73], v[72:73], v[76:77]
	s_and_not1_b32 exec_lo, exec_lo, s1
	s_cbranch_execnz .LBB97_52
; %bb.53:
	s_or_b32 exec_lo, exec_lo, s1
.LBB97_54:
	s_delay_alu instid0(SALU_CYCLE_1) | instskip(SKIP_4) | instid1(VALU_DEP_1)
	s_or_b32 exec_lo, exec_lo, s36
	v_mov_b32_e32 v74, 0
	ds_load_b64 v[74:75], v74 offset:224
	s_wait_dscnt 0x0
	v_pk_mul_f32 v[76:77], v[72:73], v[74:75] op_sel:[1,1] op_sel_hi:[0,1]
	v_pk_fma_f32 v[78:79], v[72:73], v[74:75], v[76:77] op_sel_hi:[1,0,1]
	v_pk_fma_f32 v[72:73], v[72:73], v[74:75], v[76:77] neg_lo:[0,0,1] neg_hi:[0,0,1]
	s_delay_alu instid0(VALU_DEP_2)
	v_mov_b32_e32 v73, v79
	scratch_store_b64 off, v[72:73], off offset:224
.LBB97_55:
	s_wait_xcnt 0x0
	s_or_b32 exec_lo, exec_lo, s35
	scratch_load_b64 v[72:73], off, off offset:216
	v_cmp_lt_u32_e64 s1, 27, v0
	s_wait_loadcnt 0x0
	ds_store_b64 v1, v[72:73]
	s_wait_storecnt_dscnt 0x0
	s_barrier_signal -1
	s_barrier_wait -1
	s_wait_xcnt 0x0
	s_and_saveexec_b32 s34, s1
	s_cbranch_execz .LBB97_65
; %bb.56:
	s_and_not1_b32 vcc_lo, exec_lo, s3
	s_cbranch_vccnz .LBB97_58
; %bb.57:
	scratch_load_b64 v[72:73], v59, off
	ds_load_b64 v[74:75], v1
	s_wait_loadcnt_dscnt 0x0
	v_pk_mul_f32 v[76:77], v[74:75], v[72:73] op_sel:[1,1] op_sel_hi:[0,1]
	s_delay_alu instid0(VALU_DEP_1) | instskip(SKIP_1) | instid1(VALU_DEP_2)
	v_pk_fma_f32 v[78:79], v[74:75], v[72:73], v[76:77] op_sel_hi:[1,0,1]
	v_pk_fma_f32 v[72:73], v[74:75], v[72:73], v[76:77] neg_lo:[0,0,1] neg_hi:[0,0,1]
	v_mov_b32_e32 v73, v79
	s_cbranch_execz .LBB97_59
	s_branch .LBB97_60
.LBB97_58:
                                        ; implicit-def: $vgpr72_vgpr73
.LBB97_59:
	ds_load_b64 v[72:73], v1
.LBB97_60:
	s_and_saveexec_b32 s35, s0
	s_cbranch_execz .LBB97_64
; %bb.61:
	v_subrev_nc_u32_e32 v74, 28, v0
	s_movk_i32 s36, 0x1f0
	s_mov_b32 s0, 0
.LBB97_62:                              ; =>This Inner Loop Header: Depth=1
	scratch_load_b64 v[76:77], off, s33
	v_dual_mov_b32 v75, s36 :: v_dual_add_nc_u32 v74, -1, v74
	s_add_co_i32 s36, s36, 8
	s_wait_xcnt 0x0
	s_add_co_i32 s33, s33, 8
	ds_load_b64 v[78:79], v75
	v_cmp_eq_u32_e32 vcc_lo, 0, v74
	s_or_b32 s0, vcc_lo, s0
	s_wait_loadcnt_dscnt 0x0
	v_pk_mul_f32 v[80:81], v[78:79], v[76:77] op_sel:[1,1] op_sel_hi:[0,1]
	s_delay_alu instid0(VALU_DEP_1) | instskip(SKIP_1) | instid1(VALU_DEP_2)
	v_pk_fma_f32 v[82:83], v[78:79], v[76:77], v[80:81] op_sel_hi:[1,0,1]
	v_pk_fma_f32 v[76:77], v[78:79], v[76:77], v[80:81] neg_lo:[0,0,1] neg_hi:[0,0,1]
	v_mov_b32_e32 v77, v83
	s_delay_alu instid0(VALU_DEP_1)
	v_pk_add_f32 v[72:73], v[72:73], v[76:77]
	s_and_not1_b32 exec_lo, exec_lo, s0
	s_cbranch_execnz .LBB97_62
; %bb.63:
	s_or_b32 exec_lo, exec_lo, s0
.LBB97_64:
	s_delay_alu instid0(SALU_CYCLE_1) | instskip(SKIP_4) | instid1(VALU_DEP_1)
	s_or_b32 exec_lo, exec_lo, s35
	v_mov_b32_e32 v74, 0
	ds_load_b64 v[74:75], v74 offset:216
	s_wait_dscnt 0x0
	v_pk_mul_f32 v[76:77], v[72:73], v[74:75] op_sel:[1,1] op_sel_hi:[0,1]
	v_pk_fma_f32 v[78:79], v[72:73], v[74:75], v[76:77] op_sel_hi:[1,0,1]
	v_pk_fma_f32 v[72:73], v[72:73], v[74:75], v[76:77] neg_lo:[0,0,1] neg_hi:[0,0,1]
	s_delay_alu instid0(VALU_DEP_2)
	v_mov_b32_e32 v73, v79
	scratch_store_b64 off, v[72:73], off offset:216
.LBB97_65:
	s_wait_xcnt 0x0
	s_or_b32 exec_lo, exec_lo, s34
	scratch_load_b64 v[72:73], off, off offset:208
	v_cmp_lt_u32_e64 s0, 26, v0
	s_wait_loadcnt 0x0
	ds_store_b64 v1, v[72:73]
	s_wait_storecnt_dscnt 0x0
	s_barrier_signal -1
	s_barrier_wait -1
	s_wait_xcnt 0x0
	s_and_saveexec_b32 s33, s0
	s_cbranch_execz .LBB97_75
; %bb.66:
	s_and_not1_b32 vcc_lo, exec_lo, s3
	s_cbranch_vccnz .LBB97_68
; %bb.67:
	scratch_load_b64 v[72:73], v59, off
	ds_load_b64 v[74:75], v1
	s_wait_loadcnt_dscnt 0x0
	v_pk_mul_f32 v[76:77], v[74:75], v[72:73] op_sel:[1,1] op_sel_hi:[0,1]
	s_delay_alu instid0(VALU_DEP_1) | instskip(SKIP_1) | instid1(VALU_DEP_2)
	v_pk_fma_f32 v[78:79], v[74:75], v[72:73], v[76:77] op_sel_hi:[1,0,1]
	v_pk_fma_f32 v[72:73], v[74:75], v[72:73], v[76:77] neg_lo:[0,0,1] neg_hi:[0,0,1]
	v_mov_b32_e32 v73, v79
	s_cbranch_execz .LBB97_69
	s_branch .LBB97_70
.LBB97_68:
                                        ; implicit-def: $vgpr72_vgpr73
.LBB97_69:
	ds_load_b64 v[72:73], v1
.LBB97_70:
	s_and_saveexec_b32 s34, s1
	s_cbranch_execz .LBB97_74
; %bb.71:
	v_subrev_nc_u32_e32 v74, 27, v0
	s_movk_i32 s35, 0x1e8
	s_mov_b32 s1, 0
.LBB97_72:                              ; =>This Inner Loop Header: Depth=1
	scratch_load_b64 v[76:77], off, s31
	v_dual_mov_b32 v75, s35 :: v_dual_add_nc_u32 v74, -1, v74
	s_add_co_i32 s35, s35, 8
	s_wait_xcnt 0x0
	s_add_co_i32 s31, s31, 8
	ds_load_b64 v[78:79], v75
	v_cmp_eq_u32_e32 vcc_lo, 0, v74
	s_or_b32 s1, vcc_lo, s1
	s_wait_loadcnt_dscnt 0x0
	v_pk_mul_f32 v[80:81], v[78:79], v[76:77] op_sel:[1,1] op_sel_hi:[0,1]
	s_delay_alu instid0(VALU_DEP_1) | instskip(SKIP_1) | instid1(VALU_DEP_2)
	v_pk_fma_f32 v[82:83], v[78:79], v[76:77], v[80:81] op_sel_hi:[1,0,1]
	v_pk_fma_f32 v[76:77], v[78:79], v[76:77], v[80:81] neg_lo:[0,0,1] neg_hi:[0,0,1]
	v_mov_b32_e32 v77, v83
	s_delay_alu instid0(VALU_DEP_1)
	v_pk_add_f32 v[72:73], v[72:73], v[76:77]
	s_and_not1_b32 exec_lo, exec_lo, s1
	s_cbranch_execnz .LBB97_72
; %bb.73:
	s_or_b32 exec_lo, exec_lo, s1
.LBB97_74:
	s_delay_alu instid0(SALU_CYCLE_1) | instskip(SKIP_4) | instid1(VALU_DEP_1)
	s_or_b32 exec_lo, exec_lo, s34
	v_mov_b32_e32 v74, 0
	ds_load_b64 v[74:75], v74 offset:208
	s_wait_dscnt 0x0
	v_pk_mul_f32 v[76:77], v[72:73], v[74:75] op_sel:[1,1] op_sel_hi:[0,1]
	v_pk_fma_f32 v[78:79], v[72:73], v[74:75], v[76:77] op_sel_hi:[1,0,1]
	v_pk_fma_f32 v[72:73], v[72:73], v[74:75], v[76:77] neg_lo:[0,0,1] neg_hi:[0,0,1]
	s_delay_alu instid0(VALU_DEP_2)
	v_mov_b32_e32 v73, v79
	scratch_store_b64 off, v[72:73], off offset:208
.LBB97_75:
	s_wait_xcnt 0x0
	s_or_b32 exec_lo, exec_lo, s33
	scratch_load_b64 v[72:73], off, off offset:200
	v_cmp_lt_u32_e64 s1, 25, v0
	s_wait_loadcnt 0x0
	ds_store_b64 v1, v[72:73]
	s_wait_storecnt_dscnt 0x0
	s_barrier_signal -1
	s_barrier_wait -1
	s_wait_xcnt 0x0
	s_and_saveexec_b32 s31, s1
	s_cbranch_execz .LBB97_85
; %bb.76:
	s_and_not1_b32 vcc_lo, exec_lo, s3
	s_cbranch_vccnz .LBB97_78
; %bb.77:
	scratch_load_b64 v[72:73], v59, off
	ds_load_b64 v[74:75], v1
	s_wait_loadcnt_dscnt 0x0
	v_pk_mul_f32 v[76:77], v[74:75], v[72:73] op_sel:[1,1] op_sel_hi:[0,1]
	s_delay_alu instid0(VALU_DEP_1) | instskip(SKIP_1) | instid1(VALU_DEP_2)
	v_pk_fma_f32 v[78:79], v[74:75], v[72:73], v[76:77] op_sel_hi:[1,0,1]
	v_pk_fma_f32 v[72:73], v[74:75], v[72:73], v[76:77] neg_lo:[0,0,1] neg_hi:[0,0,1]
	v_mov_b32_e32 v73, v79
	s_cbranch_execz .LBB97_79
	s_branch .LBB97_80
.LBB97_78:
                                        ; implicit-def: $vgpr72_vgpr73
.LBB97_79:
	ds_load_b64 v[72:73], v1
.LBB97_80:
	s_and_saveexec_b32 s33, s0
	s_cbranch_execz .LBB97_84
; %bb.81:
	v_subrev_nc_u32_e32 v74, 26, v0
	s_movk_i32 s34, 0x1e0
	s_mov_b32 s0, 0
.LBB97_82:                              ; =>This Inner Loop Header: Depth=1
	scratch_load_b64 v[76:77], off, s30
	v_dual_mov_b32 v75, s34 :: v_dual_add_nc_u32 v74, -1, v74
	s_add_co_i32 s34, s34, 8
	s_wait_xcnt 0x0
	s_add_co_i32 s30, s30, 8
	ds_load_b64 v[78:79], v75
	v_cmp_eq_u32_e32 vcc_lo, 0, v74
	s_or_b32 s0, vcc_lo, s0
	s_wait_loadcnt_dscnt 0x0
	v_pk_mul_f32 v[80:81], v[78:79], v[76:77] op_sel:[1,1] op_sel_hi:[0,1]
	s_delay_alu instid0(VALU_DEP_1) | instskip(SKIP_1) | instid1(VALU_DEP_2)
	v_pk_fma_f32 v[82:83], v[78:79], v[76:77], v[80:81] op_sel_hi:[1,0,1]
	v_pk_fma_f32 v[76:77], v[78:79], v[76:77], v[80:81] neg_lo:[0,0,1] neg_hi:[0,0,1]
	v_mov_b32_e32 v77, v83
	s_delay_alu instid0(VALU_DEP_1)
	v_pk_add_f32 v[72:73], v[72:73], v[76:77]
	s_and_not1_b32 exec_lo, exec_lo, s0
	s_cbranch_execnz .LBB97_82
; %bb.83:
	s_or_b32 exec_lo, exec_lo, s0
.LBB97_84:
	s_delay_alu instid0(SALU_CYCLE_1) | instskip(SKIP_4) | instid1(VALU_DEP_1)
	s_or_b32 exec_lo, exec_lo, s33
	v_mov_b32_e32 v74, 0
	ds_load_b64 v[74:75], v74 offset:200
	s_wait_dscnt 0x0
	v_pk_mul_f32 v[76:77], v[72:73], v[74:75] op_sel:[1,1] op_sel_hi:[0,1]
	v_pk_fma_f32 v[78:79], v[72:73], v[74:75], v[76:77] op_sel_hi:[1,0,1]
	v_pk_fma_f32 v[72:73], v[72:73], v[74:75], v[76:77] neg_lo:[0,0,1] neg_hi:[0,0,1]
	s_delay_alu instid0(VALU_DEP_2)
	v_mov_b32_e32 v73, v79
	scratch_store_b64 off, v[72:73], off offset:200
.LBB97_85:
	s_wait_xcnt 0x0
	s_or_b32 exec_lo, exec_lo, s31
	scratch_load_b64 v[72:73], off, off offset:192
	v_cmp_lt_u32_e64 s0, 24, v0
	s_wait_loadcnt 0x0
	ds_store_b64 v1, v[72:73]
	s_wait_storecnt_dscnt 0x0
	s_barrier_signal -1
	s_barrier_wait -1
	s_wait_xcnt 0x0
	s_and_saveexec_b32 s30, s0
	s_cbranch_execz .LBB97_95
; %bb.86:
	s_and_not1_b32 vcc_lo, exec_lo, s3
	s_cbranch_vccnz .LBB97_88
; %bb.87:
	scratch_load_b64 v[72:73], v59, off
	ds_load_b64 v[74:75], v1
	s_wait_loadcnt_dscnt 0x0
	v_pk_mul_f32 v[76:77], v[74:75], v[72:73] op_sel:[1,1] op_sel_hi:[0,1]
	s_delay_alu instid0(VALU_DEP_1) | instskip(SKIP_1) | instid1(VALU_DEP_2)
	v_pk_fma_f32 v[78:79], v[74:75], v[72:73], v[76:77] op_sel_hi:[1,0,1]
	v_pk_fma_f32 v[72:73], v[74:75], v[72:73], v[76:77] neg_lo:[0,0,1] neg_hi:[0,0,1]
	v_mov_b32_e32 v73, v79
	s_cbranch_execz .LBB97_89
	s_branch .LBB97_90
.LBB97_88:
                                        ; implicit-def: $vgpr72_vgpr73
.LBB97_89:
	ds_load_b64 v[72:73], v1
.LBB97_90:
	s_and_saveexec_b32 s31, s1
	s_cbranch_execz .LBB97_94
; %bb.91:
	v_subrev_nc_u32_e32 v74, 25, v0
	s_movk_i32 s33, 0x1d8
	s_mov_b32 s1, 0
.LBB97_92:                              ; =>This Inner Loop Header: Depth=1
	scratch_load_b64 v[76:77], off, s29
	v_dual_mov_b32 v75, s33 :: v_dual_add_nc_u32 v74, -1, v74
	s_add_co_i32 s33, s33, 8
	s_wait_xcnt 0x0
	s_add_co_i32 s29, s29, 8
	ds_load_b64 v[78:79], v75
	v_cmp_eq_u32_e32 vcc_lo, 0, v74
	s_or_b32 s1, vcc_lo, s1
	s_wait_loadcnt_dscnt 0x0
	v_pk_mul_f32 v[80:81], v[78:79], v[76:77] op_sel:[1,1] op_sel_hi:[0,1]
	s_delay_alu instid0(VALU_DEP_1) | instskip(SKIP_1) | instid1(VALU_DEP_2)
	v_pk_fma_f32 v[82:83], v[78:79], v[76:77], v[80:81] op_sel_hi:[1,0,1]
	v_pk_fma_f32 v[76:77], v[78:79], v[76:77], v[80:81] neg_lo:[0,0,1] neg_hi:[0,0,1]
	v_mov_b32_e32 v77, v83
	s_delay_alu instid0(VALU_DEP_1)
	v_pk_add_f32 v[72:73], v[72:73], v[76:77]
	s_and_not1_b32 exec_lo, exec_lo, s1
	s_cbranch_execnz .LBB97_92
; %bb.93:
	s_or_b32 exec_lo, exec_lo, s1
.LBB97_94:
	s_delay_alu instid0(SALU_CYCLE_1) | instskip(SKIP_4) | instid1(VALU_DEP_1)
	s_or_b32 exec_lo, exec_lo, s31
	v_mov_b32_e32 v74, 0
	ds_load_b64 v[74:75], v74 offset:192
	s_wait_dscnt 0x0
	v_pk_mul_f32 v[76:77], v[72:73], v[74:75] op_sel:[1,1] op_sel_hi:[0,1]
	v_pk_fma_f32 v[78:79], v[72:73], v[74:75], v[76:77] op_sel_hi:[1,0,1]
	v_pk_fma_f32 v[72:73], v[72:73], v[74:75], v[76:77] neg_lo:[0,0,1] neg_hi:[0,0,1]
	s_delay_alu instid0(VALU_DEP_2)
	v_mov_b32_e32 v73, v79
	scratch_store_b64 off, v[72:73], off offset:192
.LBB97_95:
	s_wait_xcnt 0x0
	s_or_b32 exec_lo, exec_lo, s30
	scratch_load_b64 v[72:73], off, off offset:184
	v_cmp_lt_u32_e64 s1, 23, v0
	s_wait_loadcnt 0x0
	ds_store_b64 v1, v[72:73]
	s_wait_storecnt_dscnt 0x0
	s_barrier_signal -1
	s_barrier_wait -1
	s_wait_xcnt 0x0
	s_and_saveexec_b32 s29, s1
	s_cbranch_execz .LBB97_105
; %bb.96:
	s_and_not1_b32 vcc_lo, exec_lo, s3
	s_cbranch_vccnz .LBB97_98
; %bb.97:
	scratch_load_b64 v[72:73], v59, off
	ds_load_b64 v[74:75], v1
	s_wait_loadcnt_dscnt 0x0
	v_pk_mul_f32 v[76:77], v[74:75], v[72:73] op_sel:[1,1] op_sel_hi:[0,1]
	s_delay_alu instid0(VALU_DEP_1) | instskip(SKIP_1) | instid1(VALU_DEP_2)
	v_pk_fma_f32 v[78:79], v[74:75], v[72:73], v[76:77] op_sel_hi:[1,0,1]
	v_pk_fma_f32 v[72:73], v[74:75], v[72:73], v[76:77] neg_lo:[0,0,1] neg_hi:[0,0,1]
	v_mov_b32_e32 v73, v79
	s_cbranch_execz .LBB97_99
	s_branch .LBB97_100
.LBB97_98:
                                        ; implicit-def: $vgpr72_vgpr73
.LBB97_99:
	ds_load_b64 v[72:73], v1
.LBB97_100:
	s_and_saveexec_b32 s30, s0
	s_cbranch_execz .LBB97_104
; %bb.101:
	v_subrev_nc_u32_e32 v74, 24, v0
	s_movk_i32 s31, 0x1d0
	s_mov_b32 s0, 0
.LBB97_102:                             ; =>This Inner Loop Header: Depth=1
	scratch_load_b64 v[76:77], off, s28
	v_dual_mov_b32 v75, s31 :: v_dual_add_nc_u32 v74, -1, v74
	s_add_co_i32 s31, s31, 8
	s_wait_xcnt 0x0
	s_add_co_i32 s28, s28, 8
	ds_load_b64 v[78:79], v75
	v_cmp_eq_u32_e32 vcc_lo, 0, v74
	s_or_b32 s0, vcc_lo, s0
	s_wait_loadcnt_dscnt 0x0
	v_pk_mul_f32 v[80:81], v[78:79], v[76:77] op_sel:[1,1] op_sel_hi:[0,1]
	s_delay_alu instid0(VALU_DEP_1) | instskip(SKIP_1) | instid1(VALU_DEP_2)
	v_pk_fma_f32 v[82:83], v[78:79], v[76:77], v[80:81] op_sel_hi:[1,0,1]
	v_pk_fma_f32 v[76:77], v[78:79], v[76:77], v[80:81] neg_lo:[0,0,1] neg_hi:[0,0,1]
	v_mov_b32_e32 v77, v83
	s_delay_alu instid0(VALU_DEP_1)
	v_pk_add_f32 v[72:73], v[72:73], v[76:77]
	s_and_not1_b32 exec_lo, exec_lo, s0
	s_cbranch_execnz .LBB97_102
; %bb.103:
	s_or_b32 exec_lo, exec_lo, s0
.LBB97_104:
	s_delay_alu instid0(SALU_CYCLE_1) | instskip(SKIP_4) | instid1(VALU_DEP_1)
	s_or_b32 exec_lo, exec_lo, s30
	v_mov_b32_e32 v74, 0
	ds_load_b64 v[74:75], v74 offset:184
	s_wait_dscnt 0x0
	v_pk_mul_f32 v[76:77], v[72:73], v[74:75] op_sel:[1,1] op_sel_hi:[0,1]
	v_pk_fma_f32 v[78:79], v[72:73], v[74:75], v[76:77] op_sel_hi:[1,0,1]
	v_pk_fma_f32 v[72:73], v[72:73], v[74:75], v[76:77] neg_lo:[0,0,1] neg_hi:[0,0,1]
	s_delay_alu instid0(VALU_DEP_2)
	v_mov_b32_e32 v73, v79
	scratch_store_b64 off, v[72:73], off offset:184
.LBB97_105:
	s_wait_xcnt 0x0
	s_or_b32 exec_lo, exec_lo, s29
	scratch_load_b64 v[72:73], off, off offset:176
	v_cmp_lt_u32_e64 s0, 22, v0
	s_wait_loadcnt 0x0
	ds_store_b64 v1, v[72:73]
	s_wait_storecnt_dscnt 0x0
	s_barrier_signal -1
	s_barrier_wait -1
	s_wait_xcnt 0x0
	s_and_saveexec_b32 s28, s0
	s_cbranch_execz .LBB97_115
; %bb.106:
	s_and_not1_b32 vcc_lo, exec_lo, s3
	s_cbranch_vccnz .LBB97_108
; %bb.107:
	scratch_load_b64 v[72:73], v59, off
	ds_load_b64 v[74:75], v1
	s_wait_loadcnt_dscnt 0x0
	v_pk_mul_f32 v[76:77], v[74:75], v[72:73] op_sel:[1,1] op_sel_hi:[0,1]
	s_delay_alu instid0(VALU_DEP_1) | instskip(SKIP_1) | instid1(VALU_DEP_2)
	v_pk_fma_f32 v[78:79], v[74:75], v[72:73], v[76:77] op_sel_hi:[1,0,1]
	v_pk_fma_f32 v[72:73], v[74:75], v[72:73], v[76:77] neg_lo:[0,0,1] neg_hi:[0,0,1]
	v_mov_b32_e32 v73, v79
	s_cbranch_execz .LBB97_109
	s_branch .LBB97_110
.LBB97_108:
                                        ; implicit-def: $vgpr72_vgpr73
.LBB97_109:
	ds_load_b64 v[72:73], v1
.LBB97_110:
	s_and_saveexec_b32 s29, s1
	s_cbranch_execz .LBB97_114
; %bb.111:
	v_subrev_nc_u32_e32 v74, 23, v0
	s_movk_i32 s30, 0x1c8
	s_mov_b32 s1, 0
.LBB97_112:                             ; =>This Inner Loop Header: Depth=1
	scratch_load_b64 v[76:77], off, s27
	v_dual_mov_b32 v75, s30 :: v_dual_add_nc_u32 v74, -1, v74
	s_add_co_i32 s30, s30, 8
	s_wait_xcnt 0x0
	s_add_co_i32 s27, s27, 8
	ds_load_b64 v[78:79], v75
	v_cmp_eq_u32_e32 vcc_lo, 0, v74
	s_or_b32 s1, vcc_lo, s1
	s_wait_loadcnt_dscnt 0x0
	v_pk_mul_f32 v[80:81], v[78:79], v[76:77] op_sel:[1,1] op_sel_hi:[0,1]
	s_delay_alu instid0(VALU_DEP_1) | instskip(SKIP_1) | instid1(VALU_DEP_2)
	v_pk_fma_f32 v[82:83], v[78:79], v[76:77], v[80:81] op_sel_hi:[1,0,1]
	v_pk_fma_f32 v[76:77], v[78:79], v[76:77], v[80:81] neg_lo:[0,0,1] neg_hi:[0,0,1]
	v_mov_b32_e32 v77, v83
	s_delay_alu instid0(VALU_DEP_1)
	v_pk_add_f32 v[72:73], v[72:73], v[76:77]
	s_and_not1_b32 exec_lo, exec_lo, s1
	s_cbranch_execnz .LBB97_112
; %bb.113:
	s_or_b32 exec_lo, exec_lo, s1
.LBB97_114:
	s_delay_alu instid0(SALU_CYCLE_1) | instskip(SKIP_4) | instid1(VALU_DEP_1)
	s_or_b32 exec_lo, exec_lo, s29
	v_mov_b32_e32 v74, 0
	ds_load_b64 v[74:75], v74 offset:176
	s_wait_dscnt 0x0
	v_pk_mul_f32 v[76:77], v[72:73], v[74:75] op_sel:[1,1] op_sel_hi:[0,1]
	v_pk_fma_f32 v[78:79], v[72:73], v[74:75], v[76:77] op_sel_hi:[1,0,1]
	v_pk_fma_f32 v[72:73], v[72:73], v[74:75], v[76:77] neg_lo:[0,0,1] neg_hi:[0,0,1]
	s_delay_alu instid0(VALU_DEP_2)
	v_mov_b32_e32 v73, v79
	scratch_store_b64 off, v[72:73], off offset:176
.LBB97_115:
	s_wait_xcnt 0x0
	s_or_b32 exec_lo, exec_lo, s28
	scratch_load_b64 v[72:73], off, off offset:168
	v_cmp_lt_u32_e64 s1, 21, v0
	s_wait_loadcnt 0x0
	ds_store_b64 v1, v[72:73]
	s_wait_storecnt_dscnt 0x0
	s_barrier_signal -1
	s_barrier_wait -1
	s_wait_xcnt 0x0
	s_and_saveexec_b32 s27, s1
	s_cbranch_execz .LBB97_125
; %bb.116:
	s_and_not1_b32 vcc_lo, exec_lo, s3
	s_cbranch_vccnz .LBB97_118
; %bb.117:
	scratch_load_b64 v[72:73], v59, off
	ds_load_b64 v[74:75], v1
	s_wait_loadcnt_dscnt 0x0
	v_pk_mul_f32 v[76:77], v[74:75], v[72:73] op_sel:[1,1] op_sel_hi:[0,1]
	s_delay_alu instid0(VALU_DEP_1) | instskip(SKIP_1) | instid1(VALU_DEP_2)
	v_pk_fma_f32 v[78:79], v[74:75], v[72:73], v[76:77] op_sel_hi:[1,0,1]
	v_pk_fma_f32 v[72:73], v[74:75], v[72:73], v[76:77] neg_lo:[0,0,1] neg_hi:[0,0,1]
	v_mov_b32_e32 v73, v79
	s_cbranch_execz .LBB97_119
	s_branch .LBB97_120
.LBB97_118:
                                        ; implicit-def: $vgpr72_vgpr73
.LBB97_119:
	ds_load_b64 v[72:73], v1
.LBB97_120:
	s_and_saveexec_b32 s28, s0
	s_cbranch_execz .LBB97_124
; %bb.121:
	v_subrev_nc_u32_e32 v74, 22, v0
	s_movk_i32 s29, 0x1c0
	s_mov_b32 s0, 0
.LBB97_122:                             ; =>This Inner Loop Header: Depth=1
	scratch_load_b64 v[76:77], off, s26
	v_dual_mov_b32 v75, s29 :: v_dual_add_nc_u32 v74, -1, v74
	s_add_co_i32 s29, s29, 8
	s_wait_xcnt 0x0
	s_add_co_i32 s26, s26, 8
	ds_load_b64 v[78:79], v75
	v_cmp_eq_u32_e32 vcc_lo, 0, v74
	s_or_b32 s0, vcc_lo, s0
	s_wait_loadcnt_dscnt 0x0
	v_pk_mul_f32 v[80:81], v[78:79], v[76:77] op_sel:[1,1] op_sel_hi:[0,1]
	s_delay_alu instid0(VALU_DEP_1) | instskip(SKIP_1) | instid1(VALU_DEP_2)
	v_pk_fma_f32 v[82:83], v[78:79], v[76:77], v[80:81] op_sel_hi:[1,0,1]
	v_pk_fma_f32 v[76:77], v[78:79], v[76:77], v[80:81] neg_lo:[0,0,1] neg_hi:[0,0,1]
	v_mov_b32_e32 v77, v83
	s_delay_alu instid0(VALU_DEP_1)
	v_pk_add_f32 v[72:73], v[72:73], v[76:77]
	s_and_not1_b32 exec_lo, exec_lo, s0
	s_cbranch_execnz .LBB97_122
; %bb.123:
	s_or_b32 exec_lo, exec_lo, s0
.LBB97_124:
	s_delay_alu instid0(SALU_CYCLE_1) | instskip(SKIP_4) | instid1(VALU_DEP_1)
	s_or_b32 exec_lo, exec_lo, s28
	v_mov_b32_e32 v74, 0
	ds_load_b64 v[74:75], v74 offset:168
	s_wait_dscnt 0x0
	v_pk_mul_f32 v[76:77], v[72:73], v[74:75] op_sel:[1,1] op_sel_hi:[0,1]
	v_pk_fma_f32 v[78:79], v[72:73], v[74:75], v[76:77] op_sel_hi:[1,0,1]
	v_pk_fma_f32 v[72:73], v[72:73], v[74:75], v[76:77] neg_lo:[0,0,1] neg_hi:[0,0,1]
	s_delay_alu instid0(VALU_DEP_2)
	v_mov_b32_e32 v73, v79
	scratch_store_b64 off, v[72:73], off offset:168
.LBB97_125:
	s_wait_xcnt 0x0
	s_or_b32 exec_lo, exec_lo, s27
	scratch_load_b64 v[72:73], off, off offset:160
	v_cmp_lt_u32_e64 s0, 20, v0
	s_wait_loadcnt 0x0
	ds_store_b64 v1, v[72:73]
	s_wait_storecnt_dscnt 0x0
	s_barrier_signal -1
	s_barrier_wait -1
	s_wait_xcnt 0x0
	s_and_saveexec_b32 s26, s0
	s_cbranch_execz .LBB97_135
; %bb.126:
	s_and_not1_b32 vcc_lo, exec_lo, s3
	s_cbranch_vccnz .LBB97_128
; %bb.127:
	scratch_load_b64 v[72:73], v59, off
	ds_load_b64 v[74:75], v1
	s_wait_loadcnt_dscnt 0x0
	v_pk_mul_f32 v[76:77], v[74:75], v[72:73] op_sel:[1,1] op_sel_hi:[0,1]
	s_delay_alu instid0(VALU_DEP_1) | instskip(SKIP_1) | instid1(VALU_DEP_2)
	v_pk_fma_f32 v[78:79], v[74:75], v[72:73], v[76:77] op_sel_hi:[1,0,1]
	v_pk_fma_f32 v[72:73], v[74:75], v[72:73], v[76:77] neg_lo:[0,0,1] neg_hi:[0,0,1]
	v_mov_b32_e32 v73, v79
	s_cbranch_execz .LBB97_129
	s_branch .LBB97_130
.LBB97_128:
                                        ; implicit-def: $vgpr72_vgpr73
.LBB97_129:
	ds_load_b64 v[72:73], v1
.LBB97_130:
	s_and_saveexec_b32 s27, s1
	s_cbranch_execz .LBB97_134
; %bb.131:
	v_subrev_nc_u32_e32 v74, 21, v0
	s_movk_i32 s28, 0x1b8
	s_mov_b32 s1, 0
.LBB97_132:                             ; =>This Inner Loop Header: Depth=1
	scratch_load_b64 v[76:77], off, s25
	v_dual_mov_b32 v75, s28 :: v_dual_add_nc_u32 v74, -1, v74
	s_add_co_i32 s28, s28, 8
	s_wait_xcnt 0x0
	s_add_co_i32 s25, s25, 8
	ds_load_b64 v[78:79], v75
	v_cmp_eq_u32_e32 vcc_lo, 0, v74
	s_or_b32 s1, vcc_lo, s1
	s_wait_loadcnt_dscnt 0x0
	v_pk_mul_f32 v[80:81], v[78:79], v[76:77] op_sel:[1,1] op_sel_hi:[0,1]
	s_delay_alu instid0(VALU_DEP_1) | instskip(SKIP_1) | instid1(VALU_DEP_2)
	v_pk_fma_f32 v[82:83], v[78:79], v[76:77], v[80:81] op_sel_hi:[1,0,1]
	v_pk_fma_f32 v[76:77], v[78:79], v[76:77], v[80:81] neg_lo:[0,0,1] neg_hi:[0,0,1]
	v_mov_b32_e32 v77, v83
	s_delay_alu instid0(VALU_DEP_1)
	v_pk_add_f32 v[72:73], v[72:73], v[76:77]
	s_and_not1_b32 exec_lo, exec_lo, s1
	s_cbranch_execnz .LBB97_132
; %bb.133:
	s_or_b32 exec_lo, exec_lo, s1
.LBB97_134:
	s_delay_alu instid0(SALU_CYCLE_1) | instskip(SKIP_4) | instid1(VALU_DEP_1)
	s_or_b32 exec_lo, exec_lo, s27
	v_mov_b32_e32 v74, 0
	ds_load_b64 v[74:75], v74 offset:160
	s_wait_dscnt 0x0
	v_pk_mul_f32 v[76:77], v[72:73], v[74:75] op_sel:[1,1] op_sel_hi:[0,1]
	v_pk_fma_f32 v[78:79], v[72:73], v[74:75], v[76:77] op_sel_hi:[1,0,1]
	v_pk_fma_f32 v[72:73], v[72:73], v[74:75], v[76:77] neg_lo:[0,0,1] neg_hi:[0,0,1]
	s_delay_alu instid0(VALU_DEP_2)
	v_mov_b32_e32 v73, v79
	scratch_store_b64 off, v[72:73], off offset:160
.LBB97_135:
	s_wait_xcnt 0x0
	s_or_b32 exec_lo, exec_lo, s26
	scratch_load_b64 v[72:73], off, off offset:152
	v_cmp_lt_u32_e64 s1, 19, v0
	s_wait_loadcnt 0x0
	ds_store_b64 v1, v[72:73]
	s_wait_storecnt_dscnt 0x0
	s_barrier_signal -1
	s_barrier_wait -1
	s_wait_xcnt 0x0
	s_and_saveexec_b32 s25, s1
	s_cbranch_execz .LBB97_145
; %bb.136:
	s_and_not1_b32 vcc_lo, exec_lo, s3
	s_cbranch_vccnz .LBB97_138
; %bb.137:
	scratch_load_b64 v[72:73], v59, off
	ds_load_b64 v[74:75], v1
	s_wait_loadcnt_dscnt 0x0
	v_pk_mul_f32 v[76:77], v[74:75], v[72:73] op_sel:[1,1] op_sel_hi:[0,1]
	s_delay_alu instid0(VALU_DEP_1) | instskip(SKIP_1) | instid1(VALU_DEP_2)
	v_pk_fma_f32 v[78:79], v[74:75], v[72:73], v[76:77] op_sel_hi:[1,0,1]
	v_pk_fma_f32 v[72:73], v[74:75], v[72:73], v[76:77] neg_lo:[0,0,1] neg_hi:[0,0,1]
	v_mov_b32_e32 v73, v79
	s_cbranch_execz .LBB97_139
	s_branch .LBB97_140
.LBB97_138:
                                        ; implicit-def: $vgpr72_vgpr73
.LBB97_139:
	ds_load_b64 v[72:73], v1
.LBB97_140:
	s_and_saveexec_b32 s26, s0
	s_cbranch_execz .LBB97_144
; %bb.141:
	v_subrev_nc_u32_e32 v74, 20, v0
	s_movk_i32 s27, 0x1b0
	s_mov_b32 s0, 0
.LBB97_142:                             ; =>This Inner Loop Header: Depth=1
	scratch_load_b64 v[76:77], off, s24
	v_dual_mov_b32 v75, s27 :: v_dual_add_nc_u32 v74, -1, v74
	s_add_co_i32 s27, s27, 8
	s_wait_xcnt 0x0
	s_add_co_i32 s24, s24, 8
	ds_load_b64 v[78:79], v75
	v_cmp_eq_u32_e32 vcc_lo, 0, v74
	s_or_b32 s0, vcc_lo, s0
	s_wait_loadcnt_dscnt 0x0
	v_pk_mul_f32 v[80:81], v[78:79], v[76:77] op_sel:[1,1] op_sel_hi:[0,1]
	s_delay_alu instid0(VALU_DEP_1) | instskip(SKIP_1) | instid1(VALU_DEP_2)
	v_pk_fma_f32 v[82:83], v[78:79], v[76:77], v[80:81] op_sel_hi:[1,0,1]
	v_pk_fma_f32 v[76:77], v[78:79], v[76:77], v[80:81] neg_lo:[0,0,1] neg_hi:[0,0,1]
	v_mov_b32_e32 v77, v83
	s_delay_alu instid0(VALU_DEP_1)
	v_pk_add_f32 v[72:73], v[72:73], v[76:77]
	s_and_not1_b32 exec_lo, exec_lo, s0
	s_cbranch_execnz .LBB97_142
; %bb.143:
	s_or_b32 exec_lo, exec_lo, s0
.LBB97_144:
	s_delay_alu instid0(SALU_CYCLE_1) | instskip(SKIP_4) | instid1(VALU_DEP_1)
	s_or_b32 exec_lo, exec_lo, s26
	v_mov_b32_e32 v74, 0
	ds_load_b64 v[74:75], v74 offset:152
	s_wait_dscnt 0x0
	v_pk_mul_f32 v[76:77], v[72:73], v[74:75] op_sel:[1,1] op_sel_hi:[0,1]
	v_pk_fma_f32 v[78:79], v[72:73], v[74:75], v[76:77] op_sel_hi:[1,0,1]
	v_pk_fma_f32 v[72:73], v[72:73], v[74:75], v[76:77] neg_lo:[0,0,1] neg_hi:[0,0,1]
	s_delay_alu instid0(VALU_DEP_2)
	v_mov_b32_e32 v73, v79
	scratch_store_b64 off, v[72:73], off offset:152
.LBB97_145:
	s_wait_xcnt 0x0
	s_or_b32 exec_lo, exec_lo, s25
	scratch_load_b64 v[72:73], off, off offset:144
	v_cmp_lt_u32_e64 s0, 18, v0
	s_wait_loadcnt 0x0
	ds_store_b64 v1, v[72:73]
	s_wait_storecnt_dscnt 0x0
	s_barrier_signal -1
	s_barrier_wait -1
	s_wait_xcnt 0x0
	s_and_saveexec_b32 s24, s0
	s_cbranch_execz .LBB97_155
; %bb.146:
	s_and_not1_b32 vcc_lo, exec_lo, s3
	s_cbranch_vccnz .LBB97_148
; %bb.147:
	scratch_load_b64 v[72:73], v59, off
	ds_load_b64 v[74:75], v1
	s_wait_loadcnt_dscnt 0x0
	v_pk_mul_f32 v[76:77], v[74:75], v[72:73] op_sel:[1,1] op_sel_hi:[0,1]
	s_delay_alu instid0(VALU_DEP_1) | instskip(SKIP_1) | instid1(VALU_DEP_2)
	v_pk_fma_f32 v[78:79], v[74:75], v[72:73], v[76:77] op_sel_hi:[1,0,1]
	v_pk_fma_f32 v[72:73], v[74:75], v[72:73], v[76:77] neg_lo:[0,0,1] neg_hi:[0,0,1]
	v_mov_b32_e32 v73, v79
	s_cbranch_execz .LBB97_149
	s_branch .LBB97_150
.LBB97_148:
                                        ; implicit-def: $vgpr72_vgpr73
.LBB97_149:
	ds_load_b64 v[72:73], v1
.LBB97_150:
	s_and_saveexec_b32 s25, s1
	s_cbranch_execz .LBB97_154
; %bb.151:
	v_subrev_nc_u32_e32 v74, 19, v0
	s_movk_i32 s26, 0x1a8
	s_mov_b32 s1, 0
.LBB97_152:                             ; =>This Inner Loop Header: Depth=1
	scratch_load_b64 v[76:77], off, s23
	v_dual_mov_b32 v75, s26 :: v_dual_add_nc_u32 v74, -1, v74
	s_add_co_i32 s26, s26, 8
	s_wait_xcnt 0x0
	s_add_co_i32 s23, s23, 8
	ds_load_b64 v[78:79], v75
	v_cmp_eq_u32_e32 vcc_lo, 0, v74
	s_or_b32 s1, vcc_lo, s1
	s_wait_loadcnt_dscnt 0x0
	v_pk_mul_f32 v[80:81], v[78:79], v[76:77] op_sel:[1,1] op_sel_hi:[0,1]
	s_delay_alu instid0(VALU_DEP_1) | instskip(SKIP_1) | instid1(VALU_DEP_2)
	v_pk_fma_f32 v[82:83], v[78:79], v[76:77], v[80:81] op_sel_hi:[1,0,1]
	v_pk_fma_f32 v[76:77], v[78:79], v[76:77], v[80:81] neg_lo:[0,0,1] neg_hi:[0,0,1]
	v_mov_b32_e32 v77, v83
	s_delay_alu instid0(VALU_DEP_1)
	v_pk_add_f32 v[72:73], v[72:73], v[76:77]
	s_and_not1_b32 exec_lo, exec_lo, s1
	s_cbranch_execnz .LBB97_152
; %bb.153:
	s_or_b32 exec_lo, exec_lo, s1
.LBB97_154:
	s_delay_alu instid0(SALU_CYCLE_1) | instskip(SKIP_4) | instid1(VALU_DEP_1)
	s_or_b32 exec_lo, exec_lo, s25
	v_mov_b32_e32 v74, 0
	ds_load_b64 v[74:75], v74 offset:144
	s_wait_dscnt 0x0
	v_pk_mul_f32 v[76:77], v[72:73], v[74:75] op_sel:[1,1] op_sel_hi:[0,1]
	v_pk_fma_f32 v[78:79], v[72:73], v[74:75], v[76:77] op_sel_hi:[1,0,1]
	v_pk_fma_f32 v[72:73], v[72:73], v[74:75], v[76:77] neg_lo:[0,0,1] neg_hi:[0,0,1]
	s_delay_alu instid0(VALU_DEP_2)
	v_mov_b32_e32 v73, v79
	scratch_store_b64 off, v[72:73], off offset:144
.LBB97_155:
	s_wait_xcnt 0x0
	s_or_b32 exec_lo, exec_lo, s24
	scratch_load_b64 v[72:73], off, off offset:136
	v_cmp_lt_u32_e64 s1, 17, v0
	s_wait_loadcnt 0x0
	ds_store_b64 v1, v[72:73]
	s_wait_storecnt_dscnt 0x0
	s_barrier_signal -1
	s_barrier_wait -1
	s_wait_xcnt 0x0
	s_and_saveexec_b32 s23, s1
	s_cbranch_execz .LBB97_165
; %bb.156:
	s_and_not1_b32 vcc_lo, exec_lo, s3
	s_cbranch_vccnz .LBB97_158
; %bb.157:
	scratch_load_b64 v[72:73], v59, off
	ds_load_b64 v[74:75], v1
	s_wait_loadcnt_dscnt 0x0
	v_pk_mul_f32 v[76:77], v[74:75], v[72:73] op_sel:[1,1] op_sel_hi:[0,1]
	s_delay_alu instid0(VALU_DEP_1) | instskip(SKIP_1) | instid1(VALU_DEP_2)
	v_pk_fma_f32 v[78:79], v[74:75], v[72:73], v[76:77] op_sel_hi:[1,0,1]
	v_pk_fma_f32 v[72:73], v[74:75], v[72:73], v[76:77] neg_lo:[0,0,1] neg_hi:[0,0,1]
	v_mov_b32_e32 v73, v79
	s_cbranch_execz .LBB97_159
	s_branch .LBB97_160
.LBB97_158:
                                        ; implicit-def: $vgpr72_vgpr73
.LBB97_159:
	ds_load_b64 v[72:73], v1
.LBB97_160:
	s_and_saveexec_b32 s24, s0
	s_cbranch_execz .LBB97_164
; %bb.161:
	v_subrev_nc_u32_e32 v74, 18, v0
	s_movk_i32 s25, 0x1a0
	s_mov_b32 s0, 0
.LBB97_162:                             ; =>This Inner Loop Header: Depth=1
	scratch_load_b64 v[76:77], off, s22
	v_dual_mov_b32 v75, s25 :: v_dual_add_nc_u32 v74, -1, v74
	s_add_co_i32 s25, s25, 8
	s_wait_xcnt 0x0
	s_add_co_i32 s22, s22, 8
	ds_load_b64 v[78:79], v75
	v_cmp_eq_u32_e32 vcc_lo, 0, v74
	s_or_b32 s0, vcc_lo, s0
	s_wait_loadcnt_dscnt 0x0
	v_pk_mul_f32 v[80:81], v[78:79], v[76:77] op_sel:[1,1] op_sel_hi:[0,1]
	s_delay_alu instid0(VALU_DEP_1) | instskip(SKIP_1) | instid1(VALU_DEP_2)
	v_pk_fma_f32 v[82:83], v[78:79], v[76:77], v[80:81] op_sel_hi:[1,0,1]
	v_pk_fma_f32 v[76:77], v[78:79], v[76:77], v[80:81] neg_lo:[0,0,1] neg_hi:[0,0,1]
	v_mov_b32_e32 v77, v83
	s_delay_alu instid0(VALU_DEP_1)
	v_pk_add_f32 v[72:73], v[72:73], v[76:77]
	s_and_not1_b32 exec_lo, exec_lo, s0
	s_cbranch_execnz .LBB97_162
; %bb.163:
	s_or_b32 exec_lo, exec_lo, s0
.LBB97_164:
	s_delay_alu instid0(SALU_CYCLE_1) | instskip(SKIP_4) | instid1(VALU_DEP_1)
	s_or_b32 exec_lo, exec_lo, s24
	v_mov_b32_e32 v74, 0
	ds_load_b64 v[74:75], v74 offset:136
	s_wait_dscnt 0x0
	v_pk_mul_f32 v[76:77], v[72:73], v[74:75] op_sel:[1,1] op_sel_hi:[0,1]
	v_pk_fma_f32 v[78:79], v[72:73], v[74:75], v[76:77] op_sel_hi:[1,0,1]
	v_pk_fma_f32 v[72:73], v[72:73], v[74:75], v[76:77] neg_lo:[0,0,1] neg_hi:[0,0,1]
	s_delay_alu instid0(VALU_DEP_2)
	v_mov_b32_e32 v73, v79
	scratch_store_b64 off, v[72:73], off offset:136
.LBB97_165:
	s_wait_xcnt 0x0
	s_or_b32 exec_lo, exec_lo, s23
	scratch_load_b64 v[72:73], off, off offset:128
	v_cmp_lt_u32_e64 s0, 16, v0
	s_wait_loadcnt 0x0
	ds_store_b64 v1, v[72:73]
	s_wait_storecnt_dscnt 0x0
	s_barrier_signal -1
	s_barrier_wait -1
	s_wait_xcnt 0x0
	s_and_saveexec_b32 s22, s0
	s_cbranch_execz .LBB97_175
; %bb.166:
	s_and_not1_b32 vcc_lo, exec_lo, s3
	s_cbranch_vccnz .LBB97_168
; %bb.167:
	scratch_load_b64 v[72:73], v59, off
	ds_load_b64 v[74:75], v1
	s_wait_loadcnt_dscnt 0x0
	v_pk_mul_f32 v[76:77], v[74:75], v[72:73] op_sel:[1,1] op_sel_hi:[0,1]
	s_delay_alu instid0(VALU_DEP_1) | instskip(SKIP_1) | instid1(VALU_DEP_2)
	v_pk_fma_f32 v[78:79], v[74:75], v[72:73], v[76:77] op_sel_hi:[1,0,1]
	v_pk_fma_f32 v[72:73], v[74:75], v[72:73], v[76:77] neg_lo:[0,0,1] neg_hi:[0,0,1]
	v_mov_b32_e32 v73, v79
	s_cbranch_execz .LBB97_169
	s_branch .LBB97_170
.LBB97_168:
                                        ; implicit-def: $vgpr72_vgpr73
.LBB97_169:
	ds_load_b64 v[72:73], v1
.LBB97_170:
	s_and_saveexec_b32 s23, s1
	s_cbranch_execz .LBB97_174
; %bb.171:
	v_subrev_nc_u32_e32 v74, 17, v0
	s_movk_i32 s24, 0x198
	s_mov_b32 s1, 0
.LBB97_172:                             ; =>This Inner Loop Header: Depth=1
	scratch_load_b64 v[76:77], off, s21
	v_dual_mov_b32 v75, s24 :: v_dual_add_nc_u32 v74, -1, v74
	s_add_co_i32 s24, s24, 8
	s_wait_xcnt 0x0
	s_add_co_i32 s21, s21, 8
	ds_load_b64 v[78:79], v75
	v_cmp_eq_u32_e32 vcc_lo, 0, v74
	s_or_b32 s1, vcc_lo, s1
	s_wait_loadcnt_dscnt 0x0
	v_pk_mul_f32 v[80:81], v[78:79], v[76:77] op_sel:[1,1] op_sel_hi:[0,1]
	s_delay_alu instid0(VALU_DEP_1) | instskip(SKIP_1) | instid1(VALU_DEP_2)
	v_pk_fma_f32 v[82:83], v[78:79], v[76:77], v[80:81] op_sel_hi:[1,0,1]
	v_pk_fma_f32 v[76:77], v[78:79], v[76:77], v[80:81] neg_lo:[0,0,1] neg_hi:[0,0,1]
	v_mov_b32_e32 v77, v83
	s_delay_alu instid0(VALU_DEP_1)
	v_pk_add_f32 v[72:73], v[72:73], v[76:77]
	s_and_not1_b32 exec_lo, exec_lo, s1
	s_cbranch_execnz .LBB97_172
; %bb.173:
	s_or_b32 exec_lo, exec_lo, s1
.LBB97_174:
	s_delay_alu instid0(SALU_CYCLE_1) | instskip(SKIP_4) | instid1(VALU_DEP_1)
	s_or_b32 exec_lo, exec_lo, s23
	v_mov_b32_e32 v74, 0
	ds_load_b64 v[74:75], v74 offset:128
	s_wait_dscnt 0x0
	v_pk_mul_f32 v[76:77], v[72:73], v[74:75] op_sel:[1,1] op_sel_hi:[0,1]
	v_pk_fma_f32 v[78:79], v[72:73], v[74:75], v[76:77] op_sel_hi:[1,0,1]
	v_pk_fma_f32 v[72:73], v[72:73], v[74:75], v[76:77] neg_lo:[0,0,1] neg_hi:[0,0,1]
	s_delay_alu instid0(VALU_DEP_2)
	v_mov_b32_e32 v73, v79
	scratch_store_b64 off, v[72:73], off offset:128
.LBB97_175:
	s_wait_xcnt 0x0
	s_or_b32 exec_lo, exec_lo, s22
	scratch_load_b64 v[72:73], off, off offset:120
	v_cmp_lt_u32_e64 s1, 15, v0
	s_wait_loadcnt 0x0
	ds_store_b64 v1, v[72:73]
	s_wait_storecnt_dscnt 0x0
	s_barrier_signal -1
	s_barrier_wait -1
	s_wait_xcnt 0x0
	s_and_saveexec_b32 s21, s1
	s_cbranch_execz .LBB97_185
; %bb.176:
	s_and_not1_b32 vcc_lo, exec_lo, s3
	s_cbranch_vccnz .LBB97_178
; %bb.177:
	scratch_load_b64 v[72:73], v59, off
	ds_load_b64 v[74:75], v1
	s_wait_loadcnt_dscnt 0x0
	v_pk_mul_f32 v[76:77], v[74:75], v[72:73] op_sel:[1,1] op_sel_hi:[0,1]
	s_delay_alu instid0(VALU_DEP_1) | instskip(SKIP_1) | instid1(VALU_DEP_2)
	v_pk_fma_f32 v[78:79], v[74:75], v[72:73], v[76:77] op_sel_hi:[1,0,1]
	v_pk_fma_f32 v[72:73], v[74:75], v[72:73], v[76:77] neg_lo:[0,0,1] neg_hi:[0,0,1]
	v_mov_b32_e32 v73, v79
	s_cbranch_execz .LBB97_179
	s_branch .LBB97_180
.LBB97_178:
                                        ; implicit-def: $vgpr72_vgpr73
.LBB97_179:
	ds_load_b64 v[72:73], v1
.LBB97_180:
	s_and_saveexec_b32 s22, s0
	s_cbranch_execz .LBB97_184
; %bb.181:
	v_add_nc_u32_e32 v74, -16, v0
	s_movk_i32 s23, 0x190
	s_mov_b32 s0, 0
.LBB97_182:                             ; =>This Inner Loop Header: Depth=1
	scratch_load_b64 v[76:77], off, s20
	v_dual_mov_b32 v75, s23 :: v_dual_add_nc_u32 v74, -1, v74
	s_add_co_i32 s23, s23, 8
	s_wait_xcnt 0x0
	s_add_co_i32 s20, s20, 8
	ds_load_b64 v[78:79], v75
	v_cmp_eq_u32_e32 vcc_lo, 0, v74
	s_or_b32 s0, vcc_lo, s0
	s_wait_loadcnt_dscnt 0x0
	v_pk_mul_f32 v[80:81], v[78:79], v[76:77] op_sel:[1,1] op_sel_hi:[0,1]
	s_delay_alu instid0(VALU_DEP_1) | instskip(SKIP_1) | instid1(VALU_DEP_2)
	v_pk_fma_f32 v[82:83], v[78:79], v[76:77], v[80:81] op_sel_hi:[1,0,1]
	v_pk_fma_f32 v[76:77], v[78:79], v[76:77], v[80:81] neg_lo:[0,0,1] neg_hi:[0,0,1]
	v_mov_b32_e32 v77, v83
	s_delay_alu instid0(VALU_DEP_1)
	v_pk_add_f32 v[72:73], v[72:73], v[76:77]
	s_and_not1_b32 exec_lo, exec_lo, s0
	s_cbranch_execnz .LBB97_182
; %bb.183:
	s_or_b32 exec_lo, exec_lo, s0
.LBB97_184:
	s_delay_alu instid0(SALU_CYCLE_1) | instskip(SKIP_4) | instid1(VALU_DEP_1)
	s_or_b32 exec_lo, exec_lo, s22
	v_mov_b32_e32 v74, 0
	ds_load_b64 v[74:75], v74 offset:120
	s_wait_dscnt 0x0
	v_pk_mul_f32 v[76:77], v[72:73], v[74:75] op_sel:[1,1] op_sel_hi:[0,1]
	v_pk_fma_f32 v[78:79], v[72:73], v[74:75], v[76:77] op_sel_hi:[1,0,1]
	v_pk_fma_f32 v[72:73], v[72:73], v[74:75], v[76:77] neg_lo:[0,0,1] neg_hi:[0,0,1]
	s_delay_alu instid0(VALU_DEP_2)
	v_mov_b32_e32 v73, v79
	scratch_store_b64 off, v[72:73], off offset:120
.LBB97_185:
	s_wait_xcnt 0x0
	s_or_b32 exec_lo, exec_lo, s21
	scratch_load_b64 v[72:73], off, off offset:112
	v_cmp_lt_u32_e64 s0, 14, v0
	s_wait_loadcnt 0x0
	ds_store_b64 v1, v[72:73]
	s_wait_storecnt_dscnt 0x0
	s_barrier_signal -1
	s_barrier_wait -1
	s_wait_xcnt 0x0
	s_and_saveexec_b32 s20, s0
	s_cbranch_execz .LBB97_195
; %bb.186:
	s_and_not1_b32 vcc_lo, exec_lo, s3
	s_cbranch_vccnz .LBB97_188
; %bb.187:
	scratch_load_b64 v[72:73], v59, off
	ds_load_b64 v[74:75], v1
	s_wait_loadcnt_dscnt 0x0
	v_pk_mul_f32 v[76:77], v[74:75], v[72:73] op_sel:[1,1] op_sel_hi:[0,1]
	s_delay_alu instid0(VALU_DEP_1) | instskip(SKIP_1) | instid1(VALU_DEP_2)
	v_pk_fma_f32 v[78:79], v[74:75], v[72:73], v[76:77] op_sel_hi:[1,0,1]
	v_pk_fma_f32 v[72:73], v[74:75], v[72:73], v[76:77] neg_lo:[0,0,1] neg_hi:[0,0,1]
	v_mov_b32_e32 v73, v79
	s_cbranch_execz .LBB97_189
	s_branch .LBB97_190
.LBB97_188:
                                        ; implicit-def: $vgpr72_vgpr73
.LBB97_189:
	ds_load_b64 v[72:73], v1
.LBB97_190:
	s_and_saveexec_b32 s21, s1
	s_cbranch_execz .LBB97_194
; %bb.191:
	v_add_nc_u32_e32 v74, -15, v0
	s_movk_i32 s22, 0x188
	s_mov_b32 s1, 0
.LBB97_192:                             ; =>This Inner Loop Header: Depth=1
	scratch_load_b64 v[76:77], off, s19
	v_dual_mov_b32 v75, s22 :: v_dual_add_nc_u32 v74, -1, v74
	s_add_co_i32 s22, s22, 8
	s_wait_xcnt 0x0
	s_add_co_i32 s19, s19, 8
	ds_load_b64 v[78:79], v75
	v_cmp_eq_u32_e32 vcc_lo, 0, v74
	s_or_b32 s1, vcc_lo, s1
	s_wait_loadcnt_dscnt 0x0
	v_pk_mul_f32 v[80:81], v[78:79], v[76:77] op_sel:[1,1] op_sel_hi:[0,1]
	s_delay_alu instid0(VALU_DEP_1) | instskip(SKIP_1) | instid1(VALU_DEP_2)
	v_pk_fma_f32 v[82:83], v[78:79], v[76:77], v[80:81] op_sel_hi:[1,0,1]
	v_pk_fma_f32 v[76:77], v[78:79], v[76:77], v[80:81] neg_lo:[0,0,1] neg_hi:[0,0,1]
	v_mov_b32_e32 v77, v83
	s_delay_alu instid0(VALU_DEP_1)
	v_pk_add_f32 v[72:73], v[72:73], v[76:77]
	s_and_not1_b32 exec_lo, exec_lo, s1
	s_cbranch_execnz .LBB97_192
; %bb.193:
	s_or_b32 exec_lo, exec_lo, s1
.LBB97_194:
	s_delay_alu instid0(SALU_CYCLE_1) | instskip(SKIP_4) | instid1(VALU_DEP_1)
	s_or_b32 exec_lo, exec_lo, s21
	v_mov_b32_e32 v74, 0
	ds_load_b64 v[74:75], v74 offset:112
	s_wait_dscnt 0x0
	v_pk_mul_f32 v[76:77], v[72:73], v[74:75] op_sel:[1,1] op_sel_hi:[0,1]
	v_pk_fma_f32 v[78:79], v[72:73], v[74:75], v[76:77] op_sel_hi:[1,0,1]
	v_pk_fma_f32 v[72:73], v[72:73], v[74:75], v[76:77] neg_lo:[0,0,1] neg_hi:[0,0,1]
	s_delay_alu instid0(VALU_DEP_2)
	v_mov_b32_e32 v73, v79
	scratch_store_b64 off, v[72:73], off offset:112
.LBB97_195:
	s_wait_xcnt 0x0
	s_or_b32 exec_lo, exec_lo, s20
	scratch_load_b64 v[72:73], off, off offset:104
	v_cmp_lt_u32_e64 s1, 13, v0
	s_wait_loadcnt 0x0
	ds_store_b64 v1, v[72:73]
	s_wait_storecnt_dscnt 0x0
	s_barrier_signal -1
	s_barrier_wait -1
	s_wait_xcnt 0x0
	s_and_saveexec_b32 s19, s1
	s_cbranch_execz .LBB97_205
; %bb.196:
	s_and_not1_b32 vcc_lo, exec_lo, s3
	s_cbranch_vccnz .LBB97_198
; %bb.197:
	scratch_load_b64 v[72:73], v59, off
	ds_load_b64 v[74:75], v1
	s_wait_loadcnt_dscnt 0x0
	v_pk_mul_f32 v[76:77], v[74:75], v[72:73] op_sel:[1,1] op_sel_hi:[0,1]
	s_delay_alu instid0(VALU_DEP_1) | instskip(SKIP_1) | instid1(VALU_DEP_2)
	v_pk_fma_f32 v[78:79], v[74:75], v[72:73], v[76:77] op_sel_hi:[1,0,1]
	v_pk_fma_f32 v[72:73], v[74:75], v[72:73], v[76:77] neg_lo:[0,0,1] neg_hi:[0,0,1]
	v_mov_b32_e32 v73, v79
	s_cbranch_execz .LBB97_199
	s_branch .LBB97_200
.LBB97_198:
                                        ; implicit-def: $vgpr72_vgpr73
.LBB97_199:
	ds_load_b64 v[72:73], v1
.LBB97_200:
	s_and_saveexec_b32 s20, s0
	s_cbranch_execz .LBB97_204
; %bb.201:
	v_add_nc_u32_e32 v74, -14, v0
	s_movk_i32 s21, 0x180
	s_mov_b32 s0, 0
.LBB97_202:                             ; =>This Inner Loop Header: Depth=1
	scratch_load_b64 v[76:77], off, s18
	v_dual_mov_b32 v75, s21 :: v_dual_add_nc_u32 v74, -1, v74
	s_add_co_i32 s21, s21, 8
	s_wait_xcnt 0x0
	s_add_co_i32 s18, s18, 8
	ds_load_b64 v[78:79], v75
	v_cmp_eq_u32_e32 vcc_lo, 0, v74
	s_or_b32 s0, vcc_lo, s0
	s_wait_loadcnt_dscnt 0x0
	v_pk_mul_f32 v[80:81], v[78:79], v[76:77] op_sel:[1,1] op_sel_hi:[0,1]
	s_delay_alu instid0(VALU_DEP_1) | instskip(SKIP_1) | instid1(VALU_DEP_2)
	v_pk_fma_f32 v[82:83], v[78:79], v[76:77], v[80:81] op_sel_hi:[1,0,1]
	v_pk_fma_f32 v[76:77], v[78:79], v[76:77], v[80:81] neg_lo:[0,0,1] neg_hi:[0,0,1]
	v_mov_b32_e32 v77, v83
	s_delay_alu instid0(VALU_DEP_1)
	v_pk_add_f32 v[72:73], v[72:73], v[76:77]
	s_and_not1_b32 exec_lo, exec_lo, s0
	s_cbranch_execnz .LBB97_202
; %bb.203:
	s_or_b32 exec_lo, exec_lo, s0
.LBB97_204:
	s_delay_alu instid0(SALU_CYCLE_1) | instskip(SKIP_4) | instid1(VALU_DEP_1)
	s_or_b32 exec_lo, exec_lo, s20
	v_mov_b32_e32 v74, 0
	ds_load_b64 v[74:75], v74 offset:104
	s_wait_dscnt 0x0
	v_pk_mul_f32 v[76:77], v[72:73], v[74:75] op_sel:[1,1] op_sel_hi:[0,1]
	v_pk_fma_f32 v[78:79], v[72:73], v[74:75], v[76:77] op_sel_hi:[1,0,1]
	v_pk_fma_f32 v[72:73], v[72:73], v[74:75], v[76:77] neg_lo:[0,0,1] neg_hi:[0,0,1]
	s_delay_alu instid0(VALU_DEP_2)
	v_mov_b32_e32 v73, v79
	scratch_store_b64 off, v[72:73], off offset:104
.LBB97_205:
	s_wait_xcnt 0x0
	s_or_b32 exec_lo, exec_lo, s19
	scratch_load_b64 v[72:73], off, off offset:96
	v_cmp_lt_u32_e64 s0, 12, v0
	s_wait_loadcnt 0x0
	ds_store_b64 v1, v[72:73]
	s_wait_storecnt_dscnt 0x0
	s_barrier_signal -1
	s_barrier_wait -1
	s_wait_xcnt 0x0
	s_and_saveexec_b32 s18, s0
	s_cbranch_execz .LBB97_215
; %bb.206:
	s_and_not1_b32 vcc_lo, exec_lo, s3
	s_cbranch_vccnz .LBB97_208
; %bb.207:
	scratch_load_b64 v[72:73], v59, off
	ds_load_b64 v[74:75], v1
	s_wait_loadcnt_dscnt 0x0
	v_pk_mul_f32 v[76:77], v[74:75], v[72:73] op_sel:[1,1] op_sel_hi:[0,1]
	s_delay_alu instid0(VALU_DEP_1) | instskip(SKIP_1) | instid1(VALU_DEP_2)
	v_pk_fma_f32 v[78:79], v[74:75], v[72:73], v[76:77] op_sel_hi:[1,0,1]
	v_pk_fma_f32 v[72:73], v[74:75], v[72:73], v[76:77] neg_lo:[0,0,1] neg_hi:[0,0,1]
	v_mov_b32_e32 v73, v79
	s_cbranch_execz .LBB97_209
	s_branch .LBB97_210
.LBB97_208:
                                        ; implicit-def: $vgpr72_vgpr73
.LBB97_209:
	ds_load_b64 v[72:73], v1
.LBB97_210:
	s_and_saveexec_b32 s19, s1
	s_cbranch_execz .LBB97_214
; %bb.211:
	v_add_nc_u32_e32 v74, -13, v0
	s_movk_i32 s20, 0x178
	s_mov_b32 s1, 0
.LBB97_212:                             ; =>This Inner Loop Header: Depth=1
	scratch_load_b64 v[76:77], off, s17
	v_dual_mov_b32 v75, s20 :: v_dual_add_nc_u32 v74, -1, v74
	s_add_co_i32 s20, s20, 8
	s_wait_xcnt 0x0
	s_add_co_i32 s17, s17, 8
	ds_load_b64 v[78:79], v75
	v_cmp_eq_u32_e32 vcc_lo, 0, v74
	s_or_b32 s1, vcc_lo, s1
	s_wait_loadcnt_dscnt 0x0
	v_pk_mul_f32 v[80:81], v[78:79], v[76:77] op_sel:[1,1] op_sel_hi:[0,1]
	s_delay_alu instid0(VALU_DEP_1) | instskip(SKIP_1) | instid1(VALU_DEP_2)
	v_pk_fma_f32 v[82:83], v[78:79], v[76:77], v[80:81] op_sel_hi:[1,0,1]
	v_pk_fma_f32 v[76:77], v[78:79], v[76:77], v[80:81] neg_lo:[0,0,1] neg_hi:[0,0,1]
	v_mov_b32_e32 v77, v83
	s_delay_alu instid0(VALU_DEP_1)
	v_pk_add_f32 v[72:73], v[72:73], v[76:77]
	s_and_not1_b32 exec_lo, exec_lo, s1
	s_cbranch_execnz .LBB97_212
; %bb.213:
	s_or_b32 exec_lo, exec_lo, s1
.LBB97_214:
	s_delay_alu instid0(SALU_CYCLE_1) | instskip(SKIP_4) | instid1(VALU_DEP_1)
	s_or_b32 exec_lo, exec_lo, s19
	v_mov_b32_e32 v74, 0
	ds_load_b64 v[74:75], v74 offset:96
	s_wait_dscnt 0x0
	v_pk_mul_f32 v[76:77], v[72:73], v[74:75] op_sel:[1,1] op_sel_hi:[0,1]
	v_pk_fma_f32 v[78:79], v[72:73], v[74:75], v[76:77] op_sel_hi:[1,0,1]
	v_pk_fma_f32 v[72:73], v[72:73], v[74:75], v[76:77] neg_lo:[0,0,1] neg_hi:[0,0,1]
	s_delay_alu instid0(VALU_DEP_2)
	v_mov_b32_e32 v73, v79
	scratch_store_b64 off, v[72:73], off offset:96
.LBB97_215:
	s_wait_xcnt 0x0
	s_or_b32 exec_lo, exec_lo, s18
	scratch_load_b64 v[72:73], off, off offset:88
	v_cmp_lt_u32_e64 s1, 11, v0
	s_wait_loadcnt 0x0
	ds_store_b64 v1, v[72:73]
	s_wait_storecnt_dscnt 0x0
	s_barrier_signal -1
	s_barrier_wait -1
	s_wait_xcnt 0x0
	s_and_saveexec_b32 s17, s1
	s_cbranch_execz .LBB97_225
; %bb.216:
	s_and_not1_b32 vcc_lo, exec_lo, s3
	s_cbranch_vccnz .LBB97_218
; %bb.217:
	scratch_load_b64 v[72:73], v59, off
	ds_load_b64 v[74:75], v1
	s_wait_loadcnt_dscnt 0x0
	v_pk_mul_f32 v[76:77], v[74:75], v[72:73] op_sel:[1,1] op_sel_hi:[0,1]
	s_delay_alu instid0(VALU_DEP_1) | instskip(SKIP_1) | instid1(VALU_DEP_2)
	v_pk_fma_f32 v[78:79], v[74:75], v[72:73], v[76:77] op_sel_hi:[1,0,1]
	v_pk_fma_f32 v[72:73], v[74:75], v[72:73], v[76:77] neg_lo:[0,0,1] neg_hi:[0,0,1]
	v_mov_b32_e32 v73, v79
	s_cbranch_execz .LBB97_219
	s_branch .LBB97_220
.LBB97_218:
                                        ; implicit-def: $vgpr72_vgpr73
.LBB97_219:
	ds_load_b64 v[72:73], v1
.LBB97_220:
	s_and_saveexec_b32 s18, s0
	s_cbranch_execz .LBB97_224
; %bb.221:
	v_add_nc_u32_e32 v74, -12, v0
	s_movk_i32 s19, 0x170
	s_mov_b32 s0, 0
.LBB97_222:                             ; =>This Inner Loop Header: Depth=1
	scratch_load_b64 v[76:77], off, s16
	v_dual_mov_b32 v75, s19 :: v_dual_add_nc_u32 v74, -1, v74
	s_add_co_i32 s19, s19, 8
	s_wait_xcnt 0x0
	s_add_co_i32 s16, s16, 8
	ds_load_b64 v[78:79], v75
	v_cmp_eq_u32_e32 vcc_lo, 0, v74
	s_or_b32 s0, vcc_lo, s0
	s_wait_loadcnt_dscnt 0x0
	v_pk_mul_f32 v[80:81], v[78:79], v[76:77] op_sel:[1,1] op_sel_hi:[0,1]
	s_delay_alu instid0(VALU_DEP_1) | instskip(SKIP_1) | instid1(VALU_DEP_2)
	v_pk_fma_f32 v[82:83], v[78:79], v[76:77], v[80:81] op_sel_hi:[1,0,1]
	v_pk_fma_f32 v[76:77], v[78:79], v[76:77], v[80:81] neg_lo:[0,0,1] neg_hi:[0,0,1]
	v_mov_b32_e32 v77, v83
	s_delay_alu instid0(VALU_DEP_1)
	v_pk_add_f32 v[72:73], v[72:73], v[76:77]
	s_and_not1_b32 exec_lo, exec_lo, s0
	s_cbranch_execnz .LBB97_222
; %bb.223:
	s_or_b32 exec_lo, exec_lo, s0
.LBB97_224:
	s_delay_alu instid0(SALU_CYCLE_1) | instskip(SKIP_4) | instid1(VALU_DEP_1)
	s_or_b32 exec_lo, exec_lo, s18
	v_mov_b32_e32 v74, 0
	ds_load_b64 v[74:75], v74 offset:88
	s_wait_dscnt 0x0
	v_pk_mul_f32 v[76:77], v[72:73], v[74:75] op_sel:[1,1] op_sel_hi:[0,1]
	v_pk_fma_f32 v[78:79], v[72:73], v[74:75], v[76:77] op_sel_hi:[1,0,1]
	v_pk_fma_f32 v[72:73], v[72:73], v[74:75], v[76:77] neg_lo:[0,0,1] neg_hi:[0,0,1]
	s_delay_alu instid0(VALU_DEP_2)
	v_mov_b32_e32 v73, v79
	scratch_store_b64 off, v[72:73], off offset:88
.LBB97_225:
	s_wait_xcnt 0x0
	s_or_b32 exec_lo, exec_lo, s17
	scratch_load_b64 v[72:73], off, off offset:80
	v_cmp_lt_u32_e64 s0, 10, v0
	s_wait_loadcnt 0x0
	ds_store_b64 v1, v[72:73]
	s_wait_storecnt_dscnt 0x0
	s_barrier_signal -1
	s_barrier_wait -1
	s_wait_xcnt 0x0
	s_and_saveexec_b32 s16, s0
	s_cbranch_execz .LBB97_235
; %bb.226:
	s_and_not1_b32 vcc_lo, exec_lo, s3
	s_cbranch_vccnz .LBB97_228
; %bb.227:
	scratch_load_b64 v[72:73], v59, off
	ds_load_b64 v[74:75], v1
	s_wait_loadcnt_dscnt 0x0
	v_pk_mul_f32 v[76:77], v[74:75], v[72:73] op_sel:[1,1] op_sel_hi:[0,1]
	s_delay_alu instid0(VALU_DEP_1) | instskip(SKIP_1) | instid1(VALU_DEP_2)
	v_pk_fma_f32 v[78:79], v[74:75], v[72:73], v[76:77] op_sel_hi:[1,0,1]
	v_pk_fma_f32 v[72:73], v[74:75], v[72:73], v[76:77] neg_lo:[0,0,1] neg_hi:[0,0,1]
	v_mov_b32_e32 v73, v79
	s_cbranch_execz .LBB97_229
	s_branch .LBB97_230
.LBB97_228:
                                        ; implicit-def: $vgpr72_vgpr73
.LBB97_229:
	ds_load_b64 v[72:73], v1
.LBB97_230:
	s_and_saveexec_b32 s17, s1
	s_cbranch_execz .LBB97_234
; %bb.231:
	v_add_nc_u32_e32 v74, -11, v0
	s_movk_i32 s18, 0x168
	s_mov_b32 s1, 0
.LBB97_232:                             ; =>This Inner Loop Header: Depth=1
	scratch_load_b64 v[76:77], off, s15
	v_dual_mov_b32 v75, s18 :: v_dual_add_nc_u32 v74, -1, v74
	s_add_co_i32 s18, s18, 8
	s_wait_xcnt 0x0
	s_add_co_i32 s15, s15, 8
	ds_load_b64 v[78:79], v75
	v_cmp_eq_u32_e32 vcc_lo, 0, v74
	s_or_b32 s1, vcc_lo, s1
	s_wait_loadcnt_dscnt 0x0
	v_pk_mul_f32 v[80:81], v[78:79], v[76:77] op_sel:[1,1] op_sel_hi:[0,1]
	s_delay_alu instid0(VALU_DEP_1) | instskip(SKIP_1) | instid1(VALU_DEP_2)
	v_pk_fma_f32 v[82:83], v[78:79], v[76:77], v[80:81] op_sel_hi:[1,0,1]
	v_pk_fma_f32 v[76:77], v[78:79], v[76:77], v[80:81] neg_lo:[0,0,1] neg_hi:[0,0,1]
	v_mov_b32_e32 v77, v83
	s_delay_alu instid0(VALU_DEP_1)
	v_pk_add_f32 v[72:73], v[72:73], v[76:77]
	s_and_not1_b32 exec_lo, exec_lo, s1
	s_cbranch_execnz .LBB97_232
; %bb.233:
	s_or_b32 exec_lo, exec_lo, s1
.LBB97_234:
	s_delay_alu instid0(SALU_CYCLE_1) | instskip(SKIP_4) | instid1(VALU_DEP_1)
	s_or_b32 exec_lo, exec_lo, s17
	v_mov_b32_e32 v74, 0
	ds_load_b64 v[74:75], v74 offset:80
	s_wait_dscnt 0x0
	v_pk_mul_f32 v[76:77], v[72:73], v[74:75] op_sel:[1,1] op_sel_hi:[0,1]
	v_pk_fma_f32 v[78:79], v[72:73], v[74:75], v[76:77] op_sel_hi:[1,0,1]
	v_pk_fma_f32 v[72:73], v[72:73], v[74:75], v[76:77] neg_lo:[0,0,1] neg_hi:[0,0,1]
	s_delay_alu instid0(VALU_DEP_2)
	v_mov_b32_e32 v73, v79
	scratch_store_b64 off, v[72:73], off offset:80
.LBB97_235:
	s_wait_xcnt 0x0
	s_or_b32 exec_lo, exec_lo, s16
	scratch_load_b64 v[72:73], off, off offset:72
	v_cmp_lt_u32_e64 s1, 9, v0
	s_wait_loadcnt 0x0
	ds_store_b64 v1, v[72:73]
	s_wait_storecnt_dscnt 0x0
	s_barrier_signal -1
	s_barrier_wait -1
	s_wait_xcnt 0x0
	s_and_saveexec_b32 s15, s1
	s_cbranch_execz .LBB97_245
; %bb.236:
	s_and_not1_b32 vcc_lo, exec_lo, s3
	s_cbranch_vccnz .LBB97_238
; %bb.237:
	scratch_load_b64 v[72:73], v59, off
	ds_load_b64 v[74:75], v1
	s_wait_loadcnt_dscnt 0x0
	v_pk_mul_f32 v[76:77], v[74:75], v[72:73] op_sel:[1,1] op_sel_hi:[0,1]
	s_delay_alu instid0(VALU_DEP_1) | instskip(SKIP_1) | instid1(VALU_DEP_2)
	v_pk_fma_f32 v[78:79], v[74:75], v[72:73], v[76:77] op_sel_hi:[1,0,1]
	v_pk_fma_f32 v[72:73], v[74:75], v[72:73], v[76:77] neg_lo:[0,0,1] neg_hi:[0,0,1]
	v_mov_b32_e32 v73, v79
	s_cbranch_execz .LBB97_239
	s_branch .LBB97_240
.LBB97_238:
                                        ; implicit-def: $vgpr72_vgpr73
.LBB97_239:
	ds_load_b64 v[72:73], v1
.LBB97_240:
	s_and_saveexec_b32 s16, s0
	s_cbranch_execz .LBB97_244
; %bb.241:
	v_add_nc_u32_e32 v74, -10, v0
	s_movk_i32 s17, 0x160
	s_mov_b32 s0, 0
.LBB97_242:                             ; =>This Inner Loop Header: Depth=1
	scratch_load_b64 v[76:77], off, s14
	v_dual_mov_b32 v75, s17 :: v_dual_add_nc_u32 v74, -1, v74
	s_add_co_i32 s17, s17, 8
	s_wait_xcnt 0x0
	s_add_co_i32 s14, s14, 8
	ds_load_b64 v[78:79], v75
	v_cmp_eq_u32_e32 vcc_lo, 0, v74
	s_or_b32 s0, vcc_lo, s0
	s_wait_loadcnt_dscnt 0x0
	v_pk_mul_f32 v[80:81], v[78:79], v[76:77] op_sel:[1,1] op_sel_hi:[0,1]
	s_delay_alu instid0(VALU_DEP_1) | instskip(SKIP_1) | instid1(VALU_DEP_2)
	v_pk_fma_f32 v[82:83], v[78:79], v[76:77], v[80:81] op_sel_hi:[1,0,1]
	v_pk_fma_f32 v[76:77], v[78:79], v[76:77], v[80:81] neg_lo:[0,0,1] neg_hi:[0,0,1]
	v_mov_b32_e32 v77, v83
	s_delay_alu instid0(VALU_DEP_1)
	v_pk_add_f32 v[72:73], v[72:73], v[76:77]
	s_and_not1_b32 exec_lo, exec_lo, s0
	s_cbranch_execnz .LBB97_242
; %bb.243:
	s_or_b32 exec_lo, exec_lo, s0
.LBB97_244:
	s_delay_alu instid0(SALU_CYCLE_1) | instskip(SKIP_4) | instid1(VALU_DEP_1)
	s_or_b32 exec_lo, exec_lo, s16
	v_mov_b32_e32 v74, 0
	ds_load_b64 v[74:75], v74 offset:72
	s_wait_dscnt 0x0
	v_pk_mul_f32 v[76:77], v[72:73], v[74:75] op_sel:[1,1] op_sel_hi:[0,1]
	v_pk_fma_f32 v[78:79], v[72:73], v[74:75], v[76:77] op_sel_hi:[1,0,1]
	v_pk_fma_f32 v[72:73], v[72:73], v[74:75], v[76:77] neg_lo:[0,0,1] neg_hi:[0,0,1]
	s_delay_alu instid0(VALU_DEP_2)
	v_mov_b32_e32 v73, v79
	scratch_store_b64 off, v[72:73], off offset:72
.LBB97_245:
	s_wait_xcnt 0x0
	s_or_b32 exec_lo, exec_lo, s15
	scratch_load_b64 v[72:73], off, off offset:64
	v_cmp_lt_u32_e64 s0, 8, v0
	s_wait_loadcnt 0x0
	ds_store_b64 v1, v[72:73]
	s_wait_storecnt_dscnt 0x0
	s_barrier_signal -1
	s_barrier_wait -1
	s_wait_xcnt 0x0
	s_and_saveexec_b32 s14, s0
	s_cbranch_execz .LBB97_255
; %bb.246:
	s_and_not1_b32 vcc_lo, exec_lo, s3
	s_cbranch_vccnz .LBB97_248
; %bb.247:
	scratch_load_b64 v[72:73], v59, off
	ds_load_b64 v[74:75], v1
	s_wait_loadcnt_dscnt 0x0
	v_pk_mul_f32 v[76:77], v[74:75], v[72:73] op_sel:[1,1] op_sel_hi:[0,1]
	s_delay_alu instid0(VALU_DEP_1) | instskip(SKIP_1) | instid1(VALU_DEP_2)
	v_pk_fma_f32 v[78:79], v[74:75], v[72:73], v[76:77] op_sel_hi:[1,0,1]
	v_pk_fma_f32 v[72:73], v[74:75], v[72:73], v[76:77] neg_lo:[0,0,1] neg_hi:[0,0,1]
	v_mov_b32_e32 v73, v79
	s_cbranch_execz .LBB97_249
	s_branch .LBB97_250
.LBB97_248:
                                        ; implicit-def: $vgpr72_vgpr73
.LBB97_249:
	ds_load_b64 v[72:73], v1
.LBB97_250:
	s_and_saveexec_b32 s15, s1
	s_cbranch_execz .LBB97_254
; %bb.251:
	v_add_nc_u32_e32 v74, -9, v0
	s_movk_i32 s16, 0x158
	s_mov_b32 s1, 0
.LBB97_252:                             ; =>This Inner Loop Header: Depth=1
	scratch_load_b64 v[76:77], off, s13
	v_dual_mov_b32 v75, s16 :: v_dual_add_nc_u32 v74, -1, v74
	s_add_co_i32 s16, s16, 8
	s_wait_xcnt 0x0
	s_add_co_i32 s13, s13, 8
	ds_load_b64 v[78:79], v75
	v_cmp_eq_u32_e32 vcc_lo, 0, v74
	s_or_b32 s1, vcc_lo, s1
	s_wait_loadcnt_dscnt 0x0
	v_pk_mul_f32 v[80:81], v[78:79], v[76:77] op_sel:[1,1] op_sel_hi:[0,1]
	s_delay_alu instid0(VALU_DEP_1) | instskip(SKIP_1) | instid1(VALU_DEP_2)
	v_pk_fma_f32 v[82:83], v[78:79], v[76:77], v[80:81] op_sel_hi:[1,0,1]
	v_pk_fma_f32 v[76:77], v[78:79], v[76:77], v[80:81] neg_lo:[0,0,1] neg_hi:[0,0,1]
	v_mov_b32_e32 v77, v83
	s_delay_alu instid0(VALU_DEP_1)
	v_pk_add_f32 v[72:73], v[72:73], v[76:77]
	s_and_not1_b32 exec_lo, exec_lo, s1
	s_cbranch_execnz .LBB97_252
; %bb.253:
	s_or_b32 exec_lo, exec_lo, s1
.LBB97_254:
	s_delay_alu instid0(SALU_CYCLE_1) | instskip(SKIP_4) | instid1(VALU_DEP_1)
	s_or_b32 exec_lo, exec_lo, s15
	v_mov_b32_e32 v74, 0
	ds_load_b64 v[74:75], v74 offset:64
	s_wait_dscnt 0x0
	v_pk_mul_f32 v[76:77], v[72:73], v[74:75] op_sel:[1,1] op_sel_hi:[0,1]
	v_pk_fma_f32 v[78:79], v[72:73], v[74:75], v[76:77] op_sel_hi:[1,0,1]
	v_pk_fma_f32 v[72:73], v[72:73], v[74:75], v[76:77] neg_lo:[0,0,1] neg_hi:[0,0,1]
	s_delay_alu instid0(VALU_DEP_2)
	v_mov_b32_e32 v73, v79
	scratch_store_b64 off, v[72:73], off offset:64
.LBB97_255:
	s_wait_xcnt 0x0
	s_or_b32 exec_lo, exec_lo, s14
	scratch_load_b64 v[72:73], off, off offset:56
	v_cmp_lt_u32_e64 s1, 7, v0
	s_wait_loadcnt 0x0
	ds_store_b64 v1, v[72:73]
	s_wait_storecnt_dscnt 0x0
	s_barrier_signal -1
	s_barrier_wait -1
	s_wait_xcnt 0x0
	s_and_saveexec_b32 s13, s1
	s_cbranch_execz .LBB97_265
; %bb.256:
	s_and_not1_b32 vcc_lo, exec_lo, s3
	s_cbranch_vccnz .LBB97_258
; %bb.257:
	scratch_load_b64 v[72:73], v59, off
	ds_load_b64 v[74:75], v1
	s_wait_loadcnt_dscnt 0x0
	v_pk_mul_f32 v[76:77], v[74:75], v[72:73] op_sel:[1,1] op_sel_hi:[0,1]
	s_delay_alu instid0(VALU_DEP_1) | instskip(SKIP_1) | instid1(VALU_DEP_2)
	v_pk_fma_f32 v[78:79], v[74:75], v[72:73], v[76:77] op_sel_hi:[1,0,1]
	v_pk_fma_f32 v[72:73], v[74:75], v[72:73], v[76:77] neg_lo:[0,0,1] neg_hi:[0,0,1]
	v_mov_b32_e32 v73, v79
	s_cbranch_execz .LBB97_259
	s_branch .LBB97_260
.LBB97_258:
                                        ; implicit-def: $vgpr72_vgpr73
.LBB97_259:
	ds_load_b64 v[72:73], v1
.LBB97_260:
	s_and_saveexec_b32 s14, s0
	s_cbranch_execz .LBB97_264
; %bb.261:
	v_add_nc_u32_e32 v74, -8, v0
	s_movk_i32 s15, 0x150
	s_mov_b32 s0, 0
.LBB97_262:                             ; =>This Inner Loop Header: Depth=1
	scratch_load_b64 v[76:77], off, s12
	v_dual_mov_b32 v75, s15 :: v_dual_add_nc_u32 v74, -1, v74
	s_add_co_i32 s15, s15, 8
	s_wait_xcnt 0x0
	s_add_co_i32 s12, s12, 8
	ds_load_b64 v[78:79], v75
	v_cmp_eq_u32_e32 vcc_lo, 0, v74
	s_or_b32 s0, vcc_lo, s0
	s_wait_loadcnt_dscnt 0x0
	v_pk_mul_f32 v[80:81], v[78:79], v[76:77] op_sel:[1,1] op_sel_hi:[0,1]
	s_delay_alu instid0(VALU_DEP_1) | instskip(SKIP_1) | instid1(VALU_DEP_2)
	v_pk_fma_f32 v[82:83], v[78:79], v[76:77], v[80:81] op_sel_hi:[1,0,1]
	v_pk_fma_f32 v[76:77], v[78:79], v[76:77], v[80:81] neg_lo:[0,0,1] neg_hi:[0,0,1]
	v_mov_b32_e32 v77, v83
	s_delay_alu instid0(VALU_DEP_1)
	v_pk_add_f32 v[72:73], v[72:73], v[76:77]
	s_and_not1_b32 exec_lo, exec_lo, s0
	s_cbranch_execnz .LBB97_262
; %bb.263:
	s_or_b32 exec_lo, exec_lo, s0
.LBB97_264:
	s_delay_alu instid0(SALU_CYCLE_1) | instskip(SKIP_4) | instid1(VALU_DEP_1)
	s_or_b32 exec_lo, exec_lo, s14
	v_mov_b32_e32 v74, 0
	ds_load_b64 v[74:75], v74 offset:56
	s_wait_dscnt 0x0
	v_pk_mul_f32 v[76:77], v[72:73], v[74:75] op_sel:[1,1] op_sel_hi:[0,1]
	v_pk_fma_f32 v[78:79], v[72:73], v[74:75], v[76:77] op_sel_hi:[1,0,1]
	v_pk_fma_f32 v[72:73], v[72:73], v[74:75], v[76:77] neg_lo:[0,0,1] neg_hi:[0,0,1]
	s_delay_alu instid0(VALU_DEP_2)
	v_mov_b32_e32 v73, v79
	scratch_store_b64 off, v[72:73], off offset:56
.LBB97_265:
	s_wait_xcnt 0x0
	s_or_b32 exec_lo, exec_lo, s13
	scratch_load_b64 v[72:73], off, off offset:48
	v_cmp_lt_u32_e64 s0, 6, v0
	s_wait_loadcnt 0x0
	ds_store_b64 v1, v[72:73]
	s_wait_storecnt_dscnt 0x0
	s_barrier_signal -1
	s_barrier_wait -1
	s_wait_xcnt 0x0
	s_and_saveexec_b32 s12, s0
	s_cbranch_execz .LBB97_275
; %bb.266:
	s_and_not1_b32 vcc_lo, exec_lo, s3
	s_cbranch_vccnz .LBB97_268
; %bb.267:
	scratch_load_b64 v[72:73], v59, off
	ds_load_b64 v[74:75], v1
	s_wait_loadcnt_dscnt 0x0
	v_pk_mul_f32 v[76:77], v[74:75], v[72:73] op_sel:[1,1] op_sel_hi:[0,1]
	s_delay_alu instid0(VALU_DEP_1) | instskip(SKIP_1) | instid1(VALU_DEP_2)
	v_pk_fma_f32 v[78:79], v[74:75], v[72:73], v[76:77] op_sel_hi:[1,0,1]
	v_pk_fma_f32 v[72:73], v[74:75], v[72:73], v[76:77] neg_lo:[0,0,1] neg_hi:[0,0,1]
	v_mov_b32_e32 v73, v79
	s_cbranch_execz .LBB97_269
	s_branch .LBB97_270
.LBB97_268:
                                        ; implicit-def: $vgpr72_vgpr73
.LBB97_269:
	ds_load_b64 v[72:73], v1
.LBB97_270:
	s_and_saveexec_b32 s13, s1
	s_cbranch_execz .LBB97_274
; %bb.271:
	v_add_nc_u32_e32 v74, -7, v0
	s_movk_i32 s14, 0x148
	s_mov_b32 s1, 0
.LBB97_272:                             ; =>This Inner Loop Header: Depth=1
	scratch_load_b64 v[76:77], off, s11
	v_dual_mov_b32 v75, s14 :: v_dual_add_nc_u32 v74, -1, v74
	s_add_co_i32 s14, s14, 8
	s_wait_xcnt 0x0
	s_add_co_i32 s11, s11, 8
	ds_load_b64 v[78:79], v75
	v_cmp_eq_u32_e32 vcc_lo, 0, v74
	s_or_b32 s1, vcc_lo, s1
	s_wait_loadcnt_dscnt 0x0
	v_pk_mul_f32 v[80:81], v[78:79], v[76:77] op_sel:[1,1] op_sel_hi:[0,1]
	s_delay_alu instid0(VALU_DEP_1) | instskip(SKIP_1) | instid1(VALU_DEP_2)
	v_pk_fma_f32 v[82:83], v[78:79], v[76:77], v[80:81] op_sel_hi:[1,0,1]
	v_pk_fma_f32 v[76:77], v[78:79], v[76:77], v[80:81] neg_lo:[0,0,1] neg_hi:[0,0,1]
	v_mov_b32_e32 v77, v83
	s_delay_alu instid0(VALU_DEP_1)
	v_pk_add_f32 v[72:73], v[72:73], v[76:77]
	s_and_not1_b32 exec_lo, exec_lo, s1
	s_cbranch_execnz .LBB97_272
; %bb.273:
	s_or_b32 exec_lo, exec_lo, s1
.LBB97_274:
	s_delay_alu instid0(SALU_CYCLE_1) | instskip(SKIP_4) | instid1(VALU_DEP_1)
	s_or_b32 exec_lo, exec_lo, s13
	v_mov_b32_e32 v74, 0
	ds_load_b64 v[74:75], v74 offset:48
	s_wait_dscnt 0x0
	v_pk_mul_f32 v[76:77], v[72:73], v[74:75] op_sel:[1,1] op_sel_hi:[0,1]
	v_pk_fma_f32 v[78:79], v[72:73], v[74:75], v[76:77] op_sel_hi:[1,0,1]
	v_pk_fma_f32 v[72:73], v[72:73], v[74:75], v[76:77] neg_lo:[0,0,1] neg_hi:[0,0,1]
	s_delay_alu instid0(VALU_DEP_2)
	v_mov_b32_e32 v73, v79
	scratch_store_b64 off, v[72:73], off offset:48
.LBB97_275:
	s_wait_xcnt 0x0
	s_or_b32 exec_lo, exec_lo, s12
	scratch_load_b64 v[72:73], off, off offset:40
	v_cmp_lt_u32_e64 s1, 5, v0
	s_wait_loadcnt 0x0
	ds_store_b64 v1, v[72:73]
	s_wait_storecnt_dscnt 0x0
	s_barrier_signal -1
	s_barrier_wait -1
	s_wait_xcnt 0x0
	s_and_saveexec_b32 s11, s1
	s_cbranch_execz .LBB97_285
; %bb.276:
	s_and_not1_b32 vcc_lo, exec_lo, s3
	s_cbranch_vccnz .LBB97_278
; %bb.277:
	scratch_load_b64 v[72:73], v59, off
	ds_load_b64 v[74:75], v1
	s_wait_loadcnt_dscnt 0x0
	v_pk_mul_f32 v[76:77], v[74:75], v[72:73] op_sel:[1,1] op_sel_hi:[0,1]
	s_delay_alu instid0(VALU_DEP_1) | instskip(SKIP_1) | instid1(VALU_DEP_2)
	v_pk_fma_f32 v[78:79], v[74:75], v[72:73], v[76:77] op_sel_hi:[1,0,1]
	v_pk_fma_f32 v[72:73], v[74:75], v[72:73], v[76:77] neg_lo:[0,0,1] neg_hi:[0,0,1]
	v_mov_b32_e32 v73, v79
	s_cbranch_execz .LBB97_279
	s_branch .LBB97_280
.LBB97_278:
                                        ; implicit-def: $vgpr72_vgpr73
.LBB97_279:
	ds_load_b64 v[72:73], v1
.LBB97_280:
	s_and_saveexec_b32 s12, s0
	s_cbranch_execz .LBB97_284
; %bb.281:
	v_add_nc_u32_e32 v74, -6, v0
	s_movk_i32 s13, 0x140
	s_mov_b32 s0, 0
.LBB97_282:                             ; =>This Inner Loop Header: Depth=1
	scratch_load_b64 v[76:77], off, s10
	v_dual_mov_b32 v75, s13 :: v_dual_add_nc_u32 v74, -1, v74
	s_add_co_i32 s13, s13, 8
	s_wait_xcnt 0x0
	s_add_co_i32 s10, s10, 8
	ds_load_b64 v[78:79], v75
	v_cmp_eq_u32_e32 vcc_lo, 0, v74
	s_or_b32 s0, vcc_lo, s0
	s_wait_loadcnt_dscnt 0x0
	v_pk_mul_f32 v[80:81], v[78:79], v[76:77] op_sel:[1,1] op_sel_hi:[0,1]
	s_delay_alu instid0(VALU_DEP_1) | instskip(SKIP_1) | instid1(VALU_DEP_2)
	v_pk_fma_f32 v[82:83], v[78:79], v[76:77], v[80:81] op_sel_hi:[1,0,1]
	v_pk_fma_f32 v[76:77], v[78:79], v[76:77], v[80:81] neg_lo:[0,0,1] neg_hi:[0,0,1]
	v_mov_b32_e32 v77, v83
	s_delay_alu instid0(VALU_DEP_1)
	v_pk_add_f32 v[72:73], v[72:73], v[76:77]
	s_and_not1_b32 exec_lo, exec_lo, s0
	s_cbranch_execnz .LBB97_282
; %bb.283:
	s_or_b32 exec_lo, exec_lo, s0
.LBB97_284:
	s_delay_alu instid0(SALU_CYCLE_1) | instskip(SKIP_4) | instid1(VALU_DEP_1)
	s_or_b32 exec_lo, exec_lo, s12
	v_mov_b32_e32 v74, 0
	ds_load_b64 v[74:75], v74 offset:40
	s_wait_dscnt 0x0
	v_pk_mul_f32 v[76:77], v[72:73], v[74:75] op_sel:[1,1] op_sel_hi:[0,1]
	v_pk_fma_f32 v[78:79], v[72:73], v[74:75], v[76:77] op_sel_hi:[1,0,1]
	v_pk_fma_f32 v[72:73], v[72:73], v[74:75], v[76:77] neg_lo:[0,0,1] neg_hi:[0,0,1]
	s_delay_alu instid0(VALU_DEP_2)
	v_mov_b32_e32 v73, v79
	scratch_store_b64 off, v[72:73], off offset:40
.LBB97_285:
	s_wait_xcnt 0x0
	s_or_b32 exec_lo, exec_lo, s11
	scratch_load_b64 v[72:73], off, off offset:32
	v_cmp_lt_u32_e64 s0, 4, v0
	s_wait_loadcnt 0x0
	ds_store_b64 v1, v[72:73]
	s_wait_storecnt_dscnt 0x0
	s_barrier_signal -1
	s_barrier_wait -1
	s_wait_xcnt 0x0
	s_and_saveexec_b32 s10, s0
	s_cbranch_execz .LBB97_295
; %bb.286:
	s_and_not1_b32 vcc_lo, exec_lo, s3
	s_cbranch_vccnz .LBB97_288
; %bb.287:
	scratch_load_b64 v[72:73], v59, off
	ds_load_b64 v[74:75], v1
	s_wait_loadcnt_dscnt 0x0
	v_pk_mul_f32 v[76:77], v[74:75], v[72:73] op_sel:[1,1] op_sel_hi:[0,1]
	s_delay_alu instid0(VALU_DEP_1) | instskip(SKIP_1) | instid1(VALU_DEP_2)
	v_pk_fma_f32 v[78:79], v[74:75], v[72:73], v[76:77] op_sel_hi:[1,0,1]
	v_pk_fma_f32 v[72:73], v[74:75], v[72:73], v[76:77] neg_lo:[0,0,1] neg_hi:[0,0,1]
	v_mov_b32_e32 v73, v79
	s_cbranch_execz .LBB97_289
	s_branch .LBB97_290
.LBB97_288:
                                        ; implicit-def: $vgpr72_vgpr73
.LBB97_289:
	ds_load_b64 v[72:73], v1
.LBB97_290:
	s_and_saveexec_b32 s11, s1
	s_cbranch_execz .LBB97_294
; %bb.291:
	v_add_nc_u32_e32 v74, -5, v0
	s_movk_i32 s12, 0x138
	s_mov_b32 s1, 0
.LBB97_292:                             ; =>This Inner Loop Header: Depth=1
	scratch_load_b64 v[76:77], off, s9
	v_dual_mov_b32 v75, s12 :: v_dual_add_nc_u32 v74, -1, v74
	s_add_co_i32 s12, s12, 8
	s_wait_xcnt 0x0
	s_add_co_i32 s9, s9, 8
	ds_load_b64 v[78:79], v75
	v_cmp_eq_u32_e32 vcc_lo, 0, v74
	s_or_b32 s1, vcc_lo, s1
	s_wait_loadcnt_dscnt 0x0
	v_pk_mul_f32 v[80:81], v[78:79], v[76:77] op_sel:[1,1] op_sel_hi:[0,1]
	s_delay_alu instid0(VALU_DEP_1) | instskip(SKIP_1) | instid1(VALU_DEP_2)
	v_pk_fma_f32 v[82:83], v[78:79], v[76:77], v[80:81] op_sel_hi:[1,0,1]
	v_pk_fma_f32 v[76:77], v[78:79], v[76:77], v[80:81] neg_lo:[0,0,1] neg_hi:[0,0,1]
	v_mov_b32_e32 v77, v83
	s_delay_alu instid0(VALU_DEP_1)
	v_pk_add_f32 v[72:73], v[72:73], v[76:77]
	s_and_not1_b32 exec_lo, exec_lo, s1
	s_cbranch_execnz .LBB97_292
; %bb.293:
	s_or_b32 exec_lo, exec_lo, s1
.LBB97_294:
	s_delay_alu instid0(SALU_CYCLE_1) | instskip(SKIP_4) | instid1(VALU_DEP_1)
	s_or_b32 exec_lo, exec_lo, s11
	v_mov_b32_e32 v74, 0
	ds_load_b64 v[74:75], v74 offset:32
	s_wait_dscnt 0x0
	v_pk_mul_f32 v[76:77], v[72:73], v[74:75] op_sel:[1,1] op_sel_hi:[0,1]
	v_pk_fma_f32 v[78:79], v[72:73], v[74:75], v[76:77] op_sel_hi:[1,0,1]
	v_pk_fma_f32 v[72:73], v[72:73], v[74:75], v[76:77] neg_lo:[0,0,1] neg_hi:[0,0,1]
	s_delay_alu instid0(VALU_DEP_2)
	v_mov_b32_e32 v73, v79
	scratch_store_b64 off, v[72:73], off offset:32
.LBB97_295:
	s_wait_xcnt 0x0
	s_or_b32 exec_lo, exec_lo, s10
	scratch_load_b64 v[72:73], off, off offset:24
	v_cmp_lt_u32_e64 s1, 3, v0
	s_wait_loadcnt 0x0
	ds_store_b64 v1, v[72:73]
	s_wait_storecnt_dscnt 0x0
	s_barrier_signal -1
	s_barrier_wait -1
	s_wait_xcnt 0x0
	s_and_saveexec_b32 s9, s1
	s_cbranch_execz .LBB97_305
; %bb.296:
	s_and_not1_b32 vcc_lo, exec_lo, s3
	s_cbranch_vccnz .LBB97_298
; %bb.297:
	scratch_load_b64 v[72:73], v59, off
	ds_load_b64 v[74:75], v1
	s_wait_loadcnt_dscnt 0x0
	v_pk_mul_f32 v[76:77], v[74:75], v[72:73] op_sel:[1,1] op_sel_hi:[0,1]
	s_delay_alu instid0(VALU_DEP_1) | instskip(SKIP_1) | instid1(VALU_DEP_2)
	v_pk_fma_f32 v[78:79], v[74:75], v[72:73], v[76:77] op_sel_hi:[1,0,1]
	v_pk_fma_f32 v[72:73], v[74:75], v[72:73], v[76:77] neg_lo:[0,0,1] neg_hi:[0,0,1]
	v_mov_b32_e32 v73, v79
	s_cbranch_execz .LBB97_299
	s_branch .LBB97_300
.LBB97_298:
                                        ; implicit-def: $vgpr72_vgpr73
.LBB97_299:
	ds_load_b64 v[72:73], v1
.LBB97_300:
	s_and_saveexec_b32 s10, s0
	s_cbranch_execz .LBB97_304
; %bb.301:
	v_add_nc_u32_e32 v74, -4, v0
	s_movk_i32 s11, 0x130
	s_mov_b32 s0, 0
.LBB97_302:                             ; =>This Inner Loop Header: Depth=1
	scratch_load_b64 v[76:77], off, s2
	v_dual_mov_b32 v75, s11 :: v_dual_add_nc_u32 v74, -1, v74
	s_add_co_i32 s11, s11, 8
	s_wait_xcnt 0x0
	s_add_co_i32 s2, s2, 8
	ds_load_b64 v[78:79], v75
	v_cmp_eq_u32_e32 vcc_lo, 0, v74
	s_or_b32 s0, vcc_lo, s0
	s_wait_loadcnt_dscnt 0x0
	v_pk_mul_f32 v[80:81], v[78:79], v[76:77] op_sel:[1,1] op_sel_hi:[0,1]
	s_delay_alu instid0(VALU_DEP_1) | instskip(SKIP_1) | instid1(VALU_DEP_2)
	v_pk_fma_f32 v[82:83], v[78:79], v[76:77], v[80:81] op_sel_hi:[1,0,1]
	v_pk_fma_f32 v[76:77], v[78:79], v[76:77], v[80:81] neg_lo:[0,0,1] neg_hi:[0,0,1]
	v_mov_b32_e32 v77, v83
	s_delay_alu instid0(VALU_DEP_1)
	v_pk_add_f32 v[72:73], v[72:73], v[76:77]
	s_and_not1_b32 exec_lo, exec_lo, s0
	s_cbranch_execnz .LBB97_302
; %bb.303:
	s_or_b32 exec_lo, exec_lo, s0
.LBB97_304:
	s_delay_alu instid0(SALU_CYCLE_1) | instskip(SKIP_4) | instid1(VALU_DEP_1)
	s_or_b32 exec_lo, exec_lo, s10
	v_mov_b32_e32 v74, 0
	ds_load_b64 v[74:75], v74 offset:24
	s_wait_dscnt 0x0
	v_pk_mul_f32 v[76:77], v[72:73], v[74:75] op_sel:[1,1] op_sel_hi:[0,1]
	v_pk_fma_f32 v[78:79], v[72:73], v[74:75], v[76:77] op_sel_hi:[1,0,1]
	v_pk_fma_f32 v[72:73], v[72:73], v[74:75], v[76:77] neg_lo:[0,0,1] neg_hi:[0,0,1]
	s_delay_alu instid0(VALU_DEP_2)
	v_mov_b32_e32 v73, v79
	scratch_store_b64 off, v[72:73], off offset:24
.LBB97_305:
	s_wait_xcnt 0x0
	s_or_b32 exec_lo, exec_lo, s9
	scratch_load_b64 v[72:73], off, off offset:16
	v_cmp_lt_u32_e64 s2, 2, v0
	s_wait_loadcnt 0x0
	ds_store_b64 v1, v[72:73]
	s_wait_storecnt_dscnt 0x0
	s_barrier_signal -1
	s_barrier_wait -1
	s_wait_xcnt 0x0
	s_and_saveexec_b32 s0, s2
	s_cbranch_execz .LBB97_315
; %bb.306:
	s_and_not1_b32 vcc_lo, exec_lo, s3
	s_cbranch_vccnz .LBB97_308
; %bb.307:
	scratch_load_b64 v[72:73], v59, off
	ds_load_b64 v[74:75], v1
	s_wait_loadcnt_dscnt 0x0
	v_pk_mul_f32 v[76:77], v[74:75], v[72:73] op_sel:[1,1] op_sel_hi:[0,1]
	s_delay_alu instid0(VALU_DEP_1) | instskip(SKIP_1) | instid1(VALU_DEP_2)
	v_pk_fma_f32 v[78:79], v[74:75], v[72:73], v[76:77] op_sel_hi:[1,0,1]
	v_pk_fma_f32 v[72:73], v[74:75], v[72:73], v[76:77] neg_lo:[0,0,1] neg_hi:[0,0,1]
	v_mov_b32_e32 v73, v79
	s_cbranch_execz .LBB97_309
	s_branch .LBB97_310
.LBB97_308:
                                        ; implicit-def: $vgpr72_vgpr73
.LBB97_309:
	ds_load_b64 v[72:73], v1
.LBB97_310:
	s_and_saveexec_b32 s9, s1
	s_cbranch_execz .LBB97_314
; %bb.311:
	v_add_nc_u32_e32 v74, -3, v0
	s_movk_i32 s10, 0x128
	s_mov_b32 s1, 0
.LBB97_312:                             ; =>This Inner Loop Header: Depth=1
	scratch_load_b64 v[76:77], off, s8
	v_dual_mov_b32 v75, s10 :: v_dual_add_nc_u32 v74, -1, v74
	s_add_co_i32 s10, s10, 8
	s_wait_xcnt 0x0
	s_add_co_i32 s8, s8, 8
	ds_load_b64 v[78:79], v75
	v_cmp_eq_u32_e32 vcc_lo, 0, v74
	s_or_b32 s1, vcc_lo, s1
	s_wait_loadcnt_dscnt 0x0
	v_pk_mul_f32 v[80:81], v[78:79], v[76:77] op_sel:[1,1] op_sel_hi:[0,1]
	s_delay_alu instid0(VALU_DEP_1) | instskip(SKIP_1) | instid1(VALU_DEP_2)
	v_pk_fma_f32 v[82:83], v[78:79], v[76:77], v[80:81] op_sel_hi:[1,0,1]
	v_pk_fma_f32 v[76:77], v[78:79], v[76:77], v[80:81] neg_lo:[0,0,1] neg_hi:[0,0,1]
	v_mov_b32_e32 v77, v83
	s_delay_alu instid0(VALU_DEP_1)
	v_pk_add_f32 v[72:73], v[72:73], v[76:77]
	s_and_not1_b32 exec_lo, exec_lo, s1
	s_cbranch_execnz .LBB97_312
; %bb.313:
	s_or_b32 exec_lo, exec_lo, s1
.LBB97_314:
	s_delay_alu instid0(SALU_CYCLE_1) | instskip(SKIP_4) | instid1(VALU_DEP_1)
	s_or_b32 exec_lo, exec_lo, s9
	v_mov_b32_e32 v74, 0
	ds_load_b64 v[74:75], v74 offset:16
	s_wait_dscnt 0x0
	v_pk_mul_f32 v[76:77], v[72:73], v[74:75] op_sel:[1,1] op_sel_hi:[0,1]
	v_pk_fma_f32 v[78:79], v[72:73], v[74:75], v[76:77] op_sel_hi:[1,0,1]
	v_pk_fma_f32 v[72:73], v[72:73], v[74:75], v[76:77] neg_lo:[0,0,1] neg_hi:[0,0,1]
	s_delay_alu instid0(VALU_DEP_2)
	v_mov_b32_e32 v73, v79
	scratch_store_b64 off, v[72:73], off offset:16
.LBB97_315:
	s_wait_xcnt 0x0
	s_or_b32 exec_lo, exec_lo, s0
	scratch_load_b64 v[72:73], off, off offset:8
	v_cmp_lt_u32_e64 s0, 1, v0
	s_wait_loadcnt 0x0
	ds_store_b64 v1, v[72:73]
	s_wait_storecnt_dscnt 0x0
	s_barrier_signal -1
	s_barrier_wait -1
	s_wait_xcnt 0x0
	s_and_saveexec_b32 s1, s0
	s_cbranch_execz .LBB97_325
; %bb.316:
	s_and_not1_b32 vcc_lo, exec_lo, s3
	s_cbranch_vccnz .LBB97_318
; %bb.317:
	scratch_load_b64 v[72:73], v59, off
	ds_load_b64 v[74:75], v1
	s_wait_loadcnt_dscnt 0x0
	v_pk_mul_f32 v[76:77], v[74:75], v[72:73] op_sel:[1,1] op_sel_hi:[0,1]
	s_delay_alu instid0(VALU_DEP_1) | instskip(SKIP_1) | instid1(VALU_DEP_2)
	v_pk_fma_f32 v[78:79], v[74:75], v[72:73], v[76:77] op_sel_hi:[1,0,1]
	v_pk_fma_f32 v[72:73], v[74:75], v[72:73], v[76:77] neg_lo:[0,0,1] neg_hi:[0,0,1]
	v_mov_b32_e32 v73, v79
	s_cbranch_execz .LBB97_319
	s_branch .LBB97_320
.LBB97_318:
                                        ; implicit-def: $vgpr72_vgpr73
.LBB97_319:
	ds_load_b64 v[72:73], v1
.LBB97_320:
	s_and_saveexec_b32 s8, s2
	s_cbranch_execz .LBB97_324
; %bb.321:
	v_add_nc_u32_e32 v74, -2, v0
	s_movk_i32 s9, 0x120
	s_mov_b32 s2, 0
.LBB97_322:                             ; =>This Inner Loop Header: Depth=1
	scratch_load_b64 v[76:77], off, s5
	v_dual_mov_b32 v75, s9 :: v_dual_add_nc_u32 v74, -1, v74
	s_add_co_i32 s9, s9, 8
	s_wait_xcnt 0x0
	s_add_co_i32 s5, s5, 8
	ds_load_b64 v[78:79], v75
	v_cmp_eq_u32_e32 vcc_lo, 0, v74
	s_or_b32 s2, vcc_lo, s2
	s_wait_loadcnt_dscnt 0x0
	v_pk_mul_f32 v[80:81], v[78:79], v[76:77] op_sel:[1,1] op_sel_hi:[0,1]
	s_delay_alu instid0(VALU_DEP_1) | instskip(SKIP_1) | instid1(VALU_DEP_2)
	v_pk_fma_f32 v[82:83], v[78:79], v[76:77], v[80:81] op_sel_hi:[1,0,1]
	v_pk_fma_f32 v[76:77], v[78:79], v[76:77], v[80:81] neg_lo:[0,0,1] neg_hi:[0,0,1]
	v_mov_b32_e32 v77, v83
	s_delay_alu instid0(VALU_DEP_1)
	v_pk_add_f32 v[72:73], v[72:73], v[76:77]
	s_and_not1_b32 exec_lo, exec_lo, s2
	s_cbranch_execnz .LBB97_322
; %bb.323:
	s_or_b32 exec_lo, exec_lo, s2
.LBB97_324:
	s_delay_alu instid0(SALU_CYCLE_1) | instskip(SKIP_4) | instid1(VALU_DEP_1)
	s_or_b32 exec_lo, exec_lo, s8
	v_mov_b32_e32 v74, 0
	ds_load_b64 v[74:75], v74 offset:8
	s_wait_dscnt 0x0
	v_pk_mul_f32 v[76:77], v[72:73], v[74:75] op_sel:[1,1] op_sel_hi:[0,1]
	v_pk_fma_f32 v[78:79], v[72:73], v[74:75], v[76:77] op_sel_hi:[1,0,1]
	v_pk_fma_f32 v[72:73], v[72:73], v[74:75], v[76:77] neg_lo:[0,0,1] neg_hi:[0,0,1]
	s_delay_alu instid0(VALU_DEP_2)
	v_mov_b32_e32 v73, v79
	scratch_store_b64 off, v[72:73], off offset:8
.LBB97_325:
	s_wait_xcnt 0x0
	s_or_b32 exec_lo, exec_lo, s1
	scratch_load_b64 v[72:73], off, off
	s_mov_b32 s2, 0
	s_mov_b32 s1, 0
	s_mov_b32 s8, exec_lo
                                        ; implicit-def: $vgpr100
                                        ; implicit-def: $sgpr5
	s_wait_loadcnt 0x0
	ds_store_b64 v1, v[72:73]
	s_wait_storecnt_dscnt 0x0
	s_barrier_signal -1
	s_barrier_wait -1
	s_wait_xcnt 0x0
	v_cmpx_ne_u32_e32 0, v0
	s_cbranch_execz .LBB97_335
; %bb.326:
	s_and_not1_b32 vcc_lo, exec_lo, s3
	s_cbranch_vccnz .LBB97_328
; %bb.327:
	scratch_load_b64 v[74:75], v59, off
	ds_load_b64 v[76:77], v1
	s_wait_loadcnt_dscnt 0x0
	v_dual_mul_f32 v72, v77, v75 :: v_dual_mul_f32 v73, v76, v75
	s_delay_alu instid0(VALU_DEP_1)
	v_dual_fma_f32 v72, v76, v74, -v72 :: v_dual_fmac_f32 v73, v77, v74
	s_and_not1_b32 vcc_lo, exec_lo, s1
	s_cbranch_vccz .LBB97_329
	s_branch .LBB97_330
.LBB97_328:
                                        ; implicit-def: $vgpr72
.LBB97_329:
	ds_load_b64 v[72:73], v1
.LBB97_330:
	s_and_saveexec_b32 s1, s0
	s_cbranch_execz .LBB97_334
; %bb.331:
	v_add_nc_u32_e32 v74, -1, v0
	s_movk_i32 s5, 0x118
	s_mov_b32 s0, 0
.LBB97_332:                             ; =>This Inner Loop Header: Depth=1
	scratch_load_b64 v[76:77], off, s4
	v_mov_b32_e32 v75, s5
	s_add_co_i32 s5, s5, 8
	s_wait_xcnt 0x0
	s_add_co_i32 s4, s4, 8
	v_add_nc_u32_e32 v74, -1, v74
	ds_load_b64 v[78:79], v75
	v_cmp_eq_u32_e32 vcc_lo, 0, v74
	s_or_b32 s0, vcc_lo, s0
	s_wait_loadcnt_dscnt 0x0
	v_dual_mul_f32 v75, v79, v77 :: v_dual_mul_f32 v77, v78, v77
	s_delay_alu instid0(VALU_DEP_1) | instskip(NEXT) | instid1(VALU_DEP_1)
	v_dual_fma_f32 v75, v78, v76, -v75 :: v_dual_fmac_f32 v77, v79, v76
	v_dual_add_f32 v72, v72, v75 :: v_dual_add_f32 v73, v73, v77
	s_and_not1_b32 exec_lo, exec_lo, s0
	s_cbranch_execnz .LBB97_332
; %bb.333:
	s_or_b32 exec_lo, exec_lo, s0
.LBB97_334:
	s_delay_alu instid0(SALU_CYCLE_1)
	s_or_b32 exec_lo, exec_lo, s1
	v_mov_b32_e32 v74, 0
	s_mov_b32 s1, exec_lo
	s_or_b32 s5, 0, 4
	ds_load_b64 v[74:75], v74
	s_wait_dscnt 0x0
	v_dual_mul_f32 v76, v73, v75 :: v_dual_mul_f32 v100, v72, v75
	s_delay_alu instid0(VALU_DEP_1) | instskip(NEXT) | instid1(VALU_DEP_2)
	v_fma_f32 v72, v72, v74, -v76
	v_fmac_f32_e32 v100, v73, v74
	scratch_store_b32 off, v72, off
.LBB97_335:
	s_wait_xcnt 0x0
	s_or_b32 exec_lo, exec_lo, s8
	s_delay_alu instid0(SALU_CYCLE_1)
	s_and_b32 vcc_lo, exec_lo, s2
	s_cbranch_vccz .LBB97_661
.LBB97_336:
	scratch_load_b64 v[72:73], off, off offset:8
	v_cmp_eq_u32_e64 s0, 0, v0
	s_wait_loadcnt 0x0
	ds_store_b64 v1, v[72:73]
	s_wait_storecnt_dscnt 0x0
	s_barrier_signal -1
	s_barrier_wait -1
	s_wait_xcnt 0x0
	s_and_saveexec_b32 s2, s0
	s_cbranch_execz .LBB97_342
; %bb.337:
	s_and_b32 vcc_lo, exec_lo, s3
	s_cbranch_vccz .LBB97_339
; %bb.338:
	scratch_load_b64 v[72:73], v59, off
	ds_load_b64 v[74:75], v1
	s_wait_loadcnt_dscnt 0x0
	v_pk_mul_f32 v[76:77], v[74:75], v[72:73] op_sel:[1,1] op_sel_hi:[0,1]
	v_pk_mul_f32 v[78:79], v[74:75], v[72:73] op_sel_hi:[1,0]
	s_delay_alu instid0(VALU_DEP_2) | instskip(NEXT) | instid1(VALU_DEP_2)
	v_pk_fma_f32 v[72:73], v[74:75], v[72:73], v[76:77] op_sel_hi:[1,0,1]
	v_sub_f32_e32 v72, v78, v76
	s_cbranch_execz .LBB97_340
	s_branch .LBB97_341
.LBB97_339:
                                        ; implicit-def: $vgpr73
.LBB97_340:
	ds_load_b64 v[72:73], v1
.LBB97_341:
	s_wait_dscnt 0x0
	v_dual_mov_b32 v74, 0 :: v_dual_mov_b32 v76, v73
	v_mov_b32_e32 v77, v72
	ds_load_b64 v[74:75], v74 offset:8
	s_wait_dscnt 0x0
	v_pk_mul_f32 v[76:77], v[76:77], v[74:75] op_sel:[0,1]
	s_delay_alu instid0(VALU_DEP_1) | instskip(SKIP_1) | instid1(VALU_DEP_2)
	v_pk_fma_f32 v[78:79], v[72:73], v[74:75], v[76:77] op_sel_hi:[1,0,1]
	v_pk_fma_f32 v[72:73], v[72:73], v[74:75], v[76:77] neg_lo:[0,0,1] neg_hi:[0,0,1]
	v_mov_b32_e32 v73, v79
	scratch_store_b64 off, v[72:73], off offset:8
.LBB97_342:
	s_wait_xcnt 0x0
	s_or_b32 exec_lo, exec_lo, s2
	scratch_load_b64 v[72:73], off, off offset:16
	v_cndmask_b32_e64 v74, 0, 1, s3
	s_mov_b32 s2, exec_lo
	s_wait_loadcnt 0x0
	ds_store_b64 v1, v[72:73]
	s_wait_storecnt_dscnt 0x0
	s_barrier_signal -1
	s_barrier_wait -1
	s_wait_xcnt 0x0
	v_cmpx_gt_u32_e32 2, v0
	s_cbranch_execz .LBB97_350
; %bb.343:
	s_and_not1_b32 vcc_lo, exec_lo, s3
	s_cbranch_vccnz .LBB97_345
; %bb.344:
	scratch_load_b64 v[72:73], v59, off
	ds_load_b64 v[76:77], v1
	s_wait_loadcnt_dscnt 0x0
	v_pk_mul_f32 v[78:79], v[76:77], v[72:73] op_sel:[1,1] op_sel_hi:[0,1]
	s_delay_alu instid0(VALU_DEP_1) | instskip(SKIP_1) | instid1(VALU_DEP_2)
	v_pk_fma_f32 v[80:81], v[76:77], v[72:73], v[78:79] op_sel_hi:[1,0,1]
	v_pk_fma_f32 v[72:73], v[76:77], v[72:73], v[78:79] neg_lo:[0,0,1] neg_hi:[0,0,1]
	v_mov_b32_e32 v73, v81
	s_cbranch_execz .LBB97_346
	s_branch .LBB97_347
.LBB97_345:
                                        ; implicit-def: $vgpr72_vgpr73
.LBB97_346:
	ds_load_b64 v[72:73], v1
.LBB97_347:
	s_and_saveexec_b32 s3, s0
	s_cbranch_execz .LBB97_349
; %bb.348:
	scratch_load_b64 v[76:77], off, off offset:8
	v_mov_b32_e32 v75, 0
	ds_load_b64 v[78:79], v75 offset:280
	s_wait_loadcnt_dscnt 0x0
	v_pk_mul_f32 v[80:81], v[78:79], v[76:77] op_sel:[1,1] op_sel_hi:[0,1]
	s_delay_alu instid0(VALU_DEP_1) | instskip(SKIP_1) | instid1(VALU_DEP_2)
	v_pk_fma_f32 v[82:83], v[78:79], v[76:77], v[80:81] op_sel_hi:[1,0,1]
	v_pk_fma_f32 v[76:77], v[78:79], v[76:77], v[80:81] neg_lo:[0,0,1] neg_hi:[0,0,1]
	v_mov_b32_e32 v77, v83
	s_delay_alu instid0(VALU_DEP_1)
	v_pk_add_f32 v[72:73], v[72:73], v[76:77]
.LBB97_349:
	s_or_b32 exec_lo, exec_lo, s3
	v_mov_b32_e32 v75, 0
	ds_load_b64 v[76:77], v75 offset:16
	s_wait_dscnt 0x0
	v_pk_mul_f32 v[78:79], v[72:73], v[76:77] op_sel:[1,1] op_sel_hi:[0,1]
	s_delay_alu instid0(VALU_DEP_1) | instskip(SKIP_1) | instid1(VALU_DEP_2)
	v_pk_fma_f32 v[80:81], v[72:73], v[76:77], v[78:79] op_sel_hi:[1,0,1]
	v_pk_fma_f32 v[72:73], v[72:73], v[76:77], v[78:79] neg_lo:[0,0,1] neg_hi:[0,0,1]
	v_mov_b32_e32 v73, v81
	scratch_store_b64 off, v[72:73], off offset:16
.LBB97_350:
	s_wait_xcnt 0x0
	s_or_b32 exec_lo, exec_lo, s2
	scratch_load_b64 v[72:73], off, off offset:24
	s_mov_b32 s2, exec_lo
	s_wait_loadcnt 0x0
	ds_store_b64 v1, v[72:73]
	s_wait_storecnt_dscnt 0x0
	s_barrier_signal -1
	s_barrier_wait -1
	s_wait_xcnt 0x0
	v_cmpx_gt_u32_e32 3, v0
	s_cbranch_execz .LBB97_360
; %bb.351:
	v_cmp_ne_u32_e32 vcc_lo, 1, v74
	s_cbranch_vccnz .LBB97_353
; %bb.352:
	scratch_load_b64 v[72:73], v59, off
	ds_load_b64 v[76:77], v1
	s_wait_loadcnt_dscnt 0x0
	v_pk_mul_f32 v[78:79], v[76:77], v[72:73] op_sel:[1,1] op_sel_hi:[0,1]
	s_delay_alu instid0(VALU_DEP_1) | instskip(SKIP_1) | instid1(VALU_DEP_2)
	v_pk_fma_f32 v[80:81], v[76:77], v[72:73], v[78:79] op_sel_hi:[1,0,1]
	v_pk_fma_f32 v[72:73], v[76:77], v[72:73], v[78:79] neg_lo:[0,0,1] neg_hi:[0,0,1]
	v_mov_b32_e32 v73, v81
	s_cbranch_execz .LBB97_354
	s_branch .LBB97_355
.LBB97_353:
                                        ; implicit-def: $vgpr72_vgpr73
.LBB97_354:
	ds_load_b64 v[72:73], v1
.LBB97_355:
	s_mov_b32 s3, exec_lo
	v_cmpx_ne_u32_e32 2, v0
	s_cbranch_execz .LBB97_359
; %bb.356:
	scratch_load_b64 v[76:77], v59, off offset:8
	ds_load_b64 v[78:79], v1 offset:8
	s_wait_loadcnt_dscnt 0x0
	v_pk_mul_f32 v[80:81], v[78:79], v[76:77] op_sel:[1,1] op_sel_hi:[0,1]
	s_delay_alu instid0(VALU_DEP_1) | instskip(SKIP_1) | instid1(VALU_DEP_2)
	v_pk_fma_f32 v[82:83], v[78:79], v[76:77], v[80:81] op_sel_hi:[1,0,1]
	v_pk_fma_f32 v[76:77], v[78:79], v[76:77], v[80:81] neg_lo:[0,0,1] neg_hi:[0,0,1]
	v_mov_b32_e32 v77, v83
	s_delay_alu instid0(VALU_DEP_1)
	v_pk_add_f32 v[72:73], v[72:73], v[76:77]
	s_and_saveexec_b32 s4, s0
	s_cbranch_execz .LBB97_358
; %bb.357:
	scratch_load_b64 v[76:77], off, off offset:16
	v_mov_b32_e32 v75, 0
	ds_load_b64 v[78:79], v75 offset:288
	s_wait_loadcnt_dscnt 0x0
	v_pk_mul_f32 v[80:81], v[78:79], v[76:77] op_sel:[1,1] op_sel_hi:[0,1]
	s_delay_alu instid0(VALU_DEP_1) | instskip(SKIP_1) | instid1(VALU_DEP_2)
	v_pk_fma_f32 v[82:83], v[78:79], v[76:77], v[80:81] op_sel_hi:[1,0,1]
	v_pk_fma_f32 v[76:77], v[78:79], v[76:77], v[80:81] neg_lo:[0,0,1] neg_hi:[0,0,1]
	v_mov_b32_e32 v77, v83
	s_delay_alu instid0(VALU_DEP_1)
	v_pk_add_f32 v[72:73], v[72:73], v[76:77]
.LBB97_358:
	s_or_b32 exec_lo, exec_lo, s4
.LBB97_359:
	s_delay_alu instid0(SALU_CYCLE_1) | instskip(SKIP_4) | instid1(VALU_DEP_1)
	s_or_b32 exec_lo, exec_lo, s3
	v_mov_b32_e32 v75, 0
	ds_load_b64 v[76:77], v75 offset:24
	s_wait_dscnt 0x0
	v_pk_mul_f32 v[78:79], v[72:73], v[76:77] op_sel:[1,1] op_sel_hi:[0,1]
	v_pk_fma_f32 v[80:81], v[72:73], v[76:77], v[78:79] op_sel_hi:[1,0,1]
	v_pk_fma_f32 v[72:73], v[72:73], v[76:77], v[78:79] neg_lo:[0,0,1] neg_hi:[0,0,1]
	s_delay_alu instid0(VALU_DEP_2)
	v_mov_b32_e32 v73, v81
	scratch_store_b64 off, v[72:73], off offset:24
.LBB97_360:
	s_wait_xcnt 0x0
	s_or_b32 exec_lo, exec_lo, s2
	scratch_load_b64 v[72:73], off, off offset:32
	s_mov_b32 s0, exec_lo
	s_wait_loadcnt 0x0
	ds_store_b64 v1, v[72:73]
	s_wait_storecnt_dscnt 0x0
	s_barrier_signal -1
	s_barrier_wait -1
	s_wait_xcnt 0x0
	v_cmpx_gt_u32_e32 4, v0
	s_cbranch_execz .LBB97_370
; %bb.361:
	v_cmp_ne_u32_e32 vcc_lo, 1, v74
	s_cbranch_vccnz .LBB97_363
; %bb.362:
	scratch_load_b64 v[72:73], v59, off
	ds_load_b64 v[76:77], v1
	s_wait_loadcnt_dscnt 0x0
	v_pk_mul_f32 v[78:79], v[76:77], v[72:73] op_sel:[1,1] op_sel_hi:[0,1]
	s_delay_alu instid0(VALU_DEP_1) | instskip(SKIP_1) | instid1(VALU_DEP_2)
	v_pk_fma_f32 v[80:81], v[76:77], v[72:73], v[78:79] op_sel_hi:[1,0,1]
	v_pk_fma_f32 v[72:73], v[76:77], v[72:73], v[78:79] neg_lo:[0,0,1] neg_hi:[0,0,1]
	v_mov_b32_e32 v73, v81
	s_cbranch_execz .LBB97_364
	s_branch .LBB97_365
.LBB97_363:
                                        ; implicit-def: $vgpr72_vgpr73
.LBB97_364:
	ds_load_b64 v[72:73], v1
.LBB97_365:
	s_mov_b32 s2, exec_lo
	v_cmpx_ne_u32_e32 3, v0
	s_cbranch_execz .LBB97_369
; %bb.366:
	v_add_nc_u32_e32 v75, 0x118, v58
	v_add3_u32 v76, 0, v58, 8
	v_mov_b32_e32 v77, v0
	s_mov_b32 s3, 0
.LBB97_367:                             ; =>This Inner Loop Header: Depth=1
	scratch_load_b64 v[78:79], v76, off
	ds_load_b64 v[80:81], v75
	s_wait_xcnt 0x0
	v_dual_add_nc_u32 v75, 8, v75 :: v_dual_add_nc_u32 v76, 8, v76
	s_wait_loadcnt_dscnt 0x0
	v_pk_mul_f32 v[82:83], v[80:81], v[78:79] op_sel:[1,1] op_sel_hi:[0,1]
	s_delay_alu instid0(VALU_DEP_1) | instskip(SKIP_2) | instid1(VALU_DEP_3)
	v_pk_fma_f32 v[84:85], v[80:81], v[78:79], v[82:83] op_sel_hi:[1,0,1]
	v_add_nc_u32_e32 v77, 1, v77
	v_pk_fma_f32 v[78:79], v[80:81], v[78:79], v[82:83] neg_lo:[0,0,1] neg_hi:[0,0,1]
	v_mov_b32_e32 v79, v85
	s_delay_alu instid0(VALU_DEP_3) | instskip(NEXT) | instid1(VALU_DEP_2)
	v_cmp_lt_u32_e32 vcc_lo, 2, v77
	v_pk_add_f32 v[72:73], v[72:73], v[78:79]
	s_or_b32 s3, vcc_lo, s3
	s_delay_alu instid0(SALU_CYCLE_1)
	s_and_not1_b32 exec_lo, exec_lo, s3
	s_cbranch_execnz .LBB97_367
; %bb.368:
	s_or_b32 exec_lo, exec_lo, s3
.LBB97_369:
	s_delay_alu instid0(SALU_CYCLE_1) | instskip(SKIP_4) | instid1(VALU_DEP_1)
	s_or_b32 exec_lo, exec_lo, s2
	v_mov_b32_e32 v75, 0
	ds_load_b64 v[76:77], v75 offset:32
	s_wait_dscnt 0x0
	v_pk_mul_f32 v[78:79], v[72:73], v[76:77] op_sel:[1,1] op_sel_hi:[0,1]
	v_pk_fma_f32 v[80:81], v[72:73], v[76:77], v[78:79] op_sel_hi:[1,0,1]
	v_pk_fma_f32 v[72:73], v[72:73], v[76:77], v[78:79] neg_lo:[0,0,1] neg_hi:[0,0,1]
	s_delay_alu instid0(VALU_DEP_2)
	v_mov_b32_e32 v73, v81
	scratch_store_b64 off, v[72:73], off offset:32
.LBB97_370:
	s_wait_xcnt 0x0
	s_or_b32 exec_lo, exec_lo, s0
	scratch_load_b64 v[72:73], off, off offset:40
	s_mov_b32 s0, exec_lo
	s_wait_loadcnt 0x0
	ds_store_b64 v1, v[72:73]
	s_wait_storecnt_dscnt 0x0
	s_barrier_signal -1
	s_barrier_wait -1
	s_wait_xcnt 0x0
	v_cmpx_gt_u32_e32 5, v0
	s_cbranch_execz .LBB97_380
; %bb.371:
	v_cmp_ne_u32_e32 vcc_lo, 1, v74
	s_cbranch_vccnz .LBB97_373
; %bb.372:
	scratch_load_b64 v[72:73], v59, off
	ds_load_b64 v[76:77], v1
	s_wait_loadcnt_dscnt 0x0
	v_pk_mul_f32 v[78:79], v[76:77], v[72:73] op_sel:[1,1] op_sel_hi:[0,1]
	s_delay_alu instid0(VALU_DEP_1) | instskip(SKIP_1) | instid1(VALU_DEP_2)
	v_pk_fma_f32 v[80:81], v[76:77], v[72:73], v[78:79] op_sel_hi:[1,0,1]
	v_pk_fma_f32 v[72:73], v[76:77], v[72:73], v[78:79] neg_lo:[0,0,1] neg_hi:[0,0,1]
	v_mov_b32_e32 v73, v81
	s_cbranch_execz .LBB97_374
	s_branch .LBB97_375
.LBB97_373:
                                        ; implicit-def: $vgpr72_vgpr73
.LBB97_374:
	ds_load_b64 v[72:73], v1
.LBB97_375:
	s_mov_b32 s2, exec_lo
	v_cmpx_ne_u32_e32 4, v0
	s_cbranch_execz .LBB97_379
; %bb.376:
	v_add_nc_u32_e32 v75, 0x118, v58
	v_add3_u32 v76, 0, v58, 8
	v_mov_b32_e32 v77, v0
	s_mov_b32 s3, 0
.LBB97_377:                             ; =>This Inner Loop Header: Depth=1
	scratch_load_b64 v[78:79], v76, off
	ds_load_b64 v[80:81], v75
	s_wait_xcnt 0x0
	v_dual_add_nc_u32 v75, 8, v75 :: v_dual_add_nc_u32 v76, 8, v76
	s_wait_loadcnt_dscnt 0x0
	v_pk_mul_f32 v[82:83], v[80:81], v[78:79] op_sel:[1,1] op_sel_hi:[0,1]
	s_delay_alu instid0(VALU_DEP_1) | instskip(SKIP_2) | instid1(VALU_DEP_3)
	v_pk_fma_f32 v[84:85], v[80:81], v[78:79], v[82:83] op_sel_hi:[1,0,1]
	v_add_nc_u32_e32 v77, 1, v77
	v_pk_fma_f32 v[78:79], v[80:81], v[78:79], v[82:83] neg_lo:[0,0,1] neg_hi:[0,0,1]
	v_mov_b32_e32 v79, v85
	s_delay_alu instid0(VALU_DEP_3) | instskip(NEXT) | instid1(VALU_DEP_2)
	v_cmp_lt_u32_e32 vcc_lo, 3, v77
	v_pk_add_f32 v[72:73], v[72:73], v[78:79]
	s_or_b32 s3, vcc_lo, s3
	s_delay_alu instid0(SALU_CYCLE_1)
	s_and_not1_b32 exec_lo, exec_lo, s3
	s_cbranch_execnz .LBB97_377
; %bb.378:
	s_or_b32 exec_lo, exec_lo, s3
.LBB97_379:
	s_delay_alu instid0(SALU_CYCLE_1) | instskip(SKIP_4) | instid1(VALU_DEP_1)
	s_or_b32 exec_lo, exec_lo, s2
	v_mov_b32_e32 v75, 0
	ds_load_b64 v[76:77], v75 offset:40
	s_wait_dscnt 0x0
	v_pk_mul_f32 v[78:79], v[72:73], v[76:77] op_sel:[1,1] op_sel_hi:[0,1]
	v_pk_fma_f32 v[80:81], v[72:73], v[76:77], v[78:79] op_sel_hi:[1,0,1]
	v_pk_fma_f32 v[72:73], v[72:73], v[76:77], v[78:79] neg_lo:[0,0,1] neg_hi:[0,0,1]
	s_delay_alu instid0(VALU_DEP_2)
	v_mov_b32_e32 v73, v81
	scratch_store_b64 off, v[72:73], off offset:40
.LBB97_380:
	s_wait_xcnt 0x0
	s_or_b32 exec_lo, exec_lo, s0
	scratch_load_b64 v[72:73], off, off offset:48
	s_mov_b32 s0, exec_lo
	s_wait_loadcnt 0x0
	ds_store_b64 v1, v[72:73]
	s_wait_storecnt_dscnt 0x0
	s_barrier_signal -1
	s_barrier_wait -1
	s_wait_xcnt 0x0
	v_cmpx_gt_u32_e32 6, v0
	s_cbranch_execz .LBB97_390
; %bb.381:
	v_cmp_ne_u32_e32 vcc_lo, 1, v74
	s_cbranch_vccnz .LBB97_383
; %bb.382:
	scratch_load_b64 v[72:73], v59, off
	ds_load_b64 v[76:77], v1
	s_wait_loadcnt_dscnt 0x0
	v_pk_mul_f32 v[78:79], v[76:77], v[72:73] op_sel:[1,1] op_sel_hi:[0,1]
	s_delay_alu instid0(VALU_DEP_1) | instskip(SKIP_1) | instid1(VALU_DEP_2)
	v_pk_fma_f32 v[80:81], v[76:77], v[72:73], v[78:79] op_sel_hi:[1,0,1]
	v_pk_fma_f32 v[72:73], v[76:77], v[72:73], v[78:79] neg_lo:[0,0,1] neg_hi:[0,0,1]
	v_mov_b32_e32 v73, v81
	s_cbranch_execz .LBB97_384
	s_branch .LBB97_385
.LBB97_383:
                                        ; implicit-def: $vgpr72_vgpr73
.LBB97_384:
	ds_load_b64 v[72:73], v1
.LBB97_385:
	s_mov_b32 s2, exec_lo
	v_cmpx_ne_u32_e32 5, v0
	s_cbranch_execz .LBB97_389
; %bb.386:
	v_add_nc_u32_e32 v75, 0x118, v58
	v_add3_u32 v76, 0, v58, 8
	v_mov_b32_e32 v77, v0
	s_mov_b32 s3, 0
.LBB97_387:                             ; =>This Inner Loop Header: Depth=1
	scratch_load_b64 v[78:79], v76, off
	ds_load_b64 v[80:81], v75
	s_wait_xcnt 0x0
	v_dual_add_nc_u32 v75, 8, v75 :: v_dual_add_nc_u32 v76, 8, v76
	s_wait_loadcnt_dscnt 0x0
	v_pk_mul_f32 v[82:83], v[80:81], v[78:79] op_sel:[1,1] op_sel_hi:[0,1]
	s_delay_alu instid0(VALU_DEP_1) | instskip(SKIP_2) | instid1(VALU_DEP_3)
	v_pk_fma_f32 v[84:85], v[80:81], v[78:79], v[82:83] op_sel_hi:[1,0,1]
	v_add_nc_u32_e32 v77, 1, v77
	v_pk_fma_f32 v[78:79], v[80:81], v[78:79], v[82:83] neg_lo:[0,0,1] neg_hi:[0,0,1]
	v_mov_b32_e32 v79, v85
	s_delay_alu instid0(VALU_DEP_3) | instskip(NEXT) | instid1(VALU_DEP_2)
	v_cmp_lt_u32_e32 vcc_lo, 4, v77
	v_pk_add_f32 v[72:73], v[72:73], v[78:79]
	s_or_b32 s3, vcc_lo, s3
	s_delay_alu instid0(SALU_CYCLE_1)
	s_and_not1_b32 exec_lo, exec_lo, s3
	s_cbranch_execnz .LBB97_387
; %bb.388:
	s_or_b32 exec_lo, exec_lo, s3
.LBB97_389:
	s_delay_alu instid0(SALU_CYCLE_1) | instskip(SKIP_4) | instid1(VALU_DEP_1)
	s_or_b32 exec_lo, exec_lo, s2
	v_mov_b32_e32 v75, 0
	ds_load_b64 v[76:77], v75 offset:48
	s_wait_dscnt 0x0
	v_pk_mul_f32 v[78:79], v[72:73], v[76:77] op_sel:[1,1] op_sel_hi:[0,1]
	v_pk_fma_f32 v[80:81], v[72:73], v[76:77], v[78:79] op_sel_hi:[1,0,1]
	v_pk_fma_f32 v[72:73], v[72:73], v[76:77], v[78:79] neg_lo:[0,0,1] neg_hi:[0,0,1]
	s_delay_alu instid0(VALU_DEP_2)
	v_mov_b32_e32 v73, v81
	scratch_store_b64 off, v[72:73], off offset:48
.LBB97_390:
	s_wait_xcnt 0x0
	s_or_b32 exec_lo, exec_lo, s0
	scratch_load_b64 v[72:73], off, off offset:56
	s_mov_b32 s0, exec_lo
	s_wait_loadcnt 0x0
	ds_store_b64 v1, v[72:73]
	s_wait_storecnt_dscnt 0x0
	s_barrier_signal -1
	s_barrier_wait -1
	s_wait_xcnt 0x0
	v_cmpx_gt_u32_e32 7, v0
	s_cbranch_execz .LBB97_400
; %bb.391:
	v_cmp_ne_u32_e32 vcc_lo, 1, v74
	s_cbranch_vccnz .LBB97_393
; %bb.392:
	scratch_load_b64 v[72:73], v59, off
	ds_load_b64 v[76:77], v1
	s_wait_loadcnt_dscnt 0x0
	v_pk_mul_f32 v[78:79], v[76:77], v[72:73] op_sel:[1,1] op_sel_hi:[0,1]
	s_delay_alu instid0(VALU_DEP_1) | instskip(SKIP_1) | instid1(VALU_DEP_2)
	v_pk_fma_f32 v[80:81], v[76:77], v[72:73], v[78:79] op_sel_hi:[1,0,1]
	v_pk_fma_f32 v[72:73], v[76:77], v[72:73], v[78:79] neg_lo:[0,0,1] neg_hi:[0,0,1]
	v_mov_b32_e32 v73, v81
	s_cbranch_execz .LBB97_394
	s_branch .LBB97_395
.LBB97_393:
                                        ; implicit-def: $vgpr72_vgpr73
.LBB97_394:
	ds_load_b64 v[72:73], v1
.LBB97_395:
	s_mov_b32 s2, exec_lo
	v_cmpx_ne_u32_e32 6, v0
	s_cbranch_execz .LBB97_399
; %bb.396:
	v_add_nc_u32_e32 v75, 0x118, v58
	v_add3_u32 v76, 0, v58, 8
	v_mov_b32_e32 v77, v0
	s_mov_b32 s3, 0
.LBB97_397:                             ; =>This Inner Loop Header: Depth=1
	scratch_load_b64 v[78:79], v76, off
	ds_load_b64 v[80:81], v75
	s_wait_xcnt 0x0
	v_dual_add_nc_u32 v75, 8, v75 :: v_dual_add_nc_u32 v76, 8, v76
	s_wait_loadcnt_dscnt 0x0
	v_pk_mul_f32 v[82:83], v[80:81], v[78:79] op_sel:[1,1] op_sel_hi:[0,1]
	s_delay_alu instid0(VALU_DEP_1) | instskip(SKIP_2) | instid1(VALU_DEP_3)
	v_pk_fma_f32 v[84:85], v[80:81], v[78:79], v[82:83] op_sel_hi:[1,0,1]
	v_add_nc_u32_e32 v77, 1, v77
	v_pk_fma_f32 v[78:79], v[80:81], v[78:79], v[82:83] neg_lo:[0,0,1] neg_hi:[0,0,1]
	v_mov_b32_e32 v79, v85
	s_delay_alu instid0(VALU_DEP_3) | instskip(NEXT) | instid1(VALU_DEP_2)
	v_cmp_lt_u32_e32 vcc_lo, 5, v77
	v_pk_add_f32 v[72:73], v[72:73], v[78:79]
	s_or_b32 s3, vcc_lo, s3
	s_delay_alu instid0(SALU_CYCLE_1)
	s_and_not1_b32 exec_lo, exec_lo, s3
	s_cbranch_execnz .LBB97_397
; %bb.398:
	s_or_b32 exec_lo, exec_lo, s3
.LBB97_399:
	s_delay_alu instid0(SALU_CYCLE_1) | instskip(SKIP_4) | instid1(VALU_DEP_1)
	s_or_b32 exec_lo, exec_lo, s2
	v_mov_b32_e32 v75, 0
	ds_load_b64 v[76:77], v75 offset:56
	s_wait_dscnt 0x0
	v_pk_mul_f32 v[78:79], v[72:73], v[76:77] op_sel:[1,1] op_sel_hi:[0,1]
	v_pk_fma_f32 v[80:81], v[72:73], v[76:77], v[78:79] op_sel_hi:[1,0,1]
	v_pk_fma_f32 v[72:73], v[72:73], v[76:77], v[78:79] neg_lo:[0,0,1] neg_hi:[0,0,1]
	s_delay_alu instid0(VALU_DEP_2)
	v_mov_b32_e32 v73, v81
	scratch_store_b64 off, v[72:73], off offset:56
.LBB97_400:
	s_wait_xcnt 0x0
	s_or_b32 exec_lo, exec_lo, s0
	scratch_load_b64 v[72:73], off, off offset:64
	s_mov_b32 s0, exec_lo
	s_wait_loadcnt 0x0
	ds_store_b64 v1, v[72:73]
	s_wait_storecnt_dscnt 0x0
	s_barrier_signal -1
	s_barrier_wait -1
	s_wait_xcnt 0x0
	v_cmpx_gt_u32_e32 8, v0
	s_cbranch_execz .LBB97_410
; %bb.401:
	v_cmp_ne_u32_e32 vcc_lo, 1, v74
	s_cbranch_vccnz .LBB97_403
; %bb.402:
	scratch_load_b64 v[72:73], v59, off
	ds_load_b64 v[76:77], v1
	s_wait_loadcnt_dscnt 0x0
	v_pk_mul_f32 v[78:79], v[76:77], v[72:73] op_sel:[1,1] op_sel_hi:[0,1]
	s_delay_alu instid0(VALU_DEP_1) | instskip(SKIP_1) | instid1(VALU_DEP_2)
	v_pk_fma_f32 v[80:81], v[76:77], v[72:73], v[78:79] op_sel_hi:[1,0,1]
	v_pk_fma_f32 v[72:73], v[76:77], v[72:73], v[78:79] neg_lo:[0,0,1] neg_hi:[0,0,1]
	v_mov_b32_e32 v73, v81
	s_cbranch_execz .LBB97_404
	s_branch .LBB97_405
.LBB97_403:
                                        ; implicit-def: $vgpr72_vgpr73
.LBB97_404:
	ds_load_b64 v[72:73], v1
.LBB97_405:
	s_mov_b32 s2, exec_lo
	v_cmpx_ne_u32_e32 7, v0
	s_cbranch_execz .LBB97_409
; %bb.406:
	v_add_nc_u32_e32 v75, 0x118, v58
	v_add3_u32 v76, 0, v58, 8
	v_mov_b32_e32 v77, v0
	s_mov_b32 s3, 0
.LBB97_407:                             ; =>This Inner Loop Header: Depth=1
	scratch_load_b64 v[78:79], v76, off
	ds_load_b64 v[80:81], v75
	s_wait_xcnt 0x0
	v_dual_add_nc_u32 v75, 8, v75 :: v_dual_add_nc_u32 v76, 8, v76
	s_wait_loadcnt_dscnt 0x0
	v_pk_mul_f32 v[82:83], v[80:81], v[78:79] op_sel:[1,1] op_sel_hi:[0,1]
	s_delay_alu instid0(VALU_DEP_1) | instskip(SKIP_2) | instid1(VALU_DEP_3)
	v_pk_fma_f32 v[84:85], v[80:81], v[78:79], v[82:83] op_sel_hi:[1,0,1]
	v_add_nc_u32_e32 v77, 1, v77
	v_pk_fma_f32 v[78:79], v[80:81], v[78:79], v[82:83] neg_lo:[0,0,1] neg_hi:[0,0,1]
	v_mov_b32_e32 v79, v85
	s_delay_alu instid0(VALU_DEP_3) | instskip(NEXT) | instid1(VALU_DEP_2)
	v_cmp_lt_u32_e32 vcc_lo, 6, v77
	v_pk_add_f32 v[72:73], v[72:73], v[78:79]
	s_or_b32 s3, vcc_lo, s3
	s_delay_alu instid0(SALU_CYCLE_1)
	s_and_not1_b32 exec_lo, exec_lo, s3
	s_cbranch_execnz .LBB97_407
; %bb.408:
	s_or_b32 exec_lo, exec_lo, s3
.LBB97_409:
	s_delay_alu instid0(SALU_CYCLE_1) | instskip(SKIP_4) | instid1(VALU_DEP_1)
	s_or_b32 exec_lo, exec_lo, s2
	v_mov_b32_e32 v75, 0
	ds_load_b64 v[76:77], v75 offset:64
	s_wait_dscnt 0x0
	v_pk_mul_f32 v[78:79], v[72:73], v[76:77] op_sel:[1,1] op_sel_hi:[0,1]
	v_pk_fma_f32 v[80:81], v[72:73], v[76:77], v[78:79] op_sel_hi:[1,0,1]
	v_pk_fma_f32 v[72:73], v[72:73], v[76:77], v[78:79] neg_lo:[0,0,1] neg_hi:[0,0,1]
	s_delay_alu instid0(VALU_DEP_2)
	v_mov_b32_e32 v73, v81
	scratch_store_b64 off, v[72:73], off offset:64
.LBB97_410:
	s_wait_xcnt 0x0
	s_or_b32 exec_lo, exec_lo, s0
	scratch_load_b64 v[72:73], off, off offset:72
	s_mov_b32 s0, exec_lo
	s_wait_loadcnt 0x0
	ds_store_b64 v1, v[72:73]
	s_wait_storecnt_dscnt 0x0
	s_barrier_signal -1
	s_barrier_wait -1
	s_wait_xcnt 0x0
	v_cmpx_gt_u32_e32 9, v0
	s_cbranch_execz .LBB97_420
; %bb.411:
	v_cmp_ne_u32_e32 vcc_lo, 1, v74
	s_cbranch_vccnz .LBB97_413
; %bb.412:
	scratch_load_b64 v[72:73], v59, off
	ds_load_b64 v[76:77], v1
	s_wait_loadcnt_dscnt 0x0
	v_pk_mul_f32 v[78:79], v[76:77], v[72:73] op_sel:[1,1] op_sel_hi:[0,1]
	s_delay_alu instid0(VALU_DEP_1) | instskip(SKIP_1) | instid1(VALU_DEP_2)
	v_pk_fma_f32 v[80:81], v[76:77], v[72:73], v[78:79] op_sel_hi:[1,0,1]
	v_pk_fma_f32 v[72:73], v[76:77], v[72:73], v[78:79] neg_lo:[0,0,1] neg_hi:[0,0,1]
	v_mov_b32_e32 v73, v81
	s_cbranch_execz .LBB97_414
	s_branch .LBB97_415
.LBB97_413:
                                        ; implicit-def: $vgpr72_vgpr73
.LBB97_414:
	ds_load_b64 v[72:73], v1
.LBB97_415:
	s_mov_b32 s2, exec_lo
	v_cmpx_ne_u32_e32 8, v0
	s_cbranch_execz .LBB97_419
; %bb.416:
	v_add_nc_u32_e32 v75, 0x118, v58
	v_add3_u32 v76, 0, v58, 8
	v_mov_b32_e32 v77, v0
	s_mov_b32 s3, 0
.LBB97_417:                             ; =>This Inner Loop Header: Depth=1
	scratch_load_b64 v[78:79], v76, off
	ds_load_b64 v[80:81], v75
	s_wait_xcnt 0x0
	v_dual_add_nc_u32 v75, 8, v75 :: v_dual_add_nc_u32 v76, 8, v76
	s_wait_loadcnt_dscnt 0x0
	v_pk_mul_f32 v[82:83], v[80:81], v[78:79] op_sel:[1,1] op_sel_hi:[0,1]
	s_delay_alu instid0(VALU_DEP_1) | instskip(SKIP_2) | instid1(VALU_DEP_3)
	v_pk_fma_f32 v[84:85], v[80:81], v[78:79], v[82:83] op_sel_hi:[1,0,1]
	v_add_nc_u32_e32 v77, 1, v77
	v_pk_fma_f32 v[78:79], v[80:81], v[78:79], v[82:83] neg_lo:[0,0,1] neg_hi:[0,0,1]
	v_mov_b32_e32 v79, v85
	s_delay_alu instid0(VALU_DEP_3) | instskip(NEXT) | instid1(VALU_DEP_2)
	v_cmp_lt_u32_e32 vcc_lo, 7, v77
	v_pk_add_f32 v[72:73], v[72:73], v[78:79]
	s_or_b32 s3, vcc_lo, s3
	s_delay_alu instid0(SALU_CYCLE_1)
	s_and_not1_b32 exec_lo, exec_lo, s3
	s_cbranch_execnz .LBB97_417
; %bb.418:
	s_or_b32 exec_lo, exec_lo, s3
.LBB97_419:
	s_delay_alu instid0(SALU_CYCLE_1) | instskip(SKIP_4) | instid1(VALU_DEP_1)
	s_or_b32 exec_lo, exec_lo, s2
	v_mov_b32_e32 v75, 0
	ds_load_b64 v[76:77], v75 offset:72
	s_wait_dscnt 0x0
	v_pk_mul_f32 v[78:79], v[72:73], v[76:77] op_sel:[1,1] op_sel_hi:[0,1]
	v_pk_fma_f32 v[80:81], v[72:73], v[76:77], v[78:79] op_sel_hi:[1,0,1]
	v_pk_fma_f32 v[72:73], v[72:73], v[76:77], v[78:79] neg_lo:[0,0,1] neg_hi:[0,0,1]
	s_delay_alu instid0(VALU_DEP_2)
	v_mov_b32_e32 v73, v81
	scratch_store_b64 off, v[72:73], off offset:72
.LBB97_420:
	s_wait_xcnt 0x0
	s_or_b32 exec_lo, exec_lo, s0
	scratch_load_b64 v[72:73], off, off offset:80
	s_mov_b32 s0, exec_lo
	s_wait_loadcnt 0x0
	ds_store_b64 v1, v[72:73]
	s_wait_storecnt_dscnt 0x0
	s_barrier_signal -1
	s_barrier_wait -1
	s_wait_xcnt 0x0
	v_cmpx_gt_u32_e32 10, v0
	s_cbranch_execz .LBB97_430
; %bb.421:
	v_cmp_ne_u32_e32 vcc_lo, 1, v74
	s_cbranch_vccnz .LBB97_423
; %bb.422:
	scratch_load_b64 v[72:73], v59, off
	ds_load_b64 v[76:77], v1
	s_wait_loadcnt_dscnt 0x0
	v_pk_mul_f32 v[78:79], v[76:77], v[72:73] op_sel:[1,1] op_sel_hi:[0,1]
	s_delay_alu instid0(VALU_DEP_1) | instskip(SKIP_1) | instid1(VALU_DEP_2)
	v_pk_fma_f32 v[80:81], v[76:77], v[72:73], v[78:79] op_sel_hi:[1,0,1]
	v_pk_fma_f32 v[72:73], v[76:77], v[72:73], v[78:79] neg_lo:[0,0,1] neg_hi:[0,0,1]
	v_mov_b32_e32 v73, v81
	s_cbranch_execz .LBB97_424
	s_branch .LBB97_425
.LBB97_423:
                                        ; implicit-def: $vgpr72_vgpr73
.LBB97_424:
	ds_load_b64 v[72:73], v1
.LBB97_425:
	s_mov_b32 s2, exec_lo
	v_cmpx_ne_u32_e32 9, v0
	s_cbranch_execz .LBB97_429
; %bb.426:
	v_add_nc_u32_e32 v75, 0x118, v58
	v_add3_u32 v76, 0, v58, 8
	v_mov_b32_e32 v77, v0
	s_mov_b32 s3, 0
.LBB97_427:                             ; =>This Inner Loop Header: Depth=1
	scratch_load_b64 v[78:79], v76, off
	ds_load_b64 v[80:81], v75
	s_wait_xcnt 0x0
	v_dual_add_nc_u32 v75, 8, v75 :: v_dual_add_nc_u32 v76, 8, v76
	s_wait_loadcnt_dscnt 0x0
	v_pk_mul_f32 v[82:83], v[80:81], v[78:79] op_sel:[1,1] op_sel_hi:[0,1]
	s_delay_alu instid0(VALU_DEP_1) | instskip(SKIP_2) | instid1(VALU_DEP_3)
	v_pk_fma_f32 v[84:85], v[80:81], v[78:79], v[82:83] op_sel_hi:[1,0,1]
	v_add_nc_u32_e32 v77, 1, v77
	v_pk_fma_f32 v[78:79], v[80:81], v[78:79], v[82:83] neg_lo:[0,0,1] neg_hi:[0,0,1]
	v_mov_b32_e32 v79, v85
	s_delay_alu instid0(VALU_DEP_3) | instskip(NEXT) | instid1(VALU_DEP_2)
	v_cmp_lt_u32_e32 vcc_lo, 8, v77
	v_pk_add_f32 v[72:73], v[72:73], v[78:79]
	s_or_b32 s3, vcc_lo, s3
	s_delay_alu instid0(SALU_CYCLE_1)
	s_and_not1_b32 exec_lo, exec_lo, s3
	s_cbranch_execnz .LBB97_427
; %bb.428:
	s_or_b32 exec_lo, exec_lo, s3
.LBB97_429:
	s_delay_alu instid0(SALU_CYCLE_1) | instskip(SKIP_4) | instid1(VALU_DEP_1)
	s_or_b32 exec_lo, exec_lo, s2
	v_mov_b32_e32 v75, 0
	ds_load_b64 v[76:77], v75 offset:80
	s_wait_dscnt 0x0
	v_pk_mul_f32 v[78:79], v[72:73], v[76:77] op_sel:[1,1] op_sel_hi:[0,1]
	v_pk_fma_f32 v[80:81], v[72:73], v[76:77], v[78:79] op_sel_hi:[1,0,1]
	v_pk_fma_f32 v[72:73], v[72:73], v[76:77], v[78:79] neg_lo:[0,0,1] neg_hi:[0,0,1]
	s_delay_alu instid0(VALU_DEP_2)
	v_mov_b32_e32 v73, v81
	scratch_store_b64 off, v[72:73], off offset:80
.LBB97_430:
	s_wait_xcnt 0x0
	s_or_b32 exec_lo, exec_lo, s0
	scratch_load_b64 v[72:73], off, off offset:88
	s_mov_b32 s0, exec_lo
	s_wait_loadcnt 0x0
	ds_store_b64 v1, v[72:73]
	s_wait_storecnt_dscnt 0x0
	s_barrier_signal -1
	s_barrier_wait -1
	s_wait_xcnt 0x0
	v_cmpx_gt_u32_e32 11, v0
	s_cbranch_execz .LBB97_440
; %bb.431:
	v_cmp_ne_u32_e32 vcc_lo, 1, v74
	s_cbranch_vccnz .LBB97_433
; %bb.432:
	scratch_load_b64 v[72:73], v59, off
	ds_load_b64 v[76:77], v1
	s_wait_loadcnt_dscnt 0x0
	v_pk_mul_f32 v[78:79], v[76:77], v[72:73] op_sel:[1,1] op_sel_hi:[0,1]
	s_delay_alu instid0(VALU_DEP_1) | instskip(SKIP_1) | instid1(VALU_DEP_2)
	v_pk_fma_f32 v[80:81], v[76:77], v[72:73], v[78:79] op_sel_hi:[1,0,1]
	v_pk_fma_f32 v[72:73], v[76:77], v[72:73], v[78:79] neg_lo:[0,0,1] neg_hi:[0,0,1]
	v_mov_b32_e32 v73, v81
	s_cbranch_execz .LBB97_434
	s_branch .LBB97_435
.LBB97_433:
                                        ; implicit-def: $vgpr72_vgpr73
.LBB97_434:
	ds_load_b64 v[72:73], v1
.LBB97_435:
	s_mov_b32 s2, exec_lo
	v_cmpx_ne_u32_e32 10, v0
	s_cbranch_execz .LBB97_439
; %bb.436:
	v_add_nc_u32_e32 v75, 0x118, v58
	v_add3_u32 v76, 0, v58, 8
	v_mov_b32_e32 v77, v0
	s_mov_b32 s3, 0
.LBB97_437:                             ; =>This Inner Loop Header: Depth=1
	scratch_load_b64 v[78:79], v76, off
	ds_load_b64 v[80:81], v75
	s_wait_xcnt 0x0
	v_dual_add_nc_u32 v75, 8, v75 :: v_dual_add_nc_u32 v76, 8, v76
	s_wait_loadcnt_dscnt 0x0
	v_pk_mul_f32 v[82:83], v[80:81], v[78:79] op_sel:[1,1] op_sel_hi:[0,1]
	s_delay_alu instid0(VALU_DEP_1) | instskip(SKIP_2) | instid1(VALU_DEP_3)
	v_pk_fma_f32 v[84:85], v[80:81], v[78:79], v[82:83] op_sel_hi:[1,0,1]
	v_add_nc_u32_e32 v77, 1, v77
	v_pk_fma_f32 v[78:79], v[80:81], v[78:79], v[82:83] neg_lo:[0,0,1] neg_hi:[0,0,1]
	v_mov_b32_e32 v79, v85
	s_delay_alu instid0(VALU_DEP_3) | instskip(NEXT) | instid1(VALU_DEP_2)
	v_cmp_lt_u32_e32 vcc_lo, 9, v77
	v_pk_add_f32 v[72:73], v[72:73], v[78:79]
	s_or_b32 s3, vcc_lo, s3
	s_delay_alu instid0(SALU_CYCLE_1)
	s_and_not1_b32 exec_lo, exec_lo, s3
	s_cbranch_execnz .LBB97_437
; %bb.438:
	s_or_b32 exec_lo, exec_lo, s3
.LBB97_439:
	s_delay_alu instid0(SALU_CYCLE_1) | instskip(SKIP_4) | instid1(VALU_DEP_1)
	s_or_b32 exec_lo, exec_lo, s2
	v_mov_b32_e32 v75, 0
	ds_load_b64 v[76:77], v75 offset:88
	s_wait_dscnt 0x0
	v_pk_mul_f32 v[78:79], v[72:73], v[76:77] op_sel:[1,1] op_sel_hi:[0,1]
	v_pk_fma_f32 v[80:81], v[72:73], v[76:77], v[78:79] op_sel_hi:[1,0,1]
	v_pk_fma_f32 v[72:73], v[72:73], v[76:77], v[78:79] neg_lo:[0,0,1] neg_hi:[0,0,1]
	s_delay_alu instid0(VALU_DEP_2)
	v_mov_b32_e32 v73, v81
	scratch_store_b64 off, v[72:73], off offset:88
.LBB97_440:
	s_wait_xcnt 0x0
	s_or_b32 exec_lo, exec_lo, s0
	scratch_load_b64 v[72:73], off, off offset:96
	s_mov_b32 s0, exec_lo
	s_wait_loadcnt 0x0
	ds_store_b64 v1, v[72:73]
	s_wait_storecnt_dscnt 0x0
	s_barrier_signal -1
	s_barrier_wait -1
	s_wait_xcnt 0x0
	v_cmpx_gt_u32_e32 12, v0
	s_cbranch_execz .LBB97_450
; %bb.441:
	v_cmp_ne_u32_e32 vcc_lo, 1, v74
	s_cbranch_vccnz .LBB97_443
; %bb.442:
	scratch_load_b64 v[72:73], v59, off
	ds_load_b64 v[76:77], v1
	s_wait_loadcnt_dscnt 0x0
	v_pk_mul_f32 v[78:79], v[76:77], v[72:73] op_sel:[1,1] op_sel_hi:[0,1]
	s_delay_alu instid0(VALU_DEP_1) | instskip(SKIP_1) | instid1(VALU_DEP_2)
	v_pk_fma_f32 v[80:81], v[76:77], v[72:73], v[78:79] op_sel_hi:[1,0,1]
	v_pk_fma_f32 v[72:73], v[76:77], v[72:73], v[78:79] neg_lo:[0,0,1] neg_hi:[0,0,1]
	v_mov_b32_e32 v73, v81
	s_cbranch_execz .LBB97_444
	s_branch .LBB97_445
.LBB97_443:
                                        ; implicit-def: $vgpr72_vgpr73
.LBB97_444:
	ds_load_b64 v[72:73], v1
.LBB97_445:
	s_mov_b32 s2, exec_lo
	v_cmpx_ne_u32_e32 11, v0
	s_cbranch_execz .LBB97_449
; %bb.446:
	v_add_nc_u32_e32 v75, 0x118, v58
	v_add3_u32 v76, 0, v58, 8
	v_mov_b32_e32 v77, v0
	s_mov_b32 s3, 0
.LBB97_447:                             ; =>This Inner Loop Header: Depth=1
	scratch_load_b64 v[78:79], v76, off
	ds_load_b64 v[80:81], v75
	s_wait_xcnt 0x0
	v_dual_add_nc_u32 v75, 8, v75 :: v_dual_add_nc_u32 v76, 8, v76
	s_wait_loadcnt_dscnt 0x0
	v_pk_mul_f32 v[82:83], v[80:81], v[78:79] op_sel:[1,1] op_sel_hi:[0,1]
	s_delay_alu instid0(VALU_DEP_1) | instskip(SKIP_2) | instid1(VALU_DEP_3)
	v_pk_fma_f32 v[84:85], v[80:81], v[78:79], v[82:83] op_sel_hi:[1,0,1]
	v_add_nc_u32_e32 v77, 1, v77
	v_pk_fma_f32 v[78:79], v[80:81], v[78:79], v[82:83] neg_lo:[0,0,1] neg_hi:[0,0,1]
	v_mov_b32_e32 v79, v85
	s_delay_alu instid0(VALU_DEP_3) | instskip(NEXT) | instid1(VALU_DEP_2)
	v_cmp_lt_u32_e32 vcc_lo, 10, v77
	v_pk_add_f32 v[72:73], v[72:73], v[78:79]
	s_or_b32 s3, vcc_lo, s3
	s_delay_alu instid0(SALU_CYCLE_1)
	s_and_not1_b32 exec_lo, exec_lo, s3
	s_cbranch_execnz .LBB97_447
; %bb.448:
	s_or_b32 exec_lo, exec_lo, s3
.LBB97_449:
	s_delay_alu instid0(SALU_CYCLE_1) | instskip(SKIP_4) | instid1(VALU_DEP_1)
	s_or_b32 exec_lo, exec_lo, s2
	v_mov_b32_e32 v75, 0
	ds_load_b64 v[76:77], v75 offset:96
	s_wait_dscnt 0x0
	v_pk_mul_f32 v[78:79], v[72:73], v[76:77] op_sel:[1,1] op_sel_hi:[0,1]
	v_pk_fma_f32 v[80:81], v[72:73], v[76:77], v[78:79] op_sel_hi:[1,0,1]
	v_pk_fma_f32 v[72:73], v[72:73], v[76:77], v[78:79] neg_lo:[0,0,1] neg_hi:[0,0,1]
	s_delay_alu instid0(VALU_DEP_2)
	v_mov_b32_e32 v73, v81
	scratch_store_b64 off, v[72:73], off offset:96
.LBB97_450:
	s_wait_xcnt 0x0
	s_or_b32 exec_lo, exec_lo, s0
	scratch_load_b64 v[72:73], off, off offset:104
	s_mov_b32 s0, exec_lo
	s_wait_loadcnt 0x0
	ds_store_b64 v1, v[72:73]
	s_wait_storecnt_dscnt 0x0
	s_barrier_signal -1
	s_barrier_wait -1
	s_wait_xcnt 0x0
	v_cmpx_gt_u32_e32 13, v0
	s_cbranch_execz .LBB97_460
; %bb.451:
	v_cmp_ne_u32_e32 vcc_lo, 1, v74
	s_cbranch_vccnz .LBB97_453
; %bb.452:
	scratch_load_b64 v[72:73], v59, off
	ds_load_b64 v[76:77], v1
	s_wait_loadcnt_dscnt 0x0
	v_pk_mul_f32 v[78:79], v[76:77], v[72:73] op_sel:[1,1] op_sel_hi:[0,1]
	s_delay_alu instid0(VALU_DEP_1) | instskip(SKIP_1) | instid1(VALU_DEP_2)
	v_pk_fma_f32 v[80:81], v[76:77], v[72:73], v[78:79] op_sel_hi:[1,0,1]
	v_pk_fma_f32 v[72:73], v[76:77], v[72:73], v[78:79] neg_lo:[0,0,1] neg_hi:[0,0,1]
	v_mov_b32_e32 v73, v81
	s_cbranch_execz .LBB97_454
	s_branch .LBB97_455
.LBB97_453:
                                        ; implicit-def: $vgpr72_vgpr73
.LBB97_454:
	ds_load_b64 v[72:73], v1
.LBB97_455:
	s_mov_b32 s2, exec_lo
	v_cmpx_ne_u32_e32 12, v0
	s_cbranch_execz .LBB97_459
; %bb.456:
	v_add_nc_u32_e32 v75, 0x118, v58
	v_add3_u32 v76, 0, v58, 8
	v_mov_b32_e32 v77, v0
	s_mov_b32 s3, 0
.LBB97_457:                             ; =>This Inner Loop Header: Depth=1
	scratch_load_b64 v[78:79], v76, off
	ds_load_b64 v[80:81], v75
	s_wait_xcnt 0x0
	v_dual_add_nc_u32 v75, 8, v75 :: v_dual_add_nc_u32 v76, 8, v76
	s_wait_loadcnt_dscnt 0x0
	v_pk_mul_f32 v[82:83], v[80:81], v[78:79] op_sel:[1,1] op_sel_hi:[0,1]
	s_delay_alu instid0(VALU_DEP_1) | instskip(SKIP_2) | instid1(VALU_DEP_3)
	v_pk_fma_f32 v[84:85], v[80:81], v[78:79], v[82:83] op_sel_hi:[1,0,1]
	v_add_nc_u32_e32 v77, 1, v77
	v_pk_fma_f32 v[78:79], v[80:81], v[78:79], v[82:83] neg_lo:[0,0,1] neg_hi:[0,0,1]
	v_mov_b32_e32 v79, v85
	s_delay_alu instid0(VALU_DEP_3) | instskip(NEXT) | instid1(VALU_DEP_2)
	v_cmp_lt_u32_e32 vcc_lo, 11, v77
	v_pk_add_f32 v[72:73], v[72:73], v[78:79]
	s_or_b32 s3, vcc_lo, s3
	s_delay_alu instid0(SALU_CYCLE_1)
	s_and_not1_b32 exec_lo, exec_lo, s3
	s_cbranch_execnz .LBB97_457
; %bb.458:
	s_or_b32 exec_lo, exec_lo, s3
.LBB97_459:
	s_delay_alu instid0(SALU_CYCLE_1) | instskip(SKIP_4) | instid1(VALU_DEP_1)
	s_or_b32 exec_lo, exec_lo, s2
	v_mov_b32_e32 v75, 0
	ds_load_b64 v[76:77], v75 offset:104
	s_wait_dscnt 0x0
	v_pk_mul_f32 v[78:79], v[72:73], v[76:77] op_sel:[1,1] op_sel_hi:[0,1]
	v_pk_fma_f32 v[80:81], v[72:73], v[76:77], v[78:79] op_sel_hi:[1,0,1]
	v_pk_fma_f32 v[72:73], v[72:73], v[76:77], v[78:79] neg_lo:[0,0,1] neg_hi:[0,0,1]
	s_delay_alu instid0(VALU_DEP_2)
	v_mov_b32_e32 v73, v81
	scratch_store_b64 off, v[72:73], off offset:104
.LBB97_460:
	s_wait_xcnt 0x0
	s_or_b32 exec_lo, exec_lo, s0
	scratch_load_b64 v[72:73], off, off offset:112
	s_mov_b32 s0, exec_lo
	s_wait_loadcnt 0x0
	ds_store_b64 v1, v[72:73]
	s_wait_storecnt_dscnt 0x0
	s_barrier_signal -1
	s_barrier_wait -1
	s_wait_xcnt 0x0
	v_cmpx_gt_u32_e32 14, v0
	s_cbranch_execz .LBB97_470
; %bb.461:
	v_cmp_ne_u32_e32 vcc_lo, 1, v74
	s_cbranch_vccnz .LBB97_463
; %bb.462:
	scratch_load_b64 v[72:73], v59, off
	ds_load_b64 v[76:77], v1
	s_wait_loadcnt_dscnt 0x0
	v_pk_mul_f32 v[78:79], v[76:77], v[72:73] op_sel:[1,1] op_sel_hi:[0,1]
	s_delay_alu instid0(VALU_DEP_1) | instskip(SKIP_1) | instid1(VALU_DEP_2)
	v_pk_fma_f32 v[80:81], v[76:77], v[72:73], v[78:79] op_sel_hi:[1,0,1]
	v_pk_fma_f32 v[72:73], v[76:77], v[72:73], v[78:79] neg_lo:[0,0,1] neg_hi:[0,0,1]
	v_mov_b32_e32 v73, v81
	s_cbranch_execz .LBB97_464
	s_branch .LBB97_465
.LBB97_463:
                                        ; implicit-def: $vgpr72_vgpr73
.LBB97_464:
	ds_load_b64 v[72:73], v1
.LBB97_465:
	s_mov_b32 s2, exec_lo
	v_cmpx_ne_u32_e32 13, v0
	s_cbranch_execz .LBB97_469
; %bb.466:
	v_add_nc_u32_e32 v75, 0x118, v58
	v_add3_u32 v76, 0, v58, 8
	v_mov_b32_e32 v77, v0
	s_mov_b32 s3, 0
.LBB97_467:                             ; =>This Inner Loop Header: Depth=1
	scratch_load_b64 v[78:79], v76, off
	ds_load_b64 v[80:81], v75
	s_wait_xcnt 0x0
	v_dual_add_nc_u32 v75, 8, v75 :: v_dual_add_nc_u32 v76, 8, v76
	s_wait_loadcnt_dscnt 0x0
	v_pk_mul_f32 v[82:83], v[80:81], v[78:79] op_sel:[1,1] op_sel_hi:[0,1]
	s_delay_alu instid0(VALU_DEP_1) | instskip(SKIP_2) | instid1(VALU_DEP_3)
	v_pk_fma_f32 v[84:85], v[80:81], v[78:79], v[82:83] op_sel_hi:[1,0,1]
	v_add_nc_u32_e32 v77, 1, v77
	v_pk_fma_f32 v[78:79], v[80:81], v[78:79], v[82:83] neg_lo:[0,0,1] neg_hi:[0,0,1]
	v_mov_b32_e32 v79, v85
	s_delay_alu instid0(VALU_DEP_3) | instskip(NEXT) | instid1(VALU_DEP_2)
	v_cmp_lt_u32_e32 vcc_lo, 12, v77
	v_pk_add_f32 v[72:73], v[72:73], v[78:79]
	s_or_b32 s3, vcc_lo, s3
	s_delay_alu instid0(SALU_CYCLE_1)
	s_and_not1_b32 exec_lo, exec_lo, s3
	s_cbranch_execnz .LBB97_467
; %bb.468:
	s_or_b32 exec_lo, exec_lo, s3
.LBB97_469:
	s_delay_alu instid0(SALU_CYCLE_1) | instskip(SKIP_4) | instid1(VALU_DEP_1)
	s_or_b32 exec_lo, exec_lo, s2
	v_mov_b32_e32 v75, 0
	ds_load_b64 v[76:77], v75 offset:112
	s_wait_dscnt 0x0
	v_pk_mul_f32 v[78:79], v[72:73], v[76:77] op_sel:[1,1] op_sel_hi:[0,1]
	v_pk_fma_f32 v[80:81], v[72:73], v[76:77], v[78:79] op_sel_hi:[1,0,1]
	v_pk_fma_f32 v[72:73], v[72:73], v[76:77], v[78:79] neg_lo:[0,0,1] neg_hi:[0,0,1]
	s_delay_alu instid0(VALU_DEP_2)
	v_mov_b32_e32 v73, v81
	scratch_store_b64 off, v[72:73], off offset:112
.LBB97_470:
	s_wait_xcnt 0x0
	s_or_b32 exec_lo, exec_lo, s0
	scratch_load_b64 v[72:73], off, off offset:120
	s_mov_b32 s0, exec_lo
	s_wait_loadcnt 0x0
	ds_store_b64 v1, v[72:73]
	s_wait_storecnt_dscnt 0x0
	s_barrier_signal -1
	s_barrier_wait -1
	s_wait_xcnt 0x0
	v_cmpx_gt_u32_e32 15, v0
	s_cbranch_execz .LBB97_480
; %bb.471:
	v_cmp_ne_u32_e32 vcc_lo, 1, v74
	s_cbranch_vccnz .LBB97_473
; %bb.472:
	scratch_load_b64 v[72:73], v59, off
	ds_load_b64 v[76:77], v1
	s_wait_loadcnt_dscnt 0x0
	v_pk_mul_f32 v[78:79], v[76:77], v[72:73] op_sel:[1,1] op_sel_hi:[0,1]
	s_delay_alu instid0(VALU_DEP_1) | instskip(SKIP_1) | instid1(VALU_DEP_2)
	v_pk_fma_f32 v[80:81], v[76:77], v[72:73], v[78:79] op_sel_hi:[1,0,1]
	v_pk_fma_f32 v[72:73], v[76:77], v[72:73], v[78:79] neg_lo:[0,0,1] neg_hi:[0,0,1]
	v_mov_b32_e32 v73, v81
	s_cbranch_execz .LBB97_474
	s_branch .LBB97_475
.LBB97_473:
                                        ; implicit-def: $vgpr72_vgpr73
.LBB97_474:
	ds_load_b64 v[72:73], v1
.LBB97_475:
	s_mov_b32 s2, exec_lo
	v_cmpx_ne_u32_e32 14, v0
	s_cbranch_execz .LBB97_479
; %bb.476:
	v_add_nc_u32_e32 v75, 0x118, v58
	v_add3_u32 v76, 0, v58, 8
	v_mov_b32_e32 v77, v0
	s_mov_b32 s3, 0
.LBB97_477:                             ; =>This Inner Loop Header: Depth=1
	scratch_load_b64 v[78:79], v76, off
	ds_load_b64 v[80:81], v75
	s_wait_xcnt 0x0
	v_dual_add_nc_u32 v75, 8, v75 :: v_dual_add_nc_u32 v76, 8, v76
	s_wait_loadcnt_dscnt 0x0
	v_pk_mul_f32 v[82:83], v[80:81], v[78:79] op_sel:[1,1] op_sel_hi:[0,1]
	s_delay_alu instid0(VALU_DEP_1) | instskip(SKIP_2) | instid1(VALU_DEP_3)
	v_pk_fma_f32 v[84:85], v[80:81], v[78:79], v[82:83] op_sel_hi:[1,0,1]
	v_add_nc_u32_e32 v77, 1, v77
	v_pk_fma_f32 v[78:79], v[80:81], v[78:79], v[82:83] neg_lo:[0,0,1] neg_hi:[0,0,1]
	v_mov_b32_e32 v79, v85
	s_delay_alu instid0(VALU_DEP_3) | instskip(NEXT) | instid1(VALU_DEP_2)
	v_cmp_lt_u32_e32 vcc_lo, 13, v77
	v_pk_add_f32 v[72:73], v[72:73], v[78:79]
	s_or_b32 s3, vcc_lo, s3
	s_delay_alu instid0(SALU_CYCLE_1)
	s_and_not1_b32 exec_lo, exec_lo, s3
	s_cbranch_execnz .LBB97_477
; %bb.478:
	s_or_b32 exec_lo, exec_lo, s3
.LBB97_479:
	s_delay_alu instid0(SALU_CYCLE_1) | instskip(SKIP_4) | instid1(VALU_DEP_1)
	s_or_b32 exec_lo, exec_lo, s2
	v_mov_b32_e32 v75, 0
	ds_load_b64 v[76:77], v75 offset:120
	s_wait_dscnt 0x0
	v_pk_mul_f32 v[78:79], v[72:73], v[76:77] op_sel:[1,1] op_sel_hi:[0,1]
	v_pk_fma_f32 v[80:81], v[72:73], v[76:77], v[78:79] op_sel_hi:[1,0,1]
	v_pk_fma_f32 v[72:73], v[72:73], v[76:77], v[78:79] neg_lo:[0,0,1] neg_hi:[0,0,1]
	s_delay_alu instid0(VALU_DEP_2)
	v_mov_b32_e32 v73, v81
	scratch_store_b64 off, v[72:73], off offset:120
.LBB97_480:
	s_wait_xcnt 0x0
	s_or_b32 exec_lo, exec_lo, s0
	scratch_load_b64 v[72:73], off, off offset:128
	s_mov_b32 s0, exec_lo
	s_wait_loadcnt 0x0
	ds_store_b64 v1, v[72:73]
	s_wait_storecnt_dscnt 0x0
	s_barrier_signal -1
	s_barrier_wait -1
	s_wait_xcnt 0x0
	v_cmpx_gt_u32_e32 16, v0
	s_cbranch_execz .LBB97_490
; %bb.481:
	v_cmp_ne_u32_e32 vcc_lo, 1, v74
	s_cbranch_vccnz .LBB97_483
; %bb.482:
	scratch_load_b64 v[72:73], v59, off
	ds_load_b64 v[76:77], v1
	s_wait_loadcnt_dscnt 0x0
	v_pk_mul_f32 v[78:79], v[76:77], v[72:73] op_sel:[1,1] op_sel_hi:[0,1]
	s_delay_alu instid0(VALU_DEP_1) | instskip(SKIP_1) | instid1(VALU_DEP_2)
	v_pk_fma_f32 v[80:81], v[76:77], v[72:73], v[78:79] op_sel_hi:[1,0,1]
	v_pk_fma_f32 v[72:73], v[76:77], v[72:73], v[78:79] neg_lo:[0,0,1] neg_hi:[0,0,1]
	v_mov_b32_e32 v73, v81
	s_cbranch_execz .LBB97_484
	s_branch .LBB97_485
.LBB97_483:
                                        ; implicit-def: $vgpr72_vgpr73
.LBB97_484:
	ds_load_b64 v[72:73], v1
.LBB97_485:
	s_mov_b32 s2, exec_lo
	v_cmpx_ne_u32_e32 15, v0
	s_cbranch_execz .LBB97_489
; %bb.486:
	v_add_nc_u32_e32 v75, 0x118, v58
	v_add3_u32 v76, 0, v58, 8
	v_mov_b32_e32 v77, v0
	s_mov_b32 s3, 0
.LBB97_487:                             ; =>This Inner Loop Header: Depth=1
	scratch_load_b64 v[78:79], v76, off
	ds_load_b64 v[80:81], v75
	s_wait_xcnt 0x0
	v_dual_add_nc_u32 v75, 8, v75 :: v_dual_add_nc_u32 v76, 8, v76
	s_wait_loadcnt_dscnt 0x0
	v_pk_mul_f32 v[82:83], v[80:81], v[78:79] op_sel:[1,1] op_sel_hi:[0,1]
	s_delay_alu instid0(VALU_DEP_1) | instskip(SKIP_2) | instid1(VALU_DEP_3)
	v_pk_fma_f32 v[84:85], v[80:81], v[78:79], v[82:83] op_sel_hi:[1,0,1]
	v_add_nc_u32_e32 v77, 1, v77
	v_pk_fma_f32 v[78:79], v[80:81], v[78:79], v[82:83] neg_lo:[0,0,1] neg_hi:[0,0,1]
	v_mov_b32_e32 v79, v85
	s_delay_alu instid0(VALU_DEP_3) | instskip(NEXT) | instid1(VALU_DEP_2)
	v_cmp_lt_u32_e32 vcc_lo, 14, v77
	v_pk_add_f32 v[72:73], v[72:73], v[78:79]
	s_or_b32 s3, vcc_lo, s3
	s_delay_alu instid0(SALU_CYCLE_1)
	s_and_not1_b32 exec_lo, exec_lo, s3
	s_cbranch_execnz .LBB97_487
; %bb.488:
	s_or_b32 exec_lo, exec_lo, s3
.LBB97_489:
	s_delay_alu instid0(SALU_CYCLE_1) | instskip(SKIP_4) | instid1(VALU_DEP_1)
	s_or_b32 exec_lo, exec_lo, s2
	v_mov_b32_e32 v75, 0
	ds_load_b64 v[76:77], v75 offset:128
	s_wait_dscnt 0x0
	v_pk_mul_f32 v[78:79], v[72:73], v[76:77] op_sel:[1,1] op_sel_hi:[0,1]
	v_pk_fma_f32 v[80:81], v[72:73], v[76:77], v[78:79] op_sel_hi:[1,0,1]
	v_pk_fma_f32 v[72:73], v[72:73], v[76:77], v[78:79] neg_lo:[0,0,1] neg_hi:[0,0,1]
	s_delay_alu instid0(VALU_DEP_2)
	v_mov_b32_e32 v73, v81
	scratch_store_b64 off, v[72:73], off offset:128
.LBB97_490:
	s_wait_xcnt 0x0
	s_or_b32 exec_lo, exec_lo, s0
	scratch_load_b64 v[72:73], off, off offset:136
	s_mov_b32 s0, exec_lo
	s_wait_loadcnt 0x0
	ds_store_b64 v1, v[72:73]
	s_wait_storecnt_dscnt 0x0
	s_barrier_signal -1
	s_barrier_wait -1
	s_wait_xcnt 0x0
	v_cmpx_gt_u32_e32 17, v0
	s_cbranch_execz .LBB97_500
; %bb.491:
	v_cmp_ne_u32_e32 vcc_lo, 1, v74
	s_cbranch_vccnz .LBB97_493
; %bb.492:
	scratch_load_b64 v[72:73], v59, off
	ds_load_b64 v[76:77], v1
	s_wait_loadcnt_dscnt 0x0
	v_pk_mul_f32 v[78:79], v[76:77], v[72:73] op_sel:[1,1] op_sel_hi:[0,1]
	s_delay_alu instid0(VALU_DEP_1) | instskip(SKIP_1) | instid1(VALU_DEP_2)
	v_pk_fma_f32 v[80:81], v[76:77], v[72:73], v[78:79] op_sel_hi:[1,0,1]
	v_pk_fma_f32 v[72:73], v[76:77], v[72:73], v[78:79] neg_lo:[0,0,1] neg_hi:[0,0,1]
	v_mov_b32_e32 v73, v81
	s_cbranch_execz .LBB97_494
	s_branch .LBB97_495
.LBB97_493:
                                        ; implicit-def: $vgpr72_vgpr73
.LBB97_494:
	ds_load_b64 v[72:73], v1
.LBB97_495:
	s_mov_b32 s2, exec_lo
	v_cmpx_ne_u32_e32 16, v0
	s_cbranch_execz .LBB97_499
; %bb.496:
	v_add_nc_u32_e32 v75, 0x118, v58
	v_add3_u32 v76, 0, v58, 8
	v_mov_b32_e32 v77, v0
	s_mov_b32 s3, 0
.LBB97_497:                             ; =>This Inner Loop Header: Depth=1
	scratch_load_b64 v[78:79], v76, off
	ds_load_b64 v[80:81], v75
	s_wait_xcnt 0x0
	v_dual_add_nc_u32 v75, 8, v75 :: v_dual_add_nc_u32 v76, 8, v76
	s_wait_loadcnt_dscnt 0x0
	v_pk_mul_f32 v[82:83], v[80:81], v[78:79] op_sel:[1,1] op_sel_hi:[0,1]
	s_delay_alu instid0(VALU_DEP_1) | instskip(SKIP_2) | instid1(VALU_DEP_3)
	v_pk_fma_f32 v[84:85], v[80:81], v[78:79], v[82:83] op_sel_hi:[1,0,1]
	v_add_nc_u32_e32 v77, 1, v77
	v_pk_fma_f32 v[78:79], v[80:81], v[78:79], v[82:83] neg_lo:[0,0,1] neg_hi:[0,0,1]
	v_mov_b32_e32 v79, v85
	s_delay_alu instid0(VALU_DEP_3) | instskip(NEXT) | instid1(VALU_DEP_2)
	v_cmp_lt_u32_e32 vcc_lo, 15, v77
	v_pk_add_f32 v[72:73], v[72:73], v[78:79]
	s_or_b32 s3, vcc_lo, s3
	s_delay_alu instid0(SALU_CYCLE_1)
	s_and_not1_b32 exec_lo, exec_lo, s3
	s_cbranch_execnz .LBB97_497
; %bb.498:
	s_or_b32 exec_lo, exec_lo, s3
.LBB97_499:
	s_delay_alu instid0(SALU_CYCLE_1) | instskip(SKIP_4) | instid1(VALU_DEP_1)
	s_or_b32 exec_lo, exec_lo, s2
	v_mov_b32_e32 v75, 0
	ds_load_b64 v[76:77], v75 offset:136
	s_wait_dscnt 0x0
	v_pk_mul_f32 v[78:79], v[72:73], v[76:77] op_sel:[1,1] op_sel_hi:[0,1]
	v_pk_fma_f32 v[80:81], v[72:73], v[76:77], v[78:79] op_sel_hi:[1,0,1]
	v_pk_fma_f32 v[72:73], v[72:73], v[76:77], v[78:79] neg_lo:[0,0,1] neg_hi:[0,0,1]
	s_delay_alu instid0(VALU_DEP_2)
	v_mov_b32_e32 v73, v81
	scratch_store_b64 off, v[72:73], off offset:136
.LBB97_500:
	s_wait_xcnt 0x0
	s_or_b32 exec_lo, exec_lo, s0
	scratch_load_b64 v[72:73], off, off offset:144
	s_mov_b32 s0, exec_lo
	s_wait_loadcnt 0x0
	ds_store_b64 v1, v[72:73]
	s_wait_storecnt_dscnt 0x0
	s_barrier_signal -1
	s_barrier_wait -1
	s_wait_xcnt 0x0
	v_cmpx_gt_u32_e32 18, v0
	s_cbranch_execz .LBB97_510
; %bb.501:
	v_cmp_ne_u32_e32 vcc_lo, 1, v74
	s_cbranch_vccnz .LBB97_503
; %bb.502:
	scratch_load_b64 v[72:73], v59, off
	ds_load_b64 v[76:77], v1
	s_wait_loadcnt_dscnt 0x0
	v_pk_mul_f32 v[78:79], v[76:77], v[72:73] op_sel:[1,1] op_sel_hi:[0,1]
	s_delay_alu instid0(VALU_DEP_1) | instskip(SKIP_1) | instid1(VALU_DEP_2)
	v_pk_fma_f32 v[80:81], v[76:77], v[72:73], v[78:79] op_sel_hi:[1,0,1]
	v_pk_fma_f32 v[72:73], v[76:77], v[72:73], v[78:79] neg_lo:[0,0,1] neg_hi:[0,0,1]
	v_mov_b32_e32 v73, v81
	s_cbranch_execz .LBB97_504
	s_branch .LBB97_505
.LBB97_503:
                                        ; implicit-def: $vgpr72_vgpr73
.LBB97_504:
	ds_load_b64 v[72:73], v1
.LBB97_505:
	s_mov_b32 s2, exec_lo
	v_cmpx_ne_u32_e32 17, v0
	s_cbranch_execz .LBB97_509
; %bb.506:
	v_add_nc_u32_e32 v75, 0x118, v58
	v_add3_u32 v76, 0, v58, 8
	v_mov_b32_e32 v77, v0
	s_mov_b32 s3, 0
.LBB97_507:                             ; =>This Inner Loop Header: Depth=1
	scratch_load_b64 v[78:79], v76, off
	ds_load_b64 v[80:81], v75
	s_wait_xcnt 0x0
	v_dual_add_nc_u32 v75, 8, v75 :: v_dual_add_nc_u32 v76, 8, v76
	s_wait_loadcnt_dscnt 0x0
	v_pk_mul_f32 v[82:83], v[80:81], v[78:79] op_sel:[1,1] op_sel_hi:[0,1]
	s_delay_alu instid0(VALU_DEP_1) | instskip(SKIP_2) | instid1(VALU_DEP_3)
	v_pk_fma_f32 v[84:85], v[80:81], v[78:79], v[82:83] op_sel_hi:[1,0,1]
	v_add_nc_u32_e32 v77, 1, v77
	v_pk_fma_f32 v[78:79], v[80:81], v[78:79], v[82:83] neg_lo:[0,0,1] neg_hi:[0,0,1]
	v_mov_b32_e32 v79, v85
	s_delay_alu instid0(VALU_DEP_3) | instskip(NEXT) | instid1(VALU_DEP_2)
	v_cmp_lt_u32_e32 vcc_lo, 16, v77
	v_pk_add_f32 v[72:73], v[72:73], v[78:79]
	s_or_b32 s3, vcc_lo, s3
	s_delay_alu instid0(SALU_CYCLE_1)
	s_and_not1_b32 exec_lo, exec_lo, s3
	s_cbranch_execnz .LBB97_507
; %bb.508:
	s_or_b32 exec_lo, exec_lo, s3
.LBB97_509:
	s_delay_alu instid0(SALU_CYCLE_1) | instskip(SKIP_4) | instid1(VALU_DEP_1)
	s_or_b32 exec_lo, exec_lo, s2
	v_mov_b32_e32 v75, 0
	ds_load_b64 v[76:77], v75 offset:144
	s_wait_dscnt 0x0
	v_pk_mul_f32 v[78:79], v[72:73], v[76:77] op_sel:[1,1] op_sel_hi:[0,1]
	v_pk_fma_f32 v[80:81], v[72:73], v[76:77], v[78:79] op_sel_hi:[1,0,1]
	v_pk_fma_f32 v[72:73], v[72:73], v[76:77], v[78:79] neg_lo:[0,0,1] neg_hi:[0,0,1]
	s_delay_alu instid0(VALU_DEP_2)
	v_mov_b32_e32 v73, v81
	scratch_store_b64 off, v[72:73], off offset:144
.LBB97_510:
	s_wait_xcnt 0x0
	s_or_b32 exec_lo, exec_lo, s0
	scratch_load_b64 v[72:73], off, off offset:152
	s_mov_b32 s0, exec_lo
	s_wait_loadcnt 0x0
	ds_store_b64 v1, v[72:73]
	s_wait_storecnt_dscnt 0x0
	s_barrier_signal -1
	s_barrier_wait -1
	s_wait_xcnt 0x0
	v_cmpx_gt_u32_e32 19, v0
	s_cbranch_execz .LBB97_520
; %bb.511:
	v_cmp_ne_u32_e32 vcc_lo, 1, v74
	s_cbranch_vccnz .LBB97_513
; %bb.512:
	scratch_load_b64 v[72:73], v59, off
	ds_load_b64 v[76:77], v1
	s_wait_loadcnt_dscnt 0x0
	v_pk_mul_f32 v[78:79], v[76:77], v[72:73] op_sel:[1,1] op_sel_hi:[0,1]
	s_delay_alu instid0(VALU_DEP_1) | instskip(SKIP_1) | instid1(VALU_DEP_2)
	v_pk_fma_f32 v[80:81], v[76:77], v[72:73], v[78:79] op_sel_hi:[1,0,1]
	v_pk_fma_f32 v[72:73], v[76:77], v[72:73], v[78:79] neg_lo:[0,0,1] neg_hi:[0,0,1]
	v_mov_b32_e32 v73, v81
	s_cbranch_execz .LBB97_514
	s_branch .LBB97_515
.LBB97_513:
                                        ; implicit-def: $vgpr72_vgpr73
.LBB97_514:
	ds_load_b64 v[72:73], v1
.LBB97_515:
	s_mov_b32 s2, exec_lo
	v_cmpx_ne_u32_e32 18, v0
	s_cbranch_execz .LBB97_519
; %bb.516:
	v_add_nc_u32_e32 v75, 0x118, v58
	v_add3_u32 v76, 0, v58, 8
	v_mov_b32_e32 v77, v0
	s_mov_b32 s3, 0
.LBB97_517:                             ; =>This Inner Loop Header: Depth=1
	scratch_load_b64 v[78:79], v76, off
	ds_load_b64 v[80:81], v75
	s_wait_xcnt 0x0
	v_dual_add_nc_u32 v75, 8, v75 :: v_dual_add_nc_u32 v76, 8, v76
	s_wait_loadcnt_dscnt 0x0
	v_pk_mul_f32 v[82:83], v[80:81], v[78:79] op_sel:[1,1] op_sel_hi:[0,1]
	s_delay_alu instid0(VALU_DEP_1) | instskip(SKIP_2) | instid1(VALU_DEP_3)
	v_pk_fma_f32 v[84:85], v[80:81], v[78:79], v[82:83] op_sel_hi:[1,0,1]
	v_add_nc_u32_e32 v77, 1, v77
	v_pk_fma_f32 v[78:79], v[80:81], v[78:79], v[82:83] neg_lo:[0,0,1] neg_hi:[0,0,1]
	v_mov_b32_e32 v79, v85
	s_delay_alu instid0(VALU_DEP_3) | instskip(NEXT) | instid1(VALU_DEP_2)
	v_cmp_lt_u32_e32 vcc_lo, 17, v77
	v_pk_add_f32 v[72:73], v[72:73], v[78:79]
	s_or_b32 s3, vcc_lo, s3
	s_delay_alu instid0(SALU_CYCLE_1)
	s_and_not1_b32 exec_lo, exec_lo, s3
	s_cbranch_execnz .LBB97_517
; %bb.518:
	s_or_b32 exec_lo, exec_lo, s3
.LBB97_519:
	s_delay_alu instid0(SALU_CYCLE_1) | instskip(SKIP_4) | instid1(VALU_DEP_1)
	s_or_b32 exec_lo, exec_lo, s2
	v_mov_b32_e32 v75, 0
	ds_load_b64 v[76:77], v75 offset:152
	s_wait_dscnt 0x0
	v_pk_mul_f32 v[78:79], v[72:73], v[76:77] op_sel:[1,1] op_sel_hi:[0,1]
	v_pk_fma_f32 v[80:81], v[72:73], v[76:77], v[78:79] op_sel_hi:[1,0,1]
	v_pk_fma_f32 v[72:73], v[72:73], v[76:77], v[78:79] neg_lo:[0,0,1] neg_hi:[0,0,1]
	s_delay_alu instid0(VALU_DEP_2)
	v_mov_b32_e32 v73, v81
	scratch_store_b64 off, v[72:73], off offset:152
.LBB97_520:
	s_wait_xcnt 0x0
	s_or_b32 exec_lo, exec_lo, s0
	scratch_load_b64 v[72:73], off, off offset:160
	s_mov_b32 s0, exec_lo
	s_wait_loadcnt 0x0
	ds_store_b64 v1, v[72:73]
	s_wait_storecnt_dscnt 0x0
	s_barrier_signal -1
	s_barrier_wait -1
	s_wait_xcnt 0x0
	v_cmpx_gt_u32_e32 20, v0
	s_cbranch_execz .LBB97_530
; %bb.521:
	v_cmp_ne_u32_e32 vcc_lo, 1, v74
	s_cbranch_vccnz .LBB97_523
; %bb.522:
	scratch_load_b64 v[72:73], v59, off
	ds_load_b64 v[76:77], v1
	s_wait_loadcnt_dscnt 0x0
	v_pk_mul_f32 v[78:79], v[76:77], v[72:73] op_sel:[1,1] op_sel_hi:[0,1]
	s_delay_alu instid0(VALU_DEP_1) | instskip(SKIP_1) | instid1(VALU_DEP_2)
	v_pk_fma_f32 v[80:81], v[76:77], v[72:73], v[78:79] op_sel_hi:[1,0,1]
	v_pk_fma_f32 v[72:73], v[76:77], v[72:73], v[78:79] neg_lo:[0,0,1] neg_hi:[0,0,1]
	v_mov_b32_e32 v73, v81
	s_cbranch_execz .LBB97_524
	s_branch .LBB97_525
.LBB97_523:
                                        ; implicit-def: $vgpr72_vgpr73
.LBB97_524:
	ds_load_b64 v[72:73], v1
.LBB97_525:
	s_mov_b32 s2, exec_lo
	v_cmpx_ne_u32_e32 19, v0
	s_cbranch_execz .LBB97_529
; %bb.526:
	v_add_nc_u32_e32 v75, 0x118, v58
	v_add3_u32 v76, 0, v58, 8
	v_mov_b32_e32 v77, v0
	s_mov_b32 s3, 0
.LBB97_527:                             ; =>This Inner Loop Header: Depth=1
	scratch_load_b64 v[78:79], v76, off
	ds_load_b64 v[80:81], v75
	s_wait_xcnt 0x0
	v_dual_add_nc_u32 v75, 8, v75 :: v_dual_add_nc_u32 v76, 8, v76
	s_wait_loadcnt_dscnt 0x0
	v_pk_mul_f32 v[82:83], v[80:81], v[78:79] op_sel:[1,1] op_sel_hi:[0,1]
	s_delay_alu instid0(VALU_DEP_1) | instskip(SKIP_2) | instid1(VALU_DEP_3)
	v_pk_fma_f32 v[84:85], v[80:81], v[78:79], v[82:83] op_sel_hi:[1,0,1]
	v_add_nc_u32_e32 v77, 1, v77
	v_pk_fma_f32 v[78:79], v[80:81], v[78:79], v[82:83] neg_lo:[0,0,1] neg_hi:[0,0,1]
	v_mov_b32_e32 v79, v85
	s_delay_alu instid0(VALU_DEP_3) | instskip(NEXT) | instid1(VALU_DEP_2)
	v_cmp_lt_u32_e32 vcc_lo, 18, v77
	v_pk_add_f32 v[72:73], v[72:73], v[78:79]
	s_or_b32 s3, vcc_lo, s3
	s_delay_alu instid0(SALU_CYCLE_1)
	s_and_not1_b32 exec_lo, exec_lo, s3
	s_cbranch_execnz .LBB97_527
; %bb.528:
	s_or_b32 exec_lo, exec_lo, s3
.LBB97_529:
	s_delay_alu instid0(SALU_CYCLE_1) | instskip(SKIP_4) | instid1(VALU_DEP_1)
	s_or_b32 exec_lo, exec_lo, s2
	v_mov_b32_e32 v75, 0
	ds_load_b64 v[76:77], v75 offset:160
	s_wait_dscnt 0x0
	v_pk_mul_f32 v[78:79], v[72:73], v[76:77] op_sel:[1,1] op_sel_hi:[0,1]
	v_pk_fma_f32 v[80:81], v[72:73], v[76:77], v[78:79] op_sel_hi:[1,0,1]
	v_pk_fma_f32 v[72:73], v[72:73], v[76:77], v[78:79] neg_lo:[0,0,1] neg_hi:[0,0,1]
	s_delay_alu instid0(VALU_DEP_2)
	v_mov_b32_e32 v73, v81
	scratch_store_b64 off, v[72:73], off offset:160
.LBB97_530:
	s_wait_xcnt 0x0
	s_or_b32 exec_lo, exec_lo, s0
	scratch_load_b64 v[72:73], off, off offset:168
	s_mov_b32 s0, exec_lo
	s_wait_loadcnt 0x0
	ds_store_b64 v1, v[72:73]
	s_wait_storecnt_dscnt 0x0
	s_barrier_signal -1
	s_barrier_wait -1
	s_wait_xcnt 0x0
	v_cmpx_gt_u32_e32 21, v0
	s_cbranch_execz .LBB97_540
; %bb.531:
	v_cmp_ne_u32_e32 vcc_lo, 1, v74
	s_cbranch_vccnz .LBB97_533
; %bb.532:
	scratch_load_b64 v[72:73], v59, off
	ds_load_b64 v[76:77], v1
	s_wait_loadcnt_dscnt 0x0
	v_pk_mul_f32 v[78:79], v[76:77], v[72:73] op_sel:[1,1] op_sel_hi:[0,1]
	s_delay_alu instid0(VALU_DEP_1) | instskip(SKIP_1) | instid1(VALU_DEP_2)
	v_pk_fma_f32 v[80:81], v[76:77], v[72:73], v[78:79] op_sel_hi:[1,0,1]
	v_pk_fma_f32 v[72:73], v[76:77], v[72:73], v[78:79] neg_lo:[0,0,1] neg_hi:[0,0,1]
	v_mov_b32_e32 v73, v81
	s_cbranch_execz .LBB97_534
	s_branch .LBB97_535
.LBB97_533:
                                        ; implicit-def: $vgpr72_vgpr73
.LBB97_534:
	ds_load_b64 v[72:73], v1
.LBB97_535:
	s_mov_b32 s2, exec_lo
	v_cmpx_ne_u32_e32 20, v0
	s_cbranch_execz .LBB97_539
; %bb.536:
	v_add_nc_u32_e32 v75, 0x118, v58
	v_add3_u32 v76, 0, v58, 8
	v_mov_b32_e32 v77, v0
	s_mov_b32 s3, 0
.LBB97_537:                             ; =>This Inner Loop Header: Depth=1
	scratch_load_b64 v[78:79], v76, off
	ds_load_b64 v[80:81], v75
	s_wait_xcnt 0x0
	v_dual_add_nc_u32 v75, 8, v75 :: v_dual_add_nc_u32 v76, 8, v76
	s_wait_loadcnt_dscnt 0x0
	v_pk_mul_f32 v[82:83], v[80:81], v[78:79] op_sel:[1,1] op_sel_hi:[0,1]
	s_delay_alu instid0(VALU_DEP_1) | instskip(SKIP_2) | instid1(VALU_DEP_3)
	v_pk_fma_f32 v[84:85], v[80:81], v[78:79], v[82:83] op_sel_hi:[1,0,1]
	v_add_nc_u32_e32 v77, 1, v77
	v_pk_fma_f32 v[78:79], v[80:81], v[78:79], v[82:83] neg_lo:[0,0,1] neg_hi:[0,0,1]
	v_mov_b32_e32 v79, v85
	s_delay_alu instid0(VALU_DEP_3) | instskip(NEXT) | instid1(VALU_DEP_2)
	v_cmp_lt_u32_e32 vcc_lo, 19, v77
	v_pk_add_f32 v[72:73], v[72:73], v[78:79]
	s_or_b32 s3, vcc_lo, s3
	s_delay_alu instid0(SALU_CYCLE_1)
	s_and_not1_b32 exec_lo, exec_lo, s3
	s_cbranch_execnz .LBB97_537
; %bb.538:
	s_or_b32 exec_lo, exec_lo, s3
.LBB97_539:
	s_delay_alu instid0(SALU_CYCLE_1) | instskip(SKIP_4) | instid1(VALU_DEP_1)
	s_or_b32 exec_lo, exec_lo, s2
	v_mov_b32_e32 v75, 0
	ds_load_b64 v[76:77], v75 offset:168
	s_wait_dscnt 0x0
	v_pk_mul_f32 v[78:79], v[72:73], v[76:77] op_sel:[1,1] op_sel_hi:[0,1]
	v_pk_fma_f32 v[80:81], v[72:73], v[76:77], v[78:79] op_sel_hi:[1,0,1]
	v_pk_fma_f32 v[72:73], v[72:73], v[76:77], v[78:79] neg_lo:[0,0,1] neg_hi:[0,0,1]
	s_delay_alu instid0(VALU_DEP_2)
	v_mov_b32_e32 v73, v81
	scratch_store_b64 off, v[72:73], off offset:168
.LBB97_540:
	s_wait_xcnt 0x0
	s_or_b32 exec_lo, exec_lo, s0
	scratch_load_b64 v[72:73], off, off offset:176
	s_mov_b32 s0, exec_lo
	s_wait_loadcnt 0x0
	ds_store_b64 v1, v[72:73]
	s_wait_storecnt_dscnt 0x0
	s_barrier_signal -1
	s_barrier_wait -1
	s_wait_xcnt 0x0
	v_cmpx_gt_u32_e32 22, v0
	s_cbranch_execz .LBB97_550
; %bb.541:
	v_cmp_ne_u32_e32 vcc_lo, 1, v74
	s_cbranch_vccnz .LBB97_543
; %bb.542:
	scratch_load_b64 v[72:73], v59, off
	ds_load_b64 v[76:77], v1
	s_wait_loadcnt_dscnt 0x0
	v_pk_mul_f32 v[78:79], v[76:77], v[72:73] op_sel:[1,1] op_sel_hi:[0,1]
	s_delay_alu instid0(VALU_DEP_1) | instskip(SKIP_1) | instid1(VALU_DEP_2)
	v_pk_fma_f32 v[80:81], v[76:77], v[72:73], v[78:79] op_sel_hi:[1,0,1]
	v_pk_fma_f32 v[72:73], v[76:77], v[72:73], v[78:79] neg_lo:[0,0,1] neg_hi:[0,0,1]
	v_mov_b32_e32 v73, v81
	s_cbranch_execz .LBB97_544
	s_branch .LBB97_545
.LBB97_543:
                                        ; implicit-def: $vgpr72_vgpr73
.LBB97_544:
	ds_load_b64 v[72:73], v1
.LBB97_545:
	s_mov_b32 s2, exec_lo
	v_cmpx_ne_u32_e32 21, v0
	s_cbranch_execz .LBB97_549
; %bb.546:
	v_add_nc_u32_e32 v75, 0x118, v58
	v_add3_u32 v76, 0, v58, 8
	v_mov_b32_e32 v77, v0
	s_mov_b32 s3, 0
.LBB97_547:                             ; =>This Inner Loop Header: Depth=1
	scratch_load_b64 v[78:79], v76, off
	ds_load_b64 v[80:81], v75
	s_wait_xcnt 0x0
	v_dual_add_nc_u32 v75, 8, v75 :: v_dual_add_nc_u32 v76, 8, v76
	s_wait_loadcnt_dscnt 0x0
	v_pk_mul_f32 v[82:83], v[80:81], v[78:79] op_sel:[1,1] op_sel_hi:[0,1]
	s_delay_alu instid0(VALU_DEP_1) | instskip(SKIP_2) | instid1(VALU_DEP_3)
	v_pk_fma_f32 v[84:85], v[80:81], v[78:79], v[82:83] op_sel_hi:[1,0,1]
	v_add_nc_u32_e32 v77, 1, v77
	v_pk_fma_f32 v[78:79], v[80:81], v[78:79], v[82:83] neg_lo:[0,0,1] neg_hi:[0,0,1]
	v_mov_b32_e32 v79, v85
	s_delay_alu instid0(VALU_DEP_3) | instskip(NEXT) | instid1(VALU_DEP_2)
	v_cmp_lt_u32_e32 vcc_lo, 20, v77
	v_pk_add_f32 v[72:73], v[72:73], v[78:79]
	s_or_b32 s3, vcc_lo, s3
	s_delay_alu instid0(SALU_CYCLE_1)
	s_and_not1_b32 exec_lo, exec_lo, s3
	s_cbranch_execnz .LBB97_547
; %bb.548:
	s_or_b32 exec_lo, exec_lo, s3
.LBB97_549:
	s_delay_alu instid0(SALU_CYCLE_1) | instskip(SKIP_4) | instid1(VALU_DEP_1)
	s_or_b32 exec_lo, exec_lo, s2
	v_mov_b32_e32 v75, 0
	ds_load_b64 v[76:77], v75 offset:176
	s_wait_dscnt 0x0
	v_pk_mul_f32 v[78:79], v[72:73], v[76:77] op_sel:[1,1] op_sel_hi:[0,1]
	v_pk_fma_f32 v[80:81], v[72:73], v[76:77], v[78:79] op_sel_hi:[1,0,1]
	v_pk_fma_f32 v[72:73], v[72:73], v[76:77], v[78:79] neg_lo:[0,0,1] neg_hi:[0,0,1]
	s_delay_alu instid0(VALU_DEP_2)
	v_mov_b32_e32 v73, v81
	scratch_store_b64 off, v[72:73], off offset:176
.LBB97_550:
	s_wait_xcnt 0x0
	s_or_b32 exec_lo, exec_lo, s0
	scratch_load_b64 v[72:73], off, off offset:184
	s_mov_b32 s0, exec_lo
	s_wait_loadcnt 0x0
	ds_store_b64 v1, v[72:73]
	s_wait_storecnt_dscnt 0x0
	s_barrier_signal -1
	s_barrier_wait -1
	s_wait_xcnt 0x0
	v_cmpx_gt_u32_e32 23, v0
	s_cbranch_execz .LBB97_560
; %bb.551:
	v_cmp_ne_u32_e32 vcc_lo, 1, v74
	s_cbranch_vccnz .LBB97_553
; %bb.552:
	scratch_load_b64 v[72:73], v59, off
	ds_load_b64 v[76:77], v1
	s_wait_loadcnt_dscnt 0x0
	v_pk_mul_f32 v[78:79], v[76:77], v[72:73] op_sel:[1,1] op_sel_hi:[0,1]
	s_delay_alu instid0(VALU_DEP_1) | instskip(SKIP_1) | instid1(VALU_DEP_2)
	v_pk_fma_f32 v[80:81], v[76:77], v[72:73], v[78:79] op_sel_hi:[1,0,1]
	v_pk_fma_f32 v[72:73], v[76:77], v[72:73], v[78:79] neg_lo:[0,0,1] neg_hi:[0,0,1]
	v_mov_b32_e32 v73, v81
	s_cbranch_execz .LBB97_554
	s_branch .LBB97_555
.LBB97_553:
                                        ; implicit-def: $vgpr72_vgpr73
.LBB97_554:
	ds_load_b64 v[72:73], v1
.LBB97_555:
	s_mov_b32 s2, exec_lo
	v_cmpx_ne_u32_e32 22, v0
	s_cbranch_execz .LBB97_559
; %bb.556:
	v_add_nc_u32_e32 v75, 0x118, v58
	v_add3_u32 v76, 0, v58, 8
	v_mov_b32_e32 v77, v0
	s_mov_b32 s3, 0
.LBB97_557:                             ; =>This Inner Loop Header: Depth=1
	scratch_load_b64 v[78:79], v76, off
	ds_load_b64 v[80:81], v75
	s_wait_xcnt 0x0
	v_dual_add_nc_u32 v75, 8, v75 :: v_dual_add_nc_u32 v76, 8, v76
	s_wait_loadcnt_dscnt 0x0
	v_pk_mul_f32 v[82:83], v[80:81], v[78:79] op_sel:[1,1] op_sel_hi:[0,1]
	s_delay_alu instid0(VALU_DEP_1) | instskip(SKIP_2) | instid1(VALU_DEP_3)
	v_pk_fma_f32 v[84:85], v[80:81], v[78:79], v[82:83] op_sel_hi:[1,0,1]
	v_add_nc_u32_e32 v77, 1, v77
	v_pk_fma_f32 v[78:79], v[80:81], v[78:79], v[82:83] neg_lo:[0,0,1] neg_hi:[0,0,1]
	v_mov_b32_e32 v79, v85
	s_delay_alu instid0(VALU_DEP_3) | instskip(NEXT) | instid1(VALU_DEP_2)
	v_cmp_lt_u32_e32 vcc_lo, 21, v77
	v_pk_add_f32 v[72:73], v[72:73], v[78:79]
	s_or_b32 s3, vcc_lo, s3
	s_delay_alu instid0(SALU_CYCLE_1)
	s_and_not1_b32 exec_lo, exec_lo, s3
	s_cbranch_execnz .LBB97_557
; %bb.558:
	s_or_b32 exec_lo, exec_lo, s3
.LBB97_559:
	s_delay_alu instid0(SALU_CYCLE_1) | instskip(SKIP_4) | instid1(VALU_DEP_1)
	s_or_b32 exec_lo, exec_lo, s2
	v_mov_b32_e32 v75, 0
	ds_load_b64 v[76:77], v75 offset:184
	s_wait_dscnt 0x0
	v_pk_mul_f32 v[78:79], v[72:73], v[76:77] op_sel:[1,1] op_sel_hi:[0,1]
	v_pk_fma_f32 v[80:81], v[72:73], v[76:77], v[78:79] op_sel_hi:[1,0,1]
	v_pk_fma_f32 v[72:73], v[72:73], v[76:77], v[78:79] neg_lo:[0,0,1] neg_hi:[0,0,1]
	s_delay_alu instid0(VALU_DEP_2)
	v_mov_b32_e32 v73, v81
	scratch_store_b64 off, v[72:73], off offset:184
.LBB97_560:
	s_wait_xcnt 0x0
	s_or_b32 exec_lo, exec_lo, s0
	scratch_load_b64 v[72:73], off, off offset:192
	s_mov_b32 s0, exec_lo
	s_wait_loadcnt 0x0
	ds_store_b64 v1, v[72:73]
	s_wait_storecnt_dscnt 0x0
	s_barrier_signal -1
	s_barrier_wait -1
	s_wait_xcnt 0x0
	v_cmpx_gt_u32_e32 24, v0
	s_cbranch_execz .LBB97_570
; %bb.561:
	v_cmp_ne_u32_e32 vcc_lo, 1, v74
	s_cbranch_vccnz .LBB97_563
; %bb.562:
	scratch_load_b64 v[72:73], v59, off
	ds_load_b64 v[76:77], v1
	s_wait_loadcnt_dscnt 0x0
	v_pk_mul_f32 v[78:79], v[76:77], v[72:73] op_sel:[1,1] op_sel_hi:[0,1]
	s_delay_alu instid0(VALU_DEP_1) | instskip(SKIP_1) | instid1(VALU_DEP_2)
	v_pk_fma_f32 v[80:81], v[76:77], v[72:73], v[78:79] op_sel_hi:[1,0,1]
	v_pk_fma_f32 v[72:73], v[76:77], v[72:73], v[78:79] neg_lo:[0,0,1] neg_hi:[0,0,1]
	v_mov_b32_e32 v73, v81
	s_cbranch_execz .LBB97_564
	s_branch .LBB97_565
.LBB97_563:
                                        ; implicit-def: $vgpr72_vgpr73
.LBB97_564:
	ds_load_b64 v[72:73], v1
.LBB97_565:
	s_mov_b32 s2, exec_lo
	v_cmpx_ne_u32_e32 23, v0
	s_cbranch_execz .LBB97_569
; %bb.566:
	v_add_nc_u32_e32 v75, 0x118, v58
	v_add3_u32 v76, 0, v58, 8
	v_mov_b32_e32 v77, v0
	s_mov_b32 s3, 0
.LBB97_567:                             ; =>This Inner Loop Header: Depth=1
	scratch_load_b64 v[78:79], v76, off
	ds_load_b64 v[80:81], v75
	s_wait_xcnt 0x0
	v_dual_add_nc_u32 v75, 8, v75 :: v_dual_add_nc_u32 v76, 8, v76
	s_wait_loadcnt_dscnt 0x0
	v_pk_mul_f32 v[82:83], v[80:81], v[78:79] op_sel:[1,1] op_sel_hi:[0,1]
	s_delay_alu instid0(VALU_DEP_1) | instskip(SKIP_2) | instid1(VALU_DEP_3)
	v_pk_fma_f32 v[84:85], v[80:81], v[78:79], v[82:83] op_sel_hi:[1,0,1]
	v_add_nc_u32_e32 v77, 1, v77
	v_pk_fma_f32 v[78:79], v[80:81], v[78:79], v[82:83] neg_lo:[0,0,1] neg_hi:[0,0,1]
	v_mov_b32_e32 v79, v85
	s_delay_alu instid0(VALU_DEP_3) | instskip(NEXT) | instid1(VALU_DEP_2)
	v_cmp_lt_u32_e32 vcc_lo, 22, v77
	v_pk_add_f32 v[72:73], v[72:73], v[78:79]
	s_or_b32 s3, vcc_lo, s3
	s_delay_alu instid0(SALU_CYCLE_1)
	s_and_not1_b32 exec_lo, exec_lo, s3
	s_cbranch_execnz .LBB97_567
; %bb.568:
	s_or_b32 exec_lo, exec_lo, s3
.LBB97_569:
	s_delay_alu instid0(SALU_CYCLE_1) | instskip(SKIP_4) | instid1(VALU_DEP_1)
	s_or_b32 exec_lo, exec_lo, s2
	v_mov_b32_e32 v75, 0
	ds_load_b64 v[76:77], v75 offset:192
	s_wait_dscnt 0x0
	v_pk_mul_f32 v[78:79], v[72:73], v[76:77] op_sel:[1,1] op_sel_hi:[0,1]
	v_pk_fma_f32 v[80:81], v[72:73], v[76:77], v[78:79] op_sel_hi:[1,0,1]
	v_pk_fma_f32 v[72:73], v[72:73], v[76:77], v[78:79] neg_lo:[0,0,1] neg_hi:[0,0,1]
	s_delay_alu instid0(VALU_DEP_2)
	v_mov_b32_e32 v73, v81
	scratch_store_b64 off, v[72:73], off offset:192
.LBB97_570:
	s_wait_xcnt 0x0
	s_or_b32 exec_lo, exec_lo, s0
	scratch_load_b64 v[72:73], off, off offset:200
	s_mov_b32 s0, exec_lo
	s_wait_loadcnt 0x0
	ds_store_b64 v1, v[72:73]
	s_wait_storecnt_dscnt 0x0
	s_barrier_signal -1
	s_barrier_wait -1
	s_wait_xcnt 0x0
	v_cmpx_gt_u32_e32 25, v0
	s_cbranch_execz .LBB97_580
; %bb.571:
	v_cmp_ne_u32_e32 vcc_lo, 1, v74
	s_cbranch_vccnz .LBB97_573
; %bb.572:
	scratch_load_b64 v[72:73], v59, off
	ds_load_b64 v[76:77], v1
	s_wait_loadcnt_dscnt 0x0
	v_pk_mul_f32 v[78:79], v[76:77], v[72:73] op_sel:[1,1] op_sel_hi:[0,1]
	s_delay_alu instid0(VALU_DEP_1) | instskip(SKIP_1) | instid1(VALU_DEP_2)
	v_pk_fma_f32 v[80:81], v[76:77], v[72:73], v[78:79] op_sel_hi:[1,0,1]
	v_pk_fma_f32 v[72:73], v[76:77], v[72:73], v[78:79] neg_lo:[0,0,1] neg_hi:[0,0,1]
	v_mov_b32_e32 v73, v81
	s_cbranch_execz .LBB97_574
	s_branch .LBB97_575
.LBB97_573:
                                        ; implicit-def: $vgpr72_vgpr73
.LBB97_574:
	ds_load_b64 v[72:73], v1
.LBB97_575:
	s_mov_b32 s2, exec_lo
	v_cmpx_ne_u32_e32 24, v0
	s_cbranch_execz .LBB97_579
; %bb.576:
	v_add_nc_u32_e32 v75, 0x118, v58
	v_add3_u32 v76, 0, v58, 8
	v_mov_b32_e32 v77, v0
	s_mov_b32 s3, 0
.LBB97_577:                             ; =>This Inner Loop Header: Depth=1
	scratch_load_b64 v[78:79], v76, off
	ds_load_b64 v[80:81], v75
	s_wait_xcnt 0x0
	v_dual_add_nc_u32 v75, 8, v75 :: v_dual_add_nc_u32 v76, 8, v76
	s_wait_loadcnt_dscnt 0x0
	v_pk_mul_f32 v[82:83], v[80:81], v[78:79] op_sel:[1,1] op_sel_hi:[0,1]
	s_delay_alu instid0(VALU_DEP_1) | instskip(SKIP_2) | instid1(VALU_DEP_3)
	v_pk_fma_f32 v[84:85], v[80:81], v[78:79], v[82:83] op_sel_hi:[1,0,1]
	v_add_nc_u32_e32 v77, 1, v77
	v_pk_fma_f32 v[78:79], v[80:81], v[78:79], v[82:83] neg_lo:[0,0,1] neg_hi:[0,0,1]
	v_mov_b32_e32 v79, v85
	s_delay_alu instid0(VALU_DEP_3) | instskip(NEXT) | instid1(VALU_DEP_2)
	v_cmp_lt_u32_e32 vcc_lo, 23, v77
	v_pk_add_f32 v[72:73], v[72:73], v[78:79]
	s_or_b32 s3, vcc_lo, s3
	s_delay_alu instid0(SALU_CYCLE_1)
	s_and_not1_b32 exec_lo, exec_lo, s3
	s_cbranch_execnz .LBB97_577
; %bb.578:
	s_or_b32 exec_lo, exec_lo, s3
.LBB97_579:
	s_delay_alu instid0(SALU_CYCLE_1) | instskip(SKIP_4) | instid1(VALU_DEP_1)
	s_or_b32 exec_lo, exec_lo, s2
	v_mov_b32_e32 v75, 0
	ds_load_b64 v[76:77], v75 offset:200
	s_wait_dscnt 0x0
	v_pk_mul_f32 v[78:79], v[72:73], v[76:77] op_sel:[1,1] op_sel_hi:[0,1]
	v_pk_fma_f32 v[80:81], v[72:73], v[76:77], v[78:79] op_sel_hi:[1,0,1]
	v_pk_fma_f32 v[72:73], v[72:73], v[76:77], v[78:79] neg_lo:[0,0,1] neg_hi:[0,0,1]
	s_delay_alu instid0(VALU_DEP_2)
	v_mov_b32_e32 v73, v81
	scratch_store_b64 off, v[72:73], off offset:200
.LBB97_580:
	s_wait_xcnt 0x0
	s_or_b32 exec_lo, exec_lo, s0
	scratch_load_b64 v[72:73], off, off offset:208
	s_mov_b32 s0, exec_lo
	s_wait_loadcnt 0x0
	ds_store_b64 v1, v[72:73]
	s_wait_storecnt_dscnt 0x0
	s_barrier_signal -1
	s_barrier_wait -1
	s_wait_xcnt 0x0
	v_cmpx_gt_u32_e32 26, v0
	s_cbranch_execz .LBB97_590
; %bb.581:
	v_cmp_ne_u32_e32 vcc_lo, 1, v74
	s_cbranch_vccnz .LBB97_583
; %bb.582:
	scratch_load_b64 v[72:73], v59, off
	ds_load_b64 v[76:77], v1
	s_wait_loadcnt_dscnt 0x0
	v_pk_mul_f32 v[78:79], v[76:77], v[72:73] op_sel:[1,1] op_sel_hi:[0,1]
	s_delay_alu instid0(VALU_DEP_1) | instskip(SKIP_1) | instid1(VALU_DEP_2)
	v_pk_fma_f32 v[80:81], v[76:77], v[72:73], v[78:79] op_sel_hi:[1,0,1]
	v_pk_fma_f32 v[72:73], v[76:77], v[72:73], v[78:79] neg_lo:[0,0,1] neg_hi:[0,0,1]
	v_mov_b32_e32 v73, v81
	s_cbranch_execz .LBB97_584
	s_branch .LBB97_585
.LBB97_583:
                                        ; implicit-def: $vgpr72_vgpr73
.LBB97_584:
	ds_load_b64 v[72:73], v1
.LBB97_585:
	s_mov_b32 s2, exec_lo
	v_cmpx_ne_u32_e32 25, v0
	s_cbranch_execz .LBB97_589
; %bb.586:
	v_add_nc_u32_e32 v75, 0x118, v58
	v_add3_u32 v76, 0, v58, 8
	v_mov_b32_e32 v77, v0
	s_mov_b32 s3, 0
.LBB97_587:                             ; =>This Inner Loop Header: Depth=1
	scratch_load_b64 v[78:79], v76, off
	ds_load_b64 v[80:81], v75
	s_wait_xcnt 0x0
	v_dual_add_nc_u32 v75, 8, v75 :: v_dual_add_nc_u32 v76, 8, v76
	s_wait_loadcnt_dscnt 0x0
	v_pk_mul_f32 v[82:83], v[80:81], v[78:79] op_sel:[1,1] op_sel_hi:[0,1]
	s_delay_alu instid0(VALU_DEP_1) | instskip(SKIP_2) | instid1(VALU_DEP_3)
	v_pk_fma_f32 v[84:85], v[80:81], v[78:79], v[82:83] op_sel_hi:[1,0,1]
	v_add_nc_u32_e32 v77, 1, v77
	v_pk_fma_f32 v[78:79], v[80:81], v[78:79], v[82:83] neg_lo:[0,0,1] neg_hi:[0,0,1]
	v_mov_b32_e32 v79, v85
	s_delay_alu instid0(VALU_DEP_3) | instskip(NEXT) | instid1(VALU_DEP_2)
	v_cmp_lt_u32_e32 vcc_lo, 24, v77
	v_pk_add_f32 v[72:73], v[72:73], v[78:79]
	s_or_b32 s3, vcc_lo, s3
	s_delay_alu instid0(SALU_CYCLE_1)
	s_and_not1_b32 exec_lo, exec_lo, s3
	s_cbranch_execnz .LBB97_587
; %bb.588:
	s_or_b32 exec_lo, exec_lo, s3
.LBB97_589:
	s_delay_alu instid0(SALU_CYCLE_1) | instskip(SKIP_4) | instid1(VALU_DEP_1)
	s_or_b32 exec_lo, exec_lo, s2
	v_mov_b32_e32 v75, 0
	ds_load_b64 v[76:77], v75 offset:208
	s_wait_dscnt 0x0
	v_pk_mul_f32 v[78:79], v[72:73], v[76:77] op_sel:[1,1] op_sel_hi:[0,1]
	v_pk_fma_f32 v[80:81], v[72:73], v[76:77], v[78:79] op_sel_hi:[1,0,1]
	v_pk_fma_f32 v[72:73], v[72:73], v[76:77], v[78:79] neg_lo:[0,0,1] neg_hi:[0,0,1]
	s_delay_alu instid0(VALU_DEP_2)
	v_mov_b32_e32 v73, v81
	scratch_store_b64 off, v[72:73], off offset:208
.LBB97_590:
	s_wait_xcnt 0x0
	s_or_b32 exec_lo, exec_lo, s0
	scratch_load_b64 v[72:73], off, off offset:216
	s_mov_b32 s0, exec_lo
	s_wait_loadcnt 0x0
	ds_store_b64 v1, v[72:73]
	s_wait_storecnt_dscnt 0x0
	s_barrier_signal -1
	s_barrier_wait -1
	s_wait_xcnt 0x0
	v_cmpx_gt_u32_e32 27, v0
	s_cbranch_execz .LBB97_600
; %bb.591:
	v_cmp_ne_u32_e32 vcc_lo, 1, v74
	s_cbranch_vccnz .LBB97_593
; %bb.592:
	scratch_load_b64 v[72:73], v59, off
	ds_load_b64 v[76:77], v1
	s_wait_loadcnt_dscnt 0x0
	v_pk_mul_f32 v[78:79], v[76:77], v[72:73] op_sel:[1,1] op_sel_hi:[0,1]
	s_delay_alu instid0(VALU_DEP_1) | instskip(SKIP_1) | instid1(VALU_DEP_2)
	v_pk_fma_f32 v[80:81], v[76:77], v[72:73], v[78:79] op_sel_hi:[1,0,1]
	v_pk_fma_f32 v[72:73], v[76:77], v[72:73], v[78:79] neg_lo:[0,0,1] neg_hi:[0,0,1]
	v_mov_b32_e32 v73, v81
	s_cbranch_execz .LBB97_594
	s_branch .LBB97_595
.LBB97_593:
                                        ; implicit-def: $vgpr72_vgpr73
.LBB97_594:
	ds_load_b64 v[72:73], v1
.LBB97_595:
	s_mov_b32 s2, exec_lo
	v_cmpx_ne_u32_e32 26, v0
	s_cbranch_execz .LBB97_599
; %bb.596:
	v_add_nc_u32_e32 v75, 0x118, v58
	v_add3_u32 v76, 0, v58, 8
	v_mov_b32_e32 v77, v0
	s_mov_b32 s3, 0
.LBB97_597:                             ; =>This Inner Loop Header: Depth=1
	scratch_load_b64 v[78:79], v76, off
	ds_load_b64 v[80:81], v75
	s_wait_xcnt 0x0
	v_dual_add_nc_u32 v75, 8, v75 :: v_dual_add_nc_u32 v76, 8, v76
	s_wait_loadcnt_dscnt 0x0
	v_pk_mul_f32 v[82:83], v[80:81], v[78:79] op_sel:[1,1] op_sel_hi:[0,1]
	s_delay_alu instid0(VALU_DEP_1) | instskip(SKIP_2) | instid1(VALU_DEP_3)
	v_pk_fma_f32 v[84:85], v[80:81], v[78:79], v[82:83] op_sel_hi:[1,0,1]
	v_add_nc_u32_e32 v77, 1, v77
	v_pk_fma_f32 v[78:79], v[80:81], v[78:79], v[82:83] neg_lo:[0,0,1] neg_hi:[0,0,1]
	v_mov_b32_e32 v79, v85
	s_delay_alu instid0(VALU_DEP_3) | instskip(NEXT) | instid1(VALU_DEP_2)
	v_cmp_lt_u32_e32 vcc_lo, 25, v77
	v_pk_add_f32 v[72:73], v[72:73], v[78:79]
	s_or_b32 s3, vcc_lo, s3
	s_delay_alu instid0(SALU_CYCLE_1)
	s_and_not1_b32 exec_lo, exec_lo, s3
	s_cbranch_execnz .LBB97_597
; %bb.598:
	s_or_b32 exec_lo, exec_lo, s3
.LBB97_599:
	s_delay_alu instid0(SALU_CYCLE_1) | instskip(SKIP_4) | instid1(VALU_DEP_1)
	s_or_b32 exec_lo, exec_lo, s2
	v_mov_b32_e32 v75, 0
	ds_load_b64 v[76:77], v75 offset:216
	s_wait_dscnt 0x0
	v_pk_mul_f32 v[78:79], v[72:73], v[76:77] op_sel:[1,1] op_sel_hi:[0,1]
	v_pk_fma_f32 v[80:81], v[72:73], v[76:77], v[78:79] op_sel_hi:[1,0,1]
	v_pk_fma_f32 v[72:73], v[72:73], v[76:77], v[78:79] neg_lo:[0,0,1] neg_hi:[0,0,1]
	s_delay_alu instid0(VALU_DEP_2)
	v_mov_b32_e32 v73, v81
	scratch_store_b64 off, v[72:73], off offset:216
.LBB97_600:
	s_wait_xcnt 0x0
	s_or_b32 exec_lo, exec_lo, s0
	scratch_load_b64 v[72:73], off, off offset:224
	s_mov_b32 s0, exec_lo
	s_wait_loadcnt 0x0
	ds_store_b64 v1, v[72:73]
	s_wait_storecnt_dscnt 0x0
	s_barrier_signal -1
	s_barrier_wait -1
	s_wait_xcnt 0x0
	v_cmpx_gt_u32_e32 28, v0
	s_cbranch_execz .LBB97_610
; %bb.601:
	v_cmp_ne_u32_e32 vcc_lo, 1, v74
	s_cbranch_vccnz .LBB97_603
; %bb.602:
	scratch_load_b64 v[72:73], v59, off
	ds_load_b64 v[76:77], v1
	s_wait_loadcnt_dscnt 0x0
	v_pk_mul_f32 v[78:79], v[76:77], v[72:73] op_sel:[1,1] op_sel_hi:[0,1]
	s_delay_alu instid0(VALU_DEP_1) | instskip(SKIP_1) | instid1(VALU_DEP_2)
	v_pk_fma_f32 v[80:81], v[76:77], v[72:73], v[78:79] op_sel_hi:[1,0,1]
	v_pk_fma_f32 v[72:73], v[76:77], v[72:73], v[78:79] neg_lo:[0,0,1] neg_hi:[0,0,1]
	v_mov_b32_e32 v73, v81
	s_cbranch_execz .LBB97_604
	s_branch .LBB97_605
.LBB97_603:
                                        ; implicit-def: $vgpr72_vgpr73
.LBB97_604:
	ds_load_b64 v[72:73], v1
.LBB97_605:
	s_mov_b32 s2, exec_lo
	v_cmpx_ne_u32_e32 27, v0
	s_cbranch_execz .LBB97_609
; %bb.606:
	v_add_nc_u32_e32 v75, 0x118, v58
	v_add3_u32 v76, 0, v58, 8
	v_mov_b32_e32 v77, v0
	s_mov_b32 s3, 0
.LBB97_607:                             ; =>This Inner Loop Header: Depth=1
	scratch_load_b64 v[78:79], v76, off
	ds_load_b64 v[80:81], v75
	s_wait_xcnt 0x0
	v_dual_add_nc_u32 v75, 8, v75 :: v_dual_add_nc_u32 v76, 8, v76
	s_wait_loadcnt_dscnt 0x0
	v_pk_mul_f32 v[82:83], v[80:81], v[78:79] op_sel:[1,1] op_sel_hi:[0,1]
	s_delay_alu instid0(VALU_DEP_1) | instskip(SKIP_2) | instid1(VALU_DEP_3)
	v_pk_fma_f32 v[84:85], v[80:81], v[78:79], v[82:83] op_sel_hi:[1,0,1]
	v_add_nc_u32_e32 v77, 1, v77
	v_pk_fma_f32 v[78:79], v[80:81], v[78:79], v[82:83] neg_lo:[0,0,1] neg_hi:[0,0,1]
	v_mov_b32_e32 v79, v85
	s_delay_alu instid0(VALU_DEP_3) | instskip(NEXT) | instid1(VALU_DEP_2)
	v_cmp_lt_u32_e32 vcc_lo, 26, v77
	v_pk_add_f32 v[72:73], v[72:73], v[78:79]
	s_or_b32 s3, vcc_lo, s3
	s_delay_alu instid0(SALU_CYCLE_1)
	s_and_not1_b32 exec_lo, exec_lo, s3
	s_cbranch_execnz .LBB97_607
; %bb.608:
	s_or_b32 exec_lo, exec_lo, s3
.LBB97_609:
	s_delay_alu instid0(SALU_CYCLE_1) | instskip(SKIP_4) | instid1(VALU_DEP_1)
	s_or_b32 exec_lo, exec_lo, s2
	v_mov_b32_e32 v75, 0
	ds_load_b64 v[76:77], v75 offset:224
	s_wait_dscnt 0x0
	v_pk_mul_f32 v[78:79], v[72:73], v[76:77] op_sel:[1,1] op_sel_hi:[0,1]
	v_pk_fma_f32 v[80:81], v[72:73], v[76:77], v[78:79] op_sel_hi:[1,0,1]
	v_pk_fma_f32 v[72:73], v[72:73], v[76:77], v[78:79] neg_lo:[0,0,1] neg_hi:[0,0,1]
	s_delay_alu instid0(VALU_DEP_2)
	v_mov_b32_e32 v73, v81
	scratch_store_b64 off, v[72:73], off offset:224
.LBB97_610:
	s_wait_xcnt 0x0
	s_or_b32 exec_lo, exec_lo, s0
	scratch_load_b64 v[72:73], off, off offset:232
	s_mov_b32 s0, exec_lo
	s_wait_loadcnt 0x0
	ds_store_b64 v1, v[72:73]
	s_wait_storecnt_dscnt 0x0
	s_barrier_signal -1
	s_barrier_wait -1
	s_wait_xcnt 0x0
	v_cmpx_gt_u32_e32 29, v0
	s_cbranch_execz .LBB97_620
; %bb.611:
	v_cmp_ne_u32_e32 vcc_lo, 1, v74
	s_cbranch_vccnz .LBB97_613
; %bb.612:
	scratch_load_b64 v[72:73], v59, off
	ds_load_b64 v[76:77], v1
	s_wait_loadcnt_dscnt 0x0
	v_pk_mul_f32 v[78:79], v[76:77], v[72:73] op_sel:[1,1] op_sel_hi:[0,1]
	s_delay_alu instid0(VALU_DEP_1) | instskip(SKIP_1) | instid1(VALU_DEP_2)
	v_pk_fma_f32 v[80:81], v[76:77], v[72:73], v[78:79] op_sel_hi:[1,0,1]
	v_pk_fma_f32 v[72:73], v[76:77], v[72:73], v[78:79] neg_lo:[0,0,1] neg_hi:[0,0,1]
	v_mov_b32_e32 v73, v81
	s_cbranch_execz .LBB97_614
	s_branch .LBB97_615
.LBB97_613:
                                        ; implicit-def: $vgpr72_vgpr73
.LBB97_614:
	ds_load_b64 v[72:73], v1
.LBB97_615:
	s_mov_b32 s2, exec_lo
	v_cmpx_ne_u32_e32 28, v0
	s_cbranch_execz .LBB97_619
; %bb.616:
	v_add_nc_u32_e32 v75, 0x118, v58
	v_add3_u32 v76, 0, v58, 8
	v_mov_b32_e32 v77, v0
	s_mov_b32 s3, 0
.LBB97_617:                             ; =>This Inner Loop Header: Depth=1
	scratch_load_b64 v[78:79], v76, off
	ds_load_b64 v[80:81], v75
	s_wait_xcnt 0x0
	v_dual_add_nc_u32 v75, 8, v75 :: v_dual_add_nc_u32 v76, 8, v76
	s_wait_loadcnt_dscnt 0x0
	v_pk_mul_f32 v[82:83], v[80:81], v[78:79] op_sel:[1,1] op_sel_hi:[0,1]
	s_delay_alu instid0(VALU_DEP_1) | instskip(SKIP_2) | instid1(VALU_DEP_3)
	v_pk_fma_f32 v[84:85], v[80:81], v[78:79], v[82:83] op_sel_hi:[1,0,1]
	v_add_nc_u32_e32 v77, 1, v77
	v_pk_fma_f32 v[78:79], v[80:81], v[78:79], v[82:83] neg_lo:[0,0,1] neg_hi:[0,0,1]
	v_mov_b32_e32 v79, v85
	s_delay_alu instid0(VALU_DEP_3) | instskip(NEXT) | instid1(VALU_DEP_2)
	v_cmp_lt_u32_e32 vcc_lo, 27, v77
	v_pk_add_f32 v[72:73], v[72:73], v[78:79]
	s_or_b32 s3, vcc_lo, s3
	s_delay_alu instid0(SALU_CYCLE_1)
	s_and_not1_b32 exec_lo, exec_lo, s3
	s_cbranch_execnz .LBB97_617
; %bb.618:
	s_or_b32 exec_lo, exec_lo, s3
.LBB97_619:
	s_delay_alu instid0(SALU_CYCLE_1) | instskip(SKIP_4) | instid1(VALU_DEP_1)
	s_or_b32 exec_lo, exec_lo, s2
	v_mov_b32_e32 v75, 0
	ds_load_b64 v[76:77], v75 offset:232
	s_wait_dscnt 0x0
	v_pk_mul_f32 v[78:79], v[72:73], v[76:77] op_sel:[1,1] op_sel_hi:[0,1]
	v_pk_fma_f32 v[80:81], v[72:73], v[76:77], v[78:79] op_sel_hi:[1,0,1]
	v_pk_fma_f32 v[72:73], v[72:73], v[76:77], v[78:79] neg_lo:[0,0,1] neg_hi:[0,0,1]
	s_delay_alu instid0(VALU_DEP_2)
	v_mov_b32_e32 v73, v81
	scratch_store_b64 off, v[72:73], off offset:232
.LBB97_620:
	s_wait_xcnt 0x0
	s_or_b32 exec_lo, exec_lo, s0
	scratch_load_b64 v[72:73], off, off offset:240
	s_mov_b32 s0, exec_lo
	s_wait_loadcnt 0x0
	ds_store_b64 v1, v[72:73]
	s_wait_storecnt_dscnt 0x0
	s_barrier_signal -1
	s_barrier_wait -1
	s_wait_xcnt 0x0
	v_cmpx_gt_u32_e32 30, v0
	s_cbranch_execz .LBB97_630
; %bb.621:
	v_cmp_ne_u32_e32 vcc_lo, 1, v74
	s_cbranch_vccnz .LBB97_623
; %bb.622:
	scratch_load_b64 v[72:73], v59, off
	ds_load_b64 v[76:77], v1
	s_wait_loadcnt_dscnt 0x0
	v_pk_mul_f32 v[78:79], v[76:77], v[72:73] op_sel:[1,1] op_sel_hi:[0,1]
	s_delay_alu instid0(VALU_DEP_1) | instskip(SKIP_1) | instid1(VALU_DEP_2)
	v_pk_fma_f32 v[80:81], v[76:77], v[72:73], v[78:79] op_sel_hi:[1,0,1]
	v_pk_fma_f32 v[72:73], v[76:77], v[72:73], v[78:79] neg_lo:[0,0,1] neg_hi:[0,0,1]
	v_mov_b32_e32 v73, v81
	s_cbranch_execz .LBB97_624
	s_branch .LBB97_625
.LBB97_623:
                                        ; implicit-def: $vgpr72_vgpr73
.LBB97_624:
	ds_load_b64 v[72:73], v1
.LBB97_625:
	s_mov_b32 s2, exec_lo
	v_cmpx_ne_u32_e32 29, v0
	s_cbranch_execz .LBB97_629
; %bb.626:
	v_add_nc_u32_e32 v75, 0x118, v58
	v_add3_u32 v76, 0, v58, 8
	v_mov_b32_e32 v77, v0
	s_mov_b32 s3, 0
.LBB97_627:                             ; =>This Inner Loop Header: Depth=1
	scratch_load_b64 v[78:79], v76, off
	ds_load_b64 v[80:81], v75
	s_wait_xcnt 0x0
	v_dual_add_nc_u32 v75, 8, v75 :: v_dual_add_nc_u32 v76, 8, v76
	s_wait_loadcnt_dscnt 0x0
	v_pk_mul_f32 v[82:83], v[80:81], v[78:79] op_sel:[1,1] op_sel_hi:[0,1]
	s_delay_alu instid0(VALU_DEP_1) | instskip(SKIP_2) | instid1(VALU_DEP_3)
	v_pk_fma_f32 v[84:85], v[80:81], v[78:79], v[82:83] op_sel_hi:[1,0,1]
	v_add_nc_u32_e32 v77, 1, v77
	v_pk_fma_f32 v[78:79], v[80:81], v[78:79], v[82:83] neg_lo:[0,0,1] neg_hi:[0,0,1]
	v_mov_b32_e32 v79, v85
	s_delay_alu instid0(VALU_DEP_3) | instskip(NEXT) | instid1(VALU_DEP_2)
	v_cmp_lt_u32_e32 vcc_lo, 28, v77
	v_pk_add_f32 v[72:73], v[72:73], v[78:79]
	s_or_b32 s3, vcc_lo, s3
	s_delay_alu instid0(SALU_CYCLE_1)
	s_and_not1_b32 exec_lo, exec_lo, s3
	s_cbranch_execnz .LBB97_627
; %bb.628:
	s_or_b32 exec_lo, exec_lo, s3
.LBB97_629:
	s_delay_alu instid0(SALU_CYCLE_1) | instskip(SKIP_4) | instid1(VALU_DEP_1)
	s_or_b32 exec_lo, exec_lo, s2
	v_mov_b32_e32 v75, 0
	ds_load_b64 v[76:77], v75 offset:240
	s_wait_dscnt 0x0
	v_pk_mul_f32 v[78:79], v[72:73], v[76:77] op_sel:[1,1] op_sel_hi:[0,1]
	v_pk_fma_f32 v[80:81], v[72:73], v[76:77], v[78:79] op_sel_hi:[1,0,1]
	v_pk_fma_f32 v[72:73], v[72:73], v[76:77], v[78:79] neg_lo:[0,0,1] neg_hi:[0,0,1]
	s_delay_alu instid0(VALU_DEP_2)
	v_mov_b32_e32 v73, v81
	scratch_store_b64 off, v[72:73], off offset:240
.LBB97_630:
	s_wait_xcnt 0x0
	s_or_b32 exec_lo, exec_lo, s0
	scratch_load_b64 v[72:73], off, off offset:248
	s_mov_b32 s0, exec_lo
	s_wait_loadcnt 0x0
	ds_store_b64 v1, v[72:73]
	s_wait_storecnt_dscnt 0x0
	s_barrier_signal -1
	s_barrier_wait -1
	s_wait_xcnt 0x0
	v_cmpx_gt_u32_e32 31, v0
	s_cbranch_execz .LBB97_640
; %bb.631:
	v_cmp_ne_u32_e32 vcc_lo, 1, v74
	s_cbranch_vccnz .LBB97_633
; %bb.632:
	scratch_load_b64 v[72:73], v59, off
	ds_load_b64 v[76:77], v1
	s_wait_loadcnt_dscnt 0x0
	v_pk_mul_f32 v[78:79], v[76:77], v[72:73] op_sel:[1,1] op_sel_hi:[0,1]
	s_delay_alu instid0(VALU_DEP_1) | instskip(SKIP_1) | instid1(VALU_DEP_2)
	v_pk_fma_f32 v[80:81], v[76:77], v[72:73], v[78:79] op_sel_hi:[1,0,1]
	v_pk_fma_f32 v[72:73], v[76:77], v[72:73], v[78:79] neg_lo:[0,0,1] neg_hi:[0,0,1]
	v_mov_b32_e32 v73, v81
	s_cbranch_execz .LBB97_634
	s_branch .LBB97_635
.LBB97_633:
                                        ; implicit-def: $vgpr72_vgpr73
.LBB97_634:
	ds_load_b64 v[72:73], v1
.LBB97_635:
	s_mov_b32 s2, exec_lo
	v_cmpx_ne_u32_e32 30, v0
	s_cbranch_execz .LBB97_639
; %bb.636:
	v_add_nc_u32_e32 v75, 0x118, v58
	v_add3_u32 v76, 0, v58, 8
	v_mov_b32_e32 v77, v0
	s_mov_b32 s3, 0
.LBB97_637:                             ; =>This Inner Loop Header: Depth=1
	scratch_load_b64 v[78:79], v76, off
	ds_load_b64 v[80:81], v75
	s_wait_xcnt 0x0
	v_dual_add_nc_u32 v75, 8, v75 :: v_dual_add_nc_u32 v76, 8, v76
	s_wait_loadcnt_dscnt 0x0
	v_pk_mul_f32 v[82:83], v[80:81], v[78:79] op_sel:[1,1] op_sel_hi:[0,1]
	s_delay_alu instid0(VALU_DEP_1) | instskip(SKIP_2) | instid1(VALU_DEP_3)
	v_pk_fma_f32 v[84:85], v[80:81], v[78:79], v[82:83] op_sel_hi:[1,0,1]
	v_add_nc_u32_e32 v77, 1, v77
	v_pk_fma_f32 v[78:79], v[80:81], v[78:79], v[82:83] neg_lo:[0,0,1] neg_hi:[0,0,1]
	v_mov_b32_e32 v79, v85
	s_delay_alu instid0(VALU_DEP_3) | instskip(NEXT) | instid1(VALU_DEP_2)
	v_cmp_lt_u32_e32 vcc_lo, 29, v77
	v_pk_add_f32 v[72:73], v[72:73], v[78:79]
	s_or_b32 s3, vcc_lo, s3
	s_delay_alu instid0(SALU_CYCLE_1)
	s_and_not1_b32 exec_lo, exec_lo, s3
	s_cbranch_execnz .LBB97_637
; %bb.638:
	s_or_b32 exec_lo, exec_lo, s3
.LBB97_639:
	s_delay_alu instid0(SALU_CYCLE_1) | instskip(SKIP_4) | instid1(VALU_DEP_1)
	s_or_b32 exec_lo, exec_lo, s2
	v_mov_b32_e32 v75, 0
	ds_load_b64 v[76:77], v75 offset:248
	s_wait_dscnt 0x0
	v_pk_mul_f32 v[78:79], v[72:73], v[76:77] op_sel:[1,1] op_sel_hi:[0,1]
	v_pk_fma_f32 v[80:81], v[72:73], v[76:77], v[78:79] op_sel_hi:[1,0,1]
	v_pk_fma_f32 v[72:73], v[72:73], v[76:77], v[78:79] neg_lo:[0,0,1] neg_hi:[0,0,1]
	s_delay_alu instid0(VALU_DEP_2)
	v_mov_b32_e32 v73, v81
	scratch_store_b64 off, v[72:73], off offset:248
.LBB97_640:
	s_wait_xcnt 0x0
	s_or_b32 exec_lo, exec_lo, s0
	scratch_load_b64 v[72:73], off, off offset:256
	v_cmp_gt_u32_e64 s0, 32, v0
	s_wait_loadcnt 0x0
	ds_store_b64 v1, v[72:73]
	s_wait_storecnt_dscnt 0x0
	s_barrier_signal -1
	s_barrier_wait -1
	s_wait_xcnt 0x0
	s_and_saveexec_b32 s2, s0
	s_cbranch_execz .LBB97_650
; %bb.641:
	v_cmp_ne_u32_e32 vcc_lo, 1, v74
	s_cbranch_vccnz .LBB97_643
; %bb.642:
	scratch_load_b64 v[72:73], v59, off
	ds_load_b64 v[76:77], v1
	s_wait_loadcnt_dscnt 0x0
	v_pk_mul_f32 v[78:79], v[76:77], v[72:73] op_sel:[1,1] op_sel_hi:[0,1]
	s_delay_alu instid0(VALU_DEP_1) | instskip(SKIP_1) | instid1(VALU_DEP_2)
	v_pk_fma_f32 v[80:81], v[76:77], v[72:73], v[78:79] op_sel_hi:[1,0,1]
	v_pk_fma_f32 v[72:73], v[76:77], v[72:73], v[78:79] neg_lo:[0,0,1] neg_hi:[0,0,1]
	v_mov_b32_e32 v73, v81
	s_cbranch_execz .LBB97_644
	s_branch .LBB97_645
.LBB97_643:
                                        ; implicit-def: $vgpr72_vgpr73
.LBB97_644:
	ds_load_b64 v[72:73], v1
.LBB97_645:
	s_mov_b32 s3, exec_lo
	v_cmpx_ne_u32_e32 31, v0
	s_cbranch_execz .LBB97_649
; %bb.646:
	v_add_nc_u32_e32 v75, 0x118, v58
	v_add3_u32 v76, 0, v58, 8
	v_mov_b32_e32 v77, v0
	s_mov_b32 s4, 0
.LBB97_647:                             ; =>This Inner Loop Header: Depth=1
	scratch_load_b64 v[78:79], v76, off
	ds_load_b64 v[80:81], v75
	s_wait_xcnt 0x0
	v_dual_add_nc_u32 v75, 8, v75 :: v_dual_add_nc_u32 v76, 8, v76
	s_wait_loadcnt_dscnt 0x0
	v_pk_mul_f32 v[82:83], v[80:81], v[78:79] op_sel:[1,1] op_sel_hi:[0,1]
	s_delay_alu instid0(VALU_DEP_1) | instskip(SKIP_2) | instid1(VALU_DEP_3)
	v_pk_fma_f32 v[84:85], v[80:81], v[78:79], v[82:83] op_sel_hi:[1,0,1]
	v_add_nc_u32_e32 v77, 1, v77
	v_pk_fma_f32 v[78:79], v[80:81], v[78:79], v[82:83] neg_lo:[0,0,1] neg_hi:[0,0,1]
	v_mov_b32_e32 v79, v85
	s_delay_alu instid0(VALU_DEP_3) | instskip(NEXT) | instid1(VALU_DEP_2)
	v_cmp_lt_u32_e32 vcc_lo, 30, v77
	v_pk_add_f32 v[72:73], v[72:73], v[78:79]
	s_or_b32 s4, vcc_lo, s4
	s_delay_alu instid0(SALU_CYCLE_1)
	s_and_not1_b32 exec_lo, exec_lo, s4
	s_cbranch_execnz .LBB97_647
; %bb.648:
	s_or_b32 exec_lo, exec_lo, s4
.LBB97_649:
	s_delay_alu instid0(SALU_CYCLE_1) | instskip(SKIP_4) | instid1(VALU_DEP_1)
	s_or_b32 exec_lo, exec_lo, s3
	v_mov_b32_e32 v75, 0
	ds_load_b64 v[76:77], v75 offset:256
	s_wait_dscnt 0x0
	v_pk_mul_f32 v[78:79], v[72:73], v[76:77] op_sel:[1,1] op_sel_hi:[0,1]
	v_pk_fma_f32 v[80:81], v[72:73], v[76:77], v[78:79] op_sel_hi:[1,0,1]
	v_pk_fma_f32 v[72:73], v[72:73], v[76:77], v[78:79] neg_lo:[0,0,1] neg_hi:[0,0,1]
	s_delay_alu instid0(VALU_DEP_2)
	v_mov_b32_e32 v73, v81
	scratch_store_b64 off, v[72:73], off offset:256
.LBB97_650:
	s_wait_xcnt 0x0
	s_or_b32 exec_lo, exec_lo, s2
	scratch_load_b64 v[72:73], off, off offset:264
	s_mov_b32 s2, exec_lo
                                        ; implicit-def: $vgpr100
                                        ; implicit-def: $sgpr5
	s_wait_loadcnt 0x0
	ds_store_b64 v1, v[72:73]
	s_wait_storecnt_dscnt 0x0
	s_barrier_signal -1
	s_barrier_wait -1
	s_wait_xcnt 0x0
	v_cmpx_ne_u32_e32 33, v0
	s_cbranch_execz .LBB97_660
; %bb.651:
	v_cmp_ne_u32_e32 vcc_lo, 1, v74
	s_cbranch_vccnz .LBB97_653
; %bb.652:
	scratch_load_b64 v[74:75], v59, off
	ds_load_b64 v[76:77], v1
	s_wait_loadcnt_dscnt 0x0
	v_dual_mul_f32 v59, v77, v75 :: v_dual_mul_f32 v73, v76, v75
	s_delay_alu instid0(VALU_DEP_1)
	v_dual_fma_f32 v72, v76, v74, -v59 :: v_dual_fmac_f32 v73, v77, v74
	s_cbranch_execz .LBB97_654
	s_branch .LBB97_655
.LBB97_653:
                                        ; implicit-def: $vgpr73
.LBB97_654:
	ds_load_b64 v[72:73], v1
.LBB97_655:
	s_and_saveexec_b32 s3, s0
	s_cbranch_execz .LBB97_659
; %bb.656:
	v_add_nc_u32_e32 v1, 0x118, v58
	v_add3_u32 v58, 0, v58, 8
	s_mov_b32 s0, 0
.LBB97_657:                             ; =>This Inner Loop Header: Depth=1
	scratch_load_b64 v[74:75], v58, off
	ds_load_b64 v[76:77], v1
	s_wait_loadcnt_dscnt 0x0
	v_dual_add_nc_u32 v1, 8, v1 :: v_dual_mul_f32 v59, v77, v75
	v_dual_mul_f32 v75, v76, v75 :: v_dual_add_nc_u32 v0, 1, v0
	s_delay_alu instid0(VALU_DEP_2) | instskip(NEXT) | instid1(VALU_DEP_2)
	v_fma_f32 v59, v76, v74, -v59
	v_fmac_f32_e32 v75, v77, v74
	s_delay_alu instid0(VALU_DEP_3) | instskip(NEXT) | instid1(VALU_DEP_3)
	v_cmp_lt_u32_e32 vcc_lo, 31, v0
	v_dual_add_nc_u32 v58, 8, v58 :: v_dual_add_f32 v72, v72, v59
	s_delay_alu instid0(VALU_DEP_3) | instskip(SKIP_1) | instid1(SALU_CYCLE_1)
	v_add_f32_e32 v73, v73, v75
	s_or_b32 s0, vcc_lo, s0
	s_and_not1_b32 exec_lo, exec_lo, s0
	s_cbranch_execnz .LBB97_657
; %bb.658:
	s_or_b32 exec_lo, exec_lo, s0
.LBB97_659:
	s_delay_alu instid0(SALU_CYCLE_1)
	s_or_b32 exec_lo, exec_lo, s3
	v_mov_b32_e32 v0, 0
	s_movk_i32 s5, 0x10c
	s_or_b32 s1, s1, exec_lo
	ds_load_b64 v[0:1], v0 offset:264
	s_wait_dscnt 0x0
	v_dual_mul_f32 v58, v73, v1 :: v_dual_mul_f32 v100, v72, v1
	s_delay_alu instid0(VALU_DEP_1)
	v_dual_fma_f32 v1, v72, v0, -v58 :: v_dual_fmac_f32 v100, v73, v0
	scratch_store_b32 off, v1, off offset:264
.LBB97_660:
	s_wait_xcnt 0x0
	s_or_b32 exec_lo, exec_lo, s2
.LBB97_661:
	v_lshl_add_u64 v[98:99], v[6:7], 3, s[6:7]
	v_lshl_add_u64 v[96:97], v[8:9], 3, s[6:7]
	;; [unrolled: 1-line block ×32, first 2 shown]
	s_and_saveexec_b32 s0, s1
	s_cbranch_execz .LBB97_663
; %bb.662:
	scratch_store_b32 off, v100, s5
.LBB97_663:
	s_wait_xcnt 0x0
	s_or_b32 exec_lo, exec_lo, s0
	scratch_load_b64 v[38:39], off, off
	s_wait_loadcnt 0x0
	flat_store_b64 v[2:3], v[38:39]
	scratch_load_b64 v[2:3], off, off offset:8
	s_wait_loadcnt 0x0
	flat_store_b64 v[4:5], v[2:3]
	scratch_load_b64 v[2:3], off, off offset:16
	s_wait_loadcnt 0x0
	flat_store_b64 v[98:99], v[2:3]
	scratch_load_b64 v[2:3], off, off offset:24
	s_wait_loadcnt 0x0
	flat_store_b64 v[96:97], v[2:3]
	scratch_load_b64 v[2:3], off, off offset:32
	s_wait_loadcnt 0x0
	flat_store_b64 v[94:95], v[2:3]
	scratch_load_b64 v[2:3], off, off offset:40
	s_wait_loadcnt 0x0
	flat_store_b64 v[92:93], v[2:3]
	scratch_load_b64 v[2:3], off, off offset:48
	s_wait_loadcnt 0x0
	flat_store_b64 v[90:91], v[2:3]
	scratch_load_b64 v[2:3], off, off offset:56
	s_wait_loadcnt 0x0
	flat_store_b64 v[88:89], v[2:3]
	scratch_load_b64 v[2:3], off, off offset:64
	s_wait_loadcnt 0x0
	flat_store_b64 v[86:87], v[2:3]
	scratch_load_b64 v[2:3], off, off offset:72
	s_wait_loadcnt 0x0
	flat_store_b64 v[84:85], v[2:3]
	scratch_load_b64 v[2:3], off, off offset:80
	s_wait_loadcnt 0x0
	flat_store_b64 v[82:83], v[2:3]
	scratch_load_b64 v[2:3], off, off offset:88
	s_wait_loadcnt 0x0
	flat_store_b64 v[80:81], v[2:3]
	scratch_load_b64 v[2:3], off, off offset:96
	s_wait_loadcnt 0x0
	flat_store_b64 v[78:79], v[2:3]
	scratch_load_b64 v[2:3], off, off offset:104
	s_wait_loadcnt 0x0
	flat_store_b64 v[76:77], v[2:3]
	scratch_load_b64 v[2:3], off, off offset:112
	s_wait_loadcnt 0x0
	flat_store_b64 v[74:75], v[2:3]
	scratch_load_b64 v[2:3], off, off offset:120
	s_wait_loadcnt 0x0
	flat_store_b64 v[72:73], v[2:3]
	scratch_load_b64 v[2:3], off, off offset:128
	s_wait_loadcnt 0x0
	flat_store_b64 v[58:59], v[2:3]
	scratch_load_b64 v[2:3], off, off offset:136
	s_wait_loadcnt 0x0
	flat_store_b64 v[36:37], v[2:3]
	scratch_load_b64 v[2:3], off, off offset:144
	s_wait_loadcnt 0x0
	flat_store_b64 v[34:35], v[2:3]
	scratch_load_b64 v[2:3], off, off offset:152
	s_wait_loadcnt 0x0
	flat_store_b64 v[32:33], v[2:3]
	scratch_load_b64 v[2:3], off, off offset:160
	s_wait_loadcnt 0x0
	flat_store_b64 v[30:31], v[2:3]
	scratch_load_b64 v[2:3], off, off offset:168
	s_wait_loadcnt 0x0
	flat_store_b64 v[28:29], v[2:3]
	scratch_load_b64 v[2:3], off, off offset:176
	s_wait_loadcnt 0x0
	flat_store_b64 v[26:27], v[2:3]
	scratch_load_b64 v[2:3], off, off offset:184
	s_wait_loadcnt 0x0
	flat_store_b64 v[24:25], v[2:3]
	scratch_load_b64 v[2:3], off, off offset:192
	s_wait_loadcnt 0x0
	flat_store_b64 v[22:23], v[2:3]
	scratch_load_b64 v[2:3], off, off offset:200
	s_wait_loadcnt 0x0
	flat_store_b64 v[20:21], v[2:3]
	scratch_load_b64 v[2:3], off, off offset:208
	s_wait_loadcnt 0x0
	flat_store_b64 v[18:19], v[2:3]
	scratch_load_b64 v[2:3], off, off offset:216
	s_wait_loadcnt 0x0
	flat_store_b64 v[16:17], v[2:3]
	scratch_load_b64 v[2:3], off, off offset:224
	s_wait_loadcnt 0x0
	flat_store_b64 v[14:15], v[2:3]
	scratch_load_b64 v[2:3], off, off offset:232
	s_wait_loadcnt 0x0
	flat_store_b64 v[12:13], v[2:3]
	scratch_load_b64 v[2:3], off, off offset:240
	s_wait_loadcnt 0x0
	flat_store_b64 v[10:11], v[2:3]
	scratch_load_b64 v[2:3], off, off offset:248
	s_wait_loadcnt 0x0
	flat_store_b64 v[8:9], v[2:3]
	scratch_load_b64 v[2:3], off, off offset:256
	s_wait_loadcnt 0x0
	flat_store_b64 v[6:7], v[2:3]
	scratch_load_b64 v[2:3], off, off offset:264
	s_wait_loadcnt 0x0
	flat_store_b64 v[0:1], v[2:3]
.LBB97_664:
	s_sendmsg sendmsg(MSG_DEALLOC_VGPRS)
	s_endpgm
	.section	.rodata,"a",@progbits
	.p2align	6, 0x0
	.amdhsa_kernel _ZN9rocsolver6v33100L18trti2_kernel_smallILi34E19rocblas_complex_numIfEPKPS3_EEv13rocblas_fill_17rocblas_diagonal_T1_iil
		.amdhsa_group_segment_fixed_size 544
		.amdhsa_private_segment_fixed_size 288
		.amdhsa_kernarg_size 32
		.amdhsa_user_sgpr_count 2
		.amdhsa_user_sgpr_dispatch_ptr 0
		.amdhsa_user_sgpr_queue_ptr 0
		.amdhsa_user_sgpr_kernarg_segment_ptr 1
		.amdhsa_user_sgpr_dispatch_id 0
		.amdhsa_user_sgpr_kernarg_preload_length 0
		.amdhsa_user_sgpr_kernarg_preload_offset 0
		.amdhsa_user_sgpr_private_segment_size 0
		.amdhsa_wavefront_size32 1
		.amdhsa_uses_dynamic_stack 0
		.amdhsa_enable_private_segment 1
		.amdhsa_system_sgpr_workgroup_id_x 1
		.amdhsa_system_sgpr_workgroup_id_y 0
		.amdhsa_system_sgpr_workgroup_id_z 0
		.amdhsa_system_sgpr_workgroup_info 0
		.amdhsa_system_vgpr_workitem_id 0
		.amdhsa_next_free_vgpr 101
		.amdhsa_next_free_sgpr 40
		.amdhsa_named_barrier_count 0
		.amdhsa_reserve_vcc 1
		.amdhsa_float_round_mode_32 0
		.amdhsa_float_round_mode_16_64 0
		.amdhsa_float_denorm_mode_32 3
		.amdhsa_float_denorm_mode_16_64 3
		.amdhsa_fp16_overflow 0
		.amdhsa_memory_ordered 1
		.amdhsa_forward_progress 1
		.amdhsa_inst_pref_size 205
		.amdhsa_round_robin_scheduling 0
		.amdhsa_exception_fp_ieee_invalid_op 0
		.amdhsa_exception_fp_denorm_src 0
		.amdhsa_exception_fp_ieee_div_zero 0
		.amdhsa_exception_fp_ieee_overflow 0
		.amdhsa_exception_fp_ieee_underflow 0
		.amdhsa_exception_fp_ieee_inexact 0
		.amdhsa_exception_int_div_zero 0
	.end_amdhsa_kernel
	.section	.text._ZN9rocsolver6v33100L18trti2_kernel_smallILi34E19rocblas_complex_numIfEPKPS3_EEv13rocblas_fill_17rocblas_diagonal_T1_iil,"axG",@progbits,_ZN9rocsolver6v33100L18trti2_kernel_smallILi34E19rocblas_complex_numIfEPKPS3_EEv13rocblas_fill_17rocblas_diagonal_T1_iil,comdat
.Lfunc_end97:
	.size	_ZN9rocsolver6v33100L18trti2_kernel_smallILi34E19rocblas_complex_numIfEPKPS3_EEv13rocblas_fill_17rocblas_diagonal_T1_iil, .Lfunc_end97-_ZN9rocsolver6v33100L18trti2_kernel_smallILi34E19rocblas_complex_numIfEPKPS3_EEv13rocblas_fill_17rocblas_diagonal_T1_iil
                                        ; -- End function
	.set _ZN9rocsolver6v33100L18trti2_kernel_smallILi34E19rocblas_complex_numIfEPKPS3_EEv13rocblas_fill_17rocblas_diagonal_T1_iil.num_vgpr, 101
	.set _ZN9rocsolver6v33100L18trti2_kernel_smallILi34E19rocblas_complex_numIfEPKPS3_EEv13rocblas_fill_17rocblas_diagonal_T1_iil.num_agpr, 0
	.set _ZN9rocsolver6v33100L18trti2_kernel_smallILi34E19rocblas_complex_numIfEPKPS3_EEv13rocblas_fill_17rocblas_diagonal_T1_iil.numbered_sgpr, 40
	.set _ZN9rocsolver6v33100L18trti2_kernel_smallILi34E19rocblas_complex_numIfEPKPS3_EEv13rocblas_fill_17rocblas_diagonal_T1_iil.num_named_barrier, 0
	.set _ZN9rocsolver6v33100L18trti2_kernel_smallILi34E19rocblas_complex_numIfEPKPS3_EEv13rocblas_fill_17rocblas_diagonal_T1_iil.private_seg_size, 288
	.set _ZN9rocsolver6v33100L18trti2_kernel_smallILi34E19rocblas_complex_numIfEPKPS3_EEv13rocblas_fill_17rocblas_diagonal_T1_iil.uses_vcc, 1
	.set _ZN9rocsolver6v33100L18trti2_kernel_smallILi34E19rocblas_complex_numIfEPKPS3_EEv13rocblas_fill_17rocblas_diagonal_T1_iil.uses_flat_scratch, 0
	.set _ZN9rocsolver6v33100L18trti2_kernel_smallILi34E19rocblas_complex_numIfEPKPS3_EEv13rocblas_fill_17rocblas_diagonal_T1_iil.has_dyn_sized_stack, 0
	.set _ZN9rocsolver6v33100L18trti2_kernel_smallILi34E19rocblas_complex_numIfEPKPS3_EEv13rocblas_fill_17rocblas_diagonal_T1_iil.has_recursion, 0
	.set _ZN9rocsolver6v33100L18trti2_kernel_smallILi34E19rocblas_complex_numIfEPKPS3_EEv13rocblas_fill_17rocblas_diagonal_T1_iil.has_indirect_call, 0
	.section	.AMDGPU.csdata,"",@progbits
; Kernel info:
; codeLenInByte = 26168
; TotalNumSgprs: 42
; NumVgprs: 101
; ScratchSize: 288
; MemoryBound: 0
; FloatMode: 240
; IeeeMode: 1
; LDSByteSize: 544 bytes/workgroup (compile time only)
; SGPRBlocks: 0
; VGPRBlocks: 6
; NumSGPRsForWavesPerEU: 42
; NumVGPRsForWavesPerEU: 101
; NamedBarCnt: 0
; Occupancy: 9
; WaveLimiterHint : 1
; COMPUTE_PGM_RSRC2:SCRATCH_EN: 1
; COMPUTE_PGM_RSRC2:USER_SGPR: 2
; COMPUTE_PGM_RSRC2:TRAP_HANDLER: 0
; COMPUTE_PGM_RSRC2:TGID_X_EN: 1
; COMPUTE_PGM_RSRC2:TGID_Y_EN: 0
; COMPUTE_PGM_RSRC2:TGID_Z_EN: 0
; COMPUTE_PGM_RSRC2:TIDIG_COMP_CNT: 0
	.section	.text._ZN9rocsolver6v33100L18trti2_kernel_smallILi35E19rocblas_complex_numIfEPKPS3_EEv13rocblas_fill_17rocblas_diagonal_T1_iil,"axG",@progbits,_ZN9rocsolver6v33100L18trti2_kernel_smallILi35E19rocblas_complex_numIfEPKPS3_EEv13rocblas_fill_17rocblas_diagonal_T1_iil,comdat
	.globl	_ZN9rocsolver6v33100L18trti2_kernel_smallILi35E19rocblas_complex_numIfEPKPS3_EEv13rocblas_fill_17rocblas_diagonal_T1_iil ; -- Begin function _ZN9rocsolver6v33100L18trti2_kernel_smallILi35E19rocblas_complex_numIfEPKPS3_EEv13rocblas_fill_17rocblas_diagonal_T1_iil
	.p2align	8
	.type	_ZN9rocsolver6v33100L18trti2_kernel_smallILi35E19rocblas_complex_numIfEPKPS3_EEv13rocblas_fill_17rocblas_diagonal_T1_iil,@function
_ZN9rocsolver6v33100L18trti2_kernel_smallILi35E19rocblas_complex_numIfEPKPS3_EEv13rocblas_fill_17rocblas_diagonal_T1_iil: ; @_ZN9rocsolver6v33100L18trti2_kernel_smallILi35E19rocblas_complex_numIfEPKPS3_EEv13rocblas_fill_17rocblas_diagonal_T1_iil
; %bb.0:
	s_mov_b32 s2, exec_lo
	v_cmpx_gt_u32_e32 35, v0
	s_cbranch_execz .LBB98_684
; %bb.1:
	s_clause 0x1
	s_load_b64 s[8:9], s[0:1], 0x10
	s_load_b128 s[4:7], s[0:1], 0x0
	s_wait_xcnt 0x0
	s_bfe_u32 s0, ttmp6, 0x4000c
	s_and_b32 s1, ttmp6, 15
	s_add_co_i32 s0, s0, 1
	s_getreg_b32 s2, hwreg(HW_REG_IB_STS2, 6, 4)
	s_mul_i32 s0, ttmp9, s0
	v_dual_mov_b32 v59, 0 :: v_dual_lshlrev_b32 v58, 3, v0
	s_add_co_i32 s0, s1, s0
	s_wait_kmcnt 0x0
	s_ashr_i32 s1, s8, 31
	s_cmp_eq_u32 s2, 0
	s_cselect_b32 s2, ttmp9, s0
	s_mov_b32 s0, s8
	s_ashr_i32 s3, s2, 31
	s_lshl_b64 s[0:1], s[0:1], 3
	s_lshl_b64 s[2:3], s[2:3], 3
	s_delay_alu instid0(SALU_CYCLE_1)
	s_add_nc_u64 s[2:3], s[6:7], s[2:3]
	s_load_b64 s[2:3], s[2:3], 0x0
	s_wait_kmcnt 0x0
	s_add_nc_u64 s[2:3], s[2:3], s[0:1]
	s_mov_b32 s0, s9
	flat_load_b64 v[6:7], v0, s[2:3] scale_offset
	v_add_nc_u64_e32 v[2:3], s[2:3], v[58:59]
	s_ashr_i32 s1, s9, 31
	s_cmp_lg_u32 s5, 0x84
	s_cselect_b32 s5, -1, 0
	s_delay_alu instid0(SALU_CYCLE_1) | instskip(NEXT) | instid1(VALU_DEP_1)
	s_and_b32 vcc_lo, exec_lo, s5
	v_lshl_add_u64 v[4:5], s[0:1], 3, v[2:3]
	s_mov_b32 s0, -1
	s_wait_loadcnt_dscnt 0x0
	scratch_store_b64 off, v[6:7], off
	flat_load_b64 v[8:9], v[4:5]
	s_wait_xcnt 0x1
	v_add3_u32 v6, s9, s9, v0
	s_wait_loadcnt_dscnt 0x0
	scratch_store_b64 off, v[8:9], off offset:8
	flat_load_b64 v[10:11], v6, s[2:3] scale_offset
	s_wait_xcnt 0x1
	v_add_nc_u32_e32 v8, s9, v6
	s_wait_loadcnt_dscnt 0x0
	scratch_store_b64 off, v[10:11], off offset:16
	flat_load_b64 v[12:13], v8, s[2:3] scale_offset
	s_wait_xcnt 0x1
	v_add_nc_u32_e32 v10, s9, v8
	;; [unrolled: 5-line block ×32, first 2 shown]
	s_wait_loadcnt_dscnt 0x0
	scratch_store_b64 off, v[74:75], off offset:264
	flat_load_b64 v[74:75], v72, s[2:3] scale_offset
	s_wait_loadcnt_dscnt 0x0
	scratch_store_b64 off, v[74:75], off offset:272
	s_cbranch_vccz .LBB98_7
; %bb.2:
	scratch_load_b64 v[74:75], v0, off scale_offset
                                        ; implicit-def: $vgpr79
                                        ; implicit-def: $vgpr76
	s_wait_loadcnt 0x0
	v_cmp_ngt_f32_e64 s0, |v74|, |v75|
	s_wait_xcnt 0x0
	s_and_saveexec_b32 s1, s0
	s_delay_alu instid0(SALU_CYCLE_1)
	s_xor_b32 s0, exec_lo, s1
	s_cbranch_execz .LBB98_4
; %bb.3:
	v_div_scale_f32 v1, null, v75, v75, v74
	v_div_scale_f32 v11, vcc_lo, v74, v75, v74
	s_delay_alu instid0(VALU_DEP_2) | instskip(SKIP_1) | instid1(TRANS32_DEP_1)
	v_rcp_f32_e32 v7, v1
	v_nop
	v_fma_f32 v9, -v1, v7, 1.0
	s_delay_alu instid0(VALU_DEP_1) | instskip(NEXT) | instid1(VALU_DEP_1)
	v_fmac_f32_e32 v7, v9, v7
	v_mul_f32_e32 v9, v11, v7
	s_delay_alu instid0(VALU_DEP_1) | instskip(NEXT) | instid1(VALU_DEP_1)
	v_fma_f32 v13, -v1, v9, v11
	v_fmac_f32_e32 v9, v13, v7
	s_delay_alu instid0(VALU_DEP_1) | instskip(NEXT) | instid1(VALU_DEP_1)
	v_fma_f32 v1, -v1, v9, v11
	v_div_fmas_f32 v1, v1, v7, v9
	s_delay_alu instid0(VALU_DEP_1) | instskip(NEXT) | instid1(VALU_DEP_1)
	v_div_fixup_f32 v1, v1, v75, v74
	v_fmac_f32_e32 v75, v74, v1
	s_delay_alu instid0(VALU_DEP_1) | instskip(NEXT) | instid1(VALU_DEP_1)
	v_div_scale_f32 v7, null, v75, v75, -1.0
	v_rcp_f32_e32 v9, v7
	v_nop
	s_delay_alu instid0(TRANS32_DEP_1) | instskip(NEXT) | instid1(VALU_DEP_1)
	v_fma_f32 v11, -v7, v9, 1.0
	v_fmac_f32_e32 v9, v11, v9
	v_div_scale_f32 v11, vcc_lo, -1.0, v75, -1.0
	s_delay_alu instid0(VALU_DEP_1) | instskip(NEXT) | instid1(VALU_DEP_1)
	v_mul_f32_e32 v13, v11, v9
	v_fma_f32 v15, -v7, v13, v11
	s_delay_alu instid0(VALU_DEP_1) | instskip(NEXT) | instid1(VALU_DEP_1)
	v_fmac_f32_e32 v13, v15, v9
	v_fma_f32 v7, -v7, v13, v11
	s_delay_alu instid0(VALU_DEP_1) | instskip(NEXT) | instid1(VALU_DEP_1)
	v_div_fmas_f32 v7, v7, v9, v13
	v_div_fixup_f32 v79, v7, v75, -1.0
                                        ; implicit-def: $vgpr74_vgpr75
	s_delay_alu instid0(VALU_DEP_1) | instskip(NEXT) | instid1(VALU_DEP_1)
	v_mul_f32_e32 v76, v1, v79
	v_xor_b32_e32 v78, 0x80000000, v76
.LBB98_4:
	s_or_saveexec_b32 s0, s0
	v_lshl_add_u32 v1, v0, 3, 0
	s_xor_b32 exec_lo, exec_lo, s0
	s_cbranch_execz .LBB98_6
; %bb.5:
	v_div_scale_f32 v7, null, v74, v74, v75
	v_div_scale_f32 v13, vcc_lo, v75, v74, v75
	s_delay_alu instid0(VALU_DEP_2) | instskip(SKIP_1) | instid1(TRANS32_DEP_1)
	v_rcp_f32_e32 v9, v7
	v_nop
	v_fma_f32 v11, -v7, v9, 1.0
	s_delay_alu instid0(VALU_DEP_1) | instskip(NEXT) | instid1(VALU_DEP_1)
	v_fmac_f32_e32 v9, v11, v9
	v_mul_f32_e32 v11, v13, v9
	s_delay_alu instid0(VALU_DEP_1) | instskip(NEXT) | instid1(VALU_DEP_1)
	v_fma_f32 v15, -v7, v11, v13
	v_fmac_f32_e32 v11, v15, v9
	s_delay_alu instid0(VALU_DEP_1) | instskip(NEXT) | instid1(VALU_DEP_1)
	v_fma_f32 v7, -v7, v11, v13
	v_div_fmas_f32 v7, v7, v9, v11
	s_delay_alu instid0(VALU_DEP_1) | instskip(NEXT) | instid1(VALU_DEP_1)
	v_div_fixup_f32 v7, v7, v74, v75
	v_fmac_f32_e32 v74, v75, v7
	s_delay_alu instid0(VALU_DEP_1) | instskip(SKIP_1) | instid1(VALU_DEP_2)
	v_div_scale_f32 v9, null, v74, v74, 1.0
	v_div_scale_f32 v15, vcc_lo, 1.0, v74, 1.0
	v_rcp_f32_e32 v11, v9
	v_nop
	s_delay_alu instid0(TRANS32_DEP_1) | instskip(NEXT) | instid1(VALU_DEP_1)
	v_fma_f32 v13, -v9, v11, 1.0
	v_fmac_f32_e32 v11, v13, v11
	s_delay_alu instid0(VALU_DEP_1) | instskip(NEXT) | instid1(VALU_DEP_1)
	v_mul_f32_e32 v13, v15, v11
	v_fma_f32 v17, -v9, v13, v15
	s_delay_alu instid0(VALU_DEP_1) | instskip(NEXT) | instid1(VALU_DEP_1)
	v_fmac_f32_e32 v13, v17, v11
	v_fma_f32 v9, -v9, v13, v15
	s_delay_alu instid0(VALU_DEP_1) | instskip(NEXT) | instid1(VALU_DEP_1)
	v_div_fmas_f32 v9, v9, v11, v13
	v_div_fixup_f32 v78, v9, v74, 1.0
	s_delay_alu instid0(VALU_DEP_1)
	v_xor_b32_e32 v76, 0x80000000, v78
	v_mul_f32_e64 v79, v7, -v78
.LBB98_6:
	s_or_b32 exec_lo, exec_lo, s0
	s_delay_alu instid0(VALU_DEP_1)
	v_xor_b32_e32 v77, 0x80000000, v79
	s_mov_b32 s0, 0
	scratch_store_b64 v1, v[78:79], off
	ds_store_b64 v58, v[76:77]
.LBB98_7:
	s_and_b32 vcc_lo, exec_lo, s0
	s_cbranch_vccz .LBB98_9
; %bb.8:
	s_mov_b64 s[0:1], 0xbf800000
	s_wait_xcnt 0x0
	v_mov_b64_e32 v[74:75], s[0:1]
	ds_store_b64 v58, v[74:75]
.LBB98_9:
	v_dual_ashrrev_i32 v7, 31, v6 :: v_dual_ashrrev_i32 v9, 31, v8
	v_dual_ashrrev_i32 v11, 31, v10 :: v_dual_ashrrev_i32 v13, 31, v12
	;; [unrolled: 1-line block ×16, first 2 shown]
	v_dual_ashrrev_i32 v73, 31, v72 :: v_dual_mov_b32 v59, v58
	s_wait_xcnt 0x0
	v_add_nc_u32_e32 v1, 0x120, v58
	s_cmp_eq_u32 s4, 0x79
	s_cbranch_scc1 .LBB98_13
; %bb.10:
	scratch_load_b64 v[74:75], off, off offset:264
	v_cmp_eq_u32_e64 s0, 34, v0
	s_movk_i32 s1, 0x48
	s_movk_i32 s14, 0x50
	;; [unrolled: 1-line block ×24, first 2 shown]
	s_wait_loadcnt 0x0
	ds_store_b64 v1, v[74:75]
	s_wait_storecnt_dscnt 0x0
	s_barrier_signal -1
	s_barrier_wait -1
	s_wait_xcnt 0x0
	s_and_saveexec_b32 s4, s0
	s_cbranch_execz .LBB98_17
; %bb.11:
	s_and_b32 vcc_lo, exec_lo, s5
	s_cbranch_vccz .LBB98_14
; %bb.12:
	scratch_load_b64 v[74:75], v59, off
	ds_load_b64 v[76:77], v1
	s_wait_loadcnt_dscnt 0x0
	v_pk_mul_f32 v[78:79], v[76:77], v[74:75] op_sel:[1,1] op_sel_hi:[0,1]
	v_pk_mul_f32 v[80:81], v[76:77], v[74:75] op_sel_hi:[1,0]
	s_delay_alu instid0(VALU_DEP_2) | instskip(NEXT) | instid1(VALU_DEP_2)
	v_pk_fma_f32 v[74:75], v[76:77], v[74:75], v[78:79] op_sel_hi:[1,0,1]
	v_sub_f32_e32 v74, v80, v78
	s_cbranch_execz .LBB98_15
	s_branch .LBB98_16
.LBB98_13:
	s_mov_b32 s1, 0
                                        ; implicit-def: $vgpr104
                                        ; implicit-def: $sgpr7
	s_cbranch_execnz .LBB98_346
	s_branch .LBB98_681
.LBB98_14:
                                        ; implicit-def: $vgpr75
.LBB98_15:
	ds_load_b64 v[74:75], v1
.LBB98_16:
	s_wait_dscnt 0x0
	v_dual_mov_b32 v76, 0 :: v_dual_mov_b32 v78, v75
	v_mov_b32_e32 v79, v74
	ds_load_b64 v[76:77], v76 offset:264
	s_wait_dscnt 0x0
	v_pk_mul_f32 v[78:79], v[78:79], v[76:77] op_sel:[0,1]
	s_delay_alu instid0(VALU_DEP_1) | instskip(SKIP_1) | instid1(VALU_DEP_2)
	v_pk_fma_f32 v[80:81], v[74:75], v[76:77], v[78:79] op_sel_hi:[1,0,1]
	v_pk_fma_f32 v[74:75], v[74:75], v[76:77], v[78:79] neg_lo:[0,0,1] neg_hi:[0,0,1]
	v_mov_b32_e32 v75, v81
	scratch_store_b64 off, v[74:75], off offset:264
.LBB98_17:
	s_wait_xcnt 0x0
	s_or_b32 exec_lo, exec_lo, s4
	scratch_load_b64 v[74:75], off, off offset:256
	s_mov_b32 s13, s1
	v_cmp_lt_u32_e64 s1, 32, v0
	s_or_b32 s4, 0, 8
	s_mov_b32 s6, 16
	s_mov_b32 s7, 24
	;; [unrolled: 1-line block ×7, first 2 shown]
	s_wait_loadcnt 0x0
	ds_store_b64 v1, v[74:75]
	s_wait_storecnt_dscnt 0x0
	s_barrier_signal -1
	s_barrier_wait -1
	s_wait_xcnt 0x0
	s_and_saveexec_b32 s38, s1
	s_cbranch_execz .LBB98_25
; %bb.18:
	s_and_not1_b32 vcc_lo, exec_lo, s5
	s_cbranch_vccnz .LBB98_20
; %bb.19:
	scratch_load_b64 v[74:75], v59, off
	ds_load_b64 v[76:77], v1
	s_wait_loadcnt_dscnt 0x0
	v_pk_mul_f32 v[78:79], v[76:77], v[74:75] op_sel:[1,1] op_sel_hi:[0,1]
	s_delay_alu instid0(VALU_DEP_1) | instskip(SKIP_1) | instid1(VALU_DEP_2)
	v_pk_fma_f32 v[80:81], v[76:77], v[74:75], v[78:79] op_sel_hi:[1,0,1]
	v_pk_fma_f32 v[74:75], v[76:77], v[74:75], v[78:79] neg_lo:[0,0,1] neg_hi:[0,0,1]
	v_mov_b32_e32 v75, v81
	s_cbranch_execz .LBB98_21
	s_branch .LBB98_22
.LBB98_20:
                                        ; implicit-def: $vgpr74_vgpr75
.LBB98_21:
	ds_load_b64 v[74:75], v1
.LBB98_22:
	s_and_saveexec_b32 s39, s0
	s_cbranch_execz .LBB98_24
; %bb.23:
	scratch_load_b64 v[76:77], off, off offset:264
	v_mov_b32_e32 v78, 0
	ds_load_b64 v[78:79], v78 offset:552
	s_wait_loadcnt_dscnt 0x0
	v_pk_mul_f32 v[80:81], v[78:79], v[76:77] op_sel:[1,1] op_sel_hi:[0,1]
	s_delay_alu instid0(VALU_DEP_1) | instskip(SKIP_1) | instid1(VALU_DEP_2)
	v_pk_fma_f32 v[82:83], v[78:79], v[76:77], v[80:81] op_sel_hi:[1,0,1]
	v_pk_fma_f32 v[76:77], v[78:79], v[76:77], v[80:81] neg_lo:[0,0,1] neg_hi:[0,0,1]
	v_mov_b32_e32 v77, v83
	s_delay_alu instid0(VALU_DEP_1)
	v_pk_add_f32 v[74:75], v[74:75], v[76:77]
.LBB98_24:
	s_or_b32 exec_lo, exec_lo, s39
	v_mov_b32_e32 v76, 0
	ds_load_b64 v[76:77], v76 offset:256
	s_wait_dscnt 0x0
	v_pk_mul_f32 v[78:79], v[74:75], v[76:77] op_sel:[1,1] op_sel_hi:[0,1]
	s_delay_alu instid0(VALU_DEP_1) | instskip(SKIP_1) | instid1(VALU_DEP_2)
	v_pk_fma_f32 v[80:81], v[74:75], v[76:77], v[78:79] op_sel_hi:[1,0,1]
	v_pk_fma_f32 v[74:75], v[74:75], v[76:77], v[78:79] neg_lo:[0,0,1] neg_hi:[0,0,1]
	v_mov_b32_e32 v75, v81
	scratch_store_b64 off, v[74:75], off offset:256
.LBB98_25:
	s_wait_xcnt 0x0
	s_or_b32 exec_lo, exec_lo, s38
	scratch_load_b64 v[74:75], off, off offset:248
	v_cmp_lt_u32_e64 s0, 31, v0
	s_wait_loadcnt 0x0
	ds_store_b64 v1, v[74:75]
	s_wait_storecnt_dscnt 0x0
	s_barrier_signal -1
	s_barrier_wait -1
	s_wait_xcnt 0x0
	s_and_saveexec_b32 s38, s0
	s_cbranch_execz .LBB98_35
; %bb.26:
	s_and_not1_b32 vcc_lo, exec_lo, s5
	s_cbranch_vccnz .LBB98_28
; %bb.27:
	scratch_load_b64 v[74:75], v59, off
	ds_load_b64 v[76:77], v1
	s_wait_loadcnt_dscnt 0x0
	v_pk_mul_f32 v[78:79], v[76:77], v[74:75] op_sel:[1,1] op_sel_hi:[0,1]
	s_delay_alu instid0(VALU_DEP_1) | instskip(SKIP_1) | instid1(VALU_DEP_2)
	v_pk_fma_f32 v[80:81], v[76:77], v[74:75], v[78:79] op_sel_hi:[1,0,1]
	v_pk_fma_f32 v[74:75], v[76:77], v[74:75], v[78:79] neg_lo:[0,0,1] neg_hi:[0,0,1]
	v_mov_b32_e32 v75, v81
	s_cbranch_execz .LBB98_29
	s_branch .LBB98_30
.LBB98_28:
                                        ; implicit-def: $vgpr74_vgpr75
.LBB98_29:
	ds_load_b64 v[74:75], v1
.LBB98_30:
	s_and_saveexec_b32 s39, s1
	s_cbranch_execz .LBB98_34
; %bb.31:
	v_subrev_nc_u32_e32 v76, 32, v0
	s_movk_i32 s40, 0x220
	s_mov_b32 s1, 0
.LBB98_32:                              ; =>This Inner Loop Header: Depth=1
	scratch_load_b64 v[78:79], off, s37
	v_dual_mov_b32 v77, s40 :: v_dual_add_nc_u32 v76, -1, v76
	s_add_co_i32 s40, s40, 8
	s_wait_xcnt 0x0
	s_add_co_i32 s37, s37, 8
	ds_load_b64 v[80:81], v77
	v_cmp_eq_u32_e32 vcc_lo, 0, v76
	s_or_b32 s1, vcc_lo, s1
	s_wait_loadcnt_dscnt 0x0
	v_pk_mul_f32 v[82:83], v[80:81], v[78:79] op_sel:[1,1] op_sel_hi:[0,1]
	s_delay_alu instid0(VALU_DEP_1) | instskip(SKIP_1) | instid1(VALU_DEP_2)
	v_pk_fma_f32 v[84:85], v[80:81], v[78:79], v[82:83] op_sel_hi:[1,0,1]
	v_pk_fma_f32 v[78:79], v[80:81], v[78:79], v[82:83] neg_lo:[0,0,1] neg_hi:[0,0,1]
	v_mov_b32_e32 v79, v85
	s_delay_alu instid0(VALU_DEP_1)
	v_pk_add_f32 v[74:75], v[74:75], v[78:79]
	s_and_not1_b32 exec_lo, exec_lo, s1
	s_cbranch_execnz .LBB98_32
; %bb.33:
	s_or_b32 exec_lo, exec_lo, s1
.LBB98_34:
	s_delay_alu instid0(SALU_CYCLE_1) | instskip(SKIP_4) | instid1(VALU_DEP_1)
	s_or_b32 exec_lo, exec_lo, s39
	v_mov_b32_e32 v76, 0
	ds_load_b64 v[76:77], v76 offset:248
	s_wait_dscnt 0x0
	v_pk_mul_f32 v[78:79], v[74:75], v[76:77] op_sel:[1,1] op_sel_hi:[0,1]
	v_pk_fma_f32 v[80:81], v[74:75], v[76:77], v[78:79] op_sel_hi:[1,0,1]
	v_pk_fma_f32 v[74:75], v[74:75], v[76:77], v[78:79] neg_lo:[0,0,1] neg_hi:[0,0,1]
	s_delay_alu instid0(VALU_DEP_2)
	v_mov_b32_e32 v75, v81
	scratch_store_b64 off, v[74:75], off offset:248
.LBB98_35:
	s_wait_xcnt 0x0
	s_or_b32 exec_lo, exec_lo, s38
	scratch_load_b64 v[74:75], off, off offset:240
	v_cmp_lt_u32_e64 s1, 30, v0
	s_wait_loadcnt 0x0
	ds_store_b64 v1, v[74:75]
	s_wait_storecnt_dscnt 0x0
	s_barrier_signal -1
	s_barrier_wait -1
	s_wait_xcnt 0x0
	s_and_saveexec_b32 s37, s1
	s_cbranch_execz .LBB98_45
; %bb.36:
	s_and_not1_b32 vcc_lo, exec_lo, s5
	s_cbranch_vccnz .LBB98_38
; %bb.37:
	scratch_load_b64 v[74:75], v59, off
	ds_load_b64 v[76:77], v1
	s_wait_loadcnt_dscnt 0x0
	v_pk_mul_f32 v[78:79], v[76:77], v[74:75] op_sel:[1,1] op_sel_hi:[0,1]
	s_delay_alu instid0(VALU_DEP_1) | instskip(SKIP_1) | instid1(VALU_DEP_2)
	v_pk_fma_f32 v[80:81], v[76:77], v[74:75], v[78:79] op_sel_hi:[1,0,1]
	v_pk_fma_f32 v[74:75], v[76:77], v[74:75], v[78:79] neg_lo:[0,0,1] neg_hi:[0,0,1]
	v_mov_b32_e32 v75, v81
	s_cbranch_execz .LBB98_39
	s_branch .LBB98_40
.LBB98_38:
                                        ; implicit-def: $vgpr74_vgpr75
.LBB98_39:
	ds_load_b64 v[74:75], v1
.LBB98_40:
	s_and_saveexec_b32 s38, s0
	s_cbranch_execz .LBB98_44
; %bb.41:
	v_subrev_nc_u32_e32 v76, 31, v0
	s_movk_i32 s39, 0x218
	s_mov_b32 s0, 0
.LBB98_42:                              ; =>This Inner Loop Header: Depth=1
	scratch_load_b64 v[78:79], off, s36
	v_dual_mov_b32 v77, s39 :: v_dual_add_nc_u32 v76, -1, v76
	s_add_co_i32 s39, s39, 8
	s_wait_xcnt 0x0
	s_add_co_i32 s36, s36, 8
	ds_load_b64 v[80:81], v77
	v_cmp_eq_u32_e32 vcc_lo, 0, v76
	s_or_b32 s0, vcc_lo, s0
	s_wait_loadcnt_dscnt 0x0
	v_pk_mul_f32 v[82:83], v[80:81], v[78:79] op_sel:[1,1] op_sel_hi:[0,1]
	s_delay_alu instid0(VALU_DEP_1) | instskip(SKIP_1) | instid1(VALU_DEP_2)
	v_pk_fma_f32 v[84:85], v[80:81], v[78:79], v[82:83] op_sel_hi:[1,0,1]
	v_pk_fma_f32 v[78:79], v[80:81], v[78:79], v[82:83] neg_lo:[0,0,1] neg_hi:[0,0,1]
	v_mov_b32_e32 v79, v85
	s_delay_alu instid0(VALU_DEP_1)
	v_pk_add_f32 v[74:75], v[74:75], v[78:79]
	s_and_not1_b32 exec_lo, exec_lo, s0
	s_cbranch_execnz .LBB98_42
; %bb.43:
	s_or_b32 exec_lo, exec_lo, s0
.LBB98_44:
	s_delay_alu instid0(SALU_CYCLE_1) | instskip(SKIP_4) | instid1(VALU_DEP_1)
	s_or_b32 exec_lo, exec_lo, s38
	v_mov_b32_e32 v76, 0
	ds_load_b64 v[76:77], v76 offset:240
	s_wait_dscnt 0x0
	v_pk_mul_f32 v[78:79], v[74:75], v[76:77] op_sel:[1,1] op_sel_hi:[0,1]
	v_pk_fma_f32 v[80:81], v[74:75], v[76:77], v[78:79] op_sel_hi:[1,0,1]
	v_pk_fma_f32 v[74:75], v[74:75], v[76:77], v[78:79] neg_lo:[0,0,1] neg_hi:[0,0,1]
	s_delay_alu instid0(VALU_DEP_2)
	v_mov_b32_e32 v75, v81
	scratch_store_b64 off, v[74:75], off offset:240
.LBB98_45:
	s_wait_xcnt 0x0
	s_or_b32 exec_lo, exec_lo, s37
	scratch_load_b64 v[74:75], off, off offset:232
	v_cmp_lt_u32_e64 s0, 29, v0
	s_wait_loadcnt 0x0
	ds_store_b64 v1, v[74:75]
	s_wait_storecnt_dscnt 0x0
	s_barrier_signal -1
	s_barrier_wait -1
	s_wait_xcnt 0x0
	s_and_saveexec_b32 s36, s0
	s_cbranch_execz .LBB98_55
; %bb.46:
	s_and_not1_b32 vcc_lo, exec_lo, s5
	s_cbranch_vccnz .LBB98_48
; %bb.47:
	scratch_load_b64 v[74:75], v59, off
	ds_load_b64 v[76:77], v1
	s_wait_loadcnt_dscnt 0x0
	v_pk_mul_f32 v[78:79], v[76:77], v[74:75] op_sel:[1,1] op_sel_hi:[0,1]
	s_delay_alu instid0(VALU_DEP_1) | instskip(SKIP_1) | instid1(VALU_DEP_2)
	v_pk_fma_f32 v[80:81], v[76:77], v[74:75], v[78:79] op_sel_hi:[1,0,1]
	v_pk_fma_f32 v[74:75], v[76:77], v[74:75], v[78:79] neg_lo:[0,0,1] neg_hi:[0,0,1]
	v_mov_b32_e32 v75, v81
	s_cbranch_execz .LBB98_49
	s_branch .LBB98_50
.LBB98_48:
                                        ; implicit-def: $vgpr74_vgpr75
.LBB98_49:
	ds_load_b64 v[74:75], v1
.LBB98_50:
	s_and_saveexec_b32 s37, s1
	s_cbranch_execz .LBB98_54
; %bb.51:
	v_subrev_nc_u32_e32 v76, 30, v0
	s_movk_i32 s38, 0x210
	s_mov_b32 s1, 0
.LBB98_52:                              ; =>This Inner Loop Header: Depth=1
	scratch_load_b64 v[78:79], off, s35
	v_dual_mov_b32 v77, s38 :: v_dual_add_nc_u32 v76, -1, v76
	s_add_co_i32 s38, s38, 8
	s_wait_xcnt 0x0
	s_add_co_i32 s35, s35, 8
	ds_load_b64 v[80:81], v77
	v_cmp_eq_u32_e32 vcc_lo, 0, v76
	s_or_b32 s1, vcc_lo, s1
	s_wait_loadcnt_dscnt 0x0
	v_pk_mul_f32 v[82:83], v[80:81], v[78:79] op_sel:[1,1] op_sel_hi:[0,1]
	s_delay_alu instid0(VALU_DEP_1) | instskip(SKIP_1) | instid1(VALU_DEP_2)
	v_pk_fma_f32 v[84:85], v[80:81], v[78:79], v[82:83] op_sel_hi:[1,0,1]
	v_pk_fma_f32 v[78:79], v[80:81], v[78:79], v[82:83] neg_lo:[0,0,1] neg_hi:[0,0,1]
	v_mov_b32_e32 v79, v85
	s_delay_alu instid0(VALU_DEP_1)
	v_pk_add_f32 v[74:75], v[74:75], v[78:79]
	s_and_not1_b32 exec_lo, exec_lo, s1
	s_cbranch_execnz .LBB98_52
; %bb.53:
	s_or_b32 exec_lo, exec_lo, s1
.LBB98_54:
	s_delay_alu instid0(SALU_CYCLE_1) | instskip(SKIP_4) | instid1(VALU_DEP_1)
	s_or_b32 exec_lo, exec_lo, s37
	v_mov_b32_e32 v76, 0
	ds_load_b64 v[76:77], v76 offset:232
	s_wait_dscnt 0x0
	v_pk_mul_f32 v[78:79], v[74:75], v[76:77] op_sel:[1,1] op_sel_hi:[0,1]
	v_pk_fma_f32 v[80:81], v[74:75], v[76:77], v[78:79] op_sel_hi:[1,0,1]
	v_pk_fma_f32 v[74:75], v[74:75], v[76:77], v[78:79] neg_lo:[0,0,1] neg_hi:[0,0,1]
	s_delay_alu instid0(VALU_DEP_2)
	v_mov_b32_e32 v75, v81
	scratch_store_b64 off, v[74:75], off offset:232
.LBB98_55:
	s_wait_xcnt 0x0
	s_or_b32 exec_lo, exec_lo, s36
	scratch_load_b64 v[74:75], off, off offset:224
	v_cmp_lt_u32_e64 s1, 28, v0
	s_wait_loadcnt 0x0
	ds_store_b64 v1, v[74:75]
	s_wait_storecnt_dscnt 0x0
	s_barrier_signal -1
	s_barrier_wait -1
	s_wait_xcnt 0x0
	s_and_saveexec_b32 s35, s1
	s_cbranch_execz .LBB98_65
; %bb.56:
	s_and_not1_b32 vcc_lo, exec_lo, s5
	s_cbranch_vccnz .LBB98_58
; %bb.57:
	scratch_load_b64 v[74:75], v59, off
	ds_load_b64 v[76:77], v1
	s_wait_loadcnt_dscnt 0x0
	v_pk_mul_f32 v[78:79], v[76:77], v[74:75] op_sel:[1,1] op_sel_hi:[0,1]
	s_delay_alu instid0(VALU_DEP_1) | instskip(SKIP_1) | instid1(VALU_DEP_2)
	v_pk_fma_f32 v[80:81], v[76:77], v[74:75], v[78:79] op_sel_hi:[1,0,1]
	v_pk_fma_f32 v[74:75], v[76:77], v[74:75], v[78:79] neg_lo:[0,0,1] neg_hi:[0,0,1]
	v_mov_b32_e32 v75, v81
	s_cbranch_execz .LBB98_59
	s_branch .LBB98_60
.LBB98_58:
                                        ; implicit-def: $vgpr74_vgpr75
.LBB98_59:
	ds_load_b64 v[74:75], v1
.LBB98_60:
	s_and_saveexec_b32 s36, s0
	s_cbranch_execz .LBB98_64
; %bb.61:
	v_subrev_nc_u32_e32 v76, 29, v0
	s_movk_i32 s37, 0x208
	s_mov_b32 s0, 0
.LBB98_62:                              ; =>This Inner Loop Header: Depth=1
	scratch_load_b64 v[78:79], off, s34
	v_dual_mov_b32 v77, s37 :: v_dual_add_nc_u32 v76, -1, v76
	s_add_co_i32 s37, s37, 8
	s_wait_xcnt 0x0
	s_add_co_i32 s34, s34, 8
	ds_load_b64 v[80:81], v77
	v_cmp_eq_u32_e32 vcc_lo, 0, v76
	s_or_b32 s0, vcc_lo, s0
	s_wait_loadcnt_dscnt 0x0
	v_pk_mul_f32 v[82:83], v[80:81], v[78:79] op_sel:[1,1] op_sel_hi:[0,1]
	s_delay_alu instid0(VALU_DEP_1) | instskip(SKIP_1) | instid1(VALU_DEP_2)
	v_pk_fma_f32 v[84:85], v[80:81], v[78:79], v[82:83] op_sel_hi:[1,0,1]
	v_pk_fma_f32 v[78:79], v[80:81], v[78:79], v[82:83] neg_lo:[0,0,1] neg_hi:[0,0,1]
	v_mov_b32_e32 v79, v85
	s_delay_alu instid0(VALU_DEP_1)
	v_pk_add_f32 v[74:75], v[74:75], v[78:79]
	s_and_not1_b32 exec_lo, exec_lo, s0
	s_cbranch_execnz .LBB98_62
; %bb.63:
	s_or_b32 exec_lo, exec_lo, s0
.LBB98_64:
	s_delay_alu instid0(SALU_CYCLE_1) | instskip(SKIP_4) | instid1(VALU_DEP_1)
	s_or_b32 exec_lo, exec_lo, s36
	v_mov_b32_e32 v76, 0
	ds_load_b64 v[76:77], v76 offset:224
	s_wait_dscnt 0x0
	v_pk_mul_f32 v[78:79], v[74:75], v[76:77] op_sel:[1,1] op_sel_hi:[0,1]
	v_pk_fma_f32 v[80:81], v[74:75], v[76:77], v[78:79] op_sel_hi:[1,0,1]
	v_pk_fma_f32 v[74:75], v[74:75], v[76:77], v[78:79] neg_lo:[0,0,1] neg_hi:[0,0,1]
	s_delay_alu instid0(VALU_DEP_2)
	v_mov_b32_e32 v75, v81
	scratch_store_b64 off, v[74:75], off offset:224
.LBB98_65:
	s_wait_xcnt 0x0
	s_or_b32 exec_lo, exec_lo, s35
	scratch_load_b64 v[74:75], off, off offset:216
	v_cmp_lt_u32_e64 s0, 27, v0
	s_wait_loadcnt 0x0
	ds_store_b64 v1, v[74:75]
	s_wait_storecnt_dscnt 0x0
	s_barrier_signal -1
	s_barrier_wait -1
	s_wait_xcnt 0x0
	s_and_saveexec_b32 s34, s0
	s_cbranch_execz .LBB98_75
; %bb.66:
	s_and_not1_b32 vcc_lo, exec_lo, s5
	s_cbranch_vccnz .LBB98_68
; %bb.67:
	scratch_load_b64 v[74:75], v59, off
	ds_load_b64 v[76:77], v1
	s_wait_loadcnt_dscnt 0x0
	v_pk_mul_f32 v[78:79], v[76:77], v[74:75] op_sel:[1,1] op_sel_hi:[0,1]
	s_delay_alu instid0(VALU_DEP_1) | instskip(SKIP_1) | instid1(VALU_DEP_2)
	v_pk_fma_f32 v[80:81], v[76:77], v[74:75], v[78:79] op_sel_hi:[1,0,1]
	v_pk_fma_f32 v[74:75], v[76:77], v[74:75], v[78:79] neg_lo:[0,0,1] neg_hi:[0,0,1]
	v_mov_b32_e32 v75, v81
	s_cbranch_execz .LBB98_69
	s_branch .LBB98_70
.LBB98_68:
                                        ; implicit-def: $vgpr74_vgpr75
.LBB98_69:
	ds_load_b64 v[74:75], v1
.LBB98_70:
	s_and_saveexec_b32 s35, s1
	s_cbranch_execz .LBB98_74
; %bb.71:
	v_subrev_nc_u32_e32 v76, 28, v0
	s_movk_i32 s36, 0x200
	s_mov_b32 s1, 0
.LBB98_72:                              ; =>This Inner Loop Header: Depth=1
	scratch_load_b64 v[78:79], off, s33
	v_dual_mov_b32 v77, s36 :: v_dual_add_nc_u32 v76, -1, v76
	s_add_co_i32 s36, s36, 8
	s_wait_xcnt 0x0
	s_add_co_i32 s33, s33, 8
	ds_load_b64 v[80:81], v77
	v_cmp_eq_u32_e32 vcc_lo, 0, v76
	s_or_b32 s1, vcc_lo, s1
	s_wait_loadcnt_dscnt 0x0
	v_pk_mul_f32 v[82:83], v[80:81], v[78:79] op_sel:[1,1] op_sel_hi:[0,1]
	s_delay_alu instid0(VALU_DEP_1) | instskip(SKIP_1) | instid1(VALU_DEP_2)
	v_pk_fma_f32 v[84:85], v[80:81], v[78:79], v[82:83] op_sel_hi:[1,0,1]
	v_pk_fma_f32 v[78:79], v[80:81], v[78:79], v[82:83] neg_lo:[0,0,1] neg_hi:[0,0,1]
	v_mov_b32_e32 v79, v85
	s_delay_alu instid0(VALU_DEP_1)
	v_pk_add_f32 v[74:75], v[74:75], v[78:79]
	s_and_not1_b32 exec_lo, exec_lo, s1
	s_cbranch_execnz .LBB98_72
; %bb.73:
	s_or_b32 exec_lo, exec_lo, s1
.LBB98_74:
	s_delay_alu instid0(SALU_CYCLE_1) | instskip(SKIP_4) | instid1(VALU_DEP_1)
	s_or_b32 exec_lo, exec_lo, s35
	v_mov_b32_e32 v76, 0
	ds_load_b64 v[76:77], v76 offset:216
	s_wait_dscnt 0x0
	v_pk_mul_f32 v[78:79], v[74:75], v[76:77] op_sel:[1,1] op_sel_hi:[0,1]
	v_pk_fma_f32 v[80:81], v[74:75], v[76:77], v[78:79] op_sel_hi:[1,0,1]
	v_pk_fma_f32 v[74:75], v[74:75], v[76:77], v[78:79] neg_lo:[0,0,1] neg_hi:[0,0,1]
	s_delay_alu instid0(VALU_DEP_2)
	v_mov_b32_e32 v75, v81
	scratch_store_b64 off, v[74:75], off offset:216
.LBB98_75:
	s_wait_xcnt 0x0
	s_or_b32 exec_lo, exec_lo, s34
	scratch_load_b64 v[74:75], off, off offset:208
	v_cmp_lt_u32_e64 s1, 26, v0
	s_wait_loadcnt 0x0
	ds_store_b64 v1, v[74:75]
	s_wait_storecnt_dscnt 0x0
	s_barrier_signal -1
	s_barrier_wait -1
	s_wait_xcnt 0x0
	s_and_saveexec_b32 s33, s1
	s_cbranch_execz .LBB98_85
; %bb.76:
	s_and_not1_b32 vcc_lo, exec_lo, s5
	s_cbranch_vccnz .LBB98_78
; %bb.77:
	scratch_load_b64 v[74:75], v59, off
	ds_load_b64 v[76:77], v1
	s_wait_loadcnt_dscnt 0x0
	v_pk_mul_f32 v[78:79], v[76:77], v[74:75] op_sel:[1,1] op_sel_hi:[0,1]
	s_delay_alu instid0(VALU_DEP_1) | instskip(SKIP_1) | instid1(VALU_DEP_2)
	v_pk_fma_f32 v[80:81], v[76:77], v[74:75], v[78:79] op_sel_hi:[1,0,1]
	v_pk_fma_f32 v[74:75], v[76:77], v[74:75], v[78:79] neg_lo:[0,0,1] neg_hi:[0,0,1]
	v_mov_b32_e32 v75, v81
	s_cbranch_execz .LBB98_79
	s_branch .LBB98_80
.LBB98_78:
                                        ; implicit-def: $vgpr74_vgpr75
.LBB98_79:
	ds_load_b64 v[74:75], v1
.LBB98_80:
	s_and_saveexec_b32 s34, s0
	s_cbranch_execz .LBB98_84
; %bb.81:
	v_subrev_nc_u32_e32 v76, 27, v0
	s_movk_i32 s35, 0x1f8
	s_mov_b32 s0, 0
.LBB98_82:                              ; =>This Inner Loop Header: Depth=1
	scratch_load_b64 v[78:79], off, s31
	v_dual_mov_b32 v77, s35 :: v_dual_add_nc_u32 v76, -1, v76
	s_add_co_i32 s35, s35, 8
	s_wait_xcnt 0x0
	s_add_co_i32 s31, s31, 8
	ds_load_b64 v[80:81], v77
	v_cmp_eq_u32_e32 vcc_lo, 0, v76
	s_or_b32 s0, vcc_lo, s0
	s_wait_loadcnt_dscnt 0x0
	v_pk_mul_f32 v[82:83], v[80:81], v[78:79] op_sel:[1,1] op_sel_hi:[0,1]
	s_delay_alu instid0(VALU_DEP_1) | instskip(SKIP_1) | instid1(VALU_DEP_2)
	v_pk_fma_f32 v[84:85], v[80:81], v[78:79], v[82:83] op_sel_hi:[1,0,1]
	v_pk_fma_f32 v[78:79], v[80:81], v[78:79], v[82:83] neg_lo:[0,0,1] neg_hi:[0,0,1]
	v_mov_b32_e32 v79, v85
	s_delay_alu instid0(VALU_DEP_1)
	v_pk_add_f32 v[74:75], v[74:75], v[78:79]
	s_and_not1_b32 exec_lo, exec_lo, s0
	s_cbranch_execnz .LBB98_82
; %bb.83:
	s_or_b32 exec_lo, exec_lo, s0
.LBB98_84:
	s_delay_alu instid0(SALU_CYCLE_1) | instskip(SKIP_4) | instid1(VALU_DEP_1)
	s_or_b32 exec_lo, exec_lo, s34
	v_mov_b32_e32 v76, 0
	ds_load_b64 v[76:77], v76 offset:208
	s_wait_dscnt 0x0
	v_pk_mul_f32 v[78:79], v[74:75], v[76:77] op_sel:[1,1] op_sel_hi:[0,1]
	v_pk_fma_f32 v[80:81], v[74:75], v[76:77], v[78:79] op_sel_hi:[1,0,1]
	v_pk_fma_f32 v[74:75], v[74:75], v[76:77], v[78:79] neg_lo:[0,0,1] neg_hi:[0,0,1]
	s_delay_alu instid0(VALU_DEP_2)
	v_mov_b32_e32 v75, v81
	scratch_store_b64 off, v[74:75], off offset:208
.LBB98_85:
	s_wait_xcnt 0x0
	s_or_b32 exec_lo, exec_lo, s33
	scratch_load_b64 v[74:75], off, off offset:200
	v_cmp_lt_u32_e64 s0, 25, v0
	s_wait_loadcnt 0x0
	ds_store_b64 v1, v[74:75]
	s_wait_storecnt_dscnt 0x0
	s_barrier_signal -1
	s_barrier_wait -1
	s_wait_xcnt 0x0
	s_and_saveexec_b32 s31, s0
	s_cbranch_execz .LBB98_95
; %bb.86:
	s_and_not1_b32 vcc_lo, exec_lo, s5
	s_cbranch_vccnz .LBB98_88
; %bb.87:
	scratch_load_b64 v[74:75], v59, off
	ds_load_b64 v[76:77], v1
	s_wait_loadcnt_dscnt 0x0
	v_pk_mul_f32 v[78:79], v[76:77], v[74:75] op_sel:[1,1] op_sel_hi:[0,1]
	s_delay_alu instid0(VALU_DEP_1) | instskip(SKIP_1) | instid1(VALU_DEP_2)
	v_pk_fma_f32 v[80:81], v[76:77], v[74:75], v[78:79] op_sel_hi:[1,0,1]
	v_pk_fma_f32 v[74:75], v[76:77], v[74:75], v[78:79] neg_lo:[0,0,1] neg_hi:[0,0,1]
	v_mov_b32_e32 v75, v81
	s_cbranch_execz .LBB98_89
	s_branch .LBB98_90
.LBB98_88:
                                        ; implicit-def: $vgpr74_vgpr75
.LBB98_89:
	ds_load_b64 v[74:75], v1
.LBB98_90:
	s_and_saveexec_b32 s33, s1
	s_cbranch_execz .LBB98_94
; %bb.91:
	v_subrev_nc_u32_e32 v76, 26, v0
	s_movk_i32 s34, 0x1f0
	s_mov_b32 s1, 0
.LBB98_92:                              ; =>This Inner Loop Header: Depth=1
	scratch_load_b64 v[78:79], off, s30
	v_dual_mov_b32 v77, s34 :: v_dual_add_nc_u32 v76, -1, v76
	s_add_co_i32 s34, s34, 8
	s_wait_xcnt 0x0
	s_add_co_i32 s30, s30, 8
	ds_load_b64 v[80:81], v77
	v_cmp_eq_u32_e32 vcc_lo, 0, v76
	s_or_b32 s1, vcc_lo, s1
	s_wait_loadcnt_dscnt 0x0
	v_pk_mul_f32 v[82:83], v[80:81], v[78:79] op_sel:[1,1] op_sel_hi:[0,1]
	s_delay_alu instid0(VALU_DEP_1) | instskip(SKIP_1) | instid1(VALU_DEP_2)
	v_pk_fma_f32 v[84:85], v[80:81], v[78:79], v[82:83] op_sel_hi:[1,0,1]
	v_pk_fma_f32 v[78:79], v[80:81], v[78:79], v[82:83] neg_lo:[0,0,1] neg_hi:[0,0,1]
	v_mov_b32_e32 v79, v85
	s_delay_alu instid0(VALU_DEP_1)
	v_pk_add_f32 v[74:75], v[74:75], v[78:79]
	s_and_not1_b32 exec_lo, exec_lo, s1
	s_cbranch_execnz .LBB98_92
; %bb.93:
	s_or_b32 exec_lo, exec_lo, s1
.LBB98_94:
	s_delay_alu instid0(SALU_CYCLE_1) | instskip(SKIP_4) | instid1(VALU_DEP_1)
	s_or_b32 exec_lo, exec_lo, s33
	v_mov_b32_e32 v76, 0
	ds_load_b64 v[76:77], v76 offset:200
	s_wait_dscnt 0x0
	v_pk_mul_f32 v[78:79], v[74:75], v[76:77] op_sel:[1,1] op_sel_hi:[0,1]
	v_pk_fma_f32 v[80:81], v[74:75], v[76:77], v[78:79] op_sel_hi:[1,0,1]
	v_pk_fma_f32 v[74:75], v[74:75], v[76:77], v[78:79] neg_lo:[0,0,1] neg_hi:[0,0,1]
	s_delay_alu instid0(VALU_DEP_2)
	v_mov_b32_e32 v75, v81
	scratch_store_b64 off, v[74:75], off offset:200
.LBB98_95:
	s_wait_xcnt 0x0
	s_or_b32 exec_lo, exec_lo, s31
	scratch_load_b64 v[74:75], off, off offset:192
	v_cmp_lt_u32_e64 s1, 24, v0
	s_wait_loadcnt 0x0
	ds_store_b64 v1, v[74:75]
	s_wait_storecnt_dscnt 0x0
	s_barrier_signal -1
	s_barrier_wait -1
	s_wait_xcnt 0x0
	s_and_saveexec_b32 s30, s1
	s_cbranch_execz .LBB98_105
; %bb.96:
	s_and_not1_b32 vcc_lo, exec_lo, s5
	s_cbranch_vccnz .LBB98_98
; %bb.97:
	scratch_load_b64 v[74:75], v59, off
	ds_load_b64 v[76:77], v1
	s_wait_loadcnt_dscnt 0x0
	v_pk_mul_f32 v[78:79], v[76:77], v[74:75] op_sel:[1,1] op_sel_hi:[0,1]
	s_delay_alu instid0(VALU_DEP_1) | instskip(SKIP_1) | instid1(VALU_DEP_2)
	v_pk_fma_f32 v[80:81], v[76:77], v[74:75], v[78:79] op_sel_hi:[1,0,1]
	v_pk_fma_f32 v[74:75], v[76:77], v[74:75], v[78:79] neg_lo:[0,0,1] neg_hi:[0,0,1]
	v_mov_b32_e32 v75, v81
	s_cbranch_execz .LBB98_99
	s_branch .LBB98_100
.LBB98_98:
                                        ; implicit-def: $vgpr74_vgpr75
.LBB98_99:
	ds_load_b64 v[74:75], v1
.LBB98_100:
	s_and_saveexec_b32 s31, s0
	s_cbranch_execz .LBB98_104
; %bb.101:
	v_subrev_nc_u32_e32 v76, 25, v0
	s_movk_i32 s33, 0x1e8
	s_mov_b32 s0, 0
.LBB98_102:                             ; =>This Inner Loop Header: Depth=1
	scratch_load_b64 v[78:79], off, s29
	v_dual_mov_b32 v77, s33 :: v_dual_add_nc_u32 v76, -1, v76
	s_add_co_i32 s33, s33, 8
	s_wait_xcnt 0x0
	s_add_co_i32 s29, s29, 8
	ds_load_b64 v[80:81], v77
	v_cmp_eq_u32_e32 vcc_lo, 0, v76
	s_or_b32 s0, vcc_lo, s0
	s_wait_loadcnt_dscnt 0x0
	v_pk_mul_f32 v[82:83], v[80:81], v[78:79] op_sel:[1,1] op_sel_hi:[0,1]
	s_delay_alu instid0(VALU_DEP_1) | instskip(SKIP_1) | instid1(VALU_DEP_2)
	v_pk_fma_f32 v[84:85], v[80:81], v[78:79], v[82:83] op_sel_hi:[1,0,1]
	v_pk_fma_f32 v[78:79], v[80:81], v[78:79], v[82:83] neg_lo:[0,0,1] neg_hi:[0,0,1]
	v_mov_b32_e32 v79, v85
	s_delay_alu instid0(VALU_DEP_1)
	v_pk_add_f32 v[74:75], v[74:75], v[78:79]
	s_and_not1_b32 exec_lo, exec_lo, s0
	s_cbranch_execnz .LBB98_102
; %bb.103:
	s_or_b32 exec_lo, exec_lo, s0
.LBB98_104:
	s_delay_alu instid0(SALU_CYCLE_1) | instskip(SKIP_4) | instid1(VALU_DEP_1)
	s_or_b32 exec_lo, exec_lo, s31
	v_mov_b32_e32 v76, 0
	ds_load_b64 v[76:77], v76 offset:192
	s_wait_dscnt 0x0
	v_pk_mul_f32 v[78:79], v[74:75], v[76:77] op_sel:[1,1] op_sel_hi:[0,1]
	v_pk_fma_f32 v[80:81], v[74:75], v[76:77], v[78:79] op_sel_hi:[1,0,1]
	v_pk_fma_f32 v[74:75], v[74:75], v[76:77], v[78:79] neg_lo:[0,0,1] neg_hi:[0,0,1]
	s_delay_alu instid0(VALU_DEP_2)
	v_mov_b32_e32 v75, v81
	scratch_store_b64 off, v[74:75], off offset:192
.LBB98_105:
	s_wait_xcnt 0x0
	s_or_b32 exec_lo, exec_lo, s30
	scratch_load_b64 v[74:75], off, off offset:184
	v_cmp_lt_u32_e64 s0, 23, v0
	s_wait_loadcnt 0x0
	ds_store_b64 v1, v[74:75]
	s_wait_storecnt_dscnt 0x0
	s_barrier_signal -1
	s_barrier_wait -1
	s_wait_xcnt 0x0
	s_and_saveexec_b32 s29, s0
	s_cbranch_execz .LBB98_115
; %bb.106:
	s_and_not1_b32 vcc_lo, exec_lo, s5
	s_cbranch_vccnz .LBB98_108
; %bb.107:
	scratch_load_b64 v[74:75], v59, off
	ds_load_b64 v[76:77], v1
	s_wait_loadcnt_dscnt 0x0
	v_pk_mul_f32 v[78:79], v[76:77], v[74:75] op_sel:[1,1] op_sel_hi:[0,1]
	s_delay_alu instid0(VALU_DEP_1) | instskip(SKIP_1) | instid1(VALU_DEP_2)
	v_pk_fma_f32 v[80:81], v[76:77], v[74:75], v[78:79] op_sel_hi:[1,0,1]
	v_pk_fma_f32 v[74:75], v[76:77], v[74:75], v[78:79] neg_lo:[0,0,1] neg_hi:[0,0,1]
	v_mov_b32_e32 v75, v81
	s_cbranch_execz .LBB98_109
	s_branch .LBB98_110
.LBB98_108:
                                        ; implicit-def: $vgpr74_vgpr75
.LBB98_109:
	ds_load_b64 v[74:75], v1
.LBB98_110:
	s_and_saveexec_b32 s30, s1
	s_cbranch_execz .LBB98_114
; %bb.111:
	v_subrev_nc_u32_e32 v76, 24, v0
	s_movk_i32 s31, 0x1e0
	s_mov_b32 s1, 0
.LBB98_112:                             ; =>This Inner Loop Header: Depth=1
	scratch_load_b64 v[78:79], off, s28
	v_dual_mov_b32 v77, s31 :: v_dual_add_nc_u32 v76, -1, v76
	s_add_co_i32 s31, s31, 8
	s_wait_xcnt 0x0
	s_add_co_i32 s28, s28, 8
	ds_load_b64 v[80:81], v77
	v_cmp_eq_u32_e32 vcc_lo, 0, v76
	s_or_b32 s1, vcc_lo, s1
	s_wait_loadcnt_dscnt 0x0
	v_pk_mul_f32 v[82:83], v[80:81], v[78:79] op_sel:[1,1] op_sel_hi:[0,1]
	s_delay_alu instid0(VALU_DEP_1) | instskip(SKIP_1) | instid1(VALU_DEP_2)
	v_pk_fma_f32 v[84:85], v[80:81], v[78:79], v[82:83] op_sel_hi:[1,0,1]
	v_pk_fma_f32 v[78:79], v[80:81], v[78:79], v[82:83] neg_lo:[0,0,1] neg_hi:[0,0,1]
	v_mov_b32_e32 v79, v85
	s_delay_alu instid0(VALU_DEP_1)
	v_pk_add_f32 v[74:75], v[74:75], v[78:79]
	s_and_not1_b32 exec_lo, exec_lo, s1
	s_cbranch_execnz .LBB98_112
; %bb.113:
	s_or_b32 exec_lo, exec_lo, s1
.LBB98_114:
	s_delay_alu instid0(SALU_CYCLE_1) | instskip(SKIP_4) | instid1(VALU_DEP_1)
	s_or_b32 exec_lo, exec_lo, s30
	v_mov_b32_e32 v76, 0
	ds_load_b64 v[76:77], v76 offset:184
	s_wait_dscnt 0x0
	v_pk_mul_f32 v[78:79], v[74:75], v[76:77] op_sel:[1,1] op_sel_hi:[0,1]
	v_pk_fma_f32 v[80:81], v[74:75], v[76:77], v[78:79] op_sel_hi:[1,0,1]
	v_pk_fma_f32 v[74:75], v[74:75], v[76:77], v[78:79] neg_lo:[0,0,1] neg_hi:[0,0,1]
	s_delay_alu instid0(VALU_DEP_2)
	v_mov_b32_e32 v75, v81
	scratch_store_b64 off, v[74:75], off offset:184
.LBB98_115:
	s_wait_xcnt 0x0
	s_or_b32 exec_lo, exec_lo, s29
	scratch_load_b64 v[74:75], off, off offset:176
	v_cmp_lt_u32_e64 s1, 22, v0
	s_wait_loadcnt 0x0
	ds_store_b64 v1, v[74:75]
	s_wait_storecnt_dscnt 0x0
	s_barrier_signal -1
	s_barrier_wait -1
	s_wait_xcnt 0x0
	s_and_saveexec_b32 s28, s1
	s_cbranch_execz .LBB98_125
; %bb.116:
	s_and_not1_b32 vcc_lo, exec_lo, s5
	s_cbranch_vccnz .LBB98_118
; %bb.117:
	scratch_load_b64 v[74:75], v59, off
	ds_load_b64 v[76:77], v1
	s_wait_loadcnt_dscnt 0x0
	v_pk_mul_f32 v[78:79], v[76:77], v[74:75] op_sel:[1,1] op_sel_hi:[0,1]
	s_delay_alu instid0(VALU_DEP_1) | instskip(SKIP_1) | instid1(VALU_DEP_2)
	v_pk_fma_f32 v[80:81], v[76:77], v[74:75], v[78:79] op_sel_hi:[1,0,1]
	v_pk_fma_f32 v[74:75], v[76:77], v[74:75], v[78:79] neg_lo:[0,0,1] neg_hi:[0,0,1]
	v_mov_b32_e32 v75, v81
	s_cbranch_execz .LBB98_119
	s_branch .LBB98_120
.LBB98_118:
                                        ; implicit-def: $vgpr74_vgpr75
.LBB98_119:
	ds_load_b64 v[74:75], v1
.LBB98_120:
	s_and_saveexec_b32 s29, s0
	s_cbranch_execz .LBB98_124
; %bb.121:
	v_subrev_nc_u32_e32 v76, 23, v0
	s_movk_i32 s30, 0x1d8
	s_mov_b32 s0, 0
.LBB98_122:                             ; =>This Inner Loop Header: Depth=1
	scratch_load_b64 v[78:79], off, s27
	v_dual_mov_b32 v77, s30 :: v_dual_add_nc_u32 v76, -1, v76
	s_add_co_i32 s30, s30, 8
	s_wait_xcnt 0x0
	s_add_co_i32 s27, s27, 8
	ds_load_b64 v[80:81], v77
	v_cmp_eq_u32_e32 vcc_lo, 0, v76
	s_or_b32 s0, vcc_lo, s0
	s_wait_loadcnt_dscnt 0x0
	v_pk_mul_f32 v[82:83], v[80:81], v[78:79] op_sel:[1,1] op_sel_hi:[0,1]
	s_delay_alu instid0(VALU_DEP_1) | instskip(SKIP_1) | instid1(VALU_DEP_2)
	v_pk_fma_f32 v[84:85], v[80:81], v[78:79], v[82:83] op_sel_hi:[1,0,1]
	v_pk_fma_f32 v[78:79], v[80:81], v[78:79], v[82:83] neg_lo:[0,0,1] neg_hi:[0,0,1]
	v_mov_b32_e32 v79, v85
	s_delay_alu instid0(VALU_DEP_1)
	v_pk_add_f32 v[74:75], v[74:75], v[78:79]
	s_and_not1_b32 exec_lo, exec_lo, s0
	s_cbranch_execnz .LBB98_122
; %bb.123:
	s_or_b32 exec_lo, exec_lo, s0
.LBB98_124:
	s_delay_alu instid0(SALU_CYCLE_1) | instskip(SKIP_4) | instid1(VALU_DEP_1)
	s_or_b32 exec_lo, exec_lo, s29
	v_mov_b32_e32 v76, 0
	ds_load_b64 v[76:77], v76 offset:176
	s_wait_dscnt 0x0
	v_pk_mul_f32 v[78:79], v[74:75], v[76:77] op_sel:[1,1] op_sel_hi:[0,1]
	v_pk_fma_f32 v[80:81], v[74:75], v[76:77], v[78:79] op_sel_hi:[1,0,1]
	v_pk_fma_f32 v[74:75], v[74:75], v[76:77], v[78:79] neg_lo:[0,0,1] neg_hi:[0,0,1]
	s_delay_alu instid0(VALU_DEP_2)
	v_mov_b32_e32 v75, v81
	scratch_store_b64 off, v[74:75], off offset:176
.LBB98_125:
	s_wait_xcnt 0x0
	s_or_b32 exec_lo, exec_lo, s28
	scratch_load_b64 v[74:75], off, off offset:168
	v_cmp_lt_u32_e64 s0, 21, v0
	s_wait_loadcnt 0x0
	ds_store_b64 v1, v[74:75]
	s_wait_storecnt_dscnt 0x0
	s_barrier_signal -1
	s_barrier_wait -1
	s_wait_xcnt 0x0
	s_and_saveexec_b32 s27, s0
	s_cbranch_execz .LBB98_135
; %bb.126:
	s_and_not1_b32 vcc_lo, exec_lo, s5
	s_cbranch_vccnz .LBB98_128
; %bb.127:
	scratch_load_b64 v[74:75], v59, off
	ds_load_b64 v[76:77], v1
	s_wait_loadcnt_dscnt 0x0
	v_pk_mul_f32 v[78:79], v[76:77], v[74:75] op_sel:[1,1] op_sel_hi:[0,1]
	s_delay_alu instid0(VALU_DEP_1) | instskip(SKIP_1) | instid1(VALU_DEP_2)
	v_pk_fma_f32 v[80:81], v[76:77], v[74:75], v[78:79] op_sel_hi:[1,0,1]
	v_pk_fma_f32 v[74:75], v[76:77], v[74:75], v[78:79] neg_lo:[0,0,1] neg_hi:[0,0,1]
	v_mov_b32_e32 v75, v81
	s_cbranch_execz .LBB98_129
	s_branch .LBB98_130
.LBB98_128:
                                        ; implicit-def: $vgpr74_vgpr75
.LBB98_129:
	ds_load_b64 v[74:75], v1
.LBB98_130:
	s_and_saveexec_b32 s28, s1
	s_cbranch_execz .LBB98_134
; %bb.131:
	v_subrev_nc_u32_e32 v76, 22, v0
	s_movk_i32 s29, 0x1d0
	s_mov_b32 s1, 0
.LBB98_132:                             ; =>This Inner Loop Header: Depth=1
	scratch_load_b64 v[78:79], off, s26
	v_dual_mov_b32 v77, s29 :: v_dual_add_nc_u32 v76, -1, v76
	s_add_co_i32 s29, s29, 8
	s_wait_xcnt 0x0
	s_add_co_i32 s26, s26, 8
	ds_load_b64 v[80:81], v77
	v_cmp_eq_u32_e32 vcc_lo, 0, v76
	s_or_b32 s1, vcc_lo, s1
	s_wait_loadcnt_dscnt 0x0
	v_pk_mul_f32 v[82:83], v[80:81], v[78:79] op_sel:[1,1] op_sel_hi:[0,1]
	s_delay_alu instid0(VALU_DEP_1) | instskip(SKIP_1) | instid1(VALU_DEP_2)
	v_pk_fma_f32 v[84:85], v[80:81], v[78:79], v[82:83] op_sel_hi:[1,0,1]
	v_pk_fma_f32 v[78:79], v[80:81], v[78:79], v[82:83] neg_lo:[0,0,1] neg_hi:[0,0,1]
	v_mov_b32_e32 v79, v85
	s_delay_alu instid0(VALU_DEP_1)
	v_pk_add_f32 v[74:75], v[74:75], v[78:79]
	s_and_not1_b32 exec_lo, exec_lo, s1
	s_cbranch_execnz .LBB98_132
; %bb.133:
	s_or_b32 exec_lo, exec_lo, s1
.LBB98_134:
	s_delay_alu instid0(SALU_CYCLE_1) | instskip(SKIP_4) | instid1(VALU_DEP_1)
	s_or_b32 exec_lo, exec_lo, s28
	v_mov_b32_e32 v76, 0
	ds_load_b64 v[76:77], v76 offset:168
	s_wait_dscnt 0x0
	v_pk_mul_f32 v[78:79], v[74:75], v[76:77] op_sel:[1,1] op_sel_hi:[0,1]
	v_pk_fma_f32 v[80:81], v[74:75], v[76:77], v[78:79] op_sel_hi:[1,0,1]
	v_pk_fma_f32 v[74:75], v[74:75], v[76:77], v[78:79] neg_lo:[0,0,1] neg_hi:[0,0,1]
	s_delay_alu instid0(VALU_DEP_2)
	v_mov_b32_e32 v75, v81
	scratch_store_b64 off, v[74:75], off offset:168
.LBB98_135:
	s_wait_xcnt 0x0
	s_or_b32 exec_lo, exec_lo, s27
	scratch_load_b64 v[74:75], off, off offset:160
	v_cmp_lt_u32_e64 s1, 20, v0
	s_wait_loadcnt 0x0
	ds_store_b64 v1, v[74:75]
	s_wait_storecnt_dscnt 0x0
	s_barrier_signal -1
	s_barrier_wait -1
	s_wait_xcnt 0x0
	s_and_saveexec_b32 s26, s1
	s_cbranch_execz .LBB98_145
; %bb.136:
	s_and_not1_b32 vcc_lo, exec_lo, s5
	s_cbranch_vccnz .LBB98_138
; %bb.137:
	scratch_load_b64 v[74:75], v59, off
	ds_load_b64 v[76:77], v1
	s_wait_loadcnt_dscnt 0x0
	v_pk_mul_f32 v[78:79], v[76:77], v[74:75] op_sel:[1,1] op_sel_hi:[0,1]
	s_delay_alu instid0(VALU_DEP_1) | instskip(SKIP_1) | instid1(VALU_DEP_2)
	v_pk_fma_f32 v[80:81], v[76:77], v[74:75], v[78:79] op_sel_hi:[1,0,1]
	v_pk_fma_f32 v[74:75], v[76:77], v[74:75], v[78:79] neg_lo:[0,0,1] neg_hi:[0,0,1]
	v_mov_b32_e32 v75, v81
	s_cbranch_execz .LBB98_139
	s_branch .LBB98_140
.LBB98_138:
                                        ; implicit-def: $vgpr74_vgpr75
.LBB98_139:
	ds_load_b64 v[74:75], v1
.LBB98_140:
	s_and_saveexec_b32 s27, s0
	s_cbranch_execz .LBB98_144
; %bb.141:
	v_subrev_nc_u32_e32 v76, 21, v0
	s_movk_i32 s28, 0x1c8
	s_mov_b32 s0, 0
.LBB98_142:                             ; =>This Inner Loop Header: Depth=1
	scratch_load_b64 v[78:79], off, s25
	v_dual_mov_b32 v77, s28 :: v_dual_add_nc_u32 v76, -1, v76
	s_add_co_i32 s28, s28, 8
	s_wait_xcnt 0x0
	s_add_co_i32 s25, s25, 8
	ds_load_b64 v[80:81], v77
	v_cmp_eq_u32_e32 vcc_lo, 0, v76
	s_or_b32 s0, vcc_lo, s0
	s_wait_loadcnt_dscnt 0x0
	v_pk_mul_f32 v[82:83], v[80:81], v[78:79] op_sel:[1,1] op_sel_hi:[0,1]
	s_delay_alu instid0(VALU_DEP_1) | instskip(SKIP_1) | instid1(VALU_DEP_2)
	v_pk_fma_f32 v[84:85], v[80:81], v[78:79], v[82:83] op_sel_hi:[1,0,1]
	v_pk_fma_f32 v[78:79], v[80:81], v[78:79], v[82:83] neg_lo:[0,0,1] neg_hi:[0,0,1]
	v_mov_b32_e32 v79, v85
	s_delay_alu instid0(VALU_DEP_1)
	v_pk_add_f32 v[74:75], v[74:75], v[78:79]
	s_and_not1_b32 exec_lo, exec_lo, s0
	s_cbranch_execnz .LBB98_142
; %bb.143:
	s_or_b32 exec_lo, exec_lo, s0
.LBB98_144:
	s_delay_alu instid0(SALU_CYCLE_1) | instskip(SKIP_4) | instid1(VALU_DEP_1)
	s_or_b32 exec_lo, exec_lo, s27
	v_mov_b32_e32 v76, 0
	ds_load_b64 v[76:77], v76 offset:160
	s_wait_dscnt 0x0
	v_pk_mul_f32 v[78:79], v[74:75], v[76:77] op_sel:[1,1] op_sel_hi:[0,1]
	v_pk_fma_f32 v[80:81], v[74:75], v[76:77], v[78:79] op_sel_hi:[1,0,1]
	v_pk_fma_f32 v[74:75], v[74:75], v[76:77], v[78:79] neg_lo:[0,0,1] neg_hi:[0,0,1]
	s_delay_alu instid0(VALU_DEP_2)
	v_mov_b32_e32 v75, v81
	scratch_store_b64 off, v[74:75], off offset:160
.LBB98_145:
	s_wait_xcnt 0x0
	s_or_b32 exec_lo, exec_lo, s26
	scratch_load_b64 v[74:75], off, off offset:152
	v_cmp_lt_u32_e64 s0, 19, v0
	s_wait_loadcnt 0x0
	ds_store_b64 v1, v[74:75]
	s_wait_storecnt_dscnt 0x0
	s_barrier_signal -1
	s_barrier_wait -1
	s_wait_xcnt 0x0
	s_and_saveexec_b32 s25, s0
	s_cbranch_execz .LBB98_155
; %bb.146:
	s_and_not1_b32 vcc_lo, exec_lo, s5
	s_cbranch_vccnz .LBB98_148
; %bb.147:
	scratch_load_b64 v[74:75], v59, off
	ds_load_b64 v[76:77], v1
	s_wait_loadcnt_dscnt 0x0
	v_pk_mul_f32 v[78:79], v[76:77], v[74:75] op_sel:[1,1] op_sel_hi:[0,1]
	s_delay_alu instid0(VALU_DEP_1) | instskip(SKIP_1) | instid1(VALU_DEP_2)
	v_pk_fma_f32 v[80:81], v[76:77], v[74:75], v[78:79] op_sel_hi:[1,0,1]
	v_pk_fma_f32 v[74:75], v[76:77], v[74:75], v[78:79] neg_lo:[0,0,1] neg_hi:[0,0,1]
	v_mov_b32_e32 v75, v81
	s_cbranch_execz .LBB98_149
	s_branch .LBB98_150
.LBB98_148:
                                        ; implicit-def: $vgpr74_vgpr75
.LBB98_149:
	ds_load_b64 v[74:75], v1
.LBB98_150:
	s_and_saveexec_b32 s26, s1
	s_cbranch_execz .LBB98_154
; %bb.151:
	v_subrev_nc_u32_e32 v76, 20, v0
	s_movk_i32 s27, 0x1c0
	s_mov_b32 s1, 0
.LBB98_152:                             ; =>This Inner Loop Header: Depth=1
	scratch_load_b64 v[78:79], off, s24
	v_dual_mov_b32 v77, s27 :: v_dual_add_nc_u32 v76, -1, v76
	s_add_co_i32 s27, s27, 8
	s_wait_xcnt 0x0
	s_add_co_i32 s24, s24, 8
	ds_load_b64 v[80:81], v77
	v_cmp_eq_u32_e32 vcc_lo, 0, v76
	s_or_b32 s1, vcc_lo, s1
	s_wait_loadcnt_dscnt 0x0
	v_pk_mul_f32 v[82:83], v[80:81], v[78:79] op_sel:[1,1] op_sel_hi:[0,1]
	s_delay_alu instid0(VALU_DEP_1) | instskip(SKIP_1) | instid1(VALU_DEP_2)
	v_pk_fma_f32 v[84:85], v[80:81], v[78:79], v[82:83] op_sel_hi:[1,0,1]
	v_pk_fma_f32 v[78:79], v[80:81], v[78:79], v[82:83] neg_lo:[0,0,1] neg_hi:[0,0,1]
	v_mov_b32_e32 v79, v85
	s_delay_alu instid0(VALU_DEP_1)
	v_pk_add_f32 v[74:75], v[74:75], v[78:79]
	s_and_not1_b32 exec_lo, exec_lo, s1
	s_cbranch_execnz .LBB98_152
; %bb.153:
	s_or_b32 exec_lo, exec_lo, s1
.LBB98_154:
	s_delay_alu instid0(SALU_CYCLE_1) | instskip(SKIP_4) | instid1(VALU_DEP_1)
	s_or_b32 exec_lo, exec_lo, s26
	v_mov_b32_e32 v76, 0
	ds_load_b64 v[76:77], v76 offset:152
	s_wait_dscnt 0x0
	v_pk_mul_f32 v[78:79], v[74:75], v[76:77] op_sel:[1,1] op_sel_hi:[0,1]
	v_pk_fma_f32 v[80:81], v[74:75], v[76:77], v[78:79] op_sel_hi:[1,0,1]
	v_pk_fma_f32 v[74:75], v[74:75], v[76:77], v[78:79] neg_lo:[0,0,1] neg_hi:[0,0,1]
	s_delay_alu instid0(VALU_DEP_2)
	v_mov_b32_e32 v75, v81
	scratch_store_b64 off, v[74:75], off offset:152
.LBB98_155:
	s_wait_xcnt 0x0
	s_or_b32 exec_lo, exec_lo, s25
	scratch_load_b64 v[74:75], off, off offset:144
	v_cmp_lt_u32_e64 s1, 18, v0
	s_wait_loadcnt 0x0
	ds_store_b64 v1, v[74:75]
	s_wait_storecnt_dscnt 0x0
	s_barrier_signal -1
	s_barrier_wait -1
	s_wait_xcnt 0x0
	s_and_saveexec_b32 s24, s1
	s_cbranch_execz .LBB98_165
; %bb.156:
	s_and_not1_b32 vcc_lo, exec_lo, s5
	s_cbranch_vccnz .LBB98_158
; %bb.157:
	scratch_load_b64 v[74:75], v59, off
	ds_load_b64 v[76:77], v1
	s_wait_loadcnt_dscnt 0x0
	v_pk_mul_f32 v[78:79], v[76:77], v[74:75] op_sel:[1,1] op_sel_hi:[0,1]
	s_delay_alu instid0(VALU_DEP_1) | instskip(SKIP_1) | instid1(VALU_DEP_2)
	v_pk_fma_f32 v[80:81], v[76:77], v[74:75], v[78:79] op_sel_hi:[1,0,1]
	v_pk_fma_f32 v[74:75], v[76:77], v[74:75], v[78:79] neg_lo:[0,0,1] neg_hi:[0,0,1]
	v_mov_b32_e32 v75, v81
	s_cbranch_execz .LBB98_159
	s_branch .LBB98_160
.LBB98_158:
                                        ; implicit-def: $vgpr74_vgpr75
.LBB98_159:
	ds_load_b64 v[74:75], v1
.LBB98_160:
	s_and_saveexec_b32 s25, s0
	s_cbranch_execz .LBB98_164
; %bb.161:
	v_subrev_nc_u32_e32 v76, 19, v0
	s_movk_i32 s26, 0x1b8
	s_mov_b32 s0, 0
.LBB98_162:                             ; =>This Inner Loop Header: Depth=1
	scratch_load_b64 v[78:79], off, s23
	v_dual_mov_b32 v77, s26 :: v_dual_add_nc_u32 v76, -1, v76
	s_add_co_i32 s26, s26, 8
	s_wait_xcnt 0x0
	s_add_co_i32 s23, s23, 8
	ds_load_b64 v[80:81], v77
	v_cmp_eq_u32_e32 vcc_lo, 0, v76
	s_or_b32 s0, vcc_lo, s0
	s_wait_loadcnt_dscnt 0x0
	v_pk_mul_f32 v[82:83], v[80:81], v[78:79] op_sel:[1,1] op_sel_hi:[0,1]
	s_delay_alu instid0(VALU_DEP_1) | instskip(SKIP_1) | instid1(VALU_DEP_2)
	v_pk_fma_f32 v[84:85], v[80:81], v[78:79], v[82:83] op_sel_hi:[1,0,1]
	v_pk_fma_f32 v[78:79], v[80:81], v[78:79], v[82:83] neg_lo:[0,0,1] neg_hi:[0,0,1]
	v_mov_b32_e32 v79, v85
	s_delay_alu instid0(VALU_DEP_1)
	v_pk_add_f32 v[74:75], v[74:75], v[78:79]
	s_and_not1_b32 exec_lo, exec_lo, s0
	s_cbranch_execnz .LBB98_162
; %bb.163:
	s_or_b32 exec_lo, exec_lo, s0
.LBB98_164:
	s_delay_alu instid0(SALU_CYCLE_1) | instskip(SKIP_4) | instid1(VALU_DEP_1)
	s_or_b32 exec_lo, exec_lo, s25
	v_mov_b32_e32 v76, 0
	ds_load_b64 v[76:77], v76 offset:144
	s_wait_dscnt 0x0
	v_pk_mul_f32 v[78:79], v[74:75], v[76:77] op_sel:[1,1] op_sel_hi:[0,1]
	v_pk_fma_f32 v[80:81], v[74:75], v[76:77], v[78:79] op_sel_hi:[1,0,1]
	v_pk_fma_f32 v[74:75], v[74:75], v[76:77], v[78:79] neg_lo:[0,0,1] neg_hi:[0,0,1]
	s_delay_alu instid0(VALU_DEP_2)
	v_mov_b32_e32 v75, v81
	scratch_store_b64 off, v[74:75], off offset:144
.LBB98_165:
	s_wait_xcnt 0x0
	s_or_b32 exec_lo, exec_lo, s24
	scratch_load_b64 v[74:75], off, off offset:136
	v_cmp_lt_u32_e64 s0, 17, v0
	s_wait_loadcnt 0x0
	ds_store_b64 v1, v[74:75]
	s_wait_storecnt_dscnt 0x0
	s_barrier_signal -1
	s_barrier_wait -1
	s_wait_xcnt 0x0
	s_and_saveexec_b32 s23, s0
	s_cbranch_execz .LBB98_175
; %bb.166:
	s_and_not1_b32 vcc_lo, exec_lo, s5
	s_cbranch_vccnz .LBB98_168
; %bb.167:
	scratch_load_b64 v[74:75], v59, off
	ds_load_b64 v[76:77], v1
	s_wait_loadcnt_dscnt 0x0
	v_pk_mul_f32 v[78:79], v[76:77], v[74:75] op_sel:[1,1] op_sel_hi:[0,1]
	s_delay_alu instid0(VALU_DEP_1) | instskip(SKIP_1) | instid1(VALU_DEP_2)
	v_pk_fma_f32 v[80:81], v[76:77], v[74:75], v[78:79] op_sel_hi:[1,0,1]
	v_pk_fma_f32 v[74:75], v[76:77], v[74:75], v[78:79] neg_lo:[0,0,1] neg_hi:[0,0,1]
	v_mov_b32_e32 v75, v81
	s_cbranch_execz .LBB98_169
	s_branch .LBB98_170
.LBB98_168:
                                        ; implicit-def: $vgpr74_vgpr75
.LBB98_169:
	ds_load_b64 v[74:75], v1
.LBB98_170:
	s_and_saveexec_b32 s24, s1
	s_cbranch_execz .LBB98_174
; %bb.171:
	v_subrev_nc_u32_e32 v76, 18, v0
	s_movk_i32 s25, 0x1b0
	s_mov_b32 s1, 0
.LBB98_172:                             ; =>This Inner Loop Header: Depth=1
	scratch_load_b64 v[78:79], off, s22
	v_dual_mov_b32 v77, s25 :: v_dual_add_nc_u32 v76, -1, v76
	s_add_co_i32 s25, s25, 8
	s_wait_xcnt 0x0
	s_add_co_i32 s22, s22, 8
	ds_load_b64 v[80:81], v77
	v_cmp_eq_u32_e32 vcc_lo, 0, v76
	s_or_b32 s1, vcc_lo, s1
	s_wait_loadcnt_dscnt 0x0
	v_pk_mul_f32 v[82:83], v[80:81], v[78:79] op_sel:[1,1] op_sel_hi:[0,1]
	s_delay_alu instid0(VALU_DEP_1) | instskip(SKIP_1) | instid1(VALU_DEP_2)
	v_pk_fma_f32 v[84:85], v[80:81], v[78:79], v[82:83] op_sel_hi:[1,0,1]
	v_pk_fma_f32 v[78:79], v[80:81], v[78:79], v[82:83] neg_lo:[0,0,1] neg_hi:[0,0,1]
	v_mov_b32_e32 v79, v85
	s_delay_alu instid0(VALU_DEP_1)
	v_pk_add_f32 v[74:75], v[74:75], v[78:79]
	s_and_not1_b32 exec_lo, exec_lo, s1
	s_cbranch_execnz .LBB98_172
; %bb.173:
	s_or_b32 exec_lo, exec_lo, s1
.LBB98_174:
	s_delay_alu instid0(SALU_CYCLE_1) | instskip(SKIP_4) | instid1(VALU_DEP_1)
	s_or_b32 exec_lo, exec_lo, s24
	v_mov_b32_e32 v76, 0
	ds_load_b64 v[76:77], v76 offset:136
	s_wait_dscnt 0x0
	v_pk_mul_f32 v[78:79], v[74:75], v[76:77] op_sel:[1,1] op_sel_hi:[0,1]
	v_pk_fma_f32 v[80:81], v[74:75], v[76:77], v[78:79] op_sel_hi:[1,0,1]
	v_pk_fma_f32 v[74:75], v[74:75], v[76:77], v[78:79] neg_lo:[0,0,1] neg_hi:[0,0,1]
	s_delay_alu instid0(VALU_DEP_2)
	v_mov_b32_e32 v75, v81
	scratch_store_b64 off, v[74:75], off offset:136
.LBB98_175:
	s_wait_xcnt 0x0
	s_or_b32 exec_lo, exec_lo, s23
	scratch_load_b64 v[74:75], off, off offset:128
	v_cmp_lt_u32_e64 s1, 16, v0
	s_wait_loadcnt 0x0
	ds_store_b64 v1, v[74:75]
	s_wait_storecnt_dscnt 0x0
	s_barrier_signal -1
	s_barrier_wait -1
	s_wait_xcnt 0x0
	s_and_saveexec_b32 s22, s1
	s_cbranch_execz .LBB98_185
; %bb.176:
	s_and_not1_b32 vcc_lo, exec_lo, s5
	s_cbranch_vccnz .LBB98_178
; %bb.177:
	scratch_load_b64 v[74:75], v59, off
	ds_load_b64 v[76:77], v1
	s_wait_loadcnt_dscnt 0x0
	v_pk_mul_f32 v[78:79], v[76:77], v[74:75] op_sel:[1,1] op_sel_hi:[0,1]
	s_delay_alu instid0(VALU_DEP_1) | instskip(SKIP_1) | instid1(VALU_DEP_2)
	v_pk_fma_f32 v[80:81], v[76:77], v[74:75], v[78:79] op_sel_hi:[1,0,1]
	v_pk_fma_f32 v[74:75], v[76:77], v[74:75], v[78:79] neg_lo:[0,0,1] neg_hi:[0,0,1]
	v_mov_b32_e32 v75, v81
	s_cbranch_execz .LBB98_179
	s_branch .LBB98_180
.LBB98_178:
                                        ; implicit-def: $vgpr74_vgpr75
.LBB98_179:
	ds_load_b64 v[74:75], v1
.LBB98_180:
	s_and_saveexec_b32 s23, s0
	s_cbranch_execz .LBB98_184
; %bb.181:
	v_subrev_nc_u32_e32 v76, 17, v0
	s_movk_i32 s24, 0x1a8
	s_mov_b32 s0, 0
.LBB98_182:                             ; =>This Inner Loop Header: Depth=1
	scratch_load_b64 v[78:79], off, s21
	v_dual_mov_b32 v77, s24 :: v_dual_add_nc_u32 v76, -1, v76
	s_add_co_i32 s24, s24, 8
	s_wait_xcnt 0x0
	s_add_co_i32 s21, s21, 8
	ds_load_b64 v[80:81], v77
	v_cmp_eq_u32_e32 vcc_lo, 0, v76
	s_or_b32 s0, vcc_lo, s0
	s_wait_loadcnt_dscnt 0x0
	v_pk_mul_f32 v[82:83], v[80:81], v[78:79] op_sel:[1,1] op_sel_hi:[0,1]
	s_delay_alu instid0(VALU_DEP_1) | instskip(SKIP_1) | instid1(VALU_DEP_2)
	v_pk_fma_f32 v[84:85], v[80:81], v[78:79], v[82:83] op_sel_hi:[1,0,1]
	v_pk_fma_f32 v[78:79], v[80:81], v[78:79], v[82:83] neg_lo:[0,0,1] neg_hi:[0,0,1]
	v_mov_b32_e32 v79, v85
	s_delay_alu instid0(VALU_DEP_1)
	v_pk_add_f32 v[74:75], v[74:75], v[78:79]
	s_and_not1_b32 exec_lo, exec_lo, s0
	s_cbranch_execnz .LBB98_182
; %bb.183:
	s_or_b32 exec_lo, exec_lo, s0
.LBB98_184:
	s_delay_alu instid0(SALU_CYCLE_1) | instskip(SKIP_4) | instid1(VALU_DEP_1)
	s_or_b32 exec_lo, exec_lo, s23
	v_mov_b32_e32 v76, 0
	ds_load_b64 v[76:77], v76 offset:128
	s_wait_dscnt 0x0
	v_pk_mul_f32 v[78:79], v[74:75], v[76:77] op_sel:[1,1] op_sel_hi:[0,1]
	v_pk_fma_f32 v[80:81], v[74:75], v[76:77], v[78:79] op_sel_hi:[1,0,1]
	v_pk_fma_f32 v[74:75], v[74:75], v[76:77], v[78:79] neg_lo:[0,0,1] neg_hi:[0,0,1]
	s_delay_alu instid0(VALU_DEP_2)
	v_mov_b32_e32 v75, v81
	scratch_store_b64 off, v[74:75], off offset:128
.LBB98_185:
	s_wait_xcnt 0x0
	s_or_b32 exec_lo, exec_lo, s22
	scratch_load_b64 v[74:75], off, off offset:120
	v_cmp_lt_u32_e64 s0, 15, v0
	s_wait_loadcnt 0x0
	ds_store_b64 v1, v[74:75]
	s_wait_storecnt_dscnt 0x0
	s_barrier_signal -1
	s_barrier_wait -1
	s_wait_xcnt 0x0
	s_and_saveexec_b32 s21, s0
	s_cbranch_execz .LBB98_195
; %bb.186:
	s_and_not1_b32 vcc_lo, exec_lo, s5
	s_cbranch_vccnz .LBB98_188
; %bb.187:
	scratch_load_b64 v[74:75], v59, off
	ds_load_b64 v[76:77], v1
	s_wait_loadcnt_dscnt 0x0
	v_pk_mul_f32 v[78:79], v[76:77], v[74:75] op_sel:[1,1] op_sel_hi:[0,1]
	s_delay_alu instid0(VALU_DEP_1) | instskip(SKIP_1) | instid1(VALU_DEP_2)
	v_pk_fma_f32 v[80:81], v[76:77], v[74:75], v[78:79] op_sel_hi:[1,0,1]
	v_pk_fma_f32 v[74:75], v[76:77], v[74:75], v[78:79] neg_lo:[0,0,1] neg_hi:[0,0,1]
	v_mov_b32_e32 v75, v81
	s_cbranch_execz .LBB98_189
	s_branch .LBB98_190
.LBB98_188:
                                        ; implicit-def: $vgpr74_vgpr75
.LBB98_189:
	ds_load_b64 v[74:75], v1
.LBB98_190:
	s_and_saveexec_b32 s22, s1
	s_cbranch_execz .LBB98_194
; %bb.191:
	v_add_nc_u32_e32 v76, -16, v0
	s_movk_i32 s23, 0x1a0
	s_mov_b32 s1, 0
.LBB98_192:                             ; =>This Inner Loop Header: Depth=1
	scratch_load_b64 v[78:79], off, s20
	v_dual_mov_b32 v77, s23 :: v_dual_add_nc_u32 v76, -1, v76
	s_add_co_i32 s23, s23, 8
	s_wait_xcnt 0x0
	s_add_co_i32 s20, s20, 8
	ds_load_b64 v[80:81], v77
	v_cmp_eq_u32_e32 vcc_lo, 0, v76
	s_or_b32 s1, vcc_lo, s1
	s_wait_loadcnt_dscnt 0x0
	v_pk_mul_f32 v[82:83], v[80:81], v[78:79] op_sel:[1,1] op_sel_hi:[0,1]
	s_delay_alu instid0(VALU_DEP_1) | instskip(SKIP_1) | instid1(VALU_DEP_2)
	v_pk_fma_f32 v[84:85], v[80:81], v[78:79], v[82:83] op_sel_hi:[1,0,1]
	v_pk_fma_f32 v[78:79], v[80:81], v[78:79], v[82:83] neg_lo:[0,0,1] neg_hi:[0,0,1]
	v_mov_b32_e32 v79, v85
	s_delay_alu instid0(VALU_DEP_1)
	v_pk_add_f32 v[74:75], v[74:75], v[78:79]
	s_and_not1_b32 exec_lo, exec_lo, s1
	s_cbranch_execnz .LBB98_192
; %bb.193:
	s_or_b32 exec_lo, exec_lo, s1
.LBB98_194:
	s_delay_alu instid0(SALU_CYCLE_1) | instskip(SKIP_4) | instid1(VALU_DEP_1)
	s_or_b32 exec_lo, exec_lo, s22
	v_mov_b32_e32 v76, 0
	ds_load_b64 v[76:77], v76 offset:120
	s_wait_dscnt 0x0
	v_pk_mul_f32 v[78:79], v[74:75], v[76:77] op_sel:[1,1] op_sel_hi:[0,1]
	v_pk_fma_f32 v[80:81], v[74:75], v[76:77], v[78:79] op_sel_hi:[1,0,1]
	v_pk_fma_f32 v[74:75], v[74:75], v[76:77], v[78:79] neg_lo:[0,0,1] neg_hi:[0,0,1]
	s_delay_alu instid0(VALU_DEP_2)
	v_mov_b32_e32 v75, v81
	scratch_store_b64 off, v[74:75], off offset:120
.LBB98_195:
	s_wait_xcnt 0x0
	s_or_b32 exec_lo, exec_lo, s21
	scratch_load_b64 v[74:75], off, off offset:112
	v_cmp_lt_u32_e64 s1, 14, v0
	s_wait_loadcnt 0x0
	ds_store_b64 v1, v[74:75]
	s_wait_storecnt_dscnt 0x0
	s_barrier_signal -1
	s_barrier_wait -1
	s_wait_xcnt 0x0
	s_and_saveexec_b32 s20, s1
	s_cbranch_execz .LBB98_205
; %bb.196:
	s_and_not1_b32 vcc_lo, exec_lo, s5
	s_cbranch_vccnz .LBB98_198
; %bb.197:
	scratch_load_b64 v[74:75], v59, off
	ds_load_b64 v[76:77], v1
	s_wait_loadcnt_dscnt 0x0
	v_pk_mul_f32 v[78:79], v[76:77], v[74:75] op_sel:[1,1] op_sel_hi:[0,1]
	s_delay_alu instid0(VALU_DEP_1) | instskip(SKIP_1) | instid1(VALU_DEP_2)
	v_pk_fma_f32 v[80:81], v[76:77], v[74:75], v[78:79] op_sel_hi:[1,0,1]
	v_pk_fma_f32 v[74:75], v[76:77], v[74:75], v[78:79] neg_lo:[0,0,1] neg_hi:[0,0,1]
	v_mov_b32_e32 v75, v81
	s_cbranch_execz .LBB98_199
	s_branch .LBB98_200
.LBB98_198:
                                        ; implicit-def: $vgpr74_vgpr75
.LBB98_199:
	ds_load_b64 v[74:75], v1
.LBB98_200:
	s_and_saveexec_b32 s21, s0
	s_cbranch_execz .LBB98_204
; %bb.201:
	v_add_nc_u32_e32 v76, -15, v0
	s_movk_i32 s22, 0x198
	s_mov_b32 s0, 0
.LBB98_202:                             ; =>This Inner Loop Header: Depth=1
	scratch_load_b64 v[78:79], off, s19
	v_dual_mov_b32 v77, s22 :: v_dual_add_nc_u32 v76, -1, v76
	s_add_co_i32 s22, s22, 8
	s_wait_xcnt 0x0
	s_add_co_i32 s19, s19, 8
	ds_load_b64 v[80:81], v77
	v_cmp_eq_u32_e32 vcc_lo, 0, v76
	s_or_b32 s0, vcc_lo, s0
	s_wait_loadcnt_dscnt 0x0
	v_pk_mul_f32 v[82:83], v[80:81], v[78:79] op_sel:[1,1] op_sel_hi:[0,1]
	s_delay_alu instid0(VALU_DEP_1) | instskip(SKIP_1) | instid1(VALU_DEP_2)
	v_pk_fma_f32 v[84:85], v[80:81], v[78:79], v[82:83] op_sel_hi:[1,0,1]
	v_pk_fma_f32 v[78:79], v[80:81], v[78:79], v[82:83] neg_lo:[0,0,1] neg_hi:[0,0,1]
	v_mov_b32_e32 v79, v85
	s_delay_alu instid0(VALU_DEP_1)
	v_pk_add_f32 v[74:75], v[74:75], v[78:79]
	s_and_not1_b32 exec_lo, exec_lo, s0
	s_cbranch_execnz .LBB98_202
; %bb.203:
	s_or_b32 exec_lo, exec_lo, s0
.LBB98_204:
	s_delay_alu instid0(SALU_CYCLE_1) | instskip(SKIP_4) | instid1(VALU_DEP_1)
	s_or_b32 exec_lo, exec_lo, s21
	v_mov_b32_e32 v76, 0
	ds_load_b64 v[76:77], v76 offset:112
	s_wait_dscnt 0x0
	v_pk_mul_f32 v[78:79], v[74:75], v[76:77] op_sel:[1,1] op_sel_hi:[0,1]
	v_pk_fma_f32 v[80:81], v[74:75], v[76:77], v[78:79] op_sel_hi:[1,0,1]
	v_pk_fma_f32 v[74:75], v[74:75], v[76:77], v[78:79] neg_lo:[0,0,1] neg_hi:[0,0,1]
	s_delay_alu instid0(VALU_DEP_2)
	v_mov_b32_e32 v75, v81
	scratch_store_b64 off, v[74:75], off offset:112
.LBB98_205:
	s_wait_xcnt 0x0
	s_or_b32 exec_lo, exec_lo, s20
	scratch_load_b64 v[74:75], off, off offset:104
	v_cmp_lt_u32_e64 s0, 13, v0
	s_wait_loadcnt 0x0
	ds_store_b64 v1, v[74:75]
	s_wait_storecnt_dscnt 0x0
	s_barrier_signal -1
	s_barrier_wait -1
	s_wait_xcnt 0x0
	s_and_saveexec_b32 s19, s0
	s_cbranch_execz .LBB98_215
; %bb.206:
	s_and_not1_b32 vcc_lo, exec_lo, s5
	s_cbranch_vccnz .LBB98_208
; %bb.207:
	scratch_load_b64 v[74:75], v59, off
	ds_load_b64 v[76:77], v1
	s_wait_loadcnt_dscnt 0x0
	v_pk_mul_f32 v[78:79], v[76:77], v[74:75] op_sel:[1,1] op_sel_hi:[0,1]
	s_delay_alu instid0(VALU_DEP_1) | instskip(SKIP_1) | instid1(VALU_DEP_2)
	v_pk_fma_f32 v[80:81], v[76:77], v[74:75], v[78:79] op_sel_hi:[1,0,1]
	v_pk_fma_f32 v[74:75], v[76:77], v[74:75], v[78:79] neg_lo:[0,0,1] neg_hi:[0,0,1]
	v_mov_b32_e32 v75, v81
	s_cbranch_execz .LBB98_209
	s_branch .LBB98_210
.LBB98_208:
                                        ; implicit-def: $vgpr74_vgpr75
.LBB98_209:
	ds_load_b64 v[74:75], v1
.LBB98_210:
	s_and_saveexec_b32 s20, s1
	s_cbranch_execz .LBB98_214
; %bb.211:
	v_add_nc_u32_e32 v76, -14, v0
	s_movk_i32 s21, 0x190
	s_mov_b32 s1, 0
.LBB98_212:                             ; =>This Inner Loop Header: Depth=1
	scratch_load_b64 v[78:79], off, s18
	v_dual_mov_b32 v77, s21 :: v_dual_add_nc_u32 v76, -1, v76
	s_add_co_i32 s21, s21, 8
	s_wait_xcnt 0x0
	s_add_co_i32 s18, s18, 8
	ds_load_b64 v[80:81], v77
	v_cmp_eq_u32_e32 vcc_lo, 0, v76
	s_or_b32 s1, vcc_lo, s1
	s_wait_loadcnt_dscnt 0x0
	v_pk_mul_f32 v[82:83], v[80:81], v[78:79] op_sel:[1,1] op_sel_hi:[0,1]
	s_delay_alu instid0(VALU_DEP_1) | instskip(SKIP_1) | instid1(VALU_DEP_2)
	v_pk_fma_f32 v[84:85], v[80:81], v[78:79], v[82:83] op_sel_hi:[1,0,1]
	v_pk_fma_f32 v[78:79], v[80:81], v[78:79], v[82:83] neg_lo:[0,0,1] neg_hi:[0,0,1]
	v_mov_b32_e32 v79, v85
	s_delay_alu instid0(VALU_DEP_1)
	v_pk_add_f32 v[74:75], v[74:75], v[78:79]
	s_and_not1_b32 exec_lo, exec_lo, s1
	s_cbranch_execnz .LBB98_212
; %bb.213:
	s_or_b32 exec_lo, exec_lo, s1
.LBB98_214:
	s_delay_alu instid0(SALU_CYCLE_1) | instskip(SKIP_4) | instid1(VALU_DEP_1)
	s_or_b32 exec_lo, exec_lo, s20
	v_mov_b32_e32 v76, 0
	ds_load_b64 v[76:77], v76 offset:104
	s_wait_dscnt 0x0
	v_pk_mul_f32 v[78:79], v[74:75], v[76:77] op_sel:[1,1] op_sel_hi:[0,1]
	v_pk_fma_f32 v[80:81], v[74:75], v[76:77], v[78:79] op_sel_hi:[1,0,1]
	v_pk_fma_f32 v[74:75], v[74:75], v[76:77], v[78:79] neg_lo:[0,0,1] neg_hi:[0,0,1]
	s_delay_alu instid0(VALU_DEP_2)
	v_mov_b32_e32 v75, v81
	scratch_store_b64 off, v[74:75], off offset:104
.LBB98_215:
	s_wait_xcnt 0x0
	s_or_b32 exec_lo, exec_lo, s19
	scratch_load_b64 v[74:75], off, off offset:96
	v_cmp_lt_u32_e64 s1, 12, v0
	s_wait_loadcnt 0x0
	ds_store_b64 v1, v[74:75]
	s_wait_storecnt_dscnt 0x0
	s_barrier_signal -1
	s_barrier_wait -1
	s_wait_xcnt 0x0
	s_and_saveexec_b32 s18, s1
	s_cbranch_execz .LBB98_225
; %bb.216:
	s_and_not1_b32 vcc_lo, exec_lo, s5
	s_cbranch_vccnz .LBB98_218
; %bb.217:
	scratch_load_b64 v[74:75], v59, off
	ds_load_b64 v[76:77], v1
	s_wait_loadcnt_dscnt 0x0
	v_pk_mul_f32 v[78:79], v[76:77], v[74:75] op_sel:[1,1] op_sel_hi:[0,1]
	s_delay_alu instid0(VALU_DEP_1) | instskip(SKIP_1) | instid1(VALU_DEP_2)
	v_pk_fma_f32 v[80:81], v[76:77], v[74:75], v[78:79] op_sel_hi:[1,0,1]
	v_pk_fma_f32 v[74:75], v[76:77], v[74:75], v[78:79] neg_lo:[0,0,1] neg_hi:[0,0,1]
	v_mov_b32_e32 v75, v81
	s_cbranch_execz .LBB98_219
	s_branch .LBB98_220
.LBB98_218:
                                        ; implicit-def: $vgpr74_vgpr75
.LBB98_219:
	ds_load_b64 v[74:75], v1
.LBB98_220:
	s_and_saveexec_b32 s19, s0
	s_cbranch_execz .LBB98_224
; %bb.221:
	v_add_nc_u32_e32 v76, -13, v0
	s_movk_i32 s20, 0x188
	s_mov_b32 s0, 0
.LBB98_222:                             ; =>This Inner Loop Header: Depth=1
	scratch_load_b64 v[78:79], off, s17
	v_dual_mov_b32 v77, s20 :: v_dual_add_nc_u32 v76, -1, v76
	s_add_co_i32 s20, s20, 8
	s_wait_xcnt 0x0
	s_add_co_i32 s17, s17, 8
	ds_load_b64 v[80:81], v77
	v_cmp_eq_u32_e32 vcc_lo, 0, v76
	s_or_b32 s0, vcc_lo, s0
	s_wait_loadcnt_dscnt 0x0
	v_pk_mul_f32 v[82:83], v[80:81], v[78:79] op_sel:[1,1] op_sel_hi:[0,1]
	s_delay_alu instid0(VALU_DEP_1) | instskip(SKIP_1) | instid1(VALU_DEP_2)
	v_pk_fma_f32 v[84:85], v[80:81], v[78:79], v[82:83] op_sel_hi:[1,0,1]
	v_pk_fma_f32 v[78:79], v[80:81], v[78:79], v[82:83] neg_lo:[0,0,1] neg_hi:[0,0,1]
	v_mov_b32_e32 v79, v85
	s_delay_alu instid0(VALU_DEP_1)
	v_pk_add_f32 v[74:75], v[74:75], v[78:79]
	s_and_not1_b32 exec_lo, exec_lo, s0
	s_cbranch_execnz .LBB98_222
; %bb.223:
	s_or_b32 exec_lo, exec_lo, s0
.LBB98_224:
	s_delay_alu instid0(SALU_CYCLE_1) | instskip(SKIP_4) | instid1(VALU_DEP_1)
	s_or_b32 exec_lo, exec_lo, s19
	v_mov_b32_e32 v76, 0
	ds_load_b64 v[76:77], v76 offset:96
	s_wait_dscnt 0x0
	v_pk_mul_f32 v[78:79], v[74:75], v[76:77] op_sel:[1,1] op_sel_hi:[0,1]
	v_pk_fma_f32 v[80:81], v[74:75], v[76:77], v[78:79] op_sel_hi:[1,0,1]
	v_pk_fma_f32 v[74:75], v[74:75], v[76:77], v[78:79] neg_lo:[0,0,1] neg_hi:[0,0,1]
	s_delay_alu instid0(VALU_DEP_2)
	v_mov_b32_e32 v75, v81
	scratch_store_b64 off, v[74:75], off offset:96
.LBB98_225:
	s_wait_xcnt 0x0
	s_or_b32 exec_lo, exec_lo, s18
	scratch_load_b64 v[74:75], off, off offset:88
	v_cmp_lt_u32_e64 s0, 11, v0
	s_wait_loadcnt 0x0
	ds_store_b64 v1, v[74:75]
	s_wait_storecnt_dscnt 0x0
	s_barrier_signal -1
	s_barrier_wait -1
	s_wait_xcnt 0x0
	s_and_saveexec_b32 s17, s0
	s_cbranch_execz .LBB98_235
; %bb.226:
	s_and_not1_b32 vcc_lo, exec_lo, s5
	s_cbranch_vccnz .LBB98_228
; %bb.227:
	scratch_load_b64 v[74:75], v59, off
	ds_load_b64 v[76:77], v1
	s_wait_loadcnt_dscnt 0x0
	v_pk_mul_f32 v[78:79], v[76:77], v[74:75] op_sel:[1,1] op_sel_hi:[0,1]
	s_delay_alu instid0(VALU_DEP_1) | instskip(SKIP_1) | instid1(VALU_DEP_2)
	v_pk_fma_f32 v[80:81], v[76:77], v[74:75], v[78:79] op_sel_hi:[1,0,1]
	v_pk_fma_f32 v[74:75], v[76:77], v[74:75], v[78:79] neg_lo:[0,0,1] neg_hi:[0,0,1]
	v_mov_b32_e32 v75, v81
	s_cbranch_execz .LBB98_229
	s_branch .LBB98_230
.LBB98_228:
                                        ; implicit-def: $vgpr74_vgpr75
.LBB98_229:
	ds_load_b64 v[74:75], v1
.LBB98_230:
	s_and_saveexec_b32 s18, s1
	s_cbranch_execz .LBB98_234
; %bb.231:
	v_add_nc_u32_e32 v76, -12, v0
	s_movk_i32 s19, 0x180
	s_mov_b32 s1, 0
.LBB98_232:                             ; =>This Inner Loop Header: Depth=1
	scratch_load_b64 v[78:79], off, s16
	v_dual_mov_b32 v77, s19 :: v_dual_add_nc_u32 v76, -1, v76
	s_add_co_i32 s19, s19, 8
	s_wait_xcnt 0x0
	s_add_co_i32 s16, s16, 8
	ds_load_b64 v[80:81], v77
	v_cmp_eq_u32_e32 vcc_lo, 0, v76
	s_or_b32 s1, vcc_lo, s1
	s_wait_loadcnt_dscnt 0x0
	v_pk_mul_f32 v[82:83], v[80:81], v[78:79] op_sel:[1,1] op_sel_hi:[0,1]
	s_delay_alu instid0(VALU_DEP_1) | instskip(SKIP_1) | instid1(VALU_DEP_2)
	v_pk_fma_f32 v[84:85], v[80:81], v[78:79], v[82:83] op_sel_hi:[1,0,1]
	v_pk_fma_f32 v[78:79], v[80:81], v[78:79], v[82:83] neg_lo:[0,0,1] neg_hi:[0,0,1]
	v_mov_b32_e32 v79, v85
	s_delay_alu instid0(VALU_DEP_1)
	v_pk_add_f32 v[74:75], v[74:75], v[78:79]
	s_and_not1_b32 exec_lo, exec_lo, s1
	s_cbranch_execnz .LBB98_232
; %bb.233:
	s_or_b32 exec_lo, exec_lo, s1
.LBB98_234:
	s_delay_alu instid0(SALU_CYCLE_1) | instskip(SKIP_4) | instid1(VALU_DEP_1)
	s_or_b32 exec_lo, exec_lo, s18
	v_mov_b32_e32 v76, 0
	ds_load_b64 v[76:77], v76 offset:88
	s_wait_dscnt 0x0
	v_pk_mul_f32 v[78:79], v[74:75], v[76:77] op_sel:[1,1] op_sel_hi:[0,1]
	v_pk_fma_f32 v[80:81], v[74:75], v[76:77], v[78:79] op_sel_hi:[1,0,1]
	v_pk_fma_f32 v[74:75], v[74:75], v[76:77], v[78:79] neg_lo:[0,0,1] neg_hi:[0,0,1]
	s_delay_alu instid0(VALU_DEP_2)
	v_mov_b32_e32 v75, v81
	scratch_store_b64 off, v[74:75], off offset:88
.LBB98_235:
	s_wait_xcnt 0x0
	s_or_b32 exec_lo, exec_lo, s17
	scratch_load_b64 v[74:75], off, off offset:80
	v_cmp_lt_u32_e64 s1, 10, v0
	s_wait_loadcnt 0x0
	ds_store_b64 v1, v[74:75]
	s_wait_storecnt_dscnt 0x0
	s_barrier_signal -1
	s_barrier_wait -1
	s_wait_xcnt 0x0
	s_and_saveexec_b32 s16, s1
	s_cbranch_execz .LBB98_245
; %bb.236:
	s_and_not1_b32 vcc_lo, exec_lo, s5
	s_cbranch_vccnz .LBB98_238
; %bb.237:
	scratch_load_b64 v[74:75], v59, off
	ds_load_b64 v[76:77], v1
	s_wait_loadcnt_dscnt 0x0
	v_pk_mul_f32 v[78:79], v[76:77], v[74:75] op_sel:[1,1] op_sel_hi:[0,1]
	s_delay_alu instid0(VALU_DEP_1) | instskip(SKIP_1) | instid1(VALU_DEP_2)
	v_pk_fma_f32 v[80:81], v[76:77], v[74:75], v[78:79] op_sel_hi:[1,0,1]
	v_pk_fma_f32 v[74:75], v[76:77], v[74:75], v[78:79] neg_lo:[0,0,1] neg_hi:[0,0,1]
	v_mov_b32_e32 v75, v81
	s_cbranch_execz .LBB98_239
	s_branch .LBB98_240
.LBB98_238:
                                        ; implicit-def: $vgpr74_vgpr75
.LBB98_239:
	ds_load_b64 v[74:75], v1
.LBB98_240:
	s_and_saveexec_b32 s17, s0
	s_cbranch_execz .LBB98_244
; %bb.241:
	v_add_nc_u32_e32 v76, -11, v0
	s_movk_i32 s18, 0x178
	s_mov_b32 s0, 0
.LBB98_242:                             ; =>This Inner Loop Header: Depth=1
	scratch_load_b64 v[78:79], off, s15
	v_dual_mov_b32 v77, s18 :: v_dual_add_nc_u32 v76, -1, v76
	s_add_co_i32 s18, s18, 8
	s_wait_xcnt 0x0
	s_add_co_i32 s15, s15, 8
	ds_load_b64 v[80:81], v77
	v_cmp_eq_u32_e32 vcc_lo, 0, v76
	s_or_b32 s0, vcc_lo, s0
	s_wait_loadcnt_dscnt 0x0
	v_pk_mul_f32 v[82:83], v[80:81], v[78:79] op_sel:[1,1] op_sel_hi:[0,1]
	s_delay_alu instid0(VALU_DEP_1) | instskip(SKIP_1) | instid1(VALU_DEP_2)
	v_pk_fma_f32 v[84:85], v[80:81], v[78:79], v[82:83] op_sel_hi:[1,0,1]
	v_pk_fma_f32 v[78:79], v[80:81], v[78:79], v[82:83] neg_lo:[0,0,1] neg_hi:[0,0,1]
	v_mov_b32_e32 v79, v85
	s_delay_alu instid0(VALU_DEP_1)
	v_pk_add_f32 v[74:75], v[74:75], v[78:79]
	s_and_not1_b32 exec_lo, exec_lo, s0
	s_cbranch_execnz .LBB98_242
; %bb.243:
	s_or_b32 exec_lo, exec_lo, s0
.LBB98_244:
	s_delay_alu instid0(SALU_CYCLE_1) | instskip(SKIP_4) | instid1(VALU_DEP_1)
	s_or_b32 exec_lo, exec_lo, s17
	v_mov_b32_e32 v76, 0
	ds_load_b64 v[76:77], v76 offset:80
	s_wait_dscnt 0x0
	v_pk_mul_f32 v[78:79], v[74:75], v[76:77] op_sel:[1,1] op_sel_hi:[0,1]
	v_pk_fma_f32 v[80:81], v[74:75], v[76:77], v[78:79] op_sel_hi:[1,0,1]
	v_pk_fma_f32 v[74:75], v[74:75], v[76:77], v[78:79] neg_lo:[0,0,1] neg_hi:[0,0,1]
	s_delay_alu instid0(VALU_DEP_2)
	v_mov_b32_e32 v75, v81
	scratch_store_b64 off, v[74:75], off offset:80
.LBB98_245:
	s_wait_xcnt 0x0
	s_or_b32 exec_lo, exec_lo, s16
	scratch_load_b64 v[74:75], off, off offset:72
	v_cmp_lt_u32_e64 s0, 9, v0
	s_wait_loadcnt 0x0
	ds_store_b64 v1, v[74:75]
	s_wait_storecnt_dscnt 0x0
	s_barrier_signal -1
	s_barrier_wait -1
	s_wait_xcnt 0x0
	s_and_saveexec_b32 s15, s0
	s_cbranch_execz .LBB98_255
; %bb.246:
	s_and_not1_b32 vcc_lo, exec_lo, s5
	s_cbranch_vccnz .LBB98_248
; %bb.247:
	scratch_load_b64 v[74:75], v59, off
	ds_load_b64 v[76:77], v1
	s_wait_loadcnt_dscnt 0x0
	v_pk_mul_f32 v[78:79], v[76:77], v[74:75] op_sel:[1,1] op_sel_hi:[0,1]
	s_delay_alu instid0(VALU_DEP_1) | instskip(SKIP_1) | instid1(VALU_DEP_2)
	v_pk_fma_f32 v[80:81], v[76:77], v[74:75], v[78:79] op_sel_hi:[1,0,1]
	v_pk_fma_f32 v[74:75], v[76:77], v[74:75], v[78:79] neg_lo:[0,0,1] neg_hi:[0,0,1]
	v_mov_b32_e32 v75, v81
	s_cbranch_execz .LBB98_249
	s_branch .LBB98_250
.LBB98_248:
                                        ; implicit-def: $vgpr74_vgpr75
.LBB98_249:
	ds_load_b64 v[74:75], v1
.LBB98_250:
	s_and_saveexec_b32 s16, s1
	s_cbranch_execz .LBB98_254
; %bb.251:
	v_add_nc_u32_e32 v76, -10, v0
	s_movk_i32 s17, 0x170
	s_mov_b32 s1, 0
.LBB98_252:                             ; =>This Inner Loop Header: Depth=1
	scratch_load_b64 v[78:79], off, s14
	v_dual_mov_b32 v77, s17 :: v_dual_add_nc_u32 v76, -1, v76
	s_add_co_i32 s17, s17, 8
	s_wait_xcnt 0x0
	s_add_co_i32 s14, s14, 8
	ds_load_b64 v[80:81], v77
	v_cmp_eq_u32_e32 vcc_lo, 0, v76
	s_or_b32 s1, vcc_lo, s1
	s_wait_loadcnt_dscnt 0x0
	v_pk_mul_f32 v[82:83], v[80:81], v[78:79] op_sel:[1,1] op_sel_hi:[0,1]
	s_delay_alu instid0(VALU_DEP_1) | instskip(SKIP_1) | instid1(VALU_DEP_2)
	v_pk_fma_f32 v[84:85], v[80:81], v[78:79], v[82:83] op_sel_hi:[1,0,1]
	v_pk_fma_f32 v[78:79], v[80:81], v[78:79], v[82:83] neg_lo:[0,0,1] neg_hi:[0,0,1]
	v_mov_b32_e32 v79, v85
	s_delay_alu instid0(VALU_DEP_1)
	v_pk_add_f32 v[74:75], v[74:75], v[78:79]
	s_and_not1_b32 exec_lo, exec_lo, s1
	s_cbranch_execnz .LBB98_252
; %bb.253:
	s_or_b32 exec_lo, exec_lo, s1
.LBB98_254:
	s_delay_alu instid0(SALU_CYCLE_1) | instskip(SKIP_4) | instid1(VALU_DEP_1)
	s_or_b32 exec_lo, exec_lo, s16
	v_mov_b32_e32 v76, 0
	ds_load_b64 v[76:77], v76 offset:72
	s_wait_dscnt 0x0
	v_pk_mul_f32 v[78:79], v[74:75], v[76:77] op_sel:[1,1] op_sel_hi:[0,1]
	v_pk_fma_f32 v[80:81], v[74:75], v[76:77], v[78:79] op_sel_hi:[1,0,1]
	v_pk_fma_f32 v[74:75], v[74:75], v[76:77], v[78:79] neg_lo:[0,0,1] neg_hi:[0,0,1]
	s_delay_alu instid0(VALU_DEP_2)
	v_mov_b32_e32 v75, v81
	scratch_store_b64 off, v[74:75], off offset:72
.LBB98_255:
	s_wait_xcnt 0x0
	s_or_b32 exec_lo, exec_lo, s15
	scratch_load_b64 v[74:75], off, off offset:64
	v_cmp_lt_u32_e64 s1, 8, v0
	s_wait_loadcnt 0x0
	ds_store_b64 v1, v[74:75]
	s_wait_storecnt_dscnt 0x0
	s_barrier_signal -1
	s_barrier_wait -1
	s_wait_xcnt 0x0
	s_and_saveexec_b32 s14, s1
	s_cbranch_execz .LBB98_265
; %bb.256:
	s_and_not1_b32 vcc_lo, exec_lo, s5
	s_cbranch_vccnz .LBB98_258
; %bb.257:
	scratch_load_b64 v[74:75], v59, off
	ds_load_b64 v[76:77], v1
	s_wait_loadcnt_dscnt 0x0
	v_pk_mul_f32 v[78:79], v[76:77], v[74:75] op_sel:[1,1] op_sel_hi:[0,1]
	s_delay_alu instid0(VALU_DEP_1) | instskip(SKIP_1) | instid1(VALU_DEP_2)
	v_pk_fma_f32 v[80:81], v[76:77], v[74:75], v[78:79] op_sel_hi:[1,0,1]
	v_pk_fma_f32 v[74:75], v[76:77], v[74:75], v[78:79] neg_lo:[0,0,1] neg_hi:[0,0,1]
	v_mov_b32_e32 v75, v81
	s_cbranch_execz .LBB98_259
	s_branch .LBB98_260
.LBB98_258:
                                        ; implicit-def: $vgpr74_vgpr75
.LBB98_259:
	ds_load_b64 v[74:75], v1
.LBB98_260:
	s_and_saveexec_b32 s15, s0
	s_cbranch_execz .LBB98_264
; %bb.261:
	v_add_nc_u32_e32 v76, -9, v0
	s_movk_i32 s16, 0x168
	s_mov_b32 s0, 0
.LBB98_262:                             ; =>This Inner Loop Header: Depth=1
	scratch_load_b64 v[78:79], off, s13
	v_dual_mov_b32 v77, s16 :: v_dual_add_nc_u32 v76, -1, v76
	s_add_co_i32 s16, s16, 8
	s_wait_xcnt 0x0
	s_add_co_i32 s13, s13, 8
	ds_load_b64 v[80:81], v77
	v_cmp_eq_u32_e32 vcc_lo, 0, v76
	s_or_b32 s0, vcc_lo, s0
	s_wait_loadcnt_dscnt 0x0
	v_pk_mul_f32 v[82:83], v[80:81], v[78:79] op_sel:[1,1] op_sel_hi:[0,1]
	s_delay_alu instid0(VALU_DEP_1) | instskip(SKIP_1) | instid1(VALU_DEP_2)
	v_pk_fma_f32 v[84:85], v[80:81], v[78:79], v[82:83] op_sel_hi:[1,0,1]
	v_pk_fma_f32 v[78:79], v[80:81], v[78:79], v[82:83] neg_lo:[0,0,1] neg_hi:[0,0,1]
	v_mov_b32_e32 v79, v85
	s_delay_alu instid0(VALU_DEP_1)
	v_pk_add_f32 v[74:75], v[74:75], v[78:79]
	s_and_not1_b32 exec_lo, exec_lo, s0
	s_cbranch_execnz .LBB98_262
; %bb.263:
	s_or_b32 exec_lo, exec_lo, s0
.LBB98_264:
	s_delay_alu instid0(SALU_CYCLE_1) | instskip(SKIP_4) | instid1(VALU_DEP_1)
	s_or_b32 exec_lo, exec_lo, s15
	v_mov_b32_e32 v76, 0
	ds_load_b64 v[76:77], v76 offset:64
	s_wait_dscnt 0x0
	v_pk_mul_f32 v[78:79], v[74:75], v[76:77] op_sel:[1,1] op_sel_hi:[0,1]
	v_pk_fma_f32 v[80:81], v[74:75], v[76:77], v[78:79] op_sel_hi:[1,0,1]
	v_pk_fma_f32 v[74:75], v[74:75], v[76:77], v[78:79] neg_lo:[0,0,1] neg_hi:[0,0,1]
	s_delay_alu instid0(VALU_DEP_2)
	v_mov_b32_e32 v75, v81
	scratch_store_b64 off, v[74:75], off offset:64
.LBB98_265:
	s_wait_xcnt 0x0
	s_or_b32 exec_lo, exec_lo, s14
	scratch_load_b64 v[74:75], off, off offset:56
	v_cmp_lt_u32_e64 s0, 7, v0
	s_wait_loadcnt 0x0
	ds_store_b64 v1, v[74:75]
	s_wait_storecnt_dscnt 0x0
	s_barrier_signal -1
	s_barrier_wait -1
	s_wait_xcnt 0x0
	s_and_saveexec_b32 s13, s0
	s_cbranch_execz .LBB98_275
; %bb.266:
	s_and_not1_b32 vcc_lo, exec_lo, s5
	s_cbranch_vccnz .LBB98_268
; %bb.267:
	scratch_load_b64 v[74:75], v59, off
	ds_load_b64 v[76:77], v1
	s_wait_loadcnt_dscnt 0x0
	v_pk_mul_f32 v[78:79], v[76:77], v[74:75] op_sel:[1,1] op_sel_hi:[0,1]
	s_delay_alu instid0(VALU_DEP_1) | instskip(SKIP_1) | instid1(VALU_DEP_2)
	v_pk_fma_f32 v[80:81], v[76:77], v[74:75], v[78:79] op_sel_hi:[1,0,1]
	v_pk_fma_f32 v[74:75], v[76:77], v[74:75], v[78:79] neg_lo:[0,0,1] neg_hi:[0,0,1]
	v_mov_b32_e32 v75, v81
	s_cbranch_execz .LBB98_269
	s_branch .LBB98_270
.LBB98_268:
                                        ; implicit-def: $vgpr74_vgpr75
.LBB98_269:
	ds_load_b64 v[74:75], v1
.LBB98_270:
	s_and_saveexec_b32 s14, s1
	s_cbranch_execz .LBB98_274
; %bb.271:
	v_add_nc_u32_e32 v76, -8, v0
	s_movk_i32 s15, 0x160
	s_mov_b32 s1, 0
.LBB98_272:                             ; =>This Inner Loop Header: Depth=1
	scratch_load_b64 v[78:79], off, s12
	v_dual_mov_b32 v77, s15 :: v_dual_add_nc_u32 v76, -1, v76
	s_add_co_i32 s15, s15, 8
	s_wait_xcnt 0x0
	s_add_co_i32 s12, s12, 8
	ds_load_b64 v[80:81], v77
	v_cmp_eq_u32_e32 vcc_lo, 0, v76
	s_or_b32 s1, vcc_lo, s1
	s_wait_loadcnt_dscnt 0x0
	v_pk_mul_f32 v[82:83], v[80:81], v[78:79] op_sel:[1,1] op_sel_hi:[0,1]
	s_delay_alu instid0(VALU_DEP_1) | instskip(SKIP_1) | instid1(VALU_DEP_2)
	v_pk_fma_f32 v[84:85], v[80:81], v[78:79], v[82:83] op_sel_hi:[1,0,1]
	v_pk_fma_f32 v[78:79], v[80:81], v[78:79], v[82:83] neg_lo:[0,0,1] neg_hi:[0,0,1]
	v_mov_b32_e32 v79, v85
	s_delay_alu instid0(VALU_DEP_1)
	v_pk_add_f32 v[74:75], v[74:75], v[78:79]
	s_and_not1_b32 exec_lo, exec_lo, s1
	s_cbranch_execnz .LBB98_272
; %bb.273:
	s_or_b32 exec_lo, exec_lo, s1
.LBB98_274:
	s_delay_alu instid0(SALU_CYCLE_1) | instskip(SKIP_4) | instid1(VALU_DEP_1)
	s_or_b32 exec_lo, exec_lo, s14
	v_mov_b32_e32 v76, 0
	ds_load_b64 v[76:77], v76 offset:56
	s_wait_dscnt 0x0
	v_pk_mul_f32 v[78:79], v[74:75], v[76:77] op_sel:[1,1] op_sel_hi:[0,1]
	v_pk_fma_f32 v[80:81], v[74:75], v[76:77], v[78:79] op_sel_hi:[1,0,1]
	v_pk_fma_f32 v[74:75], v[74:75], v[76:77], v[78:79] neg_lo:[0,0,1] neg_hi:[0,0,1]
	s_delay_alu instid0(VALU_DEP_2)
	v_mov_b32_e32 v75, v81
	scratch_store_b64 off, v[74:75], off offset:56
.LBB98_275:
	s_wait_xcnt 0x0
	s_or_b32 exec_lo, exec_lo, s13
	scratch_load_b64 v[74:75], off, off offset:48
	v_cmp_lt_u32_e64 s1, 6, v0
	s_wait_loadcnt 0x0
	ds_store_b64 v1, v[74:75]
	s_wait_storecnt_dscnt 0x0
	s_barrier_signal -1
	s_barrier_wait -1
	s_wait_xcnt 0x0
	s_and_saveexec_b32 s12, s1
	s_cbranch_execz .LBB98_285
; %bb.276:
	s_and_not1_b32 vcc_lo, exec_lo, s5
	s_cbranch_vccnz .LBB98_278
; %bb.277:
	scratch_load_b64 v[74:75], v59, off
	ds_load_b64 v[76:77], v1
	s_wait_loadcnt_dscnt 0x0
	v_pk_mul_f32 v[78:79], v[76:77], v[74:75] op_sel:[1,1] op_sel_hi:[0,1]
	s_delay_alu instid0(VALU_DEP_1) | instskip(SKIP_1) | instid1(VALU_DEP_2)
	v_pk_fma_f32 v[80:81], v[76:77], v[74:75], v[78:79] op_sel_hi:[1,0,1]
	v_pk_fma_f32 v[74:75], v[76:77], v[74:75], v[78:79] neg_lo:[0,0,1] neg_hi:[0,0,1]
	v_mov_b32_e32 v75, v81
	s_cbranch_execz .LBB98_279
	s_branch .LBB98_280
.LBB98_278:
                                        ; implicit-def: $vgpr74_vgpr75
.LBB98_279:
	ds_load_b64 v[74:75], v1
.LBB98_280:
	s_and_saveexec_b32 s13, s0
	s_cbranch_execz .LBB98_284
; %bb.281:
	v_add_nc_u32_e32 v76, -7, v0
	s_movk_i32 s14, 0x158
	s_mov_b32 s0, 0
.LBB98_282:                             ; =>This Inner Loop Header: Depth=1
	scratch_load_b64 v[78:79], off, s11
	v_dual_mov_b32 v77, s14 :: v_dual_add_nc_u32 v76, -1, v76
	s_add_co_i32 s14, s14, 8
	s_wait_xcnt 0x0
	s_add_co_i32 s11, s11, 8
	ds_load_b64 v[80:81], v77
	v_cmp_eq_u32_e32 vcc_lo, 0, v76
	s_or_b32 s0, vcc_lo, s0
	s_wait_loadcnt_dscnt 0x0
	v_pk_mul_f32 v[82:83], v[80:81], v[78:79] op_sel:[1,1] op_sel_hi:[0,1]
	s_delay_alu instid0(VALU_DEP_1) | instskip(SKIP_1) | instid1(VALU_DEP_2)
	v_pk_fma_f32 v[84:85], v[80:81], v[78:79], v[82:83] op_sel_hi:[1,0,1]
	v_pk_fma_f32 v[78:79], v[80:81], v[78:79], v[82:83] neg_lo:[0,0,1] neg_hi:[0,0,1]
	v_mov_b32_e32 v79, v85
	s_delay_alu instid0(VALU_DEP_1)
	v_pk_add_f32 v[74:75], v[74:75], v[78:79]
	s_and_not1_b32 exec_lo, exec_lo, s0
	s_cbranch_execnz .LBB98_282
; %bb.283:
	s_or_b32 exec_lo, exec_lo, s0
.LBB98_284:
	s_delay_alu instid0(SALU_CYCLE_1) | instskip(SKIP_4) | instid1(VALU_DEP_1)
	s_or_b32 exec_lo, exec_lo, s13
	v_mov_b32_e32 v76, 0
	ds_load_b64 v[76:77], v76 offset:48
	s_wait_dscnt 0x0
	v_pk_mul_f32 v[78:79], v[74:75], v[76:77] op_sel:[1,1] op_sel_hi:[0,1]
	v_pk_fma_f32 v[80:81], v[74:75], v[76:77], v[78:79] op_sel_hi:[1,0,1]
	v_pk_fma_f32 v[74:75], v[74:75], v[76:77], v[78:79] neg_lo:[0,0,1] neg_hi:[0,0,1]
	s_delay_alu instid0(VALU_DEP_2)
	v_mov_b32_e32 v75, v81
	scratch_store_b64 off, v[74:75], off offset:48
.LBB98_285:
	s_wait_xcnt 0x0
	s_or_b32 exec_lo, exec_lo, s12
	scratch_load_b64 v[74:75], off, off offset:40
	v_cmp_lt_u32_e64 s0, 5, v0
	s_wait_loadcnt 0x0
	ds_store_b64 v1, v[74:75]
	s_wait_storecnt_dscnt 0x0
	s_barrier_signal -1
	s_barrier_wait -1
	s_wait_xcnt 0x0
	s_and_saveexec_b32 s11, s0
	s_cbranch_execz .LBB98_295
; %bb.286:
	s_and_not1_b32 vcc_lo, exec_lo, s5
	s_cbranch_vccnz .LBB98_288
; %bb.287:
	scratch_load_b64 v[74:75], v59, off
	ds_load_b64 v[76:77], v1
	s_wait_loadcnt_dscnt 0x0
	v_pk_mul_f32 v[78:79], v[76:77], v[74:75] op_sel:[1,1] op_sel_hi:[0,1]
	s_delay_alu instid0(VALU_DEP_1) | instskip(SKIP_1) | instid1(VALU_DEP_2)
	v_pk_fma_f32 v[80:81], v[76:77], v[74:75], v[78:79] op_sel_hi:[1,0,1]
	v_pk_fma_f32 v[74:75], v[76:77], v[74:75], v[78:79] neg_lo:[0,0,1] neg_hi:[0,0,1]
	v_mov_b32_e32 v75, v81
	s_cbranch_execz .LBB98_289
	s_branch .LBB98_290
.LBB98_288:
                                        ; implicit-def: $vgpr74_vgpr75
.LBB98_289:
	ds_load_b64 v[74:75], v1
.LBB98_290:
	s_and_saveexec_b32 s12, s1
	s_cbranch_execz .LBB98_294
; %bb.291:
	v_add_nc_u32_e32 v76, -6, v0
	s_movk_i32 s13, 0x150
	s_mov_b32 s1, 0
.LBB98_292:                             ; =>This Inner Loop Header: Depth=1
	scratch_load_b64 v[78:79], off, s10
	v_dual_mov_b32 v77, s13 :: v_dual_add_nc_u32 v76, -1, v76
	s_add_co_i32 s13, s13, 8
	s_wait_xcnt 0x0
	s_add_co_i32 s10, s10, 8
	ds_load_b64 v[80:81], v77
	v_cmp_eq_u32_e32 vcc_lo, 0, v76
	s_or_b32 s1, vcc_lo, s1
	s_wait_loadcnt_dscnt 0x0
	v_pk_mul_f32 v[82:83], v[80:81], v[78:79] op_sel:[1,1] op_sel_hi:[0,1]
	s_delay_alu instid0(VALU_DEP_1) | instskip(SKIP_1) | instid1(VALU_DEP_2)
	v_pk_fma_f32 v[84:85], v[80:81], v[78:79], v[82:83] op_sel_hi:[1,0,1]
	v_pk_fma_f32 v[78:79], v[80:81], v[78:79], v[82:83] neg_lo:[0,0,1] neg_hi:[0,0,1]
	v_mov_b32_e32 v79, v85
	s_delay_alu instid0(VALU_DEP_1)
	v_pk_add_f32 v[74:75], v[74:75], v[78:79]
	s_and_not1_b32 exec_lo, exec_lo, s1
	s_cbranch_execnz .LBB98_292
; %bb.293:
	s_or_b32 exec_lo, exec_lo, s1
.LBB98_294:
	s_delay_alu instid0(SALU_CYCLE_1) | instskip(SKIP_4) | instid1(VALU_DEP_1)
	s_or_b32 exec_lo, exec_lo, s12
	v_mov_b32_e32 v76, 0
	ds_load_b64 v[76:77], v76 offset:40
	s_wait_dscnt 0x0
	v_pk_mul_f32 v[78:79], v[74:75], v[76:77] op_sel:[1,1] op_sel_hi:[0,1]
	v_pk_fma_f32 v[80:81], v[74:75], v[76:77], v[78:79] op_sel_hi:[1,0,1]
	v_pk_fma_f32 v[74:75], v[74:75], v[76:77], v[78:79] neg_lo:[0,0,1] neg_hi:[0,0,1]
	s_delay_alu instid0(VALU_DEP_2)
	v_mov_b32_e32 v75, v81
	scratch_store_b64 off, v[74:75], off offset:40
.LBB98_295:
	s_wait_xcnt 0x0
	s_or_b32 exec_lo, exec_lo, s11
	scratch_load_b64 v[74:75], off, off offset:32
	v_cmp_lt_u32_e64 s1, 4, v0
	s_wait_loadcnt 0x0
	ds_store_b64 v1, v[74:75]
	s_wait_storecnt_dscnt 0x0
	s_barrier_signal -1
	s_barrier_wait -1
	s_wait_xcnt 0x0
	s_and_saveexec_b32 s10, s1
	s_cbranch_execz .LBB98_305
; %bb.296:
	s_and_not1_b32 vcc_lo, exec_lo, s5
	s_cbranch_vccnz .LBB98_298
; %bb.297:
	scratch_load_b64 v[74:75], v59, off
	ds_load_b64 v[76:77], v1
	s_wait_loadcnt_dscnt 0x0
	v_pk_mul_f32 v[78:79], v[76:77], v[74:75] op_sel:[1,1] op_sel_hi:[0,1]
	s_delay_alu instid0(VALU_DEP_1) | instskip(SKIP_1) | instid1(VALU_DEP_2)
	v_pk_fma_f32 v[80:81], v[76:77], v[74:75], v[78:79] op_sel_hi:[1,0,1]
	v_pk_fma_f32 v[74:75], v[76:77], v[74:75], v[78:79] neg_lo:[0,0,1] neg_hi:[0,0,1]
	v_mov_b32_e32 v75, v81
	s_cbranch_execz .LBB98_299
	s_branch .LBB98_300
.LBB98_298:
                                        ; implicit-def: $vgpr74_vgpr75
.LBB98_299:
	ds_load_b64 v[74:75], v1
.LBB98_300:
	s_and_saveexec_b32 s11, s0
	s_cbranch_execz .LBB98_304
; %bb.301:
	v_add_nc_u32_e32 v76, -5, v0
	s_movk_i32 s12, 0x148
	s_mov_b32 s0, 0
.LBB98_302:                             ; =>This Inner Loop Header: Depth=1
	scratch_load_b64 v[78:79], off, s9
	v_dual_mov_b32 v77, s12 :: v_dual_add_nc_u32 v76, -1, v76
	s_add_co_i32 s12, s12, 8
	s_wait_xcnt 0x0
	s_add_co_i32 s9, s9, 8
	ds_load_b64 v[80:81], v77
	v_cmp_eq_u32_e32 vcc_lo, 0, v76
	s_or_b32 s0, vcc_lo, s0
	s_wait_loadcnt_dscnt 0x0
	v_pk_mul_f32 v[82:83], v[80:81], v[78:79] op_sel:[1,1] op_sel_hi:[0,1]
	s_delay_alu instid0(VALU_DEP_1) | instskip(SKIP_1) | instid1(VALU_DEP_2)
	v_pk_fma_f32 v[84:85], v[80:81], v[78:79], v[82:83] op_sel_hi:[1,0,1]
	v_pk_fma_f32 v[78:79], v[80:81], v[78:79], v[82:83] neg_lo:[0,0,1] neg_hi:[0,0,1]
	v_mov_b32_e32 v79, v85
	s_delay_alu instid0(VALU_DEP_1)
	v_pk_add_f32 v[74:75], v[74:75], v[78:79]
	s_and_not1_b32 exec_lo, exec_lo, s0
	s_cbranch_execnz .LBB98_302
; %bb.303:
	s_or_b32 exec_lo, exec_lo, s0
.LBB98_304:
	s_delay_alu instid0(SALU_CYCLE_1) | instskip(SKIP_4) | instid1(VALU_DEP_1)
	s_or_b32 exec_lo, exec_lo, s11
	v_mov_b32_e32 v76, 0
	ds_load_b64 v[76:77], v76 offset:32
	s_wait_dscnt 0x0
	v_pk_mul_f32 v[78:79], v[74:75], v[76:77] op_sel:[1,1] op_sel_hi:[0,1]
	v_pk_fma_f32 v[80:81], v[74:75], v[76:77], v[78:79] op_sel_hi:[1,0,1]
	v_pk_fma_f32 v[74:75], v[74:75], v[76:77], v[78:79] neg_lo:[0,0,1] neg_hi:[0,0,1]
	s_delay_alu instid0(VALU_DEP_2)
	v_mov_b32_e32 v75, v81
	scratch_store_b64 off, v[74:75], off offset:32
.LBB98_305:
	s_wait_xcnt 0x0
	s_or_b32 exec_lo, exec_lo, s10
	scratch_load_b64 v[74:75], off, off offset:24
	v_cmp_lt_u32_e64 s0, 3, v0
	s_wait_loadcnt 0x0
	ds_store_b64 v1, v[74:75]
	s_wait_storecnt_dscnt 0x0
	s_barrier_signal -1
	s_barrier_wait -1
	s_wait_xcnt 0x0
	s_and_saveexec_b32 s9, s0
	s_cbranch_execz .LBB98_315
; %bb.306:
	s_and_not1_b32 vcc_lo, exec_lo, s5
	s_cbranch_vccnz .LBB98_308
; %bb.307:
	scratch_load_b64 v[74:75], v59, off
	ds_load_b64 v[76:77], v1
	s_wait_loadcnt_dscnt 0x0
	v_pk_mul_f32 v[78:79], v[76:77], v[74:75] op_sel:[1,1] op_sel_hi:[0,1]
	s_delay_alu instid0(VALU_DEP_1) | instskip(SKIP_1) | instid1(VALU_DEP_2)
	v_pk_fma_f32 v[80:81], v[76:77], v[74:75], v[78:79] op_sel_hi:[1,0,1]
	v_pk_fma_f32 v[74:75], v[76:77], v[74:75], v[78:79] neg_lo:[0,0,1] neg_hi:[0,0,1]
	v_mov_b32_e32 v75, v81
	s_cbranch_execz .LBB98_309
	s_branch .LBB98_310
.LBB98_308:
                                        ; implicit-def: $vgpr74_vgpr75
.LBB98_309:
	ds_load_b64 v[74:75], v1
.LBB98_310:
	s_and_saveexec_b32 s10, s1
	s_cbranch_execz .LBB98_314
; %bb.311:
	v_add_nc_u32_e32 v76, -4, v0
	s_movk_i32 s11, 0x140
	s_mov_b32 s1, 0
.LBB98_312:                             ; =>This Inner Loop Header: Depth=1
	scratch_load_b64 v[78:79], off, s8
	v_dual_mov_b32 v77, s11 :: v_dual_add_nc_u32 v76, -1, v76
	s_add_co_i32 s11, s11, 8
	s_wait_xcnt 0x0
	s_add_co_i32 s8, s8, 8
	ds_load_b64 v[80:81], v77
	v_cmp_eq_u32_e32 vcc_lo, 0, v76
	s_or_b32 s1, vcc_lo, s1
	s_wait_loadcnt_dscnt 0x0
	v_pk_mul_f32 v[82:83], v[80:81], v[78:79] op_sel:[1,1] op_sel_hi:[0,1]
	s_delay_alu instid0(VALU_DEP_1) | instskip(SKIP_1) | instid1(VALU_DEP_2)
	v_pk_fma_f32 v[84:85], v[80:81], v[78:79], v[82:83] op_sel_hi:[1,0,1]
	v_pk_fma_f32 v[78:79], v[80:81], v[78:79], v[82:83] neg_lo:[0,0,1] neg_hi:[0,0,1]
	v_mov_b32_e32 v79, v85
	s_delay_alu instid0(VALU_DEP_1)
	v_pk_add_f32 v[74:75], v[74:75], v[78:79]
	s_and_not1_b32 exec_lo, exec_lo, s1
	s_cbranch_execnz .LBB98_312
; %bb.313:
	s_or_b32 exec_lo, exec_lo, s1
.LBB98_314:
	s_delay_alu instid0(SALU_CYCLE_1) | instskip(SKIP_4) | instid1(VALU_DEP_1)
	s_or_b32 exec_lo, exec_lo, s10
	v_mov_b32_e32 v76, 0
	ds_load_b64 v[76:77], v76 offset:24
	s_wait_dscnt 0x0
	v_pk_mul_f32 v[78:79], v[74:75], v[76:77] op_sel:[1,1] op_sel_hi:[0,1]
	v_pk_fma_f32 v[80:81], v[74:75], v[76:77], v[78:79] op_sel_hi:[1,0,1]
	v_pk_fma_f32 v[74:75], v[74:75], v[76:77], v[78:79] neg_lo:[0,0,1] neg_hi:[0,0,1]
	s_delay_alu instid0(VALU_DEP_2)
	v_mov_b32_e32 v75, v81
	scratch_store_b64 off, v[74:75], off offset:24
.LBB98_315:
	s_wait_xcnt 0x0
	s_or_b32 exec_lo, exec_lo, s9
	scratch_load_b64 v[74:75], off, off offset:16
	v_cmp_lt_u32_e64 s1, 2, v0
	s_wait_loadcnt 0x0
	ds_store_b64 v1, v[74:75]
	s_wait_storecnt_dscnt 0x0
	s_barrier_signal -1
	s_barrier_wait -1
	s_wait_xcnt 0x0
	s_and_saveexec_b32 s8, s1
	s_cbranch_execz .LBB98_325
; %bb.316:
	s_and_not1_b32 vcc_lo, exec_lo, s5
	s_cbranch_vccnz .LBB98_318
; %bb.317:
	scratch_load_b64 v[74:75], v59, off
	ds_load_b64 v[76:77], v1
	s_wait_loadcnt_dscnt 0x0
	v_pk_mul_f32 v[78:79], v[76:77], v[74:75] op_sel:[1,1] op_sel_hi:[0,1]
	s_delay_alu instid0(VALU_DEP_1) | instskip(SKIP_1) | instid1(VALU_DEP_2)
	v_pk_fma_f32 v[80:81], v[76:77], v[74:75], v[78:79] op_sel_hi:[1,0,1]
	v_pk_fma_f32 v[74:75], v[76:77], v[74:75], v[78:79] neg_lo:[0,0,1] neg_hi:[0,0,1]
	v_mov_b32_e32 v75, v81
	s_cbranch_execz .LBB98_319
	s_branch .LBB98_320
.LBB98_318:
                                        ; implicit-def: $vgpr74_vgpr75
.LBB98_319:
	ds_load_b64 v[74:75], v1
.LBB98_320:
	s_and_saveexec_b32 s9, s0
	s_cbranch_execz .LBB98_324
; %bb.321:
	v_add_nc_u32_e32 v76, -3, v0
	s_movk_i32 s10, 0x138
	s_mov_b32 s0, 0
.LBB98_322:                             ; =>This Inner Loop Header: Depth=1
	scratch_load_b64 v[78:79], off, s7
	v_dual_mov_b32 v77, s10 :: v_dual_add_nc_u32 v76, -1, v76
	s_add_co_i32 s10, s10, 8
	s_wait_xcnt 0x0
	s_add_co_i32 s7, s7, 8
	ds_load_b64 v[80:81], v77
	v_cmp_eq_u32_e32 vcc_lo, 0, v76
	s_or_b32 s0, vcc_lo, s0
	s_wait_loadcnt_dscnt 0x0
	v_pk_mul_f32 v[82:83], v[80:81], v[78:79] op_sel:[1,1] op_sel_hi:[0,1]
	s_delay_alu instid0(VALU_DEP_1) | instskip(SKIP_1) | instid1(VALU_DEP_2)
	v_pk_fma_f32 v[84:85], v[80:81], v[78:79], v[82:83] op_sel_hi:[1,0,1]
	v_pk_fma_f32 v[78:79], v[80:81], v[78:79], v[82:83] neg_lo:[0,0,1] neg_hi:[0,0,1]
	v_mov_b32_e32 v79, v85
	s_delay_alu instid0(VALU_DEP_1)
	v_pk_add_f32 v[74:75], v[74:75], v[78:79]
	s_and_not1_b32 exec_lo, exec_lo, s0
	s_cbranch_execnz .LBB98_322
; %bb.323:
	s_or_b32 exec_lo, exec_lo, s0
.LBB98_324:
	s_delay_alu instid0(SALU_CYCLE_1) | instskip(SKIP_4) | instid1(VALU_DEP_1)
	s_or_b32 exec_lo, exec_lo, s9
	v_mov_b32_e32 v76, 0
	ds_load_b64 v[76:77], v76 offset:16
	s_wait_dscnt 0x0
	v_pk_mul_f32 v[78:79], v[74:75], v[76:77] op_sel:[1,1] op_sel_hi:[0,1]
	v_pk_fma_f32 v[80:81], v[74:75], v[76:77], v[78:79] op_sel_hi:[1,0,1]
	v_pk_fma_f32 v[74:75], v[74:75], v[76:77], v[78:79] neg_lo:[0,0,1] neg_hi:[0,0,1]
	s_delay_alu instid0(VALU_DEP_2)
	v_mov_b32_e32 v75, v81
	scratch_store_b64 off, v[74:75], off offset:16
.LBB98_325:
	s_wait_xcnt 0x0
	s_or_b32 exec_lo, exec_lo, s8
	scratch_load_b64 v[74:75], off, off offset:8
	v_cmp_lt_u32_e64 s0, 1, v0
	s_wait_loadcnt 0x0
	ds_store_b64 v1, v[74:75]
	s_wait_storecnt_dscnt 0x0
	s_barrier_signal -1
	s_barrier_wait -1
	s_wait_xcnt 0x0
	s_and_saveexec_b32 s7, s0
	s_cbranch_execz .LBB98_335
; %bb.326:
	s_and_not1_b32 vcc_lo, exec_lo, s5
	s_cbranch_vccnz .LBB98_328
; %bb.327:
	scratch_load_b64 v[74:75], v59, off
	ds_load_b64 v[76:77], v1
	s_wait_loadcnt_dscnt 0x0
	v_pk_mul_f32 v[78:79], v[76:77], v[74:75] op_sel:[1,1] op_sel_hi:[0,1]
	s_delay_alu instid0(VALU_DEP_1) | instskip(SKIP_1) | instid1(VALU_DEP_2)
	v_pk_fma_f32 v[80:81], v[76:77], v[74:75], v[78:79] op_sel_hi:[1,0,1]
	v_pk_fma_f32 v[74:75], v[76:77], v[74:75], v[78:79] neg_lo:[0,0,1] neg_hi:[0,0,1]
	v_mov_b32_e32 v75, v81
	s_cbranch_execz .LBB98_329
	s_branch .LBB98_330
.LBB98_328:
                                        ; implicit-def: $vgpr74_vgpr75
.LBB98_329:
	ds_load_b64 v[74:75], v1
.LBB98_330:
	s_and_saveexec_b32 s8, s1
	s_cbranch_execz .LBB98_334
; %bb.331:
	v_add_nc_u32_e32 v76, -2, v0
	s_movk_i32 s9, 0x130
	s_mov_b32 s1, 0
.LBB98_332:                             ; =>This Inner Loop Header: Depth=1
	scratch_load_b64 v[78:79], off, s6
	v_dual_mov_b32 v77, s9 :: v_dual_add_nc_u32 v76, -1, v76
	s_add_co_i32 s9, s9, 8
	s_wait_xcnt 0x0
	s_add_co_i32 s6, s6, 8
	ds_load_b64 v[80:81], v77
	v_cmp_eq_u32_e32 vcc_lo, 0, v76
	s_or_b32 s1, vcc_lo, s1
	s_wait_loadcnt_dscnt 0x0
	v_pk_mul_f32 v[82:83], v[80:81], v[78:79] op_sel:[1,1] op_sel_hi:[0,1]
	s_delay_alu instid0(VALU_DEP_1) | instskip(SKIP_1) | instid1(VALU_DEP_2)
	v_pk_fma_f32 v[84:85], v[80:81], v[78:79], v[82:83] op_sel_hi:[1,0,1]
	v_pk_fma_f32 v[78:79], v[80:81], v[78:79], v[82:83] neg_lo:[0,0,1] neg_hi:[0,0,1]
	v_mov_b32_e32 v79, v85
	s_delay_alu instid0(VALU_DEP_1)
	v_pk_add_f32 v[74:75], v[74:75], v[78:79]
	s_and_not1_b32 exec_lo, exec_lo, s1
	s_cbranch_execnz .LBB98_332
; %bb.333:
	s_or_b32 exec_lo, exec_lo, s1
.LBB98_334:
	s_delay_alu instid0(SALU_CYCLE_1) | instskip(SKIP_4) | instid1(VALU_DEP_1)
	s_or_b32 exec_lo, exec_lo, s8
	v_mov_b32_e32 v76, 0
	ds_load_b64 v[76:77], v76 offset:8
	s_wait_dscnt 0x0
	v_pk_mul_f32 v[78:79], v[74:75], v[76:77] op_sel:[1,1] op_sel_hi:[0,1]
	v_pk_fma_f32 v[80:81], v[74:75], v[76:77], v[78:79] op_sel_hi:[1,0,1]
	v_pk_fma_f32 v[74:75], v[74:75], v[76:77], v[78:79] neg_lo:[0,0,1] neg_hi:[0,0,1]
	s_delay_alu instid0(VALU_DEP_2)
	v_mov_b32_e32 v75, v81
	scratch_store_b64 off, v[74:75], off offset:8
.LBB98_335:
	s_wait_xcnt 0x0
	s_or_b32 exec_lo, exec_lo, s7
	scratch_load_b64 v[74:75], off, off
	s_mov_b32 s6, 0
	s_mov_b32 s1, 0
	s_mov_b32 s8, exec_lo
                                        ; implicit-def: $vgpr104
                                        ; implicit-def: $sgpr7
	s_wait_loadcnt 0x0
	ds_store_b64 v1, v[74:75]
	s_wait_storecnt_dscnt 0x0
	s_barrier_signal -1
	s_barrier_wait -1
	s_wait_xcnt 0x0
	v_cmpx_ne_u32_e32 0, v0
	s_cbranch_execz .LBB98_345
; %bb.336:
	s_and_not1_b32 vcc_lo, exec_lo, s5
	s_cbranch_vccnz .LBB98_338
; %bb.337:
	scratch_load_b64 v[76:77], v59, off
	ds_load_b64 v[78:79], v1
	s_wait_loadcnt_dscnt 0x0
	v_dual_mul_f32 v74, v79, v77 :: v_dual_mul_f32 v75, v78, v77
	s_delay_alu instid0(VALU_DEP_1)
	v_dual_fma_f32 v74, v78, v76, -v74 :: v_dual_fmac_f32 v75, v79, v76
	s_and_not1_b32 vcc_lo, exec_lo, s1
	s_cbranch_vccz .LBB98_339
	s_branch .LBB98_340
.LBB98_338:
                                        ; implicit-def: $vgpr74
.LBB98_339:
	ds_load_b64 v[74:75], v1
.LBB98_340:
	s_and_saveexec_b32 s1, s0
	s_cbranch_execz .LBB98_344
; %bb.341:
	v_add_nc_u32_e32 v76, -1, v0
	s_movk_i32 s7, 0x128
	s_mov_b32 s0, 0
.LBB98_342:                             ; =>This Inner Loop Header: Depth=1
	scratch_load_b64 v[78:79], off, s4
	v_mov_b32_e32 v77, s7
	s_add_co_i32 s7, s7, 8
	s_wait_xcnt 0x0
	s_add_co_i32 s4, s4, 8
	v_add_nc_u32_e32 v76, -1, v76
	ds_load_b64 v[80:81], v77
	v_cmp_eq_u32_e32 vcc_lo, 0, v76
	s_or_b32 s0, vcc_lo, s0
	s_wait_loadcnt_dscnt 0x0
	v_dual_mul_f32 v77, v81, v79 :: v_dual_mul_f32 v79, v80, v79
	s_delay_alu instid0(VALU_DEP_1) | instskip(NEXT) | instid1(VALU_DEP_1)
	v_dual_fma_f32 v77, v80, v78, -v77 :: v_dual_fmac_f32 v79, v81, v78
	v_dual_add_f32 v74, v74, v77 :: v_dual_add_f32 v75, v75, v79
	s_and_not1_b32 exec_lo, exec_lo, s0
	s_cbranch_execnz .LBB98_342
; %bb.343:
	s_or_b32 exec_lo, exec_lo, s0
.LBB98_344:
	s_delay_alu instid0(SALU_CYCLE_1)
	s_or_b32 exec_lo, exec_lo, s1
	v_mov_b32_e32 v76, 0
	s_mov_b32 s1, exec_lo
	s_or_b32 s7, 0, 4
	ds_load_b64 v[76:77], v76
	s_wait_dscnt 0x0
	v_dual_mul_f32 v78, v75, v77 :: v_dual_mul_f32 v104, v74, v77
	s_delay_alu instid0(VALU_DEP_1)
	v_dual_fma_f32 v74, v74, v76, -v78 :: v_dual_fmac_f32 v104, v75, v76
	scratch_store_b32 off, v74, off
.LBB98_345:
	s_wait_xcnt 0x0
	s_or_b32 exec_lo, exec_lo, s8
	s_delay_alu instid0(SALU_CYCLE_1)
	s_and_b32 vcc_lo, exec_lo, s6
	s_cbranch_vccz .LBB98_681
.LBB98_346:
	scratch_load_b64 v[74:75], off, off offset:8
	v_cmp_eq_u32_e64 s0, 0, v0
	s_wait_loadcnt 0x0
	ds_store_b64 v1, v[74:75]
	s_wait_storecnt_dscnt 0x0
	s_barrier_signal -1
	s_barrier_wait -1
	s_wait_xcnt 0x0
	s_and_saveexec_b32 s4, s0
	s_cbranch_execz .LBB98_352
; %bb.347:
	s_and_b32 vcc_lo, exec_lo, s5
	s_cbranch_vccz .LBB98_349
; %bb.348:
	scratch_load_b64 v[74:75], v59, off
	ds_load_b64 v[76:77], v1
	s_wait_loadcnt_dscnt 0x0
	v_pk_mul_f32 v[78:79], v[76:77], v[74:75] op_sel:[1,1] op_sel_hi:[0,1]
	v_pk_mul_f32 v[80:81], v[76:77], v[74:75] op_sel_hi:[1,0]
	s_delay_alu instid0(VALU_DEP_2) | instskip(NEXT) | instid1(VALU_DEP_2)
	v_pk_fma_f32 v[74:75], v[76:77], v[74:75], v[78:79] op_sel_hi:[1,0,1]
	v_sub_f32_e32 v74, v80, v78
	s_cbranch_execz .LBB98_350
	s_branch .LBB98_351
.LBB98_349:
                                        ; implicit-def: $vgpr75
.LBB98_350:
	ds_load_b64 v[74:75], v1
.LBB98_351:
	s_wait_dscnt 0x0
	v_dual_mov_b32 v76, 0 :: v_dual_mov_b32 v78, v75
	v_mov_b32_e32 v79, v74
	ds_load_b64 v[76:77], v76 offset:8
	s_wait_dscnt 0x0
	v_pk_mul_f32 v[78:79], v[78:79], v[76:77] op_sel:[0,1]
	s_delay_alu instid0(VALU_DEP_1) | instskip(SKIP_1) | instid1(VALU_DEP_2)
	v_pk_fma_f32 v[80:81], v[74:75], v[76:77], v[78:79] op_sel_hi:[1,0,1]
	v_pk_fma_f32 v[74:75], v[74:75], v[76:77], v[78:79] neg_lo:[0,0,1] neg_hi:[0,0,1]
	v_mov_b32_e32 v75, v81
	scratch_store_b64 off, v[74:75], off offset:8
.LBB98_352:
	s_wait_xcnt 0x0
	s_or_b32 exec_lo, exec_lo, s4
	scratch_load_b64 v[74:75], off, off offset:16
	v_cndmask_b32_e64 v76, 0, 1, s5
	s_mov_b32 s4, exec_lo
	s_wait_loadcnt 0x0
	ds_store_b64 v1, v[74:75]
	s_wait_storecnt_dscnt 0x0
	s_barrier_signal -1
	s_barrier_wait -1
	s_wait_xcnt 0x0
	v_cmpx_gt_u32_e32 2, v0
	s_cbranch_execz .LBB98_360
; %bb.353:
	s_and_not1_b32 vcc_lo, exec_lo, s5
	s_cbranch_vccnz .LBB98_355
; %bb.354:
	scratch_load_b64 v[74:75], v59, off
	ds_load_b64 v[78:79], v1
	s_wait_loadcnt_dscnt 0x0
	v_pk_mul_f32 v[80:81], v[78:79], v[74:75] op_sel:[1,1] op_sel_hi:[0,1]
	s_delay_alu instid0(VALU_DEP_1) | instskip(SKIP_1) | instid1(VALU_DEP_2)
	v_pk_fma_f32 v[82:83], v[78:79], v[74:75], v[80:81] op_sel_hi:[1,0,1]
	v_pk_fma_f32 v[74:75], v[78:79], v[74:75], v[80:81] neg_lo:[0,0,1] neg_hi:[0,0,1]
	v_mov_b32_e32 v75, v83
	s_cbranch_execz .LBB98_356
	s_branch .LBB98_357
.LBB98_355:
                                        ; implicit-def: $vgpr74_vgpr75
.LBB98_356:
	ds_load_b64 v[74:75], v1
.LBB98_357:
	s_and_saveexec_b32 s5, s0
	s_cbranch_execz .LBB98_359
; %bb.358:
	scratch_load_b64 v[78:79], off, off offset:8
	v_mov_b32_e32 v77, 0
	ds_load_b64 v[80:81], v77 offset:296
	s_wait_loadcnt_dscnt 0x0
	v_pk_mul_f32 v[82:83], v[80:81], v[78:79] op_sel:[1,1] op_sel_hi:[0,1]
	s_delay_alu instid0(VALU_DEP_1) | instskip(SKIP_1) | instid1(VALU_DEP_2)
	v_pk_fma_f32 v[84:85], v[80:81], v[78:79], v[82:83] op_sel_hi:[1,0,1]
	v_pk_fma_f32 v[78:79], v[80:81], v[78:79], v[82:83] neg_lo:[0,0,1] neg_hi:[0,0,1]
	v_mov_b32_e32 v79, v85
	s_delay_alu instid0(VALU_DEP_1)
	v_pk_add_f32 v[74:75], v[74:75], v[78:79]
.LBB98_359:
	s_or_b32 exec_lo, exec_lo, s5
	v_mov_b32_e32 v77, 0
	ds_load_b64 v[78:79], v77 offset:16
	s_wait_dscnt 0x0
	v_pk_mul_f32 v[80:81], v[74:75], v[78:79] op_sel:[1,1] op_sel_hi:[0,1]
	s_delay_alu instid0(VALU_DEP_1) | instskip(SKIP_1) | instid1(VALU_DEP_2)
	v_pk_fma_f32 v[82:83], v[74:75], v[78:79], v[80:81] op_sel_hi:[1,0,1]
	v_pk_fma_f32 v[74:75], v[74:75], v[78:79], v[80:81] neg_lo:[0,0,1] neg_hi:[0,0,1]
	v_mov_b32_e32 v75, v83
	scratch_store_b64 off, v[74:75], off offset:16
.LBB98_360:
	s_wait_xcnt 0x0
	s_or_b32 exec_lo, exec_lo, s4
	scratch_load_b64 v[74:75], off, off offset:24
	s_mov_b32 s4, exec_lo
	s_wait_loadcnt 0x0
	ds_store_b64 v1, v[74:75]
	s_wait_storecnt_dscnt 0x0
	s_barrier_signal -1
	s_barrier_wait -1
	s_wait_xcnt 0x0
	v_cmpx_gt_u32_e32 3, v0
	s_cbranch_execz .LBB98_370
; %bb.361:
	v_cmp_ne_u32_e32 vcc_lo, 1, v76
	s_cbranch_vccnz .LBB98_363
; %bb.362:
	scratch_load_b64 v[74:75], v59, off
	ds_load_b64 v[78:79], v1
	s_wait_loadcnt_dscnt 0x0
	v_pk_mul_f32 v[80:81], v[78:79], v[74:75] op_sel:[1,1] op_sel_hi:[0,1]
	s_delay_alu instid0(VALU_DEP_1) | instskip(SKIP_1) | instid1(VALU_DEP_2)
	v_pk_fma_f32 v[82:83], v[78:79], v[74:75], v[80:81] op_sel_hi:[1,0,1]
	v_pk_fma_f32 v[74:75], v[78:79], v[74:75], v[80:81] neg_lo:[0,0,1] neg_hi:[0,0,1]
	v_mov_b32_e32 v75, v83
	s_cbranch_execz .LBB98_364
	s_branch .LBB98_365
.LBB98_363:
                                        ; implicit-def: $vgpr74_vgpr75
.LBB98_364:
	ds_load_b64 v[74:75], v1
.LBB98_365:
	s_mov_b32 s5, exec_lo
	v_cmpx_ne_u32_e32 2, v0
	s_cbranch_execz .LBB98_369
; %bb.366:
	scratch_load_b64 v[78:79], v59, off offset:8
	ds_load_b64 v[80:81], v1 offset:8
	s_wait_loadcnt_dscnt 0x0
	v_pk_mul_f32 v[82:83], v[80:81], v[78:79] op_sel:[1,1] op_sel_hi:[0,1]
	s_delay_alu instid0(VALU_DEP_1) | instskip(SKIP_1) | instid1(VALU_DEP_2)
	v_pk_fma_f32 v[84:85], v[80:81], v[78:79], v[82:83] op_sel_hi:[1,0,1]
	v_pk_fma_f32 v[78:79], v[80:81], v[78:79], v[82:83] neg_lo:[0,0,1] neg_hi:[0,0,1]
	v_mov_b32_e32 v79, v85
	s_delay_alu instid0(VALU_DEP_1)
	v_pk_add_f32 v[74:75], v[74:75], v[78:79]
	s_and_saveexec_b32 s6, s0
	s_cbranch_execz .LBB98_368
; %bb.367:
	scratch_load_b64 v[78:79], off, off offset:16
	v_mov_b32_e32 v77, 0
	ds_load_b64 v[80:81], v77 offset:304
	s_wait_loadcnt_dscnt 0x0
	v_pk_mul_f32 v[82:83], v[80:81], v[78:79] op_sel:[1,1] op_sel_hi:[0,1]
	s_delay_alu instid0(VALU_DEP_1) | instskip(SKIP_1) | instid1(VALU_DEP_2)
	v_pk_fma_f32 v[84:85], v[80:81], v[78:79], v[82:83] op_sel_hi:[1,0,1]
	v_pk_fma_f32 v[78:79], v[80:81], v[78:79], v[82:83] neg_lo:[0,0,1] neg_hi:[0,0,1]
	v_mov_b32_e32 v79, v85
	s_delay_alu instid0(VALU_DEP_1)
	v_pk_add_f32 v[74:75], v[74:75], v[78:79]
.LBB98_368:
	s_or_b32 exec_lo, exec_lo, s6
.LBB98_369:
	s_delay_alu instid0(SALU_CYCLE_1) | instskip(SKIP_4) | instid1(VALU_DEP_1)
	s_or_b32 exec_lo, exec_lo, s5
	v_mov_b32_e32 v77, 0
	ds_load_b64 v[78:79], v77 offset:24
	s_wait_dscnt 0x0
	v_pk_mul_f32 v[80:81], v[74:75], v[78:79] op_sel:[1,1] op_sel_hi:[0,1]
	v_pk_fma_f32 v[82:83], v[74:75], v[78:79], v[80:81] op_sel_hi:[1,0,1]
	v_pk_fma_f32 v[74:75], v[74:75], v[78:79], v[80:81] neg_lo:[0,0,1] neg_hi:[0,0,1]
	s_delay_alu instid0(VALU_DEP_2)
	v_mov_b32_e32 v75, v83
	scratch_store_b64 off, v[74:75], off offset:24
.LBB98_370:
	s_wait_xcnt 0x0
	s_or_b32 exec_lo, exec_lo, s4
	scratch_load_b64 v[74:75], off, off offset:32
	s_mov_b32 s0, exec_lo
	s_wait_loadcnt 0x0
	ds_store_b64 v1, v[74:75]
	s_wait_storecnt_dscnt 0x0
	s_barrier_signal -1
	s_barrier_wait -1
	s_wait_xcnt 0x0
	v_cmpx_gt_u32_e32 4, v0
	s_cbranch_execz .LBB98_380
; %bb.371:
	v_cmp_ne_u32_e32 vcc_lo, 1, v76
	s_cbranch_vccnz .LBB98_373
; %bb.372:
	scratch_load_b64 v[74:75], v59, off
	ds_load_b64 v[78:79], v1
	s_wait_loadcnt_dscnt 0x0
	v_pk_mul_f32 v[80:81], v[78:79], v[74:75] op_sel:[1,1] op_sel_hi:[0,1]
	s_delay_alu instid0(VALU_DEP_1) | instskip(SKIP_1) | instid1(VALU_DEP_2)
	v_pk_fma_f32 v[82:83], v[78:79], v[74:75], v[80:81] op_sel_hi:[1,0,1]
	v_pk_fma_f32 v[74:75], v[78:79], v[74:75], v[80:81] neg_lo:[0,0,1] neg_hi:[0,0,1]
	v_mov_b32_e32 v75, v83
	s_cbranch_execz .LBB98_374
	s_branch .LBB98_375
.LBB98_373:
                                        ; implicit-def: $vgpr74_vgpr75
.LBB98_374:
	ds_load_b64 v[74:75], v1
.LBB98_375:
	s_mov_b32 s4, exec_lo
	v_cmpx_ne_u32_e32 3, v0
	s_cbranch_execz .LBB98_379
; %bb.376:
	v_add_nc_u32_e32 v77, 0x128, v58
	v_add3_u32 v78, 0, v58, 8
	v_mov_b32_e32 v79, v0
	s_mov_b32 s5, 0
.LBB98_377:                             ; =>This Inner Loop Header: Depth=1
	scratch_load_b64 v[80:81], v78, off
	ds_load_b64 v[82:83], v77
	s_wait_xcnt 0x0
	v_dual_add_nc_u32 v77, 8, v77 :: v_dual_add_nc_u32 v78, 8, v78
	s_wait_loadcnt_dscnt 0x0
	v_pk_mul_f32 v[84:85], v[82:83], v[80:81] op_sel:[1,1] op_sel_hi:[0,1]
	s_delay_alu instid0(VALU_DEP_1) | instskip(SKIP_2) | instid1(VALU_DEP_3)
	v_pk_fma_f32 v[86:87], v[82:83], v[80:81], v[84:85] op_sel_hi:[1,0,1]
	v_add_nc_u32_e32 v79, 1, v79
	v_pk_fma_f32 v[80:81], v[82:83], v[80:81], v[84:85] neg_lo:[0,0,1] neg_hi:[0,0,1]
	v_mov_b32_e32 v81, v87
	s_delay_alu instid0(VALU_DEP_3) | instskip(NEXT) | instid1(VALU_DEP_2)
	v_cmp_lt_u32_e32 vcc_lo, 2, v79
	v_pk_add_f32 v[74:75], v[74:75], v[80:81]
	s_or_b32 s5, vcc_lo, s5
	s_delay_alu instid0(SALU_CYCLE_1)
	s_and_not1_b32 exec_lo, exec_lo, s5
	s_cbranch_execnz .LBB98_377
; %bb.378:
	s_or_b32 exec_lo, exec_lo, s5
.LBB98_379:
	s_delay_alu instid0(SALU_CYCLE_1) | instskip(SKIP_4) | instid1(VALU_DEP_1)
	s_or_b32 exec_lo, exec_lo, s4
	v_mov_b32_e32 v77, 0
	ds_load_b64 v[78:79], v77 offset:32
	s_wait_dscnt 0x0
	v_pk_mul_f32 v[80:81], v[74:75], v[78:79] op_sel:[1,1] op_sel_hi:[0,1]
	v_pk_fma_f32 v[82:83], v[74:75], v[78:79], v[80:81] op_sel_hi:[1,0,1]
	v_pk_fma_f32 v[74:75], v[74:75], v[78:79], v[80:81] neg_lo:[0,0,1] neg_hi:[0,0,1]
	s_delay_alu instid0(VALU_DEP_2)
	v_mov_b32_e32 v75, v83
	scratch_store_b64 off, v[74:75], off offset:32
.LBB98_380:
	s_wait_xcnt 0x0
	s_or_b32 exec_lo, exec_lo, s0
	scratch_load_b64 v[74:75], off, off offset:40
	s_mov_b32 s0, exec_lo
	s_wait_loadcnt 0x0
	ds_store_b64 v1, v[74:75]
	s_wait_storecnt_dscnt 0x0
	s_barrier_signal -1
	s_barrier_wait -1
	s_wait_xcnt 0x0
	v_cmpx_gt_u32_e32 5, v0
	s_cbranch_execz .LBB98_390
; %bb.381:
	v_cmp_ne_u32_e32 vcc_lo, 1, v76
	s_cbranch_vccnz .LBB98_383
; %bb.382:
	scratch_load_b64 v[74:75], v59, off
	ds_load_b64 v[78:79], v1
	s_wait_loadcnt_dscnt 0x0
	v_pk_mul_f32 v[80:81], v[78:79], v[74:75] op_sel:[1,1] op_sel_hi:[0,1]
	s_delay_alu instid0(VALU_DEP_1) | instskip(SKIP_1) | instid1(VALU_DEP_2)
	v_pk_fma_f32 v[82:83], v[78:79], v[74:75], v[80:81] op_sel_hi:[1,0,1]
	v_pk_fma_f32 v[74:75], v[78:79], v[74:75], v[80:81] neg_lo:[0,0,1] neg_hi:[0,0,1]
	v_mov_b32_e32 v75, v83
	s_cbranch_execz .LBB98_384
	s_branch .LBB98_385
.LBB98_383:
                                        ; implicit-def: $vgpr74_vgpr75
.LBB98_384:
	ds_load_b64 v[74:75], v1
.LBB98_385:
	s_mov_b32 s4, exec_lo
	v_cmpx_ne_u32_e32 4, v0
	s_cbranch_execz .LBB98_389
; %bb.386:
	v_add_nc_u32_e32 v77, 0x128, v58
	v_add3_u32 v78, 0, v58, 8
	v_mov_b32_e32 v79, v0
	s_mov_b32 s5, 0
.LBB98_387:                             ; =>This Inner Loop Header: Depth=1
	scratch_load_b64 v[80:81], v78, off
	ds_load_b64 v[82:83], v77
	s_wait_xcnt 0x0
	v_dual_add_nc_u32 v77, 8, v77 :: v_dual_add_nc_u32 v78, 8, v78
	s_wait_loadcnt_dscnt 0x0
	v_pk_mul_f32 v[84:85], v[82:83], v[80:81] op_sel:[1,1] op_sel_hi:[0,1]
	s_delay_alu instid0(VALU_DEP_1) | instskip(SKIP_2) | instid1(VALU_DEP_3)
	v_pk_fma_f32 v[86:87], v[82:83], v[80:81], v[84:85] op_sel_hi:[1,0,1]
	v_add_nc_u32_e32 v79, 1, v79
	v_pk_fma_f32 v[80:81], v[82:83], v[80:81], v[84:85] neg_lo:[0,0,1] neg_hi:[0,0,1]
	v_mov_b32_e32 v81, v87
	s_delay_alu instid0(VALU_DEP_3) | instskip(NEXT) | instid1(VALU_DEP_2)
	v_cmp_lt_u32_e32 vcc_lo, 3, v79
	v_pk_add_f32 v[74:75], v[74:75], v[80:81]
	s_or_b32 s5, vcc_lo, s5
	s_delay_alu instid0(SALU_CYCLE_1)
	s_and_not1_b32 exec_lo, exec_lo, s5
	s_cbranch_execnz .LBB98_387
; %bb.388:
	s_or_b32 exec_lo, exec_lo, s5
.LBB98_389:
	s_delay_alu instid0(SALU_CYCLE_1) | instskip(SKIP_4) | instid1(VALU_DEP_1)
	s_or_b32 exec_lo, exec_lo, s4
	v_mov_b32_e32 v77, 0
	ds_load_b64 v[78:79], v77 offset:40
	s_wait_dscnt 0x0
	v_pk_mul_f32 v[80:81], v[74:75], v[78:79] op_sel:[1,1] op_sel_hi:[0,1]
	v_pk_fma_f32 v[82:83], v[74:75], v[78:79], v[80:81] op_sel_hi:[1,0,1]
	v_pk_fma_f32 v[74:75], v[74:75], v[78:79], v[80:81] neg_lo:[0,0,1] neg_hi:[0,0,1]
	s_delay_alu instid0(VALU_DEP_2)
	v_mov_b32_e32 v75, v83
	scratch_store_b64 off, v[74:75], off offset:40
.LBB98_390:
	s_wait_xcnt 0x0
	s_or_b32 exec_lo, exec_lo, s0
	scratch_load_b64 v[74:75], off, off offset:48
	s_mov_b32 s0, exec_lo
	s_wait_loadcnt 0x0
	ds_store_b64 v1, v[74:75]
	s_wait_storecnt_dscnt 0x0
	s_barrier_signal -1
	s_barrier_wait -1
	s_wait_xcnt 0x0
	v_cmpx_gt_u32_e32 6, v0
	s_cbranch_execz .LBB98_400
; %bb.391:
	v_cmp_ne_u32_e32 vcc_lo, 1, v76
	s_cbranch_vccnz .LBB98_393
; %bb.392:
	scratch_load_b64 v[74:75], v59, off
	ds_load_b64 v[78:79], v1
	s_wait_loadcnt_dscnt 0x0
	v_pk_mul_f32 v[80:81], v[78:79], v[74:75] op_sel:[1,1] op_sel_hi:[0,1]
	s_delay_alu instid0(VALU_DEP_1) | instskip(SKIP_1) | instid1(VALU_DEP_2)
	v_pk_fma_f32 v[82:83], v[78:79], v[74:75], v[80:81] op_sel_hi:[1,0,1]
	v_pk_fma_f32 v[74:75], v[78:79], v[74:75], v[80:81] neg_lo:[0,0,1] neg_hi:[0,0,1]
	v_mov_b32_e32 v75, v83
	s_cbranch_execz .LBB98_394
	s_branch .LBB98_395
.LBB98_393:
                                        ; implicit-def: $vgpr74_vgpr75
.LBB98_394:
	ds_load_b64 v[74:75], v1
.LBB98_395:
	s_mov_b32 s4, exec_lo
	v_cmpx_ne_u32_e32 5, v0
	s_cbranch_execz .LBB98_399
; %bb.396:
	v_add_nc_u32_e32 v77, 0x128, v58
	v_add3_u32 v78, 0, v58, 8
	v_mov_b32_e32 v79, v0
	s_mov_b32 s5, 0
.LBB98_397:                             ; =>This Inner Loop Header: Depth=1
	scratch_load_b64 v[80:81], v78, off
	ds_load_b64 v[82:83], v77
	s_wait_xcnt 0x0
	v_dual_add_nc_u32 v77, 8, v77 :: v_dual_add_nc_u32 v78, 8, v78
	s_wait_loadcnt_dscnt 0x0
	v_pk_mul_f32 v[84:85], v[82:83], v[80:81] op_sel:[1,1] op_sel_hi:[0,1]
	s_delay_alu instid0(VALU_DEP_1) | instskip(SKIP_2) | instid1(VALU_DEP_3)
	v_pk_fma_f32 v[86:87], v[82:83], v[80:81], v[84:85] op_sel_hi:[1,0,1]
	v_add_nc_u32_e32 v79, 1, v79
	v_pk_fma_f32 v[80:81], v[82:83], v[80:81], v[84:85] neg_lo:[0,0,1] neg_hi:[0,0,1]
	v_mov_b32_e32 v81, v87
	s_delay_alu instid0(VALU_DEP_3) | instskip(NEXT) | instid1(VALU_DEP_2)
	v_cmp_lt_u32_e32 vcc_lo, 4, v79
	v_pk_add_f32 v[74:75], v[74:75], v[80:81]
	s_or_b32 s5, vcc_lo, s5
	s_delay_alu instid0(SALU_CYCLE_1)
	s_and_not1_b32 exec_lo, exec_lo, s5
	s_cbranch_execnz .LBB98_397
; %bb.398:
	s_or_b32 exec_lo, exec_lo, s5
.LBB98_399:
	s_delay_alu instid0(SALU_CYCLE_1) | instskip(SKIP_4) | instid1(VALU_DEP_1)
	s_or_b32 exec_lo, exec_lo, s4
	v_mov_b32_e32 v77, 0
	ds_load_b64 v[78:79], v77 offset:48
	s_wait_dscnt 0x0
	v_pk_mul_f32 v[80:81], v[74:75], v[78:79] op_sel:[1,1] op_sel_hi:[0,1]
	v_pk_fma_f32 v[82:83], v[74:75], v[78:79], v[80:81] op_sel_hi:[1,0,1]
	v_pk_fma_f32 v[74:75], v[74:75], v[78:79], v[80:81] neg_lo:[0,0,1] neg_hi:[0,0,1]
	s_delay_alu instid0(VALU_DEP_2)
	v_mov_b32_e32 v75, v83
	scratch_store_b64 off, v[74:75], off offset:48
.LBB98_400:
	s_wait_xcnt 0x0
	s_or_b32 exec_lo, exec_lo, s0
	scratch_load_b64 v[74:75], off, off offset:56
	s_mov_b32 s0, exec_lo
	s_wait_loadcnt 0x0
	ds_store_b64 v1, v[74:75]
	s_wait_storecnt_dscnt 0x0
	s_barrier_signal -1
	s_barrier_wait -1
	s_wait_xcnt 0x0
	v_cmpx_gt_u32_e32 7, v0
	s_cbranch_execz .LBB98_410
; %bb.401:
	v_cmp_ne_u32_e32 vcc_lo, 1, v76
	s_cbranch_vccnz .LBB98_403
; %bb.402:
	scratch_load_b64 v[74:75], v59, off
	ds_load_b64 v[78:79], v1
	s_wait_loadcnt_dscnt 0x0
	v_pk_mul_f32 v[80:81], v[78:79], v[74:75] op_sel:[1,1] op_sel_hi:[0,1]
	s_delay_alu instid0(VALU_DEP_1) | instskip(SKIP_1) | instid1(VALU_DEP_2)
	v_pk_fma_f32 v[82:83], v[78:79], v[74:75], v[80:81] op_sel_hi:[1,0,1]
	v_pk_fma_f32 v[74:75], v[78:79], v[74:75], v[80:81] neg_lo:[0,0,1] neg_hi:[0,0,1]
	v_mov_b32_e32 v75, v83
	s_cbranch_execz .LBB98_404
	s_branch .LBB98_405
.LBB98_403:
                                        ; implicit-def: $vgpr74_vgpr75
.LBB98_404:
	ds_load_b64 v[74:75], v1
.LBB98_405:
	s_mov_b32 s4, exec_lo
	v_cmpx_ne_u32_e32 6, v0
	s_cbranch_execz .LBB98_409
; %bb.406:
	v_add_nc_u32_e32 v77, 0x128, v58
	v_add3_u32 v78, 0, v58, 8
	v_mov_b32_e32 v79, v0
	s_mov_b32 s5, 0
.LBB98_407:                             ; =>This Inner Loop Header: Depth=1
	scratch_load_b64 v[80:81], v78, off
	ds_load_b64 v[82:83], v77
	s_wait_xcnt 0x0
	v_dual_add_nc_u32 v77, 8, v77 :: v_dual_add_nc_u32 v78, 8, v78
	s_wait_loadcnt_dscnt 0x0
	v_pk_mul_f32 v[84:85], v[82:83], v[80:81] op_sel:[1,1] op_sel_hi:[0,1]
	s_delay_alu instid0(VALU_DEP_1) | instskip(SKIP_2) | instid1(VALU_DEP_3)
	v_pk_fma_f32 v[86:87], v[82:83], v[80:81], v[84:85] op_sel_hi:[1,0,1]
	v_add_nc_u32_e32 v79, 1, v79
	v_pk_fma_f32 v[80:81], v[82:83], v[80:81], v[84:85] neg_lo:[0,0,1] neg_hi:[0,0,1]
	v_mov_b32_e32 v81, v87
	s_delay_alu instid0(VALU_DEP_3) | instskip(NEXT) | instid1(VALU_DEP_2)
	v_cmp_lt_u32_e32 vcc_lo, 5, v79
	v_pk_add_f32 v[74:75], v[74:75], v[80:81]
	s_or_b32 s5, vcc_lo, s5
	s_delay_alu instid0(SALU_CYCLE_1)
	s_and_not1_b32 exec_lo, exec_lo, s5
	s_cbranch_execnz .LBB98_407
; %bb.408:
	s_or_b32 exec_lo, exec_lo, s5
.LBB98_409:
	s_delay_alu instid0(SALU_CYCLE_1) | instskip(SKIP_4) | instid1(VALU_DEP_1)
	s_or_b32 exec_lo, exec_lo, s4
	v_mov_b32_e32 v77, 0
	ds_load_b64 v[78:79], v77 offset:56
	s_wait_dscnt 0x0
	v_pk_mul_f32 v[80:81], v[74:75], v[78:79] op_sel:[1,1] op_sel_hi:[0,1]
	v_pk_fma_f32 v[82:83], v[74:75], v[78:79], v[80:81] op_sel_hi:[1,0,1]
	v_pk_fma_f32 v[74:75], v[74:75], v[78:79], v[80:81] neg_lo:[0,0,1] neg_hi:[0,0,1]
	s_delay_alu instid0(VALU_DEP_2)
	v_mov_b32_e32 v75, v83
	scratch_store_b64 off, v[74:75], off offset:56
.LBB98_410:
	s_wait_xcnt 0x0
	s_or_b32 exec_lo, exec_lo, s0
	scratch_load_b64 v[74:75], off, off offset:64
	s_mov_b32 s0, exec_lo
	s_wait_loadcnt 0x0
	ds_store_b64 v1, v[74:75]
	s_wait_storecnt_dscnt 0x0
	s_barrier_signal -1
	s_barrier_wait -1
	s_wait_xcnt 0x0
	v_cmpx_gt_u32_e32 8, v0
	s_cbranch_execz .LBB98_420
; %bb.411:
	v_cmp_ne_u32_e32 vcc_lo, 1, v76
	s_cbranch_vccnz .LBB98_413
; %bb.412:
	scratch_load_b64 v[74:75], v59, off
	ds_load_b64 v[78:79], v1
	s_wait_loadcnt_dscnt 0x0
	v_pk_mul_f32 v[80:81], v[78:79], v[74:75] op_sel:[1,1] op_sel_hi:[0,1]
	s_delay_alu instid0(VALU_DEP_1) | instskip(SKIP_1) | instid1(VALU_DEP_2)
	v_pk_fma_f32 v[82:83], v[78:79], v[74:75], v[80:81] op_sel_hi:[1,0,1]
	v_pk_fma_f32 v[74:75], v[78:79], v[74:75], v[80:81] neg_lo:[0,0,1] neg_hi:[0,0,1]
	v_mov_b32_e32 v75, v83
	s_cbranch_execz .LBB98_414
	s_branch .LBB98_415
.LBB98_413:
                                        ; implicit-def: $vgpr74_vgpr75
.LBB98_414:
	ds_load_b64 v[74:75], v1
.LBB98_415:
	s_mov_b32 s4, exec_lo
	v_cmpx_ne_u32_e32 7, v0
	s_cbranch_execz .LBB98_419
; %bb.416:
	v_add_nc_u32_e32 v77, 0x128, v58
	v_add3_u32 v78, 0, v58, 8
	v_mov_b32_e32 v79, v0
	s_mov_b32 s5, 0
.LBB98_417:                             ; =>This Inner Loop Header: Depth=1
	scratch_load_b64 v[80:81], v78, off
	ds_load_b64 v[82:83], v77
	s_wait_xcnt 0x0
	v_dual_add_nc_u32 v77, 8, v77 :: v_dual_add_nc_u32 v78, 8, v78
	s_wait_loadcnt_dscnt 0x0
	v_pk_mul_f32 v[84:85], v[82:83], v[80:81] op_sel:[1,1] op_sel_hi:[0,1]
	s_delay_alu instid0(VALU_DEP_1) | instskip(SKIP_2) | instid1(VALU_DEP_3)
	v_pk_fma_f32 v[86:87], v[82:83], v[80:81], v[84:85] op_sel_hi:[1,0,1]
	v_add_nc_u32_e32 v79, 1, v79
	v_pk_fma_f32 v[80:81], v[82:83], v[80:81], v[84:85] neg_lo:[0,0,1] neg_hi:[0,0,1]
	v_mov_b32_e32 v81, v87
	s_delay_alu instid0(VALU_DEP_3) | instskip(NEXT) | instid1(VALU_DEP_2)
	v_cmp_lt_u32_e32 vcc_lo, 6, v79
	v_pk_add_f32 v[74:75], v[74:75], v[80:81]
	s_or_b32 s5, vcc_lo, s5
	s_delay_alu instid0(SALU_CYCLE_1)
	s_and_not1_b32 exec_lo, exec_lo, s5
	s_cbranch_execnz .LBB98_417
; %bb.418:
	s_or_b32 exec_lo, exec_lo, s5
.LBB98_419:
	s_delay_alu instid0(SALU_CYCLE_1) | instskip(SKIP_4) | instid1(VALU_DEP_1)
	s_or_b32 exec_lo, exec_lo, s4
	v_mov_b32_e32 v77, 0
	ds_load_b64 v[78:79], v77 offset:64
	s_wait_dscnt 0x0
	v_pk_mul_f32 v[80:81], v[74:75], v[78:79] op_sel:[1,1] op_sel_hi:[0,1]
	v_pk_fma_f32 v[82:83], v[74:75], v[78:79], v[80:81] op_sel_hi:[1,0,1]
	v_pk_fma_f32 v[74:75], v[74:75], v[78:79], v[80:81] neg_lo:[0,0,1] neg_hi:[0,0,1]
	s_delay_alu instid0(VALU_DEP_2)
	v_mov_b32_e32 v75, v83
	scratch_store_b64 off, v[74:75], off offset:64
.LBB98_420:
	s_wait_xcnt 0x0
	s_or_b32 exec_lo, exec_lo, s0
	scratch_load_b64 v[74:75], off, off offset:72
	s_mov_b32 s0, exec_lo
	s_wait_loadcnt 0x0
	ds_store_b64 v1, v[74:75]
	s_wait_storecnt_dscnt 0x0
	s_barrier_signal -1
	s_barrier_wait -1
	s_wait_xcnt 0x0
	v_cmpx_gt_u32_e32 9, v0
	s_cbranch_execz .LBB98_430
; %bb.421:
	v_cmp_ne_u32_e32 vcc_lo, 1, v76
	s_cbranch_vccnz .LBB98_423
; %bb.422:
	scratch_load_b64 v[74:75], v59, off
	ds_load_b64 v[78:79], v1
	s_wait_loadcnt_dscnt 0x0
	v_pk_mul_f32 v[80:81], v[78:79], v[74:75] op_sel:[1,1] op_sel_hi:[0,1]
	s_delay_alu instid0(VALU_DEP_1) | instskip(SKIP_1) | instid1(VALU_DEP_2)
	v_pk_fma_f32 v[82:83], v[78:79], v[74:75], v[80:81] op_sel_hi:[1,0,1]
	v_pk_fma_f32 v[74:75], v[78:79], v[74:75], v[80:81] neg_lo:[0,0,1] neg_hi:[0,0,1]
	v_mov_b32_e32 v75, v83
	s_cbranch_execz .LBB98_424
	s_branch .LBB98_425
.LBB98_423:
                                        ; implicit-def: $vgpr74_vgpr75
.LBB98_424:
	ds_load_b64 v[74:75], v1
.LBB98_425:
	s_mov_b32 s4, exec_lo
	v_cmpx_ne_u32_e32 8, v0
	s_cbranch_execz .LBB98_429
; %bb.426:
	v_add_nc_u32_e32 v77, 0x128, v58
	v_add3_u32 v78, 0, v58, 8
	v_mov_b32_e32 v79, v0
	s_mov_b32 s5, 0
.LBB98_427:                             ; =>This Inner Loop Header: Depth=1
	scratch_load_b64 v[80:81], v78, off
	ds_load_b64 v[82:83], v77
	s_wait_xcnt 0x0
	v_dual_add_nc_u32 v77, 8, v77 :: v_dual_add_nc_u32 v78, 8, v78
	s_wait_loadcnt_dscnt 0x0
	v_pk_mul_f32 v[84:85], v[82:83], v[80:81] op_sel:[1,1] op_sel_hi:[0,1]
	s_delay_alu instid0(VALU_DEP_1) | instskip(SKIP_2) | instid1(VALU_DEP_3)
	v_pk_fma_f32 v[86:87], v[82:83], v[80:81], v[84:85] op_sel_hi:[1,0,1]
	v_add_nc_u32_e32 v79, 1, v79
	v_pk_fma_f32 v[80:81], v[82:83], v[80:81], v[84:85] neg_lo:[0,0,1] neg_hi:[0,0,1]
	v_mov_b32_e32 v81, v87
	s_delay_alu instid0(VALU_DEP_3) | instskip(NEXT) | instid1(VALU_DEP_2)
	v_cmp_lt_u32_e32 vcc_lo, 7, v79
	v_pk_add_f32 v[74:75], v[74:75], v[80:81]
	s_or_b32 s5, vcc_lo, s5
	s_delay_alu instid0(SALU_CYCLE_1)
	s_and_not1_b32 exec_lo, exec_lo, s5
	s_cbranch_execnz .LBB98_427
; %bb.428:
	s_or_b32 exec_lo, exec_lo, s5
.LBB98_429:
	s_delay_alu instid0(SALU_CYCLE_1) | instskip(SKIP_4) | instid1(VALU_DEP_1)
	s_or_b32 exec_lo, exec_lo, s4
	v_mov_b32_e32 v77, 0
	ds_load_b64 v[78:79], v77 offset:72
	s_wait_dscnt 0x0
	v_pk_mul_f32 v[80:81], v[74:75], v[78:79] op_sel:[1,1] op_sel_hi:[0,1]
	v_pk_fma_f32 v[82:83], v[74:75], v[78:79], v[80:81] op_sel_hi:[1,0,1]
	v_pk_fma_f32 v[74:75], v[74:75], v[78:79], v[80:81] neg_lo:[0,0,1] neg_hi:[0,0,1]
	s_delay_alu instid0(VALU_DEP_2)
	v_mov_b32_e32 v75, v83
	scratch_store_b64 off, v[74:75], off offset:72
.LBB98_430:
	s_wait_xcnt 0x0
	s_or_b32 exec_lo, exec_lo, s0
	scratch_load_b64 v[74:75], off, off offset:80
	s_mov_b32 s0, exec_lo
	s_wait_loadcnt 0x0
	ds_store_b64 v1, v[74:75]
	s_wait_storecnt_dscnt 0x0
	s_barrier_signal -1
	s_barrier_wait -1
	s_wait_xcnt 0x0
	v_cmpx_gt_u32_e32 10, v0
	s_cbranch_execz .LBB98_440
; %bb.431:
	v_cmp_ne_u32_e32 vcc_lo, 1, v76
	s_cbranch_vccnz .LBB98_433
; %bb.432:
	scratch_load_b64 v[74:75], v59, off
	ds_load_b64 v[78:79], v1
	s_wait_loadcnt_dscnt 0x0
	v_pk_mul_f32 v[80:81], v[78:79], v[74:75] op_sel:[1,1] op_sel_hi:[0,1]
	s_delay_alu instid0(VALU_DEP_1) | instskip(SKIP_1) | instid1(VALU_DEP_2)
	v_pk_fma_f32 v[82:83], v[78:79], v[74:75], v[80:81] op_sel_hi:[1,0,1]
	v_pk_fma_f32 v[74:75], v[78:79], v[74:75], v[80:81] neg_lo:[0,0,1] neg_hi:[0,0,1]
	v_mov_b32_e32 v75, v83
	s_cbranch_execz .LBB98_434
	s_branch .LBB98_435
.LBB98_433:
                                        ; implicit-def: $vgpr74_vgpr75
.LBB98_434:
	ds_load_b64 v[74:75], v1
.LBB98_435:
	s_mov_b32 s4, exec_lo
	v_cmpx_ne_u32_e32 9, v0
	s_cbranch_execz .LBB98_439
; %bb.436:
	v_add_nc_u32_e32 v77, 0x128, v58
	v_add3_u32 v78, 0, v58, 8
	v_mov_b32_e32 v79, v0
	s_mov_b32 s5, 0
.LBB98_437:                             ; =>This Inner Loop Header: Depth=1
	scratch_load_b64 v[80:81], v78, off
	ds_load_b64 v[82:83], v77
	s_wait_xcnt 0x0
	v_dual_add_nc_u32 v77, 8, v77 :: v_dual_add_nc_u32 v78, 8, v78
	s_wait_loadcnt_dscnt 0x0
	v_pk_mul_f32 v[84:85], v[82:83], v[80:81] op_sel:[1,1] op_sel_hi:[0,1]
	s_delay_alu instid0(VALU_DEP_1) | instskip(SKIP_2) | instid1(VALU_DEP_3)
	v_pk_fma_f32 v[86:87], v[82:83], v[80:81], v[84:85] op_sel_hi:[1,0,1]
	v_add_nc_u32_e32 v79, 1, v79
	v_pk_fma_f32 v[80:81], v[82:83], v[80:81], v[84:85] neg_lo:[0,0,1] neg_hi:[0,0,1]
	v_mov_b32_e32 v81, v87
	s_delay_alu instid0(VALU_DEP_3) | instskip(NEXT) | instid1(VALU_DEP_2)
	v_cmp_lt_u32_e32 vcc_lo, 8, v79
	v_pk_add_f32 v[74:75], v[74:75], v[80:81]
	s_or_b32 s5, vcc_lo, s5
	s_delay_alu instid0(SALU_CYCLE_1)
	s_and_not1_b32 exec_lo, exec_lo, s5
	s_cbranch_execnz .LBB98_437
; %bb.438:
	s_or_b32 exec_lo, exec_lo, s5
.LBB98_439:
	s_delay_alu instid0(SALU_CYCLE_1) | instskip(SKIP_4) | instid1(VALU_DEP_1)
	s_or_b32 exec_lo, exec_lo, s4
	v_mov_b32_e32 v77, 0
	ds_load_b64 v[78:79], v77 offset:80
	s_wait_dscnt 0x0
	v_pk_mul_f32 v[80:81], v[74:75], v[78:79] op_sel:[1,1] op_sel_hi:[0,1]
	v_pk_fma_f32 v[82:83], v[74:75], v[78:79], v[80:81] op_sel_hi:[1,0,1]
	v_pk_fma_f32 v[74:75], v[74:75], v[78:79], v[80:81] neg_lo:[0,0,1] neg_hi:[0,0,1]
	s_delay_alu instid0(VALU_DEP_2)
	v_mov_b32_e32 v75, v83
	scratch_store_b64 off, v[74:75], off offset:80
.LBB98_440:
	s_wait_xcnt 0x0
	s_or_b32 exec_lo, exec_lo, s0
	scratch_load_b64 v[74:75], off, off offset:88
	s_mov_b32 s0, exec_lo
	s_wait_loadcnt 0x0
	ds_store_b64 v1, v[74:75]
	s_wait_storecnt_dscnt 0x0
	s_barrier_signal -1
	s_barrier_wait -1
	s_wait_xcnt 0x0
	v_cmpx_gt_u32_e32 11, v0
	s_cbranch_execz .LBB98_450
; %bb.441:
	v_cmp_ne_u32_e32 vcc_lo, 1, v76
	s_cbranch_vccnz .LBB98_443
; %bb.442:
	scratch_load_b64 v[74:75], v59, off
	ds_load_b64 v[78:79], v1
	s_wait_loadcnt_dscnt 0x0
	v_pk_mul_f32 v[80:81], v[78:79], v[74:75] op_sel:[1,1] op_sel_hi:[0,1]
	s_delay_alu instid0(VALU_DEP_1) | instskip(SKIP_1) | instid1(VALU_DEP_2)
	v_pk_fma_f32 v[82:83], v[78:79], v[74:75], v[80:81] op_sel_hi:[1,0,1]
	v_pk_fma_f32 v[74:75], v[78:79], v[74:75], v[80:81] neg_lo:[0,0,1] neg_hi:[0,0,1]
	v_mov_b32_e32 v75, v83
	s_cbranch_execz .LBB98_444
	s_branch .LBB98_445
.LBB98_443:
                                        ; implicit-def: $vgpr74_vgpr75
.LBB98_444:
	ds_load_b64 v[74:75], v1
.LBB98_445:
	s_mov_b32 s4, exec_lo
	v_cmpx_ne_u32_e32 10, v0
	s_cbranch_execz .LBB98_449
; %bb.446:
	v_add_nc_u32_e32 v77, 0x128, v58
	v_add3_u32 v78, 0, v58, 8
	v_mov_b32_e32 v79, v0
	s_mov_b32 s5, 0
.LBB98_447:                             ; =>This Inner Loop Header: Depth=1
	scratch_load_b64 v[80:81], v78, off
	ds_load_b64 v[82:83], v77
	s_wait_xcnt 0x0
	v_dual_add_nc_u32 v77, 8, v77 :: v_dual_add_nc_u32 v78, 8, v78
	s_wait_loadcnt_dscnt 0x0
	v_pk_mul_f32 v[84:85], v[82:83], v[80:81] op_sel:[1,1] op_sel_hi:[0,1]
	s_delay_alu instid0(VALU_DEP_1) | instskip(SKIP_2) | instid1(VALU_DEP_3)
	v_pk_fma_f32 v[86:87], v[82:83], v[80:81], v[84:85] op_sel_hi:[1,0,1]
	v_add_nc_u32_e32 v79, 1, v79
	v_pk_fma_f32 v[80:81], v[82:83], v[80:81], v[84:85] neg_lo:[0,0,1] neg_hi:[0,0,1]
	v_mov_b32_e32 v81, v87
	s_delay_alu instid0(VALU_DEP_3) | instskip(NEXT) | instid1(VALU_DEP_2)
	v_cmp_lt_u32_e32 vcc_lo, 9, v79
	v_pk_add_f32 v[74:75], v[74:75], v[80:81]
	s_or_b32 s5, vcc_lo, s5
	s_delay_alu instid0(SALU_CYCLE_1)
	s_and_not1_b32 exec_lo, exec_lo, s5
	s_cbranch_execnz .LBB98_447
; %bb.448:
	s_or_b32 exec_lo, exec_lo, s5
.LBB98_449:
	s_delay_alu instid0(SALU_CYCLE_1) | instskip(SKIP_4) | instid1(VALU_DEP_1)
	s_or_b32 exec_lo, exec_lo, s4
	v_mov_b32_e32 v77, 0
	ds_load_b64 v[78:79], v77 offset:88
	s_wait_dscnt 0x0
	v_pk_mul_f32 v[80:81], v[74:75], v[78:79] op_sel:[1,1] op_sel_hi:[0,1]
	v_pk_fma_f32 v[82:83], v[74:75], v[78:79], v[80:81] op_sel_hi:[1,0,1]
	v_pk_fma_f32 v[74:75], v[74:75], v[78:79], v[80:81] neg_lo:[0,0,1] neg_hi:[0,0,1]
	s_delay_alu instid0(VALU_DEP_2)
	v_mov_b32_e32 v75, v83
	scratch_store_b64 off, v[74:75], off offset:88
.LBB98_450:
	s_wait_xcnt 0x0
	s_or_b32 exec_lo, exec_lo, s0
	scratch_load_b64 v[74:75], off, off offset:96
	s_mov_b32 s0, exec_lo
	s_wait_loadcnt 0x0
	ds_store_b64 v1, v[74:75]
	s_wait_storecnt_dscnt 0x0
	s_barrier_signal -1
	s_barrier_wait -1
	s_wait_xcnt 0x0
	v_cmpx_gt_u32_e32 12, v0
	s_cbranch_execz .LBB98_460
; %bb.451:
	v_cmp_ne_u32_e32 vcc_lo, 1, v76
	s_cbranch_vccnz .LBB98_453
; %bb.452:
	scratch_load_b64 v[74:75], v59, off
	ds_load_b64 v[78:79], v1
	s_wait_loadcnt_dscnt 0x0
	v_pk_mul_f32 v[80:81], v[78:79], v[74:75] op_sel:[1,1] op_sel_hi:[0,1]
	s_delay_alu instid0(VALU_DEP_1) | instskip(SKIP_1) | instid1(VALU_DEP_2)
	v_pk_fma_f32 v[82:83], v[78:79], v[74:75], v[80:81] op_sel_hi:[1,0,1]
	v_pk_fma_f32 v[74:75], v[78:79], v[74:75], v[80:81] neg_lo:[0,0,1] neg_hi:[0,0,1]
	v_mov_b32_e32 v75, v83
	s_cbranch_execz .LBB98_454
	s_branch .LBB98_455
.LBB98_453:
                                        ; implicit-def: $vgpr74_vgpr75
.LBB98_454:
	ds_load_b64 v[74:75], v1
.LBB98_455:
	s_mov_b32 s4, exec_lo
	v_cmpx_ne_u32_e32 11, v0
	s_cbranch_execz .LBB98_459
; %bb.456:
	v_add_nc_u32_e32 v77, 0x128, v58
	v_add3_u32 v78, 0, v58, 8
	v_mov_b32_e32 v79, v0
	s_mov_b32 s5, 0
.LBB98_457:                             ; =>This Inner Loop Header: Depth=1
	scratch_load_b64 v[80:81], v78, off
	ds_load_b64 v[82:83], v77
	s_wait_xcnt 0x0
	v_dual_add_nc_u32 v77, 8, v77 :: v_dual_add_nc_u32 v78, 8, v78
	s_wait_loadcnt_dscnt 0x0
	v_pk_mul_f32 v[84:85], v[82:83], v[80:81] op_sel:[1,1] op_sel_hi:[0,1]
	s_delay_alu instid0(VALU_DEP_1) | instskip(SKIP_2) | instid1(VALU_DEP_3)
	v_pk_fma_f32 v[86:87], v[82:83], v[80:81], v[84:85] op_sel_hi:[1,0,1]
	v_add_nc_u32_e32 v79, 1, v79
	v_pk_fma_f32 v[80:81], v[82:83], v[80:81], v[84:85] neg_lo:[0,0,1] neg_hi:[0,0,1]
	v_mov_b32_e32 v81, v87
	s_delay_alu instid0(VALU_DEP_3) | instskip(NEXT) | instid1(VALU_DEP_2)
	v_cmp_lt_u32_e32 vcc_lo, 10, v79
	v_pk_add_f32 v[74:75], v[74:75], v[80:81]
	s_or_b32 s5, vcc_lo, s5
	s_delay_alu instid0(SALU_CYCLE_1)
	s_and_not1_b32 exec_lo, exec_lo, s5
	s_cbranch_execnz .LBB98_457
; %bb.458:
	s_or_b32 exec_lo, exec_lo, s5
.LBB98_459:
	s_delay_alu instid0(SALU_CYCLE_1) | instskip(SKIP_4) | instid1(VALU_DEP_1)
	s_or_b32 exec_lo, exec_lo, s4
	v_mov_b32_e32 v77, 0
	ds_load_b64 v[78:79], v77 offset:96
	s_wait_dscnt 0x0
	v_pk_mul_f32 v[80:81], v[74:75], v[78:79] op_sel:[1,1] op_sel_hi:[0,1]
	v_pk_fma_f32 v[82:83], v[74:75], v[78:79], v[80:81] op_sel_hi:[1,0,1]
	v_pk_fma_f32 v[74:75], v[74:75], v[78:79], v[80:81] neg_lo:[0,0,1] neg_hi:[0,0,1]
	s_delay_alu instid0(VALU_DEP_2)
	v_mov_b32_e32 v75, v83
	scratch_store_b64 off, v[74:75], off offset:96
.LBB98_460:
	s_wait_xcnt 0x0
	s_or_b32 exec_lo, exec_lo, s0
	scratch_load_b64 v[74:75], off, off offset:104
	s_mov_b32 s0, exec_lo
	s_wait_loadcnt 0x0
	ds_store_b64 v1, v[74:75]
	s_wait_storecnt_dscnt 0x0
	s_barrier_signal -1
	s_barrier_wait -1
	s_wait_xcnt 0x0
	v_cmpx_gt_u32_e32 13, v0
	s_cbranch_execz .LBB98_470
; %bb.461:
	v_cmp_ne_u32_e32 vcc_lo, 1, v76
	s_cbranch_vccnz .LBB98_463
; %bb.462:
	scratch_load_b64 v[74:75], v59, off
	ds_load_b64 v[78:79], v1
	s_wait_loadcnt_dscnt 0x0
	v_pk_mul_f32 v[80:81], v[78:79], v[74:75] op_sel:[1,1] op_sel_hi:[0,1]
	s_delay_alu instid0(VALU_DEP_1) | instskip(SKIP_1) | instid1(VALU_DEP_2)
	v_pk_fma_f32 v[82:83], v[78:79], v[74:75], v[80:81] op_sel_hi:[1,0,1]
	v_pk_fma_f32 v[74:75], v[78:79], v[74:75], v[80:81] neg_lo:[0,0,1] neg_hi:[0,0,1]
	v_mov_b32_e32 v75, v83
	s_cbranch_execz .LBB98_464
	s_branch .LBB98_465
.LBB98_463:
                                        ; implicit-def: $vgpr74_vgpr75
.LBB98_464:
	ds_load_b64 v[74:75], v1
.LBB98_465:
	s_mov_b32 s4, exec_lo
	v_cmpx_ne_u32_e32 12, v0
	s_cbranch_execz .LBB98_469
; %bb.466:
	v_add_nc_u32_e32 v77, 0x128, v58
	v_add3_u32 v78, 0, v58, 8
	v_mov_b32_e32 v79, v0
	s_mov_b32 s5, 0
.LBB98_467:                             ; =>This Inner Loop Header: Depth=1
	scratch_load_b64 v[80:81], v78, off
	ds_load_b64 v[82:83], v77
	s_wait_xcnt 0x0
	v_dual_add_nc_u32 v77, 8, v77 :: v_dual_add_nc_u32 v78, 8, v78
	s_wait_loadcnt_dscnt 0x0
	v_pk_mul_f32 v[84:85], v[82:83], v[80:81] op_sel:[1,1] op_sel_hi:[0,1]
	s_delay_alu instid0(VALU_DEP_1) | instskip(SKIP_2) | instid1(VALU_DEP_3)
	v_pk_fma_f32 v[86:87], v[82:83], v[80:81], v[84:85] op_sel_hi:[1,0,1]
	v_add_nc_u32_e32 v79, 1, v79
	v_pk_fma_f32 v[80:81], v[82:83], v[80:81], v[84:85] neg_lo:[0,0,1] neg_hi:[0,0,1]
	v_mov_b32_e32 v81, v87
	s_delay_alu instid0(VALU_DEP_3) | instskip(NEXT) | instid1(VALU_DEP_2)
	v_cmp_lt_u32_e32 vcc_lo, 11, v79
	v_pk_add_f32 v[74:75], v[74:75], v[80:81]
	s_or_b32 s5, vcc_lo, s5
	s_delay_alu instid0(SALU_CYCLE_1)
	s_and_not1_b32 exec_lo, exec_lo, s5
	s_cbranch_execnz .LBB98_467
; %bb.468:
	s_or_b32 exec_lo, exec_lo, s5
.LBB98_469:
	s_delay_alu instid0(SALU_CYCLE_1) | instskip(SKIP_4) | instid1(VALU_DEP_1)
	s_or_b32 exec_lo, exec_lo, s4
	v_mov_b32_e32 v77, 0
	ds_load_b64 v[78:79], v77 offset:104
	s_wait_dscnt 0x0
	v_pk_mul_f32 v[80:81], v[74:75], v[78:79] op_sel:[1,1] op_sel_hi:[0,1]
	v_pk_fma_f32 v[82:83], v[74:75], v[78:79], v[80:81] op_sel_hi:[1,0,1]
	v_pk_fma_f32 v[74:75], v[74:75], v[78:79], v[80:81] neg_lo:[0,0,1] neg_hi:[0,0,1]
	s_delay_alu instid0(VALU_DEP_2)
	v_mov_b32_e32 v75, v83
	scratch_store_b64 off, v[74:75], off offset:104
.LBB98_470:
	s_wait_xcnt 0x0
	s_or_b32 exec_lo, exec_lo, s0
	scratch_load_b64 v[74:75], off, off offset:112
	s_mov_b32 s0, exec_lo
	s_wait_loadcnt 0x0
	ds_store_b64 v1, v[74:75]
	s_wait_storecnt_dscnt 0x0
	s_barrier_signal -1
	s_barrier_wait -1
	s_wait_xcnt 0x0
	v_cmpx_gt_u32_e32 14, v0
	s_cbranch_execz .LBB98_480
; %bb.471:
	v_cmp_ne_u32_e32 vcc_lo, 1, v76
	s_cbranch_vccnz .LBB98_473
; %bb.472:
	scratch_load_b64 v[74:75], v59, off
	ds_load_b64 v[78:79], v1
	s_wait_loadcnt_dscnt 0x0
	v_pk_mul_f32 v[80:81], v[78:79], v[74:75] op_sel:[1,1] op_sel_hi:[0,1]
	s_delay_alu instid0(VALU_DEP_1) | instskip(SKIP_1) | instid1(VALU_DEP_2)
	v_pk_fma_f32 v[82:83], v[78:79], v[74:75], v[80:81] op_sel_hi:[1,0,1]
	v_pk_fma_f32 v[74:75], v[78:79], v[74:75], v[80:81] neg_lo:[0,0,1] neg_hi:[0,0,1]
	v_mov_b32_e32 v75, v83
	s_cbranch_execz .LBB98_474
	s_branch .LBB98_475
.LBB98_473:
                                        ; implicit-def: $vgpr74_vgpr75
.LBB98_474:
	ds_load_b64 v[74:75], v1
.LBB98_475:
	s_mov_b32 s4, exec_lo
	v_cmpx_ne_u32_e32 13, v0
	s_cbranch_execz .LBB98_479
; %bb.476:
	v_add_nc_u32_e32 v77, 0x128, v58
	v_add3_u32 v78, 0, v58, 8
	v_mov_b32_e32 v79, v0
	s_mov_b32 s5, 0
.LBB98_477:                             ; =>This Inner Loop Header: Depth=1
	scratch_load_b64 v[80:81], v78, off
	ds_load_b64 v[82:83], v77
	s_wait_xcnt 0x0
	v_dual_add_nc_u32 v77, 8, v77 :: v_dual_add_nc_u32 v78, 8, v78
	s_wait_loadcnt_dscnt 0x0
	v_pk_mul_f32 v[84:85], v[82:83], v[80:81] op_sel:[1,1] op_sel_hi:[0,1]
	s_delay_alu instid0(VALU_DEP_1) | instskip(SKIP_2) | instid1(VALU_DEP_3)
	v_pk_fma_f32 v[86:87], v[82:83], v[80:81], v[84:85] op_sel_hi:[1,0,1]
	v_add_nc_u32_e32 v79, 1, v79
	v_pk_fma_f32 v[80:81], v[82:83], v[80:81], v[84:85] neg_lo:[0,0,1] neg_hi:[0,0,1]
	v_mov_b32_e32 v81, v87
	s_delay_alu instid0(VALU_DEP_3) | instskip(NEXT) | instid1(VALU_DEP_2)
	v_cmp_lt_u32_e32 vcc_lo, 12, v79
	v_pk_add_f32 v[74:75], v[74:75], v[80:81]
	s_or_b32 s5, vcc_lo, s5
	s_delay_alu instid0(SALU_CYCLE_1)
	s_and_not1_b32 exec_lo, exec_lo, s5
	s_cbranch_execnz .LBB98_477
; %bb.478:
	s_or_b32 exec_lo, exec_lo, s5
.LBB98_479:
	s_delay_alu instid0(SALU_CYCLE_1) | instskip(SKIP_4) | instid1(VALU_DEP_1)
	s_or_b32 exec_lo, exec_lo, s4
	v_mov_b32_e32 v77, 0
	ds_load_b64 v[78:79], v77 offset:112
	s_wait_dscnt 0x0
	v_pk_mul_f32 v[80:81], v[74:75], v[78:79] op_sel:[1,1] op_sel_hi:[0,1]
	v_pk_fma_f32 v[82:83], v[74:75], v[78:79], v[80:81] op_sel_hi:[1,0,1]
	v_pk_fma_f32 v[74:75], v[74:75], v[78:79], v[80:81] neg_lo:[0,0,1] neg_hi:[0,0,1]
	s_delay_alu instid0(VALU_DEP_2)
	v_mov_b32_e32 v75, v83
	scratch_store_b64 off, v[74:75], off offset:112
.LBB98_480:
	s_wait_xcnt 0x0
	s_or_b32 exec_lo, exec_lo, s0
	scratch_load_b64 v[74:75], off, off offset:120
	s_mov_b32 s0, exec_lo
	s_wait_loadcnt 0x0
	ds_store_b64 v1, v[74:75]
	s_wait_storecnt_dscnt 0x0
	s_barrier_signal -1
	s_barrier_wait -1
	s_wait_xcnt 0x0
	v_cmpx_gt_u32_e32 15, v0
	s_cbranch_execz .LBB98_490
; %bb.481:
	v_cmp_ne_u32_e32 vcc_lo, 1, v76
	s_cbranch_vccnz .LBB98_483
; %bb.482:
	scratch_load_b64 v[74:75], v59, off
	ds_load_b64 v[78:79], v1
	s_wait_loadcnt_dscnt 0x0
	v_pk_mul_f32 v[80:81], v[78:79], v[74:75] op_sel:[1,1] op_sel_hi:[0,1]
	s_delay_alu instid0(VALU_DEP_1) | instskip(SKIP_1) | instid1(VALU_DEP_2)
	v_pk_fma_f32 v[82:83], v[78:79], v[74:75], v[80:81] op_sel_hi:[1,0,1]
	v_pk_fma_f32 v[74:75], v[78:79], v[74:75], v[80:81] neg_lo:[0,0,1] neg_hi:[0,0,1]
	v_mov_b32_e32 v75, v83
	s_cbranch_execz .LBB98_484
	s_branch .LBB98_485
.LBB98_483:
                                        ; implicit-def: $vgpr74_vgpr75
.LBB98_484:
	ds_load_b64 v[74:75], v1
.LBB98_485:
	s_mov_b32 s4, exec_lo
	v_cmpx_ne_u32_e32 14, v0
	s_cbranch_execz .LBB98_489
; %bb.486:
	v_add_nc_u32_e32 v77, 0x128, v58
	v_add3_u32 v78, 0, v58, 8
	v_mov_b32_e32 v79, v0
	s_mov_b32 s5, 0
.LBB98_487:                             ; =>This Inner Loop Header: Depth=1
	scratch_load_b64 v[80:81], v78, off
	ds_load_b64 v[82:83], v77
	s_wait_xcnt 0x0
	v_dual_add_nc_u32 v77, 8, v77 :: v_dual_add_nc_u32 v78, 8, v78
	s_wait_loadcnt_dscnt 0x0
	v_pk_mul_f32 v[84:85], v[82:83], v[80:81] op_sel:[1,1] op_sel_hi:[0,1]
	s_delay_alu instid0(VALU_DEP_1) | instskip(SKIP_2) | instid1(VALU_DEP_3)
	v_pk_fma_f32 v[86:87], v[82:83], v[80:81], v[84:85] op_sel_hi:[1,0,1]
	v_add_nc_u32_e32 v79, 1, v79
	v_pk_fma_f32 v[80:81], v[82:83], v[80:81], v[84:85] neg_lo:[0,0,1] neg_hi:[0,0,1]
	v_mov_b32_e32 v81, v87
	s_delay_alu instid0(VALU_DEP_3) | instskip(NEXT) | instid1(VALU_DEP_2)
	v_cmp_lt_u32_e32 vcc_lo, 13, v79
	v_pk_add_f32 v[74:75], v[74:75], v[80:81]
	s_or_b32 s5, vcc_lo, s5
	s_delay_alu instid0(SALU_CYCLE_1)
	s_and_not1_b32 exec_lo, exec_lo, s5
	s_cbranch_execnz .LBB98_487
; %bb.488:
	s_or_b32 exec_lo, exec_lo, s5
.LBB98_489:
	s_delay_alu instid0(SALU_CYCLE_1) | instskip(SKIP_4) | instid1(VALU_DEP_1)
	s_or_b32 exec_lo, exec_lo, s4
	v_mov_b32_e32 v77, 0
	ds_load_b64 v[78:79], v77 offset:120
	s_wait_dscnt 0x0
	v_pk_mul_f32 v[80:81], v[74:75], v[78:79] op_sel:[1,1] op_sel_hi:[0,1]
	v_pk_fma_f32 v[82:83], v[74:75], v[78:79], v[80:81] op_sel_hi:[1,0,1]
	v_pk_fma_f32 v[74:75], v[74:75], v[78:79], v[80:81] neg_lo:[0,0,1] neg_hi:[0,0,1]
	s_delay_alu instid0(VALU_DEP_2)
	v_mov_b32_e32 v75, v83
	scratch_store_b64 off, v[74:75], off offset:120
.LBB98_490:
	s_wait_xcnt 0x0
	s_or_b32 exec_lo, exec_lo, s0
	scratch_load_b64 v[74:75], off, off offset:128
	s_mov_b32 s0, exec_lo
	s_wait_loadcnt 0x0
	ds_store_b64 v1, v[74:75]
	s_wait_storecnt_dscnt 0x0
	s_barrier_signal -1
	s_barrier_wait -1
	s_wait_xcnt 0x0
	v_cmpx_gt_u32_e32 16, v0
	s_cbranch_execz .LBB98_500
; %bb.491:
	v_cmp_ne_u32_e32 vcc_lo, 1, v76
	s_cbranch_vccnz .LBB98_493
; %bb.492:
	scratch_load_b64 v[74:75], v59, off
	ds_load_b64 v[78:79], v1
	s_wait_loadcnt_dscnt 0x0
	v_pk_mul_f32 v[80:81], v[78:79], v[74:75] op_sel:[1,1] op_sel_hi:[0,1]
	s_delay_alu instid0(VALU_DEP_1) | instskip(SKIP_1) | instid1(VALU_DEP_2)
	v_pk_fma_f32 v[82:83], v[78:79], v[74:75], v[80:81] op_sel_hi:[1,0,1]
	v_pk_fma_f32 v[74:75], v[78:79], v[74:75], v[80:81] neg_lo:[0,0,1] neg_hi:[0,0,1]
	v_mov_b32_e32 v75, v83
	s_cbranch_execz .LBB98_494
	s_branch .LBB98_495
.LBB98_493:
                                        ; implicit-def: $vgpr74_vgpr75
.LBB98_494:
	ds_load_b64 v[74:75], v1
.LBB98_495:
	s_mov_b32 s4, exec_lo
	v_cmpx_ne_u32_e32 15, v0
	s_cbranch_execz .LBB98_499
; %bb.496:
	v_add_nc_u32_e32 v77, 0x128, v58
	v_add3_u32 v78, 0, v58, 8
	v_mov_b32_e32 v79, v0
	s_mov_b32 s5, 0
.LBB98_497:                             ; =>This Inner Loop Header: Depth=1
	scratch_load_b64 v[80:81], v78, off
	ds_load_b64 v[82:83], v77
	s_wait_xcnt 0x0
	v_dual_add_nc_u32 v77, 8, v77 :: v_dual_add_nc_u32 v78, 8, v78
	s_wait_loadcnt_dscnt 0x0
	v_pk_mul_f32 v[84:85], v[82:83], v[80:81] op_sel:[1,1] op_sel_hi:[0,1]
	s_delay_alu instid0(VALU_DEP_1) | instskip(SKIP_2) | instid1(VALU_DEP_3)
	v_pk_fma_f32 v[86:87], v[82:83], v[80:81], v[84:85] op_sel_hi:[1,0,1]
	v_add_nc_u32_e32 v79, 1, v79
	v_pk_fma_f32 v[80:81], v[82:83], v[80:81], v[84:85] neg_lo:[0,0,1] neg_hi:[0,0,1]
	v_mov_b32_e32 v81, v87
	s_delay_alu instid0(VALU_DEP_3) | instskip(NEXT) | instid1(VALU_DEP_2)
	v_cmp_lt_u32_e32 vcc_lo, 14, v79
	v_pk_add_f32 v[74:75], v[74:75], v[80:81]
	s_or_b32 s5, vcc_lo, s5
	s_delay_alu instid0(SALU_CYCLE_1)
	s_and_not1_b32 exec_lo, exec_lo, s5
	s_cbranch_execnz .LBB98_497
; %bb.498:
	s_or_b32 exec_lo, exec_lo, s5
.LBB98_499:
	s_delay_alu instid0(SALU_CYCLE_1) | instskip(SKIP_4) | instid1(VALU_DEP_1)
	s_or_b32 exec_lo, exec_lo, s4
	v_mov_b32_e32 v77, 0
	ds_load_b64 v[78:79], v77 offset:128
	s_wait_dscnt 0x0
	v_pk_mul_f32 v[80:81], v[74:75], v[78:79] op_sel:[1,1] op_sel_hi:[0,1]
	v_pk_fma_f32 v[82:83], v[74:75], v[78:79], v[80:81] op_sel_hi:[1,0,1]
	v_pk_fma_f32 v[74:75], v[74:75], v[78:79], v[80:81] neg_lo:[0,0,1] neg_hi:[0,0,1]
	s_delay_alu instid0(VALU_DEP_2)
	v_mov_b32_e32 v75, v83
	scratch_store_b64 off, v[74:75], off offset:128
.LBB98_500:
	s_wait_xcnt 0x0
	s_or_b32 exec_lo, exec_lo, s0
	scratch_load_b64 v[74:75], off, off offset:136
	s_mov_b32 s0, exec_lo
	s_wait_loadcnt 0x0
	ds_store_b64 v1, v[74:75]
	s_wait_storecnt_dscnt 0x0
	s_barrier_signal -1
	s_barrier_wait -1
	s_wait_xcnt 0x0
	v_cmpx_gt_u32_e32 17, v0
	s_cbranch_execz .LBB98_510
; %bb.501:
	v_cmp_ne_u32_e32 vcc_lo, 1, v76
	s_cbranch_vccnz .LBB98_503
; %bb.502:
	scratch_load_b64 v[74:75], v59, off
	ds_load_b64 v[78:79], v1
	s_wait_loadcnt_dscnt 0x0
	v_pk_mul_f32 v[80:81], v[78:79], v[74:75] op_sel:[1,1] op_sel_hi:[0,1]
	s_delay_alu instid0(VALU_DEP_1) | instskip(SKIP_1) | instid1(VALU_DEP_2)
	v_pk_fma_f32 v[82:83], v[78:79], v[74:75], v[80:81] op_sel_hi:[1,0,1]
	v_pk_fma_f32 v[74:75], v[78:79], v[74:75], v[80:81] neg_lo:[0,0,1] neg_hi:[0,0,1]
	v_mov_b32_e32 v75, v83
	s_cbranch_execz .LBB98_504
	s_branch .LBB98_505
.LBB98_503:
                                        ; implicit-def: $vgpr74_vgpr75
.LBB98_504:
	ds_load_b64 v[74:75], v1
.LBB98_505:
	s_mov_b32 s4, exec_lo
	v_cmpx_ne_u32_e32 16, v0
	s_cbranch_execz .LBB98_509
; %bb.506:
	v_add_nc_u32_e32 v77, 0x128, v58
	v_add3_u32 v78, 0, v58, 8
	v_mov_b32_e32 v79, v0
	s_mov_b32 s5, 0
.LBB98_507:                             ; =>This Inner Loop Header: Depth=1
	scratch_load_b64 v[80:81], v78, off
	ds_load_b64 v[82:83], v77
	s_wait_xcnt 0x0
	v_dual_add_nc_u32 v77, 8, v77 :: v_dual_add_nc_u32 v78, 8, v78
	s_wait_loadcnt_dscnt 0x0
	v_pk_mul_f32 v[84:85], v[82:83], v[80:81] op_sel:[1,1] op_sel_hi:[0,1]
	s_delay_alu instid0(VALU_DEP_1) | instskip(SKIP_2) | instid1(VALU_DEP_3)
	v_pk_fma_f32 v[86:87], v[82:83], v[80:81], v[84:85] op_sel_hi:[1,0,1]
	v_add_nc_u32_e32 v79, 1, v79
	v_pk_fma_f32 v[80:81], v[82:83], v[80:81], v[84:85] neg_lo:[0,0,1] neg_hi:[0,0,1]
	v_mov_b32_e32 v81, v87
	s_delay_alu instid0(VALU_DEP_3) | instskip(NEXT) | instid1(VALU_DEP_2)
	v_cmp_lt_u32_e32 vcc_lo, 15, v79
	v_pk_add_f32 v[74:75], v[74:75], v[80:81]
	s_or_b32 s5, vcc_lo, s5
	s_delay_alu instid0(SALU_CYCLE_1)
	s_and_not1_b32 exec_lo, exec_lo, s5
	s_cbranch_execnz .LBB98_507
; %bb.508:
	s_or_b32 exec_lo, exec_lo, s5
.LBB98_509:
	s_delay_alu instid0(SALU_CYCLE_1) | instskip(SKIP_4) | instid1(VALU_DEP_1)
	s_or_b32 exec_lo, exec_lo, s4
	v_mov_b32_e32 v77, 0
	ds_load_b64 v[78:79], v77 offset:136
	s_wait_dscnt 0x0
	v_pk_mul_f32 v[80:81], v[74:75], v[78:79] op_sel:[1,1] op_sel_hi:[0,1]
	v_pk_fma_f32 v[82:83], v[74:75], v[78:79], v[80:81] op_sel_hi:[1,0,1]
	v_pk_fma_f32 v[74:75], v[74:75], v[78:79], v[80:81] neg_lo:[0,0,1] neg_hi:[0,0,1]
	s_delay_alu instid0(VALU_DEP_2)
	v_mov_b32_e32 v75, v83
	scratch_store_b64 off, v[74:75], off offset:136
.LBB98_510:
	s_wait_xcnt 0x0
	s_or_b32 exec_lo, exec_lo, s0
	scratch_load_b64 v[74:75], off, off offset:144
	s_mov_b32 s0, exec_lo
	s_wait_loadcnt 0x0
	ds_store_b64 v1, v[74:75]
	s_wait_storecnt_dscnt 0x0
	s_barrier_signal -1
	s_barrier_wait -1
	s_wait_xcnt 0x0
	v_cmpx_gt_u32_e32 18, v0
	s_cbranch_execz .LBB98_520
; %bb.511:
	v_cmp_ne_u32_e32 vcc_lo, 1, v76
	s_cbranch_vccnz .LBB98_513
; %bb.512:
	scratch_load_b64 v[74:75], v59, off
	ds_load_b64 v[78:79], v1
	s_wait_loadcnt_dscnt 0x0
	v_pk_mul_f32 v[80:81], v[78:79], v[74:75] op_sel:[1,1] op_sel_hi:[0,1]
	s_delay_alu instid0(VALU_DEP_1) | instskip(SKIP_1) | instid1(VALU_DEP_2)
	v_pk_fma_f32 v[82:83], v[78:79], v[74:75], v[80:81] op_sel_hi:[1,0,1]
	v_pk_fma_f32 v[74:75], v[78:79], v[74:75], v[80:81] neg_lo:[0,0,1] neg_hi:[0,0,1]
	v_mov_b32_e32 v75, v83
	s_cbranch_execz .LBB98_514
	s_branch .LBB98_515
.LBB98_513:
                                        ; implicit-def: $vgpr74_vgpr75
.LBB98_514:
	ds_load_b64 v[74:75], v1
.LBB98_515:
	s_mov_b32 s4, exec_lo
	v_cmpx_ne_u32_e32 17, v0
	s_cbranch_execz .LBB98_519
; %bb.516:
	v_add_nc_u32_e32 v77, 0x128, v58
	v_add3_u32 v78, 0, v58, 8
	v_mov_b32_e32 v79, v0
	s_mov_b32 s5, 0
.LBB98_517:                             ; =>This Inner Loop Header: Depth=1
	scratch_load_b64 v[80:81], v78, off
	ds_load_b64 v[82:83], v77
	s_wait_xcnt 0x0
	v_dual_add_nc_u32 v77, 8, v77 :: v_dual_add_nc_u32 v78, 8, v78
	s_wait_loadcnt_dscnt 0x0
	v_pk_mul_f32 v[84:85], v[82:83], v[80:81] op_sel:[1,1] op_sel_hi:[0,1]
	s_delay_alu instid0(VALU_DEP_1) | instskip(SKIP_2) | instid1(VALU_DEP_3)
	v_pk_fma_f32 v[86:87], v[82:83], v[80:81], v[84:85] op_sel_hi:[1,0,1]
	v_add_nc_u32_e32 v79, 1, v79
	v_pk_fma_f32 v[80:81], v[82:83], v[80:81], v[84:85] neg_lo:[0,0,1] neg_hi:[0,0,1]
	v_mov_b32_e32 v81, v87
	s_delay_alu instid0(VALU_DEP_3) | instskip(NEXT) | instid1(VALU_DEP_2)
	v_cmp_lt_u32_e32 vcc_lo, 16, v79
	v_pk_add_f32 v[74:75], v[74:75], v[80:81]
	s_or_b32 s5, vcc_lo, s5
	s_delay_alu instid0(SALU_CYCLE_1)
	s_and_not1_b32 exec_lo, exec_lo, s5
	s_cbranch_execnz .LBB98_517
; %bb.518:
	s_or_b32 exec_lo, exec_lo, s5
.LBB98_519:
	s_delay_alu instid0(SALU_CYCLE_1) | instskip(SKIP_4) | instid1(VALU_DEP_1)
	s_or_b32 exec_lo, exec_lo, s4
	v_mov_b32_e32 v77, 0
	ds_load_b64 v[78:79], v77 offset:144
	s_wait_dscnt 0x0
	v_pk_mul_f32 v[80:81], v[74:75], v[78:79] op_sel:[1,1] op_sel_hi:[0,1]
	v_pk_fma_f32 v[82:83], v[74:75], v[78:79], v[80:81] op_sel_hi:[1,0,1]
	v_pk_fma_f32 v[74:75], v[74:75], v[78:79], v[80:81] neg_lo:[0,0,1] neg_hi:[0,0,1]
	s_delay_alu instid0(VALU_DEP_2)
	v_mov_b32_e32 v75, v83
	scratch_store_b64 off, v[74:75], off offset:144
.LBB98_520:
	s_wait_xcnt 0x0
	s_or_b32 exec_lo, exec_lo, s0
	scratch_load_b64 v[74:75], off, off offset:152
	s_mov_b32 s0, exec_lo
	s_wait_loadcnt 0x0
	ds_store_b64 v1, v[74:75]
	s_wait_storecnt_dscnt 0x0
	s_barrier_signal -1
	s_barrier_wait -1
	s_wait_xcnt 0x0
	v_cmpx_gt_u32_e32 19, v0
	s_cbranch_execz .LBB98_530
; %bb.521:
	v_cmp_ne_u32_e32 vcc_lo, 1, v76
	s_cbranch_vccnz .LBB98_523
; %bb.522:
	scratch_load_b64 v[74:75], v59, off
	ds_load_b64 v[78:79], v1
	s_wait_loadcnt_dscnt 0x0
	v_pk_mul_f32 v[80:81], v[78:79], v[74:75] op_sel:[1,1] op_sel_hi:[0,1]
	s_delay_alu instid0(VALU_DEP_1) | instskip(SKIP_1) | instid1(VALU_DEP_2)
	v_pk_fma_f32 v[82:83], v[78:79], v[74:75], v[80:81] op_sel_hi:[1,0,1]
	v_pk_fma_f32 v[74:75], v[78:79], v[74:75], v[80:81] neg_lo:[0,0,1] neg_hi:[0,0,1]
	v_mov_b32_e32 v75, v83
	s_cbranch_execz .LBB98_524
	s_branch .LBB98_525
.LBB98_523:
                                        ; implicit-def: $vgpr74_vgpr75
.LBB98_524:
	ds_load_b64 v[74:75], v1
.LBB98_525:
	s_mov_b32 s4, exec_lo
	v_cmpx_ne_u32_e32 18, v0
	s_cbranch_execz .LBB98_529
; %bb.526:
	v_add_nc_u32_e32 v77, 0x128, v58
	v_add3_u32 v78, 0, v58, 8
	v_mov_b32_e32 v79, v0
	s_mov_b32 s5, 0
.LBB98_527:                             ; =>This Inner Loop Header: Depth=1
	scratch_load_b64 v[80:81], v78, off
	ds_load_b64 v[82:83], v77
	s_wait_xcnt 0x0
	v_dual_add_nc_u32 v77, 8, v77 :: v_dual_add_nc_u32 v78, 8, v78
	s_wait_loadcnt_dscnt 0x0
	v_pk_mul_f32 v[84:85], v[82:83], v[80:81] op_sel:[1,1] op_sel_hi:[0,1]
	s_delay_alu instid0(VALU_DEP_1) | instskip(SKIP_2) | instid1(VALU_DEP_3)
	v_pk_fma_f32 v[86:87], v[82:83], v[80:81], v[84:85] op_sel_hi:[1,0,1]
	v_add_nc_u32_e32 v79, 1, v79
	v_pk_fma_f32 v[80:81], v[82:83], v[80:81], v[84:85] neg_lo:[0,0,1] neg_hi:[0,0,1]
	v_mov_b32_e32 v81, v87
	s_delay_alu instid0(VALU_DEP_3) | instskip(NEXT) | instid1(VALU_DEP_2)
	v_cmp_lt_u32_e32 vcc_lo, 17, v79
	v_pk_add_f32 v[74:75], v[74:75], v[80:81]
	s_or_b32 s5, vcc_lo, s5
	s_delay_alu instid0(SALU_CYCLE_1)
	s_and_not1_b32 exec_lo, exec_lo, s5
	s_cbranch_execnz .LBB98_527
; %bb.528:
	s_or_b32 exec_lo, exec_lo, s5
.LBB98_529:
	s_delay_alu instid0(SALU_CYCLE_1) | instskip(SKIP_4) | instid1(VALU_DEP_1)
	s_or_b32 exec_lo, exec_lo, s4
	v_mov_b32_e32 v77, 0
	ds_load_b64 v[78:79], v77 offset:152
	s_wait_dscnt 0x0
	v_pk_mul_f32 v[80:81], v[74:75], v[78:79] op_sel:[1,1] op_sel_hi:[0,1]
	v_pk_fma_f32 v[82:83], v[74:75], v[78:79], v[80:81] op_sel_hi:[1,0,1]
	v_pk_fma_f32 v[74:75], v[74:75], v[78:79], v[80:81] neg_lo:[0,0,1] neg_hi:[0,0,1]
	s_delay_alu instid0(VALU_DEP_2)
	v_mov_b32_e32 v75, v83
	scratch_store_b64 off, v[74:75], off offset:152
.LBB98_530:
	s_wait_xcnt 0x0
	s_or_b32 exec_lo, exec_lo, s0
	scratch_load_b64 v[74:75], off, off offset:160
	s_mov_b32 s0, exec_lo
	s_wait_loadcnt 0x0
	ds_store_b64 v1, v[74:75]
	s_wait_storecnt_dscnt 0x0
	s_barrier_signal -1
	s_barrier_wait -1
	s_wait_xcnt 0x0
	v_cmpx_gt_u32_e32 20, v0
	s_cbranch_execz .LBB98_540
; %bb.531:
	v_cmp_ne_u32_e32 vcc_lo, 1, v76
	s_cbranch_vccnz .LBB98_533
; %bb.532:
	scratch_load_b64 v[74:75], v59, off
	ds_load_b64 v[78:79], v1
	s_wait_loadcnt_dscnt 0x0
	v_pk_mul_f32 v[80:81], v[78:79], v[74:75] op_sel:[1,1] op_sel_hi:[0,1]
	s_delay_alu instid0(VALU_DEP_1) | instskip(SKIP_1) | instid1(VALU_DEP_2)
	v_pk_fma_f32 v[82:83], v[78:79], v[74:75], v[80:81] op_sel_hi:[1,0,1]
	v_pk_fma_f32 v[74:75], v[78:79], v[74:75], v[80:81] neg_lo:[0,0,1] neg_hi:[0,0,1]
	v_mov_b32_e32 v75, v83
	s_cbranch_execz .LBB98_534
	s_branch .LBB98_535
.LBB98_533:
                                        ; implicit-def: $vgpr74_vgpr75
.LBB98_534:
	ds_load_b64 v[74:75], v1
.LBB98_535:
	s_mov_b32 s4, exec_lo
	v_cmpx_ne_u32_e32 19, v0
	s_cbranch_execz .LBB98_539
; %bb.536:
	v_add_nc_u32_e32 v77, 0x128, v58
	v_add3_u32 v78, 0, v58, 8
	v_mov_b32_e32 v79, v0
	s_mov_b32 s5, 0
.LBB98_537:                             ; =>This Inner Loop Header: Depth=1
	scratch_load_b64 v[80:81], v78, off
	ds_load_b64 v[82:83], v77
	s_wait_xcnt 0x0
	v_dual_add_nc_u32 v77, 8, v77 :: v_dual_add_nc_u32 v78, 8, v78
	s_wait_loadcnt_dscnt 0x0
	v_pk_mul_f32 v[84:85], v[82:83], v[80:81] op_sel:[1,1] op_sel_hi:[0,1]
	s_delay_alu instid0(VALU_DEP_1) | instskip(SKIP_2) | instid1(VALU_DEP_3)
	v_pk_fma_f32 v[86:87], v[82:83], v[80:81], v[84:85] op_sel_hi:[1,0,1]
	v_add_nc_u32_e32 v79, 1, v79
	v_pk_fma_f32 v[80:81], v[82:83], v[80:81], v[84:85] neg_lo:[0,0,1] neg_hi:[0,0,1]
	v_mov_b32_e32 v81, v87
	s_delay_alu instid0(VALU_DEP_3) | instskip(NEXT) | instid1(VALU_DEP_2)
	v_cmp_lt_u32_e32 vcc_lo, 18, v79
	v_pk_add_f32 v[74:75], v[74:75], v[80:81]
	s_or_b32 s5, vcc_lo, s5
	s_delay_alu instid0(SALU_CYCLE_1)
	s_and_not1_b32 exec_lo, exec_lo, s5
	s_cbranch_execnz .LBB98_537
; %bb.538:
	s_or_b32 exec_lo, exec_lo, s5
.LBB98_539:
	s_delay_alu instid0(SALU_CYCLE_1) | instskip(SKIP_4) | instid1(VALU_DEP_1)
	s_or_b32 exec_lo, exec_lo, s4
	v_mov_b32_e32 v77, 0
	ds_load_b64 v[78:79], v77 offset:160
	s_wait_dscnt 0x0
	v_pk_mul_f32 v[80:81], v[74:75], v[78:79] op_sel:[1,1] op_sel_hi:[0,1]
	v_pk_fma_f32 v[82:83], v[74:75], v[78:79], v[80:81] op_sel_hi:[1,0,1]
	v_pk_fma_f32 v[74:75], v[74:75], v[78:79], v[80:81] neg_lo:[0,0,1] neg_hi:[0,0,1]
	s_delay_alu instid0(VALU_DEP_2)
	v_mov_b32_e32 v75, v83
	scratch_store_b64 off, v[74:75], off offset:160
.LBB98_540:
	s_wait_xcnt 0x0
	s_or_b32 exec_lo, exec_lo, s0
	scratch_load_b64 v[74:75], off, off offset:168
	s_mov_b32 s0, exec_lo
	s_wait_loadcnt 0x0
	ds_store_b64 v1, v[74:75]
	s_wait_storecnt_dscnt 0x0
	s_barrier_signal -1
	s_barrier_wait -1
	s_wait_xcnt 0x0
	v_cmpx_gt_u32_e32 21, v0
	s_cbranch_execz .LBB98_550
; %bb.541:
	v_cmp_ne_u32_e32 vcc_lo, 1, v76
	s_cbranch_vccnz .LBB98_543
; %bb.542:
	scratch_load_b64 v[74:75], v59, off
	ds_load_b64 v[78:79], v1
	s_wait_loadcnt_dscnt 0x0
	v_pk_mul_f32 v[80:81], v[78:79], v[74:75] op_sel:[1,1] op_sel_hi:[0,1]
	s_delay_alu instid0(VALU_DEP_1) | instskip(SKIP_1) | instid1(VALU_DEP_2)
	v_pk_fma_f32 v[82:83], v[78:79], v[74:75], v[80:81] op_sel_hi:[1,0,1]
	v_pk_fma_f32 v[74:75], v[78:79], v[74:75], v[80:81] neg_lo:[0,0,1] neg_hi:[0,0,1]
	v_mov_b32_e32 v75, v83
	s_cbranch_execz .LBB98_544
	s_branch .LBB98_545
.LBB98_543:
                                        ; implicit-def: $vgpr74_vgpr75
.LBB98_544:
	ds_load_b64 v[74:75], v1
.LBB98_545:
	s_mov_b32 s4, exec_lo
	v_cmpx_ne_u32_e32 20, v0
	s_cbranch_execz .LBB98_549
; %bb.546:
	v_add_nc_u32_e32 v77, 0x128, v58
	v_add3_u32 v78, 0, v58, 8
	v_mov_b32_e32 v79, v0
	s_mov_b32 s5, 0
.LBB98_547:                             ; =>This Inner Loop Header: Depth=1
	scratch_load_b64 v[80:81], v78, off
	ds_load_b64 v[82:83], v77
	s_wait_xcnt 0x0
	v_dual_add_nc_u32 v77, 8, v77 :: v_dual_add_nc_u32 v78, 8, v78
	s_wait_loadcnt_dscnt 0x0
	v_pk_mul_f32 v[84:85], v[82:83], v[80:81] op_sel:[1,1] op_sel_hi:[0,1]
	s_delay_alu instid0(VALU_DEP_1) | instskip(SKIP_2) | instid1(VALU_DEP_3)
	v_pk_fma_f32 v[86:87], v[82:83], v[80:81], v[84:85] op_sel_hi:[1,0,1]
	v_add_nc_u32_e32 v79, 1, v79
	v_pk_fma_f32 v[80:81], v[82:83], v[80:81], v[84:85] neg_lo:[0,0,1] neg_hi:[0,0,1]
	v_mov_b32_e32 v81, v87
	s_delay_alu instid0(VALU_DEP_3) | instskip(NEXT) | instid1(VALU_DEP_2)
	v_cmp_lt_u32_e32 vcc_lo, 19, v79
	v_pk_add_f32 v[74:75], v[74:75], v[80:81]
	s_or_b32 s5, vcc_lo, s5
	s_delay_alu instid0(SALU_CYCLE_1)
	s_and_not1_b32 exec_lo, exec_lo, s5
	s_cbranch_execnz .LBB98_547
; %bb.548:
	s_or_b32 exec_lo, exec_lo, s5
.LBB98_549:
	s_delay_alu instid0(SALU_CYCLE_1) | instskip(SKIP_4) | instid1(VALU_DEP_1)
	s_or_b32 exec_lo, exec_lo, s4
	v_mov_b32_e32 v77, 0
	ds_load_b64 v[78:79], v77 offset:168
	s_wait_dscnt 0x0
	v_pk_mul_f32 v[80:81], v[74:75], v[78:79] op_sel:[1,1] op_sel_hi:[0,1]
	v_pk_fma_f32 v[82:83], v[74:75], v[78:79], v[80:81] op_sel_hi:[1,0,1]
	v_pk_fma_f32 v[74:75], v[74:75], v[78:79], v[80:81] neg_lo:[0,0,1] neg_hi:[0,0,1]
	s_delay_alu instid0(VALU_DEP_2)
	v_mov_b32_e32 v75, v83
	scratch_store_b64 off, v[74:75], off offset:168
.LBB98_550:
	s_wait_xcnt 0x0
	s_or_b32 exec_lo, exec_lo, s0
	scratch_load_b64 v[74:75], off, off offset:176
	s_mov_b32 s0, exec_lo
	s_wait_loadcnt 0x0
	ds_store_b64 v1, v[74:75]
	s_wait_storecnt_dscnt 0x0
	s_barrier_signal -1
	s_barrier_wait -1
	s_wait_xcnt 0x0
	v_cmpx_gt_u32_e32 22, v0
	s_cbranch_execz .LBB98_560
; %bb.551:
	v_cmp_ne_u32_e32 vcc_lo, 1, v76
	s_cbranch_vccnz .LBB98_553
; %bb.552:
	scratch_load_b64 v[74:75], v59, off
	ds_load_b64 v[78:79], v1
	s_wait_loadcnt_dscnt 0x0
	v_pk_mul_f32 v[80:81], v[78:79], v[74:75] op_sel:[1,1] op_sel_hi:[0,1]
	s_delay_alu instid0(VALU_DEP_1) | instskip(SKIP_1) | instid1(VALU_DEP_2)
	v_pk_fma_f32 v[82:83], v[78:79], v[74:75], v[80:81] op_sel_hi:[1,0,1]
	v_pk_fma_f32 v[74:75], v[78:79], v[74:75], v[80:81] neg_lo:[0,0,1] neg_hi:[0,0,1]
	v_mov_b32_e32 v75, v83
	s_cbranch_execz .LBB98_554
	s_branch .LBB98_555
.LBB98_553:
                                        ; implicit-def: $vgpr74_vgpr75
.LBB98_554:
	ds_load_b64 v[74:75], v1
.LBB98_555:
	s_mov_b32 s4, exec_lo
	v_cmpx_ne_u32_e32 21, v0
	s_cbranch_execz .LBB98_559
; %bb.556:
	v_add_nc_u32_e32 v77, 0x128, v58
	v_add3_u32 v78, 0, v58, 8
	v_mov_b32_e32 v79, v0
	s_mov_b32 s5, 0
.LBB98_557:                             ; =>This Inner Loop Header: Depth=1
	scratch_load_b64 v[80:81], v78, off
	ds_load_b64 v[82:83], v77
	s_wait_xcnt 0x0
	v_dual_add_nc_u32 v77, 8, v77 :: v_dual_add_nc_u32 v78, 8, v78
	s_wait_loadcnt_dscnt 0x0
	v_pk_mul_f32 v[84:85], v[82:83], v[80:81] op_sel:[1,1] op_sel_hi:[0,1]
	s_delay_alu instid0(VALU_DEP_1) | instskip(SKIP_2) | instid1(VALU_DEP_3)
	v_pk_fma_f32 v[86:87], v[82:83], v[80:81], v[84:85] op_sel_hi:[1,0,1]
	v_add_nc_u32_e32 v79, 1, v79
	v_pk_fma_f32 v[80:81], v[82:83], v[80:81], v[84:85] neg_lo:[0,0,1] neg_hi:[0,0,1]
	v_mov_b32_e32 v81, v87
	s_delay_alu instid0(VALU_DEP_3) | instskip(NEXT) | instid1(VALU_DEP_2)
	v_cmp_lt_u32_e32 vcc_lo, 20, v79
	v_pk_add_f32 v[74:75], v[74:75], v[80:81]
	s_or_b32 s5, vcc_lo, s5
	s_delay_alu instid0(SALU_CYCLE_1)
	s_and_not1_b32 exec_lo, exec_lo, s5
	s_cbranch_execnz .LBB98_557
; %bb.558:
	s_or_b32 exec_lo, exec_lo, s5
.LBB98_559:
	s_delay_alu instid0(SALU_CYCLE_1) | instskip(SKIP_4) | instid1(VALU_DEP_1)
	s_or_b32 exec_lo, exec_lo, s4
	v_mov_b32_e32 v77, 0
	ds_load_b64 v[78:79], v77 offset:176
	s_wait_dscnt 0x0
	v_pk_mul_f32 v[80:81], v[74:75], v[78:79] op_sel:[1,1] op_sel_hi:[0,1]
	v_pk_fma_f32 v[82:83], v[74:75], v[78:79], v[80:81] op_sel_hi:[1,0,1]
	v_pk_fma_f32 v[74:75], v[74:75], v[78:79], v[80:81] neg_lo:[0,0,1] neg_hi:[0,0,1]
	s_delay_alu instid0(VALU_DEP_2)
	v_mov_b32_e32 v75, v83
	scratch_store_b64 off, v[74:75], off offset:176
.LBB98_560:
	s_wait_xcnt 0x0
	s_or_b32 exec_lo, exec_lo, s0
	scratch_load_b64 v[74:75], off, off offset:184
	s_mov_b32 s0, exec_lo
	s_wait_loadcnt 0x0
	ds_store_b64 v1, v[74:75]
	s_wait_storecnt_dscnt 0x0
	s_barrier_signal -1
	s_barrier_wait -1
	s_wait_xcnt 0x0
	v_cmpx_gt_u32_e32 23, v0
	s_cbranch_execz .LBB98_570
; %bb.561:
	v_cmp_ne_u32_e32 vcc_lo, 1, v76
	s_cbranch_vccnz .LBB98_563
; %bb.562:
	scratch_load_b64 v[74:75], v59, off
	ds_load_b64 v[78:79], v1
	s_wait_loadcnt_dscnt 0x0
	v_pk_mul_f32 v[80:81], v[78:79], v[74:75] op_sel:[1,1] op_sel_hi:[0,1]
	s_delay_alu instid0(VALU_DEP_1) | instskip(SKIP_1) | instid1(VALU_DEP_2)
	v_pk_fma_f32 v[82:83], v[78:79], v[74:75], v[80:81] op_sel_hi:[1,0,1]
	v_pk_fma_f32 v[74:75], v[78:79], v[74:75], v[80:81] neg_lo:[0,0,1] neg_hi:[0,0,1]
	v_mov_b32_e32 v75, v83
	s_cbranch_execz .LBB98_564
	s_branch .LBB98_565
.LBB98_563:
                                        ; implicit-def: $vgpr74_vgpr75
.LBB98_564:
	ds_load_b64 v[74:75], v1
.LBB98_565:
	s_mov_b32 s4, exec_lo
	v_cmpx_ne_u32_e32 22, v0
	s_cbranch_execz .LBB98_569
; %bb.566:
	v_add_nc_u32_e32 v77, 0x128, v58
	v_add3_u32 v78, 0, v58, 8
	v_mov_b32_e32 v79, v0
	s_mov_b32 s5, 0
.LBB98_567:                             ; =>This Inner Loop Header: Depth=1
	scratch_load_b64 v[80:81], v78, off
	ds_load_b64 v[82:83], v77
	s_wait_xcnt 0x0
	v_dual_add_nc_u32 v77, 8, v77 :: v_dual_add_nc_u32 v78, 8, v78
	s_wait_loadcnt_dscnt 0x0
	v_pk_mul_f32 v[84:85], v[82:83], v[80:81] op_sel:[1,1] op_sel_hi:[0,1]
	s_delay_alu instid0(VALU_DEP_1) | instskip(SKIP_2) | instid1(VALU_DEP_3)
	v_pk_fma_f32 v[86:87], v[82:83], v[80:81], v[84:85] op_sel_hi:[1,0,1]
	v_add_nc_u32_e32 v79, 1, v79
	v_pk_fma_f32 v[80:81], v[82:83], v[80:81], v[84:85] neg_lo:[0,0,1] neg_hi:[0,0,1]
	v_mov_b32_e32 v81, v87
	s_delay_alu instid0(VALU_DEP_3) | instskip(NEXT) | instid1(VALU_DEP_2)
	v_cmp_lt_u32_e32 vcc_lo, 21, v79
	v_pk_add_f32 v[74:75], v[74:75], v[80:81]
	s_or_b32 s5, vcc_lo, s5
	s_delay_alu instid0(SALU_CYCLE_1)
	s_and_not1_b32 exec_lo, exec_lo, s5
	s_cbranch_execnz .LBB98_567
; %bb.568:
	s_or_b32 exec_lo, exec_lo, s5
.LBB98_569:
	s_delay_alu instid0(SALU_CYCLE_1) | instskip(SKIP_4) | instid1(VALU_DEP_1)
	s_or_b32 exec_lo, exec_lo, s4
	v_mov_b32_e32 v77, 0
	ds_load_b64 v[78:79], v77 offset:184
	s_wait_dscnt 0x0
	v_pk_mul_f32 v[80:81], v[74:75], v[78:79] op_sel:[1,1] op_sel_hi:[0,1]
	v_pk_fma_f32 v[82:83], v[74:75], v[78:79], v[80:81] op_sel_hi:[1,0,1]
	v_pk_fma_f32 v[74:75], v[74:75], v[78:79], v[80:81] neg_lo:[0,0,1] neg_hi:[0,0,1]
	s_delay_alu instid0(VALU_DEP_2)
	v_mov_b32_e32 v75, v83
	scratch_store_b64 off, v[74:75], off offset:184
.LBB98_570:
	s_wait_xcnt 0x0
	s_or_b32 exec_lo, exec_lo, s0
	scratch_load_b64 v[74:75], off, off offset:192
	s_mov_b32 s0, exec_lo
	s_wait_loadcnt 0x0
	ds_store_b64 v1, v[74:75]
	s_wait_storecnt_dscnt 0x0
	s_barrier_signal -1
	s_barrier_wait -1
	s_wait_xcnt 0x0
	v_cmpx_gt_u32_e32 24, v0
	s_cbranch_execz .LBB98_580
; %bb.571:
	v_cmp_ne_u32_e32 vcc_lo, 1, v76
	s_cbranch_vccnz .LBB98_573
; %bb.572:
	scratch_load_b64 v[74:75], v59, off
	ds_load_b64 v[78:79], v1
	s_wait_loadcnt_dscnt 0x0
	v_pk_mul_f32 v[80:81], v[78:79], v[74:75] op_sel:[1,1] op_sel_hi:[0,1]
	s_delay_alu instid0(VALU_DEP_1) | instskip(SKIP_1) | instid1(VALU_DEP_2)
	v_pk_fma_f32 v[82:83], v[78:79], v[74:75], v[80:81] op_sel_hi:[1,0,1]
	v_pk_fma_f32 v[74:75], v[78:79], v[74:75], v[80:81] neg_lo:[0,0,1] neg_hi:[0,0,1]
	v_mov_b32_e32 v75, v83
	s_cbranch_execz .LBB98_574
	s_branch .LBB98_575
.LBB98_573:
                                        ; implicit-def: $vgpr74_vgpr75
.LBB98_574:
	ds_load_b64 v[74:75], v1
.LBB98_575:
	s_mov_b32 s4, exec_lo
	v_cmpx_ne_u32_e32 23, v0
	s_cbranch_execz .LBB98_579
; %bb.576:
	v_add_nc_u32_e32 v77, 0x128, v58
	v_add3_u32 v78, 0, v58, 8
	v_mov_b32_e32 v79, v0
	s_mov_b32 s5, 0
.LBB98_577:                             ; =>This Inner Loop Header: Depth=1
	scratch_load_b64 v[80:81], v78, off
	ds_load_b64 v[82:83], v77
	s_wait_xcnt 0x0
	v_dual_add_nc_u32 v77, 8, v77 :: v_dual_add_nc_u32 v78, 8, v78
	s_wait_loadcnt_dscnt 0x0
	v_pk_mul_f32 v[84:85], v[82:83], v[80:81] op_sel:[1,1] op_sel_hi:[0,1]
	s_delay_alu instid0(VALU_DEP_1) | instskip(SKIP_2) | instid1(VALU_DEP_3)
	v_pk_fma_f32 v[86:87], v[82:83], v[80:81], v[84:85] op_sel_hi:[1,0,1]
	v_add_nc_u32_e32 v79, 1, v79
	v_pk_fma_f32 v[80:81], v[82:83], v[80:81], v[84:85] neg_lo:[0,0,1] neg_hi:[0,0,1]
	v_mov_b32_e32 v81, v87
	s_delay_alu instid0(VALU_DEP_3) | instskip(NEXT) | instid1(VALU_DEP_2)
	v_cmp_lt_u32_e32 vcc_lo, 22, v79
	v_pk_add_f32 v[74:75], v[74:75], v[80:81]
	s_or_b32 s5, vcc_lo, s5
	s_delay_alu instid0(SALU_CYCLE_1)
	s_and_not1_b32 exec_lo, exec_lo, s5
	s_cbranch_execnz .LBB98_577
; %bb.578:
	s_or_b32 exec_lo, exec_lo, s5
.LBB98_579:
	s_delay_alu instid0(SALU_CYCLE_1) | instskip(SKIP_4) | instid1(VALU_DEP_1)
	s_or_b32 exec_lo, exec_lo, s4
	v_mov_b32_e32 v77, 0
	ds_load_b64 v[78:79], v77 offset:192
	s_wait_dscnt 0x0
	v_pk_mul_f32 v[80:81], v[74:75], v[78:79] op_sel:[1,1] op_sel_hi:[0,1]
	v_pk_fma_f32 v[82:83], v[74:75], v[78:79], v[80:81] op_sel_hi:[1,0,1]
	v_pk_fma_f32 v[74:75], v[74:75], v[78:79], v[80:81] neg_lo:[0,0,1] neg_hi:[0,0,1]
	s_delay_alu instid0(VALU_DEP_2)
	v_mov_b32_e32 v75, v83
	scratch_store_b64 off, v[74:75], off offset:192
.LBB98_580:
	s_wait_xcnt 0x0
	s_or_b32 exec_lo, exec_lo, s0
	scratch_load_b64 v[74:75], off, off offset:200
	s_mov_b32 s0, exec_lo
	s_wait_loadcnt 0x0
	ds_store_b64 v1, v[74:75]
	s_wait_storecnt_dscnt 0x0
	s_barrier_signal -1
	s_barrier_wait -1
	s_wait_xcnt 0x0
	v_cmpx_gt_u32_e32 25, v0
	s_cbranch_execz .LBB98_590
; %bb.581:
	v_cmp_ne_u32_e32 vcc_lo, 1, v76
	s_cbranch_vccnz .LBB98_583
; %bb.582:
	scratch_load_b64 v[74:75], v59, off
	ds_load_b64 v[78:79], v1
	s_wait_loadcnt_dscnt 0x0
	v_pk_mul_f32 v[80:81], v[78:79], v[74:75] op_sel:[1,1] op_sel_hi:[0,1]
	s_delay_alu instid0(VALU_DEP_1) | instskip(SKIP_1) | instid1(VALU_DEP_2)
	v_pk_fma_f32 v[82:83], v[78:79], v[74:75], v[80:81] op_sel_hi:[1,0,1]
	v_pk_fma_f32 v[74:75], v[78:79], v[74:75], v[80:81] neg_lo:[0,0,1] neg_hi:[0,0,1]
	v_mov_b32_e32 v75, v83
	s_cbranch_execz .LBB98_584
	s_branch .LBB98_585
.LBB98_583:
                                        ; implicit-def: $vgpr74_vgpr75
.LBB98_584:
	ds_load_b64 v[74:75], v1
.LBB98_585:
	s_mov_b32 s4, exec_lo
	v_cmpx_ne_u32_e32 24, v0
	s_cbranch_execz .LBB98_589
; %bb.586:
	v_add_nc_u32_e32 v77, 0x128, v58
	v_add3_u32 v78, 0, v58, 8
	v_mov_b32_e32 v79, v0
	s_mov_b32 s5, 0
.LBB98_587:                             ; =>This Inner Loop Header: Depth=1
	scratch_load_b64 v[80:81], v78, off
	ds_load_b64 v[82:83], v77
	s_wait_xcnt 0x0
	v_dual_add_nc_u32 v77, 8, v77 :: v_dual_add_nc_u32 v78, 8, v78
	s_wait_loadcnt_dscnt 0x0
	v_pk_mul_f32 v[84:85], v[82:83], v[80:81] op_sel:[1,1] op_sel_hi:[0,1]
	s_delay_alu instid0(VALU_DEP_1) | instskip(SKIP_2) | instid1(VALU_DEP_3)
	v_pk_fma_f32 v[86:87], v[82:83], v[80:81], v[84:85] op_sel_hi:[1,0,1]
	v_add_nc_u32_e32 v79, 1, v79
	v_pk_fma_f32 v[80:81], v[82:83], v[80:81], v[84:85] neg_lo:[0,0,1] neg_hi:[0,0,1]
	v_mov_b32_e32 v81, v87
	s_delay_alu instid0(VALU_DEP_3) | instskip(NEXT) | instid1(VALU_DEP_2)
	v_cmp_lt_u32_e32 vcc_lo, 23, v79
	v_pk_add_f32 v[74:75], v[74:75], v[80:81]
	s_or_b32 s5, vcc_lo, s5
	s_delay_alu instid0(SALU_CYCLE_1)
	s_and_not1_b32 exec_lo, exec_lo, s5
	s_cbranch_execnz .LBB98_587
; %bb.588:
	s_or_b32 exec_lo, exec_lo, s5
.LBB98_589:
	s_delay_alu instid0(SALU_CYCLE_1) | instskip(SKIP_4) | instid1(VALU_DEP_1)
	s_or_b32 exec_lo, exec_lo, s4
	v_mov_b32_e32 v77, 0
	ds_load_b64 v[78:79], v77 offset:200
	s_wait_dscnt 0x0
	v_pk_mul_f32 v[80:81], v[74:75], v[78:79] op_sel:[1,1] op_sel_hi:[0,1]
	v_pk_fma_f32 v[82:83], v[74:75], v[78:79], v[80:81] op_sel_hi:[1,0,1]
	v_pk_fma_f32 v[74:75], v[74:75], v[78:79], v[80:81] neg_lo:[0,0,1] neg_hi:[0,0,1]
	s_delay_alu instid0(VALU_DEP_2)
	v_mov_b32_e32 v75, v83
	scratch_store_b64 off, v[74:75], off offset:200
.LBB98_590:
	s_wait_xcnt 0x0
	s_or_b32 exec_lo, exec_lo, s0
	scratch_load_b64 v[74:75], off, off offset:208
	s_mov_b32 s0, exec_lo
	s_wait_loadcnt 0x0
	ds_store_b64 v1, v[74:75]
	s_wait_storecnt_dscnt 0x0
	s_barrier_signal -1
	s_barrier_wait -1
	s_wait_xcnt 0x0
	v_cmpx_gt_u32_e32 26, v0
	s_cbranch_execz .LBB98_600
; %bb.591:
	v_cmp_ne_u32_e32 vcc_lo, 1, v76
	s_cbranch_vccnz .LBB98_593
; %bb.592:
	scratch_load_b64 v[74:75], v59, off
	ds_load_b64 v[78:79], v1
	s_wait_loadcnt_dscnt 0x0
	v_pk_mul_f32 v[80:81], v[78:79], v[74:75] op_sel:[1,1] op_sel_hi:[0,1]
	s_delay_alu instid0(VALU_DEP_1) | instskip(SKIP_1) | instid1(VALU_DEP_2)
	v_pk_fma_f32 v[82:83], v[78:79], v[74:75], v[80:81] op_sel_hi:[1,0,1]
	v_pk_fma_f32 v[74:75], v[78:79], v[74:75], v[80:81] neg_lo:[0,0,1] neg_hi:[0,0,1]
	v_mov_b32_e32 v75, v83
	s_cbranch_execz .LBB98_594
	s_branch .LBB98_595
.LBB98_593:
                                        ; implicit-def: $vgpr74_vgpr75
.LBB98_594:
	ds_load_b64 v[74:75], v1
.LBB98_595:
	s_mov_b32 s4, exec_lo
	v_cmpx_ne_u32_e32 25, v0
	s_cbranch_execz .LBB98_599
; %bb.596:
	v_add_nc_u32_e32 v77, 0x128, v58
	v_add3_u32 v78, 0, v58, 8
	v_mov_b32_e32 v79, v0
	s_mov_b32 s5, 0
.LBB98_597:                             ; =>This Inner Loop Header: Depth=1
	scratch_load_b64 v[80:81], v78, off
	ds_load_b64 v[82:83], v77
	s_wait_xcnt 0x0
	v_dual_add_nc_u32 v77, 8, v77 :: v_dual_add_nc_u32 v78, 8, v78
	s_wait_loadcnt_dscnt 0x0
	v_pk_mul_f32 v[84:85], v[82:83], v[80:81] op_sel:[1,1] op_sel_hi:[0,1]
	s_delay_alu instid0(VALU_DEP_1) | instskip(SKIP_2) | instid1(VALU_DEP_3)
	v_pk_fma_f32 v[86:87], v[82:83], v[80:81], v[84:85] op_sel_hi:[1,0,1]
	v_add_nc_u32_e32 v79, 1, v79
	v_pk_fma_f32 v[80:81], v[82:83], v[80:81], v[84:85] neg_lo:[0,0,1] neg_hi:[0,0,1]
	v_mov_b32_e32 v81, v87
	s_delay_alu instid0(VALU_DEP_3) | instskip(NEXT) | instid1(VALU_DEP_2)
	v_cmp_lt_u32_e32 vcc_lo, 24, v79
	v_pk_add_f32 v[74:75], v[74:75], v[80:81]
	s_or_b32 s5, vcc_lo, s5
	s_delay_alu instid0(SALU_CYCLE_1)
	s_and_not1_b32 exec_lo, exec_lo, s5
	s_cbranch_execnz .LBB98_597
; %bb.598:
	s_or_b32 exec_lo, exec_lo, s5
.LBB98_599:
	s_delay_alu instid0(SALU_CYCLE_1) | instskip(SKIP_4) | instid1(VALU_DEP_1)
	s_or_b32 exec_lo, exec_lo, s4
	v_mov_b32_e32 v77, 0
	ds_load_b64 v[78:79], v77 offset:208
	s_wait_dscnt 0x0
	v_pk_mul_f32 v[80:81], v[74:75], v[78:79] op_sel:[1,1] op_sel_hi:[0,1]
	v_pk_fma_f32 v[82:83], v[74:75], v[78:79], v[80:81] op_sel_hi:[1,0,1]
	v_pk_fma_f32 v[74:75], v[74:75], v[78:79], v[80:81] neg_lo:[0,0,1] neg_hi:[0,0,1]
	s_delay_alu instid0(VALU_DEP_2)
	v_mov_b32_e32 v75, v83
	scratch_store_b64 off, v[74:75], off offset:208
.LBB98_600:
	s_wait_xcnt 0x0
	s_or_b32 exec_lo, exec_lo, s0
	scratch_load_b64 v[74:75], off, off offset:216
	s_mov_b32 s0, exec_lo
	s_wait_loadcnt 0x0
	ds_store_b64 v1, v[74:75]
	s_wait_storecnt_dscnt 0x0
	s_barrier_signal -1
	s_barrier_wait -1
	s_wait_xcnt 0x0
	v_cmpx_gt_u32_e32 27, v0
	s_cbranch_execz .LBB98_610
; %bb.601:
	v_cmp_ne_u32_e32 vcc_lo, 1, v76
	s_cbranch_vccnz .LBB98_603
; %bb.602:
	scratch_load_b64 v[74:75], v59, off
	ds_load_b64 v[78:79], v1
	s_wait_loadcnt_dscnt 0x0
	v_pk_mul_f32 v[80:81], v[78:79], v[74:75] op_sel:[1,1] op_sel_hi:[0,1]
	s_delay_alu instid0(VALU_DEP_1) | instskip(SKIP_1) | instid1(VALU_DEP_2)
	v_pk_fma_f32 v[82:83], v[78:79], v[74:75], v[80:81] op_sel_hi:[1,0,1]
	v_pk_fma_f32 v[74:75], v[78:79], v[74:75], v[80:81] neg_lo:[0,0,1] neg_hi:[0,0,1]
	v_mov_b32_e32 v75, v83
	s_cbranch_execz .LBB98_604
	s_branch .LBB98_605
.LBB98_603:
                                        ; implicit-def: $vgpr74_vgpr75
.LBB98_604:
	ds_load_b64 v[74:75], v1
.LBB98_605:
	s_mov_b32 s4, exec_lo
	v_cmpx_ne_u32_e32 26, v0
	s_cbranch_execz .LBB98_609
; %bb.606:
	v_add_nc_u32_e32 v77, 0x128, v58
	v_add3_u32 v78, 0, v58, 8
	v_mov_b32_e32 v79, v0
	s_mov_b32 s5, 0
.LBB98_607:                             ; =>This Inner Loop Header: Depth=1
	scratch_load_b64 v[80:81], v78, off
	ds_load_b64 v[82:83], v77
	s_wait_xcnt 0x0
	v_dual_add_nc_u32 v77, 8, v77 :: v_dual_add_nc_u32 v78, 8, v78
	s_wait_loadcnt_dscnt 0x0
	v_pk_mul_f32 v[84:85], v[82:83], v[80:81] op_sel:[1,1] op_sel_hi:[0,1]
	s_delay_alu instid0(VALU_DEP_1) | instskip(SKIP_2) | instid1(VALU_DEP_3)
	v_pk_fma_f32 v[86:87], v[82:83], v[80:81], v[84:85] op_sel_hi:[1,0,1]
	v_add_nc_u32_e32 v79, 1, v79
	v_pk_fma_f32 v[80:81], v[82:83], v[80:81], v[84:85] neg_lo:[0,0,1] neg_hi:[0,0,1]
	v_mov_b32_e32 v81, v87
	s_delay_alu instid0(VALU_DEP_3) | instskip(NEXT) | instid1(VALU_DEP_2)
	v_cmp_lt_u32_e32 vcc_lo, 25, v79
	v_pk_add_f32 v[74:75], v[74:75], v[80:81]
	s_or_b32 s5, vcc_lo, s5
	s_delay_alu instid0(SALU_CYCLE_1)
	s_and_not1_b32 exec_lo, exec_lo, s5
	s_cbranch_execnz .LBB98_607
; %bb.608:
	s_or_b32 exec_lo, exec_lo, s5
.LBB98_609:
	s_delay_alu instid0(SALU_CYCLE_1) | instskip(SKIP_4) | instid1(VALU_DEP_1)
	s_or_b32 exec_lo, exec_lo, s4
	v_mov_b32_e32 v77, 0
	ds_load_b64 v[78:79], v77 offset:216
	s_wait_dscnt 0x0
	v_pk_mul_f32 v[80:81], v[74:75], v[78:79] op_sel:[1,1] op_sel_hi:[0,1]
	v_pk_fma_f32 v[82:83], v[74:75], v[78:79], v[80:81] op_sel_hi:[1,0,1]
	v_pk_fma_f32 v[74:75], v[74:75], v[78:79], v[80:81] neg_lo:[0,0,1] neg_hi:[0,0,1]
	s_delay_alu instid0(VALU_DEP_2)
	v_mov_b32_e32 v75, v83
	scratch_store_b64 off, v[74:75], off offset:216
.LBB98_610:
	s_wait_xcnt 0x0
	s_or_b32 exec_lo, exec_lo, s0
	scratch_load_b64 v[74:75], off, off offset:224
	s_mov_b32 s0, exec_lo
	s_wait_loadcnt 0x0
	ds_store_b64 v1, v[74:75]
	s_wait_storecnt_dscnt 0x0
	s_barrier_signal -1
	s_barrier_wait -1
	s_wait_xcnt 0x0
	v_cmpx_gt_u32_e32 28, v0
	s_cbranch_execz .LBB98_620
; %bb.611:
	v_cmp_ne_u32_e32 vcc_lo, 1, v76
	s_cbranch_vccnz .LBB98_613
; %bb.612:
	scratch_load_b64 v[74:75], v59, off
	ds_load_b64 v[78:79], v1
	s_wait_loadcnt_dscnt 0x0
	v_pk_mul_f32 v[80:81], v[78:79], v[74:75] op_sel:[1,1] op_sel_hi:[0,1]
	s_delay_alu instid0(VALU_DEP_1) | instskip(SKIP_1) | instid1(VALU_DEP_2)
	v_pk_fma_f32 v[82:83], v[78:79], v[74:75], v[80:81] op_sel_hi:[1,0,1]
	v_pk_fma_f32 v[74:75], v[78:79], v[74:75], v[80:81] neg_lo:[0,0,1] neg_hi:[0,0,1]
	v_mov_b32_e32 v75, v83
	s_cbranch_execz .LBB98_614
	s_branch .LBB98_615
.LBB98_613:
                                        ; implicit-def: $vgpr74_vgpr75
.LBB98_614:
	ds_load_b64 v[74:75], v1
.LBB98_615:
	s_mov_b32 s4, exec_lo
	v_cmpx_ne_u32_e32 27, v0
	s_cbranch_execz .LBB98_619
; %bb.616:
	v_add_nc_u32_e32 v77, 0x128, v58
	v_add3_u32 v78, 0, v58, 8
	v_mov_b32_e32 v79, v0
	s_mov_b32 s5, 0
.LBB98_617:                             ; =>This Inner Loop Header: Depth=1
	scratch_load_b64 v[80:81], v78, off
	ds_load_b64 v[82:83], v77
	s_wait_xcnt 0x0
	v_dual_add_nc_u32 v77, 8, v77 :: v_dual_add_nc_u32 v78, 8, v78
	s_wait_loadcnt_dscnt 0x0
	v_pk_mul_f32 v[84:85], v[82:83], v[80:81] op_sel:[1,1] op_sel_hi:[0,1]
	s_delay_alu instid0(VALU_DEP_1) | instskip(SKIP_2) | instid1(VALU_DEP_3)
	v_pk_fma_f32 v[86:87], v[82:83], v[80:81], v[84:85] op_sel_hi:[1,0,1]
	v_add_nc_u32_e32 v79, 1, v79
	v_pk_fma_f32 v[80:81], v[82:83], v[80:81], v[84:85] neg_lo:[0,0,1] neg_hi:[0,0,1]
	v_mov_b32_e32 v81, v87
	s_delay_alu instid0(VALU_DEP_3) | instskip(NEXT) | instid1(VALU_DEP_2)
	v_cmp_lt_u32_e32 vcc_lo, 26, v79
	v_pk_add_f32 v[74:75], v[74:75], v[80:81]
	s_or_b32 s5, vcc_lo, s5
	s_delay_alu instid0(SALU_CYCLE_1)
	s_and_not1_b32 exec_lo, exec_lo, s5
	s_cbranch_execnz .LBB98_617
; %bb.618:
	s_or_b32 exec_lo, exec_lo, s5
.LBB98_619:
	s_delay_alu instid0(SALU_CYCLE_1) | instskip(SKIP_4) | instid1(VALU_DEP_1)
	s_or_b32 exec_lo, exec_lo, s4
	v_mov_b32_e32 v77, 0
	ds_load_b64 v[78:79], v77 offset:224
	s_wait_dscnt 0x0
	v_pk_mul_f32 v[80:81], v[74:75], v[78:79] op_sel:[1,1] op_sel_hi:[0,1]
	v_pk_fma_f32 v[82:83], v[74:75], v[78:79], v[80:81] op_sel_hi:[1,0,1]
	v_pk_fma_f32 v[74:75], v[74:75], v[78:79], v[80:81] neg_lo:[0,0,1] neg_hi:[0,0,1]
	s_delay_alu instid0(VALU_DEP_2)
	v_mov_b32_e32 v75, v83
	scratch_store_b64 off, v[74:75], off offset:224
.LBB98_620:
	s_wait_xcnt 0x0
	s_or_b32 exec_lo, exec_lo, s0
	scratch_load_b64 v[74:75], off, off offset:232
	s_mov_b32 s0, exec_lo
	s_wait_loadcnt 0x0
	ds_store_b64 v1, v[74:75]
	s_wait_storecnt_dscnt 0x0
	s_barrier_signal -1
	s_barrier_wait -1
	s_wait_xcnt 0x0
	v_cmpx_gt_u32_e32 29, v0
	s_cbranch_execz .LBB98_630
; %bb.621:
	v_cmp_ne_u32_e32 vcc_lo, 1, v76
	s_cbranch_vccnz .LBB98_623
; %bb.622:
	scratch_load_b64 v[74:75], v59, off
	ds_load_b64 v[78:79], v1
	s_wait_loadcnt_dscnt 0x0
	v_pk_mul_f32 v[80:81], v[78:79], v[74:75] op_sel:[1,1] op_sel_hi:[0,1]
	s_delay_alu instid0(VALU_DEP_1) | instskip(SKIP_1) | instid1(VALU_DEP_2)
	v_pk_fma_f32 v[82:83], v[78:79], v[74:75], v[80:81] op_sel_hi:[1,0,1]
	v_pk_fma_f32 v[74:75], v[78:79], v[74:75], v[80:81] neg_lo:[0,0,1] neg_hi:[0,0,1]
	v_mov_b32_e32 v75, v83
	s_cbranch_execz .LBB98_624
	s_branch .LBB98_625
.LBB98_623:
                                        ; implicit-def: $vgpr74_vgpr75
.LBB98_624:
	ds_load_b64 v[74:75], v1
.LBB98_625:
	s_mov_b32 s4, exec_lo
	v_cmpx_ne_u32_e32 28, v0
	s_cbranch_execz .LBB98_629
; %bb.626:
	v_add_nc_u32_e32 v77, 0x128, v58
	v_add3_u32 v78, 0, v58, 8
	v_mov_b32_e32 v79, v0
	s_mov_b32 s5, 0
.LBB98_627:                             ; =>This Inner Loop Header: Depth=1
	scratch_load_b64 v[80:81], v78, off
	ds_load_b64 v[82:83], v77
	s_wait_xcnt 0x0
	v_dual_add_nc_u32 v77, 8, v77 :: v_dual_add_nc_u32 v78, 8, v78
	s_wait_loadcnt_dscnt 0x0
	v_pk_mul_f32 v[84:85], v[82:83], v[80:81] op_sel:[1,1] op_sel_hi:[0,1]
	s_delay_alu instid0(VALU_DEP_1) | instskip(SKIP_2) | instid1(VALU_DEP_3)
	v_pk_fma_f32 v[86:87], v[82:83], v[80:81], v[84:85] op_sel_hi:[1,0,1]
	v_add_nc_u32_e32 v79, 1, v79
	v_pk_fma_f32 v[80:81], v[82:83], v[80:81], v[84:85] neg_lo:[0,0,1] neg_hi:[0,0,1]
	v_mov_b32_e32 v81, v87
	s_delay_alu instid0(VALU_DEP_3) | instskip(NEXT) | instid1(VALU_DEP_2)
	v_cmp_lt_u32_e32 vcc_lo, 27, v79
	v_pk_add_f32 v[74:75], v[74:75], v[80:81]
	s_or_b32 s5, vcc_lo, s5
	s_delay_alu instid0(SALU_CYCLE_1)
	s_and_not1_b32 exec_lo, exec_lo, s5
	s_cbranch_execnz .LBB98_627
; %bb.628:
	s_or_b32 exec_lo, exec_lo, s5
.LBB98_629:
	s_delay_alu instid0(SALU_CYCLE_1) | instskip(SKIP_4) | instid1(VALU_DEP_1)
	s_or_b32 exec_lo, exec_lo, s4
	v_mov_b32_e32 v77, 0
	ds_load_b64 v[78:79], v77 offset:232
	s_wait_dscnt 0x0
	v_pk_mul_f32 v[80:81], v[74:75], v[78:79] op_sel:[1,1] op_sel_hi:[0,1]
	v_pk_fma_f32 v[82:83], v[74:75], v[78:79], v[80:81] op_sel_hi:[1,0,1]
	v_pk_fma_f32 v[74:75], v[74:75], v[78:79], v[80:81] neg_lo:[0,0,1] neg_hi:[0,0,1]
	s_delay_alu instid0(VALU_DEP_2)
	v_mov_b32_e32 v75, v83
	scratch_store_b64 off, v[74:75], off offset:232
.LBB98_630:
	s_wait_xcnt 0x0
	s_or_b32 exec_lo, exec_lo, s0
	scratch_load_b64 v[74:75], off, off offset:240
	s_mov_b32 s0, exec_lo
	s_wait_loadcnt 0x0
	ds_store_b64 v1, v[74:75]
	s_wait_storecnt_dscnt 0x0
	s_barrier_signal -1
	s_barrier_wait -1
	s_wait_xcnt 0x0
	v_cmpx_gt_u32_e32 30, v0
	s_cbranch_execz .LBB98_640
; %bb.631:
	v_cmp_ne_u32_e32 vcc_lo, 1, v76
	s_cbranch_vccnz .LBB98_633
; %bb.632:
	scratch_load_b64 v[74:75], v59, off
	ds_load_b64 v[78:79], v1
	s_wait_loadcnt_dscnt 0x0
	v_pk_mul_f32 v[80:81], v[78:79], v[74:75] op_sel:[1,1] op_sel_hi:[0,1]
	s_delay_alu instid0(VALU_DEP_1) | instskip(SKIP_1) | instid1(VALU_DEP_2)
	v_pk_fma_f32 v[82:83], v[78:79], v[74:75], v[80:81] op_sel_hi:[1,0,1]
	v_pk_fma_f32 v[74:75], v[78:79], v[74:75], v[80:81] neg_lo:[0,0,1] neg_hi:[0,0,1]
	v_mov_b32_e32 v75, v83
	s_cbranch_execz .LBB98_634
	s_branch .LBB98_635
.LBB98_633:
                                        ; implicit-def: $vgpr74_vgpr75
.LBB98_634:
	ds_load_b64 v[74:75], v1
.LBB98_635:
	s_mov_b32 s4, exec_lo
	v_cmpx_ne_u32_e32 29, v0
	s_cbranch_execz .LBB98_639
; %bb.636:
	v_add_nc_u32_e32 v77, 0x128, v58
	v_add3_u32 v78, 0, v58, 8
	v_mov_b32_e32 v79, v0
	s_mov_b32 s5, 0
.LBB98_637:                             ; =>This Inner Loop Header: Depth=1
	scratch_load_b64 v[80:81], v78, off
	ds_load_b64 v[82:83], v77
	s_wait_xcnt 0x0
	v_dual_add_nc_u32 v77, 8, v77 :: v_dual_add_nc_u32 v78, 8, v78
	s_wait_loadcnt_dscnt 0x0
	v_pk_mul_f32 v[84:85], v[82:83], v[80:81] op_sel:[1,1] op_sel_hi:[0,1]
	s_delay_alu instid0(VALU_DEP_1) | instskip(SKIP_2) | instid1(VALU_DEP_3)
	v_pk_fma_f32 v[86:87], v[82:83], v[80:81], v[84:85] op_sel_hi:[1,0,1]
	v_add_nc_u32_e32 v79, 1, v79
	v_pk_fma_f32 v[80:81], v[82:83], v[80:81], v[84:85] neg_lo:[0,0,1] neg_hi:[0,0,1]
	v_mov_b32_e32 v81, v87
	s_delay_alu instid0(VALU_DEP_3) | instskip(NEXT) | instid1(VALU_DEP_2)
	v_cmp_lt_u32_e32 vcc_lo, 28, v79
	v_pk_add_f32 v[74:75], v[74:75], v[80:81]
	s_or_b32 s5, vcc_lo, s5
	s_delay_alu instid0(SALU_CYCLE_1)
	s_and_not1_b32 exec_lo, exec_lo, s5
	s_cbranch_execnz .LBB98_637
; %bb.638:
	s_or_b32 exec_lo, exec_lo, s5
.LBB98_639:
	s_delay_alu instid0(SALU_CYCLE_1) | instskip(SKIP_4) | instid1(VALU_DEP_1)
	s_or_b32 exec_lo, exec_lo, s4
	v_mov_b32_e32 v77, 0
	ds_load_b64 v[78:79], v77 offset:240
	s_wait_dscnt 0x0
	v_pk_mul_f32 v[80:81], v[74:75], v[78:79] op_sel:[1,1] op_sel_hi:[0,1]
	v_pk_fma_f32 v[82:83], v[74:75], v[78:79], v[80:81] op_sel_hi:[1,0,1]
	v_pk_fma_f32 v[74:75], v[74:75], v[78:79], v[80:81] neg_lo:[0,0,1] neg_hi:[0,0,1]
	s_delay_alu instid0(VALU_DEP_2)
	v_mov_b32_e32 v75, v83
	scratch_store_b64 off, v[74:75], off offset:240
.LBB98_640:
	s_wait_xcnt 0x0
	s_or_b32 exec_lo, exec_lo, s0
	scratch_load_b64 v[74:75], off, off offset:248
	s_mov_b32 s0, exec_lo
	s_wait_loadcnt 0x0
	ds_store_b64 v1, v[74:75]
	s_wait_storecnt_dscnt 0x0
	s_barrier_signal -1
	s_barrier_wait -1
	s_wait_xcnt 0x0
	v_cmpx_gt_u32_e32 31, v0
	s_cbranch_execz .LBB98_650
; %bb.641:
	v_cmp_ne_u32_e32 vcc_lo, 1, v76
	s_cbranch_vccnz .LBB98_643
; %bb.642:
	scratch_load_b64 v[74:75], v59, off
	ds_load_b64 v[78:79], v1
	s_wait_loadcnt_dscnt 0x0
	v_pk_mul_f32 v[80:81], v[78:79], v[74:75] op_sel:[1,1] op_sel_hi:[0,1]
	s_delay_alu instid0(VALU_DEP_1) | instskip(SKIP_1) | instid1(VALU_DEP_2)
	v_pk_fma_f32 v[82:83], v[78:79], v[74:75], v[80:81] op_sel_hi:[1,0,1]
	v_pk_fma_f32 v[74:75], v[78:79], v[74:75], v[80:81] neg_lo:[0,0,1] neg_hi:[0,0,1]
	v_mov_b32_e32 v75, v83
	s_cbranch_execz .LBB98_644
	s_branch .LBB98_645
.LBB98_643:
                                        ; implicit-def: $vgpr74_vgpr75
.LBB98_644:
	ds_load_b64 v[74:75], v1
.LBB98_645:
	s_mov_b32 s4, exec_lo
	v_cmpx_ne_u32_e32 30, v0
	s_cbranch_execz .LBB98_649
; %bb.646:
	v_add_nc_u32_e32 v77, 0x128, v58
	v_add3_u32 v78, 0, v58, 8
	v_mov_b32_e32 v79, v0
	s_mov_b32 s5, 0
.LBB98_647:                             ; =>This Inner Loop Header: Depth=1
	scratch_load_b64 v[80:81], v78, off
	ds_load_b64 v[82:83], v77
	s_wait_xcnt 0x0
	v_dual_add_nc_u32 v77, 8, v77 :: v_dual_add_nc_u32 v78, 8, v78
	s_wait_loadcnt_dscnt 0x0
	v_pk_mul_f32 v[84:85], v[82:83], v[80:81] op_sel:[1,1] op_sel_hi:[0,1]
	s_delay_alu instid0(VALU_DEP_1) | instskip(SKIP_2) | instid1(VALU_DEP_3)
	v_pk_fma_f32 v[86:87], v[82:83], v[80:81], v[84:85] op_sel_hi:[1,0,1]
	v_add_nc_u32_e32 v79, 1, v79
	v_pk_fma_f32 v[80:81], v[82:83], v[80:81], v[84:85] neg_lo:[0,0,1] neg_hi:[0,0,1]
	v_mov_b32_e32 v81, v87
	s_delay_alu instid0(VALU_DEP_3) | instskip(NEXT) | instid1(VALU_DEP_2)
	v_cmp_lt_u32_e32 vcc_lo, 29, v79
	v_pk_add_f32 v[74:75], v[74:75], v[80:81]
	s_or_b32 s5, vcc_lo, s5
	s_delay_alu instid0(SALU_CYCLE_1)
	s_and_not1_b32 exec_lo, exec_lo, s5
	s_cbranch_execnz .LBB98_647
; %bb.648:
	s_or_b32 exec_lo, exec_lo, s5
.LBB98_649:
	s_delay_alu instid0(SALU_CYCLE_1) | instskip(SKIP_4) | instid1(VALU_DEP_1)
	s_or_b32 exec_lo, exec_lo, s4
	v_mov_b32_e32 v77, 0
	ds_load_b64 v[78:79], v77 offset:248
	s_wait_dscnt 0x0
	v_pk_mul_f32 v[80:81], v[74:75], v[78:79] op_sel:[1,1] op_sel_hi:[0,1]
	v_pk_fma_f32 v[82:83], v[74:75], v[78:79], v[80:81] op_sel_hi:[1,0,1]
	v_pk_fma_f32 v[74:75], v[74:75], v[78:79], v[80:81] neg_lo:[0,0,1] neg_hi:[0,0,1]
	s_delay_alu instid0(VALU_DEP_2)
	v_mov_b32_e32 v75, v83
	scratch_store_b64 off, v[74:75], off offset:248
.LBB98_650:
	s_wait_xcnt 0x0
	s_or_b32 exec_lo, exec_lo, s0
	scratch_load_b64 v[74:75], off, off offset:256
	s_mov_b32 s0, exec_lo
	s_wait_loadcnt 0x0
	ds_store_b64 v1, v[74:75]
	s_wait_storecnt_dscnt 0x0
	s_barrier_signal -1
	s_barrier_wait -1
	s_wait_xcnt 0x0
	v_cmpx_gt_u32_e32 32, v0
	s_cbranch_execz .LBB98_660
; %bb.651:
	v_cmp_ne_u32_e32 vcc_lo, 1, v76
	s_cbranch_vccnz .LBB98_653
; %bb.652:
	scratch_load_b64 v[74:75], v59, off
	ds_load_b64 v[78:79], v1
	s_wait_loadcnt_dscnt 0x0
	v_pk_mul_f32 v[80:81], v[78:79], v[74:75] op_sel:[1,1] op_sel_hi:[0,1]
	s_delay_alu instid0(VALU_DEP_1) | instskip(SKIP_1) | instid1(VALU_DEP_2)
	v_pk_fma_f32 v[82:83], v[78:79], v[74:75], v[80:81] op_sel_hi:[1,0,1]
	v_pk_fma_f32 v[74:75], v[78:79], v[74:75], v[80:81] neg_lo:[0,0,1] neg_hi:[0,0,1]
	v_mov_b32_e32 v75, v83
	s_cbranch_execz .LBB98_654
	s_branch .LBB98_655
.LBB98_653:
                                        ; implicit-def: $vgpr74_vgpr75
.LBB98_654:
	ds_load_b64 v[74:75], v1
.LBB98_655:
	s_mov_b32 s4, exec_lo
	v_cmpx_ne_u32_e32 31, v0
	s_cbranch_execz .LBB98_659
; %bb.656:
	v_add_nc_u32_e32 v77, 0x128, v58
	v_add3_u32 v78, 0, v58, 8
	v_mov_b32_e32 v79, v0
	s_mov_b32 s5, 0
.LBB98_657:                             ; =>This Inner Loop Header: Depth=1
	scratch_load_b64 v[80:81], v78, off
	ds_load_b64 v[82:83], v77
	s_wait_xcnt 0x0
	v_dual_add_nc_u32 v77, 8, v77 :: v_dual_add_nc_u32 v78, 8, v78
	s_wait_loadcnt_dscnt 0x0
	v_pk_mul_f32 v[84:85], v[82:83], v[80:81] op_sel:[1,1] op_sel_hi:[0,1]
	s_delay_alu instid0(VALU_DEP_1) | instskip(SKIP_2) | instid1(VALU_DEP_3)
	v_pk_fma_f32 v[86:87], v[82:83], v[80:81], v[84:85] op_sel_hi:[1,0,1]
	v_add_nc_u32_e32 v79, 1, v79
	v_pk_fma_f32 v[80:81], v[82:83], v[80:81], v[84:85] neg_lo:[0,0,1] neg_hi:[0,0,1]
	v_mov_b32_e32 v81, v87
	s_delay_alu instid0(VALU_DEP_3) | instskip(NEXT) | instid1(VALU_DEP_2)
	v_cmp_lt_u32_e32 vcc_lo, 30, v79
	v_pk_add_f32 v[74:75], v[74:75], v[80:81]
	s_or_b32 s5, vcc_lo, s5
	s_delay_alu instid0(SALU_CYCLE_1)
	s_and_not1_b32 exec_lo, exec_lo, s5
	s_cbranch_execnz .LBB98_657
; %bb.658:
	s_or_b32 exec_lo, exec_lo, s5
.LBB98_659:
	s_delay_alu instid0(SALU_CYCLE_1) | instskip(SKIP_4) | instid1(VALU_DEP_1)
	s_or_b32 exec_lo, exec_lo, s4
	v_mov_b32_e32 v77, 0
	ds_load_b64 v[78:79], v77 offset:256
	s_wait_dscnt 0x0
	v_pk_mul_f32 v[80:81], v[74:75], v[78:79] op_sel:[1,1] op_sel_hi:[0,1]
	v_pk_fma_f32 v[82:83], v[74:75], v[78:79], v[80:81] op_sel_hi:[1,0,1]
	v_pk_fma_f32 v[74:75], v[74:75], v[78:79], v[80:81] neg_lo:[0,0,1] neg_hi:[0,0,1]
	s_delay_alu instid0(VALU_DEP_2)
	v_mov_b32_e32 v75, v83
	scratch_store_b64 off, v[74:75], off offset:256
.LBB98_660:
	s_wait_xcnt 0x0
	s_or_b32 exec_lo, exec_lo, s0
	scratch_load_b64 v[74:75], off, off offset:264
	v_cmp_gt_u32_e64 s0, 33, v0
	s_wait_loadcnt 0x0
	ds_store_b64 v1, v[74:75]
	s_wait_storecnt_dscnt 0x0
	s_barrier_signal -1
	s_barrier_wait -1
	s_wait_xcnt 0x0
	s_and_saveexec_b32 s4, s0
	s_cbranch_execz .LBB98_670
; %bb.661:
	v_cmp_ne_u32_e32 vcc_lo, 1, v76
	s_cbranch_vccnz .LBB98_663
; %bb.662:
	scratch_load_b64 v[74:75], v59, off
	ds_load_b64 v[78:79], v1
	s_wait_loadcnt_dscnt 0x0
	v_pk_mul_f32 v[80:81], v[78:79], v[74:75] op_sel:[1,1] op_sel_hi:[0,1]
	s_delay_alu instid0(VALU_DEP_1) | instskip(SKIP_1) | instid1(VALU_DEP_2)
	v_pk_fma_f32 v[82:83], v[78:79], v[74:75], v[80:81] op_sel_hi:[1,0,1]
	v_pk_fma_f32 v[74:75], v[78:79], v[74:75], v[80:81] neg_lo:[0,0,1] neg_hi:[0,0,1]
	v_mov_b32_e32 v75, v83
	s_cbranch_execz .LBB98_664
	s_branch .LBB98_665
.LBB98_663:
                                        ; implicit-def: $vgpr74_vgpr75
.LBB98_664:
	ds_load_b64 v[74:75], v1
.LBB98_665:
	s_mov_b32 s5, exec_lo
	v_cmpx_ne_u32_e32 32, v0
	s_cbranch_execz .LBB98_669
; %bb.666:
	v_add_nc_u32_e32 v77, 0x128, v58
	v_add3_u32 v78, 0, v58, 8
	v_mov_b32_e32 v79, v0
	s_mov_b32 s6, 0
.LBB98_667:                             ; =>This Inner Loop Header: Depth=1
	scratch_load_b64 v[80:81], v78, off
	ds_load_b64 v[82:83], v77
	s_wait_xcnt 0x0
	v_dual_add_nc_u32 v77, 8, v77 :: v_dual_add_nc_u32 v78, 8, v78
	s_wait_loadcnt_dscnt 0x0
	v_pk_mul_f32 v[84:85], v[82:83], v[80:81] op_sel:[1,1] op_sel_hi:[0,1]
	s_delay_alu instid0(VALU_DEP_1) | instskip(SKIP_2) | instid1(VALU_DEP_3)
	v_pk_fma_f32 v[86:87], v[82:83], v[80:81], v[84:85] op_sel_hi:[1,0,1]
	v_add_nc_u32_e32 v79, 1, v79
	v_pk_fma_f32 v[80:81], v[82:83], v[80:81], v[84:85] neg_lo:[0,0,1] neg_hi:[0,0,1]
	v_mov_b32_e32 v81, v87
	s_delay_alu instid0(VALU_DEP_3) | instskip(NEXT) | instid1(VALU_DEP_2)
	v_cmp_lt_u32_e32 vcc_lo, 31, v79
	v_pk_add_f32 v[74:75], v[74:75], v[80:81]
	s_or_b32 s6, vcc_lo, s6
	s_delay_alu instid0(SALU_CYCLE_1)
	s_and_not1_b32 exec_lo, exec_lo, s6
	s_cbranch_execnz .LBB98_667
; %bb.668:
	s_or_b32 exec_lo, exec_lo, s6
.LBB98_669:
	s_delay_alu instid0(SALU_CYCLE_1) | instskip(SKIP_4) | instid1(VALU_DEP_1)
	s_or_b32 exec_lo, exec_lo, s5
	v_mov_b32_e32 v77, 0
	ds_load_b64 v[78:79], v77 offset:264
	s_wait_dscnt 0x0
	v_pk_mul_f32 v[80:81], v[74:75], v[78:79] op_sel:[1,1] op_sel_hi:[0,1]
	v_pk_fma_f32 v[82:83], v[74:75], v[78:79], v[80:81] op_sel_hi:[1,0,1]
	v_pk_fma_f32 v[74:75], v[74:75], v[78:79], v[80:81] neg_lo:[0,0,1] neg_hi:[0,0,1]
	s_delay_alu instid0(VALU_DEP_2)
	v_mov_b32_e32 v75, v83
	scratch_store_b64 off, v[74:75], off offset:264
.LBB98_670:
	s_wait_xcnt 0x0
	s_or_b32 exec_lo, exec_lo, s4
	scratch_load_b64 v[74:75], off, off offset:272
	s_mov_b32 s4, exec_lo
                                        ; implicit-def: $vgpr104
                                        ; implicit-def: $sgpr7
	s_wait_loadcnt 0x0
	ds_store_b64 v1, v[74:75]
	s_wait_storecnt_dscnt 0x0
	s_barrier_signal -1
	s_barrier_wait -1
	s_wait_xcnt 0x0
	v_cmpx_ne_u32_e32 34, v0
	s_cbranch_execz .LBB98_680
; %bb.671:
	v_cmp_ne_u32_e32 vcc_lo, 1, v76
	s_cbranch_vccnz .LBB98_673
; %bb.672:
	scratch_load_b64 v[76:77], v59, off
	ds_load_b64 v[78:79], v1
	s_wait_loadcnt_dscnt 0x0
	v_dual_mul_f32 v59, v79, v77 :: v_dual_mul_f32 v75, v78, v77
	s_delay_alu instid0(VALU_DEP_1) | instskip(NEXT) | instid1(VALU_DEP_2)
	v_fma_f32 v74, v78, v76, -v59
	v_fmac_f32_e32 v75, v79, v76
	s_cbranch_execz .LBB98_674
	s_branch .LBB98_675
.LBB98_673:
                                        ; implicit-def: $vgpr75
.LBB98_674:
	ds_load_b64 v[74:75], v1
.LBB98_675:
	s_and_saveexec_b32 s5, s0
	s_cbranch_execz .LBB98_679
; %bb.676:
	v_add_nc_u32_e32 v1, 0x128, v58
	v_add3_u32 v58, 0, v58, 8
	s_mov_b32 s0, 0
.LBB98_677:                             ; =>This Inner Loop Header: Depth=1
	scratch_load_b64 v[76:77], v58, off
	ds_load_b64 v[78:79], v1
	v_dual_add_nc_u32 v0, 1, v0 :: v_dual_add_nc_u32 v1, 8, v1
	s_delay_alu instid0(VALU_DEP_1) | instskip(SKIP_3) | instid1(VALU_DEP_1)
	v_cmp_lt_u32_e32 vcc_lo, 32, v0
	s_or_b32 s0, vcc_lo, s0
	s_wait_loadcnt_dscnt 0x0
	v_dual_mul_f32 v59, v79, v77 :: v_dual_mul_f32 v77, v78, v77
	v_dual_fma_f32 v59, v78, v76, -v59 :: v_dual_fmac_f32 v77, v79, v76
	s_delay_alu instid0(VALU_DEP_1) | instskip(NEXT) | instid1(VALU_DEP_2)
	v_dual_add_nc_u32 v58, 8, v58 :: v_dual_add_f32 v74, v74, v59
	v_add_f32_e32 v75, v75, v77
	s_and_not1_b32 exec_lo, exec_lo, s0
	s_cbranch_execnz .LBB98_677
; %bb.678:
	s_or_b32 exec_lo, exec_lo, s0
.LBB98_679:
	s_delay_alu instid0(SALU_CYCLE_1)
	s_or_b32 exec_lo, exec_lo, s5
	v_mov_b32_e32 v0, 0
	s_movk_i32 s7, 0x114
	s_or_b32 s1, s1, exec_lo
	ds_load_b64 v[0:1], v0 offset:272
	s_wait_dscnt 0x0
	v_dual_mul_f32 v58, v75, v1 :: v_dual_mul_f32 v104, v74, v1
	s_delay_alu instid0(VALU_DEP_1)
	v_dual_fma_f32 v1, v74, v0, -v58 :: v_dual_fmac_f32 v104, v75, v0
	scratch_store_b32 off, v1, off offset:272
.LBB98_680:
	s_wait_xcnt 0x0
	s_or_b32 exec_lo, exec_lo, s4
.LBB98_681:
	v_lshl_add_u64 v[102:103], v[6:7], 3, s[2:3]
	v_lshl_add_u64 v[100:101], v[8:9], 3, s[2:3]
	;; [unrolled: 1-line block ×33, first 2 shown]
	s_and_saveexec_b32 s0, s1
	s_cbranch_execz .LBB98_683
; %bb.682:
	scratch_store_b32 off, v104, s7
.LBB98_683:
	s_wait_xcnt 0x0
	s_or_b32 exec_lo, exec_lo, s0
	scratch_load_b64 v[38:39], off, off
	s_wait_loadcnt 0x0
	flat_store_b64 v[2:3], v[38:39]
	scratch_load_b64 v[2:3], off, off offset:8
	s_wait_loadcnt 0x0
	flat_store_b64 v[4:5], v[2:3]
	scratch_load_b64 v[2:3], off, off offset:16
	s_wait_loadcnt 0x0
	flat_store_b64 v[102:103], v[2:3]
	scratch_load_b64 v[2:3], off, off offset:24
	s_wait_loadcnt 0x0
	flat_store_b64 v[100:101], v[2:3]
	scratch_load_b64 v[2:3], off, off offset:32
	s_wait_loadcnt 0x0
	flat_store_b64 v[98:99], v[2:3]
	scratch_load_b64 v[2:3], off, off offset:40
	s_wait_loadcnt 0x0
	flat_store_b64 v[96:97], v[2:3]
	scratch_load_b64 v[2:3], off, off offset:48
	s_wait_loadcnt 0x0
	flat_store_b64 v[94:95], v[2:3]
	scratch_load_b64 v[2:3], off, off offset:56
	s_wait_loadcnt 0x0
	flat_store_b64 v[92:93], v[2:3]
	scratch_load_b64 v[2:3], off, off offset:64
	s_wait_loadcnt 0x0
	flat_store_b64 v[90:91], v[2:3]
	scratch_load_b64 v[2:3], off, off offset:72
	s_wait_loadcnt 0x0
	flat_store_b64 v[88:89], v[2:3]
	scratch_load_b64 v[2:3], off, off offset:80
	s_wait_loadcnt 0x0
	flat_store_b64 v[86:87], v[2:3]
	scratch_load_b64 v[2:3], off, off offset:88
	s_wait_loadcnt 0x0
	flat_store_b64 v[84:85], v[2:3]
	scratch_load_b64 v[2:3], off, off offset:96
	s_wait_loadcnt 0x0
	flat_store_b64 v[82:83], v[2:3]
	scratch_load_b64 v[2:3], off, off offset:104
	s_wait_loadcnt 0x0
	flat_store_b64 v[80:81], v[2:3]
	scratch_load_b64 v[2:3], off, off offset:112
	s_wait_loadcnt 0x0
	flat_store_b64 v[78:79], v[2:3]
	scratch_load_b64 v[2:3], off, off offset:120
	s_wait_loadcnt 0x0
	flat_store_b64 v[76:77], v[2:3]
	scratch_load_b64 v[2:3], off, off offset:128
	s_wait_loadcnt 0x0
	flat_store_b64 v[74:75], v[2:3]
	scratch_load_b64 v[2:3], off, off offset:136
	s_wait_loadcnt 0x0
	flat_store_b64 v[58:59], v[2:3]
	scratch_load_b64 v[2:3], off, off offset:144
	s_wait_loadcnt 0x0
	flat_store_b64 v[36:37], v[2:3]
	scratch_load_b64 v[2:3], off, off offset:152
	s_wait_loadcnt 0x0
	flat_store_b64 v[34:35], v[2:3]
	scratch_load_b64 v[2:3], off, off offset:160
	s_wait_loadcnt 0x0
	flat_store_b64 v[32:33], v[2:3]
	scratch_load_b64 v[2:3], off, off offset:168
	s_wait_loadcnt 0x0
	flat_store_b64 v[30:31], v[2:3]
	scratch_load_b64 v[2:3], off, off offset:176
	s_wait_loadcnt 0x0
	flat_store_b64 v[28:29], v[2:3]
	scratch_load_b64 v[2:3], off, off offset:184
	s_wait_loadcnt 0x0
	flat_store_b64 v[26:27], v[2:3]
	scratch_load_b64 v[2:3], off, off offset:192
	s_wait_loadcnt 0x0
	flat_store_b64 v[24:25], v[2:3]
	scratch_load_b64 v[2:3], off, off offset:200
	s_wait_loadcnt 0x0
	flat_store_b64 v[22:23], v[2:3]
	scratch_load_b64 v[2:3], off, off offset:208
	s_wait_loadcnt 0x0
	flat_store_b64 v[20:21], v[2:3]
	scratch_load_b64 v[2:3], off, off offset:216
	s_wait_loadcnt 0x0
	flat_store_b64 v[18:19], v[2:3]
	scratch_load_b64 v[2:3], off, off offset:224
	s_wait_loadcnt 0x0
	flat_store_b64 v[16:17], v[2:3]
	scratch_load_b64 v[2:3], off, off offset:232
	s_wait_loadcnt 0x0
	flat_store_b64 v[14:15], v[2:3]
	scratch_load_b64 v[2:3], off, off offset:240
	s_wait_loadcnt 0x0
	flat_store_b64 v[12:13], v[2:3]
	scratch_load_b64 v[2:3], off, off offset:248
	s_wait_loadcnt 0x0
	flat_store_b64 v[10:11], v[2:3]
	scratch_load_b64 v[2:3], off, off offset:256
	s_wait_loadcnt 0x0
	flat_store_b64 v[8:9], v[2:3]
	scratch_load_b64 v[2:3], off, off offset:264
	s_wait_loadcnt 0x0
	flat_store_b64 v[6:7], v[2:3]
	scratch_load_b64 v[2:3], off, off offset:272
	s_wait_loadcnt 0x0
	flat_store_b64 v[0:1], v[2:3]
.LBB98_684:
	s_sendmsg sendmsg(MSG_DEALLOC_VGPRS)
	s_endpgm
	.section	.rodata,"a",@progbits
	.p2align	6, 0x0
	.amdhsa_kernel _ZN9rocsolver6v33100L18trti2_kernel_smallILi35E19rocblas_complex_numIfEPKPS3_EEv13rocblas_fill_17rocblas_diagonal_T1_iil
		.amdhsa_group_segment_fixed_size 568
		.amdhsa_private_segment_fixed_size 288
		.amdhsa_kernarg_size 32
		.amdhsa_user_sgpr_count 2
		.amdhsa_user_sgpr_dispatch_ptr 0
		.amdhsa_user_sgpr_queue_ptr 0
		.amdhsa_user_sgpr_kernarg_segment_ptr 1
		.amdhsa_user_sgpr_dispatch_id 0
		.amdhsa_user_sgpr_kernarg_preload_length 0
		.amdhsa_user_sgpr_kernarg_preload_offset 0
		.amdhsa_user_sgpr_private_segment_size 0
		.amdhsa_wavefront_size32 1
		.amdhsa_uses_dynamic_stack 0
		.amdhsa_enable_private_segment 1
		.amdhsa_system_sgpr_workgroup_id_x 1
		.amdhsa_system_sgpr_workgroup_id_y 0
		.amdhsa_system_sgpr_workgroup_id_z 0
		.amdhsa_system_sgpr_workgroup_info 0
		.amdhsa_system_vgpr_workitem_id 0
		.amdhsa_next_free_vgpr 105
		.amdhsa_next_free_sgpr 41
		.amdhsa_named_barrier_count 0
		.amdhsa_reserve_vcc 1
		.amdhsa_float_round_mode_32 0
		.amdhsa_float_round_mode_16_64 0
		.amdhsa_float_denorm_mode_32 3
		.amdhsa_float_denorm_mode_16_64 3
		.amdhsa_fp16_overflow 0
		.amdhsa_memory_ordered 1
		.amdhsa_forward_progress 1
		.amdhsa_inst_pref_size 211
		.amdhsa_round_robin_scheduling 0
		.amdhsa_exception_fp_ieee_invalid_op 0
		.amdhsa_exception_fp_denorm_src 0
		.amdhsa_exception_fp_ieee_div_zero 0
		.amdhsa_exception_fp_ieee_overflow 0
		.amdhsa_exception_fp_ieee_underflow 0
		.amdhsa_exception_fp_ieee_inexact 0
		.amdhsa_exception_int_div_zero 0
	.end_amdhsa_kernel
	.section	.text._ZN9rocsolver6v33100L18trti2_kernel_smallILi35E19rocblas_complex_numIfEPKPS3_EEv13rocblas_fill_17rocblas_diagonal_T1_iil,"axG",@progbits,_ZN9rocsolver6v33100L18trti2_kernel_smallILi35E19rocblas_complex_numIfEPKPS3_EEv13rocblas_fill_17rocblas_diagonal_T1_iil,comdat
.Lfunc_end98:
	.size	_ZN9rocsolver6v33100L18trti2_kernel_smallILi35E19rocblas_complex_numIfEPKPS3_EEv13rocblas_fill_17rocblas_diagonal_T1_iil, .Lfunc_end98-_ZN9rocsolver6v33100L18trti2_kernel_smallILi35E19rocblas_complex_numIfEPKPS3_EEv13rocblas_fill_17rocblas_diagonal_T1_iil
                                        ; -- End function
	.set _ZN9rocsolver6v33100L18trti2_kernel_smallILi35E19rocblas_complex_numIfEPKPS3_EEv13rocblas_fill_17rocblas_diagonal_T1_iil.num_vgpr, 105
	.set _ZN9rocsolver6v33100L18trti2_kernel_smallILi35E19rocblas_complex_numIfEPKPS3_EEv13rocblas_fill_17rocblas_diagonal_T1_iil.num_agpr, 0
	.set _ZN9rocsolver6v33100L18trti2_kernel_smallILi35E19rocblas_complex_numIfEPKPS3_EEv13rocblas_fill_17rocblas_diagonal_T1_iil.numbered_sgpr, 41
	.set _ZN9rocsolver6v33100L18trti2_kernel_smallILi35E19rocblas_complex_numIfEPKPS3_EEv13rocblas_fill_17rocblas_diagonal_T1_iil.num_named_barrier, 0
	.set _ZN9rocsolver6v33100L18trti2_kernel_smallILi35E19rocblas_complex_numIfEPKPS3_EEv13rocblas_fill_17rocblas_diagonal_T1_iil.private_seg_size, 288
	.set _ZN9rocsolver6v33100L18trti2_kernel_smallILi35E19rocblas_complex_numIfEPKPS3_EEv13rocblas_fill_17rocblas_diagonal_T1_iil.uses_vcc, 1
	.set _ZN9rocsolver6v33100L18trti2_kernel_smallILi35E19rocblas_complex_numIfEPKPS3_EEv13rocblas_fill_17rocblas_diagonal_T1_iil.uses_flat_scratch, 0
	.set _ZN9rocsolver6v33100L18trti2_kernel_smallILi35E19rocblas_complex_numIfEPKPS3_EEv13rocblas_fill_17rocblas_diagonal_T1_iil.has_dyn_sized_stack, 0
	.set _ZN9rocsolver6v33100L18trti2_kernel_smallILi35E19rocblas_complex_numIfEPKPS3_EEv13rocblas_fill_17rocblas_diagonal_T1_iil.has_recursion, 0
	.set _ZN9rocsolver6v33100L18trti2_kernel_smallILi35E19rocblas_complex_numIfEPKPS3_EEv13rocblas_fill_17rocblas_diagonal_T1_iil.has_indirect_call, 0
	.section	.AMDGPU.csdata,"",@progbits
; Kernel info:
; codeLenInByte = 26944
; TotalNumSgprs: 43
; NumVgprs: 105
; ScratchSize: 288
; MemoryBound: 0
; FloatMode: 240
; IeeeMode: 1
; LDSByteSize: 568 bytes/workgroup (compile time only)
; SGPRBlocks: 0
; VGPRBlocks: 6
; NumSGPRsForWavesPerEU: 43
; NumVGPRsForWavesPerEU: 105
; NamedBarCnt: 0
; Occupancy: 9
; WaveLimiterHint : 1
; COMPUTE_PGM_RSRC2:SCRATCH_EN: 1
; COMPUTE_PGM_RSRC2:USER_SGPR: 2
; COMPUTE_PGM_RSRC2:TRAP_HANDLER: 0
; COMPUTE_PGM_RSRC2:TGID_X_EN: 1
; COMPUTE_PGM_RSRC2:TGID_Y_EN: 0
; COMPUTE_PGM_RSRC2:TGID_Z_EN: 0
; COMPUTE_PGM_RSRC2:TIDIG_COMP_CNT: 0
	.section	.text._ZN9rocsolver6v33100L18trti2_kernel_smallILi36E19rocblas_complex_numIfEPKPS3_EEv13rocblas_fill_17rocblas_diagonal_T1_iil,"axG",@progbits,_ZN9rocsolver6v33100L18trti2_kernel_smallILi36E19rocblas_complex_numIfEPKPS3_EEv13rocblas_fill_17rocblas_diagonal_T1_iil,comdat
	.globl	_ZN9rocsolver6v33100L18trti2_kernel_smallILi36E19rocblas_complex_numIfEPKPS3_EEv13rocblas_fill_17rocblas_diagonal_T1_iil ; -- Begin function _ZN9rocsolver6v33100L18trti2_kernel_smallILi36E19rocblas_complex_numIfEPKPS3_EEv13rocblas_fill_17rocblas_diagonal_T1_iil
	.p2align	8
	.type	_ZN9rocsolver6v33100L18trti2_kernel_smallILi36E19rocblas_complex_numIfEPKPS3_EEv13rocblas_fill_17rocblas_diagonal_T1_iil,@function
_ZN9rocsolver6v33100L18trti2_kernel_smallILi36E19rocblas_complex_numIfEPKPS3_EEv13rocblas_fill_17rocblas_diagonal_T1_iil: ; @_ZN9rocsolver6v33100L18trti2_kernel_smallILi36E19rocblas_complex_numIfEPKPS3_EEv13rocblas_fill_17rocblas_diagonal_T1_iil
; %bb.0:
	s_mov_b32 s2, exec_lo
	v_cmpx_gt_u32_e32 36, v0
	s_cbranch_execz .LBB99_704
; %bb.1:
	s_clause 0x1
	s_load_b64 s[2:3], s[0:1], 0x10
	s_load_b128 s[4:7], s[0:1], 0x0
	s_wait_xcnt 0x0
	s_bfe_u32 s0, ttmp6, 0x4000c
	s_and_b32 s1, ttmp6, 15
	s_add_co_i32 s0, s0, 1
	s_getreg_b32 s8, hwreg(HW_REG_IB_STS2, 6, 4)
	s_mul_i32 s0, ttmp9, s0
	v_dual_mov_b32 v59, 0 :: v_dual_lshlrev_b32 v58, 3, v0
	s_add_co_i32 s0, s1, s0
	s_wait_kmcnt 0x0
	s_ashr_i32 s1, s2, 31
	s_cmp_eq_u32 s8, 0
	s_cselect_b32 s8, ttmp9, s0
	s_mov_b32 s0, s2
	s_ashr_i32 s9, s8, 31
	s_lshl_b64 s[0:1], s[0:1], 3
	s_lshl_b64 s[8:9], s[8:9], 3
	s_delay_alu instid0(SALU_CYCLE_1)
	s_add_nc_u64 s[6:7], s[6:7], s[8:9]
	s_load_b64 s[6:7], s[6:7], 0x0
	s_wait_kmcnt 0x0
	s_add_nc_u64 s[6:7], s[6:7], s[0:1]
	s_mov_b32 s0, s3
	flat_load_b64 v[6:7], v0, s[6:7] scale_offset
	v_add_nc_u64_e32 v[2:3], s[6:7], v[58:59]
	s_ashr_i32 s1, s3, 31
	s_cmp_lg_u32 s5, 0x84
	s_delay_alu instid0(VALU_DEP_1)
	v_lshl_add_u64 v[4:5], s[0:1], 3, v[2:3]
	s_mov_b32 s0, -1
	s_wait_loadcnt_dscnt 0x0
	scratch_store_b64 off, v[6:7], off
	flat_load_b64 v[8:9], v[4:5]
	s_wait_xcnt 0x1
	v_add3_u32 v6, s3, s3, v0
	s_wait_loadcnt_dscnt 0x0
	scratch_store_b64 off, v[8:9], off offset:8
	flat_load_b64 v[10:11], v6, s[6:7] scale_offset
	s_wait_xcnt 0x1
	v_add_nc_u32_e32 v8, s3, v6
	s_wait_loadcnt_dscnt 0x0
	scratch_store_b64 off, v[10:11], off offset:16
	flat_load_b64 v[12:13], v8, s[6:7] scale_offset
	s_wait_xcnt 0x1
	v_add_nc_u32_e32 v10, s3, v8
	s_wait_loadcnt_dscnt 0x0
	scratch_store_b64 off, v[12:13], off offset:24
	flat_load_b64 v[14:15], v10, s[6:7] scale_offset
	s_wait_xcnt 0x1
	v_add_nc_u32_e32 v12, s3, v10
	s_wait_loadcnt_dscnt 0x0
	scratch_store_b64 off, v[14:15], off offset:32
	flat_load_b64 v[16:17], v12, s[6:7] scale_offset
	s_wait_xcnt 0x1
	v_add_nc_u32_e32 v14, s3, v12
	s_wait_loadcnt_dscnt 0x0
	scratch_store_b64 off, v[16:17], off offset:40
	flat_load_b64 v[18:19], v14, s[6:7] scale_offset
	s_wait_xcnt 0x1
	v_add_nc_u32_e32 v16, s3, v14
	s_wait_loadcnt_dscnt 0x0
	scratch_store_b64 off, v[18:19], off offset:48
	flat_load_b64 v[20:21], v16, s[6:7] scale_offset
	s_wait_xcnt 0x1
	v_add_nc_u32_e32 v18, s3, v16
	s_wait_loadcnt_dscnt 0x0
	scratch_store_b64 off, v[20:21], off offset:56
	flat_load_b64 v[22:23], v18, s[6:7] scale_offset
	s_wait_xcnt 0x1
	v_add_nc_u32_e32 v20, s3, v18
	s_wait_loadcnt_dscnt 0x0
	scratch_store_b64 off, v[22:23], off offset:64
	flat_load_b64 v[24:25], v20, s[6:7] scale_offset
	s_wait_xcnt 0x1
	v_add_nc_u32_e32 v22, s3, v20
	s_wait_loadcnt_dscnt 0x0
	scratch_store_b64 off, v[24:25], off offset:72
	flat_load_b64 v[26:27], v22, s[6:7] scale_offset
	s_wait_xcnt 0x1
	v_add_nc_u32_e32 v24, s3, v22
	s_wait_loadcnt_dscnt 0x0
	scratch_store_b64 off, v[26:27], off offset:80
	flat_load_b64 v[28:29], v24, s[6:7] scale_offset
	s_wait_xcnt 0x1
	v_add_nc_u32_e32 v26, s3, v24
	s_wait_loadcnt_dscnt 0x0
	scratch_store_b64 off, v[28:29], off offset:88
	flat_load_b64 v[30:31], v26, s[6:7] scale_offset
	s_wait_xcnt 0x1
	v_add_nc_u32_e32 v28, s3, v26
	s_wait_loadcnt_dscnt 0x0
	scratch_store_b64 off, v[30:31], off offset:96
	flat_load_b64 v[32:33], v28, s[6:7] scale_offset
	s_wait_xcnt 0x1
	v_add_nc_u32_e32 v30, s3, v28
	s_wait_loadcnt_dscnt 0x0
	scratch_store_b64 off, v[32:33], off offset:104
	flat_load_b64 v[34:35], v30, s[6:7] scale_offset
	s_wait_xcnt 0x1
	v_add_nc_u32_e32 v32, s3, v30
	s_wait_loadcnt_dscnt 0x0
	scratch_store_b64 off, v[34:35], off offset:112
	flat_load_b64 v[36:37], v32, s[6:7] scale_offset
	s_wait_xcnt 0x1
	v_add_nc_u32_e32 v34, s3, v32
	s_wait_loadcnt_dscnt 0x0
	scratch_store_b64 off, v[36:37], off offset:120
	flat_load_b64 v[38:39], v34, s[6:7] scale_offset
	s_wait_xcnt 0x1
	v_add_nc_u32_e32 v36, s3, v34
	s_wait_loadcnt_dscnt 0x0
	scratch_store_b64 off, v[38:39], off offset:128
	flat_load_b64 v[40:41], v36, s[6:7] scale_offset
	s_wait_xcnt 0x1
	v_add_nc_u32_e32 v38, s3, v36
	s_wait_loadcnt_dscnt 0x0
	scratch_store_b64 off, v[40:41], off offset:136
	flat_load_b64 v[42:43], v38, s[6:7] scale_offset
	s_wait_xcnt 0x1
	v_add_nc_u32_e32 v40, s3, v38
	s_wait_loadcnt_dscnt 0x0
	scratch_store_b64 off, v[42:43], off offset:144
	flat_load_b64 v[44:45], v40, s[6:7] scale_offset
	s_wait_xcnt 0x1
	v_add_nc_u32_e32 v42, s3, v40
	s_wait_loadcnt_dscnt 0x0
	scratch_store_b64 off, v[44:45], off offset:152
	flat_load_b64 v[46:47], v42, s[6:7] scale_offset
	s_wait_xcnt 0x1
	v_add_nc_u32_e32 v44, s3, v42
	s_wait_loadcnt_dscnt 0x0
	scratch_store_b64 off, v[46:47], off offset:160
	flat_load_b64 v[48:49], v44, s[6:7] scale_offset
	s_wait_xcnt 0x1
	v_add_nc_u32_e32 v46, s3, v44
	s_wait_loadcnt_dscnt 0x0
	scratch_store_b64 off, v[48:49], off offset:168
	flat_load_b64 v[50:51], v46, s[6:7] scale_offset
	s_wait_xcnt 0x1
	v_add_nc_u32_e32 v48, s3, v46
	s_wait_loadcnt_dscnt 0x0
	scratch_store_b64 off, v[50:51], off offset:176
	flat_load_b64 v[52:53], v48, s[6:7] scale_offset
	s_wait_xcnt 0x1
	v_add_nc_u32_e32 v50, s3, v48
	s_wait_loadcnt_dscnt 0x0
	scratch_store_b64 off, v[52:53], off offset:184
	flat_load_b64 v[54:55], v50, s[6:7] scale_offset
	s_wait_xcnt 0x1
	v_add_nc_u32_e32 v52, s3, v50
	s_wait_loadcnt_dscnt 0x0
	scratch_store_b64 off, v[54:55], off offset:192
	flat_load_b64 v[56:57], v52, s[6:7] scale_offset
	s_wait_xcnt 0x1
	v_add_nc_u32_e32 v54, s3, v52
	s_wait_loadcnt_dscnt 0x0
	scratch_store_b64 off, v[56:57], off offset:200
	flat_load_b64 v[60:61], v54, s[6:7] scale_offset
	s_wait_xcnt 0x1
	v_add_nc_u32_e32 v56, s3, v54
	s_wait_loadcnt_dscnt 0x0
	scratch_store_b64 off, v[60:61], off offset:208
	flat_load_b64 v[62:63], v56, s[6:7] scale_offset
	s_wait_xcnt 0x1
	v_add_nc_u32_e32 v60, s3, v56
	s_wait_loadcnt_dscnt 0x0
	scratch_store_b64 off, v[62:63], off offset:216
	flat_load_b64 v[64:65], v60, s[6:7] scale_offset
	s_wait_xcnt 0x1
	v_add_nc_u32_e32 v62, s3, v60
	s_wait_loadcnt_dscnt 0x0
	scratch_store_b64 off, v[64:65], off offset:224
	flat_load_b64 v[66:67], v62, s[6:7] scale_offset
	s_wait_xcnt 0x1
	v_add_nc_u32_e32 v64, s3, v62
	s_wait_loadcnt_dscnt 0x0
	scratch_store_b64 off, v[66:67], off offset:232
	flat_load_b64 v[68:69], v64, s[6:7] scale_offset
	s_wait_xcnt 0x1
	v_add_nc_u32_e32 v66, s3, v64
	s_wait_loadcnt_dscnt 0x0
	scratch_store_b64 off, v[68:69], off offset:240
	flat_load_b64 v[70:71], v66, s[6:7] scale_offset
	s_wait_xcnt 0x1
	v_add_nc_u32_e32 v68, s3, v66
	s_wait_loadcnt_dscnt 0x0
	scratch_store_b64 off, v[70:71], off offset:248
	flat_load_b64 v[72:73], v68, s[6:7] scale_offset
	s_wait_xcnt 0x1
	v_add_nc_u32_e32 v70, s3, v68
	s_wait_loadcnt_dscnt 0x0
	scratch_store_b64 off, v[72:73], off offset:256
	flat_load_b64 v[74:75], v70, s[6:7] scale_offset
	s_wait_xcnt 0x1
	v_add_nc_u32_e32 v72, s3, v70
	s_wait_loadcnt_dscnt 0x0
	scratch_store_b64 off, v[74:75], off offset:264
	flat_load_b64 v[76:77], v72, s[6:7] scale_offset
	s_wait_xcnt 0x1
	v_add_nc_u32_e32 v74, s3, v72
	s_cselect_b32 s3, -1, 0
	s_delay_alu instid0(SALU_CYCLE_1)
	s_and_b32 vcc_lo, exec_lo, s3
	s_wait_loadcnt_dscnt 0x0
	scratch_store_b64 off, v[76:77], off offset:272
	flat_load_b64 v[76:77], v74, s[6:7] scale_offset
	s_wait_loadcnt_dscnt 0x0
	scratch_store_b64 off, v[76:77], off offset:280
	s_cbranch_vccz .LBB99_7
; %bb.2:
	scratch_load_b64 v[76:77], v0, off scale_offset
                                        ; implicit-def: $vgpr81
                                        ; implicit-def: $vgpr78
	s_wait_loadcnt 0x0
	v_cmp_ngt_f32_e64 s0, |v76|, |v77|
	s_wait_xcnt 0x0
	s_and_saveexec_b32 s1, s0
	s_delay_alu instid0(SALU_CYCLE_1)
	s_xor_b32 s0, exec_lo, s1
	s_cbranch_execz .LBB99_4
; %bb.3:
	v_div_scale_f32 v1, null, v77, v77, v76
	v_div_scale_f32 v11, vcc_lo, v76, v77, v76
	s_delay_alu instid0(VALU_DEP_2) | instskip(SKIP_1) | instid1(TRANS32_DEP_1)
	v_rcp_f32_e32 v7, v1
	v_nop
	v_fma_f32 v9, -v1, v7, 1.0
	s_delay_alu instid0(VALU_DEP_1) | instskip(NEXT) | instid1(VALU_DEP_1)
	v_fmac_f32_e32 v7, v9, v7
	v_mul_f32_e32 v9, v11, v7
	s_delay_alu instid0(VALU_DEP_1) | instskip(NEXT) | instid1(VALU_DEP_1)
	v_fma_f32 v13, -v1, v9, v11
	v_fmac_f32_e32 v9, v13, v7
	s_delay_alu instid0(VALU_DEP_1) | instskip(NEXT) | instid1(VALU_DEP_1)
	v_fma_f32 v1, -v1, v9, v11
	v_div_fmas_f32 v1, v1, v7, v9
	s_delay_alu instid0(VALU_DEP_1) | instskip(NEXT) | instid1(VALU_DEP_1)
	v_div_fixup_f32 v1, v1, v77, v76
	v_fmac_f32_e32 v77, v76, v1
	s_delay_alu instid0(VALU_DEP_1) | instskip(NEXT) | instid1(VALU_DEP_1)
	v_div_scale_f32 v7, null, v77, v77, -1.0
	v_rcp_f32_e32 v9, v7
	v_nop
	s_delay_alu instid0(TRANS32_DEP_1) | instskip(NEXT) | instid1(VALU_DEP_1)
	v_fma_f32 v11, -v7, v9, 1.0
	v_fmac_f32_e32 v9, v11, v9
	v_div_scale_f32 v11, vcc_lo, -1.0, v77, -1.0
	s_delay_alu instid0(VALU_DEP_1) | instskip(NEXT) | instid1(VALU_DEP_1)
	v_mul_f32_e32 v13, v11, v9
	v_fma_f32 v15, -v7, v13, v11
	s_delay_alu instid0(VALU_DEP_1) | instskip(NEXT) | instid1(VALU_DEP_1)
	v_fmac_f32_e32 v13, v15, v9
	v_fma_f32 v7, -v7, v13, v11
	s_delay_alu instid0(VALU_DEP_1) | instskip(NEXT) | instid1(VALU_DEP_1)
	v_div_fmas_f32 v7, v7, v9, v13
	v_div_fixup_f32 v81, v7, v77, -1.0
                                        ; implicit-def: $vgpr76_vgpr77
	s_delay_alu instid0(VALU_DEP_1) | instskip(NEXT) | instid1(VALU_DEP_1)
	v_mul_f32_e32 v78, v1, v81
	v_xor_b32_e32 v80, 0x80000000, v78
.LBB99_4:
	s_or_saveexec_b32 s0, s0
	v_lshl_add_u32 v1, v0, 3, 0
	s_xor_b32 exec_lo, exec_lo, s0
	s_cbranch_execz .LBB99_6
; %bb.5:
	v_div_scale_f32 v7, null, v76, v76, v77
	v_div_scale_f32 v13, vcc_lo, v77, v76, v77
	s_delay_alu instid0(VALU_DEP_2) | instskip(SKIP_1) | instid1(TRANS32_DEP_1)
	v_rcp_f32_e32 v9, v7
	v_nop
	v_fma_f32 v11, -v7, v9, 1.0
	s_delay_alu instid0(VALU_DEP_1) | instskip(NEXT) | instid1(VALU_DEP_1)
	v_fmac_f32_e32 v9, v11, v9
	v_mul_f32_e32 v11, v13, v9
	s_delay_alu instid0(VALU_DEP_1) | instskip(NEXT) | instid1(VALU_DEP_1)
	v_fma_f32 v15, -v7, v11, v13
	v_fmac_f32_e32 v11, v15, v9
	s_delay_alu instid0(VALU_DEP_1) | instskip(NEXT) | instid1(VALU_DEP_1)
	v_fma_f32 v7, -v7, v11, v13
	v_div_fmas_f32 v7, v7, v9, v11
	s_delay_alu instid0(VALU_DEP_1) | instskip(NEXT) | instid1(VALU_DEP_1)
	v_div_fixup_f32 v7, v7, v76, v77
	v_fmac_f32_e32 v76, v77, v7
	s_delay_alu instid0(VALU_DEP_1) | instskip(SKIP_1) | instid1(VALU_DEP_2)
	v_div_scale_f32 v9, null, v76, v76, 1.0
	v_div_scale_f32 v15, vcc_lo, 1.0, v76, 1.0
	v_rcp_f32_e32 v11, v9
	v_nop
	s_delay_alu instid0(TRANS32_DEP_1) | instskip(NEXT) | instid1(VALU_DEP_1)
	v_fma_f32 v13, -v9, v11, 1.0
	v_fmac_f32_e32 v11, v13, v11
	s_delay_alu instid0(VALU_DEP_1) | instskip(NEXT) | instid1(VALU_DEP_1)
	v_mul_f32_e32 v13, v15, v11
	v_fma_f32 v17, -v9, v13, v15
	s_delay_alu instid0(VALU_DEP_1) | instskip(NEXT) | instid1(VALU_DEP_1)
	v_fmac_f32_e32 v13, v17, v11
	v_fma_f32 v9, -v9, v13, v15
	s_delay_alu instid0(VALU_DEP_1) | instskip(NEXT) | instid1(VALU_DEP_1)
	v_div_fmas_f32 v9, v9, v11, v13
	v_div_fixup_f32 v80, v9, v76, 1.0
	s_delay_alu instid0(VALU_DEP_1)
	v_xor_b32_e32 v78, 0x80000000, v80
	v_mul_f32_e64 v81, v7, -v80
.LBB99_6:
	s_or_b32 exec_lo, exec_lo, s0
	s_delay_alu instid0(VALU_DEP_1)
	v_xor_b32_e32 v79, 0x80000000, v81
	s_mov_b32 s0, 0
	scratch_store_b64 v1, v[80:81], off
	ds_store_b64 v58, v[78:79]
.LBB99_7:
	s_and_b32 vcc_lo, exec_lo, s0
	s_cbranch_vccz .LBB99_9
; %bb.8:
	s_mov_b64 s[0:1], 0xbf800000
	s_wait_xcnt 0x0
	v_mov_b64_e32 v[76:77], s[0:1]
	ds_store_b64 v58, v[76:77]
.LBB99_9:
	v_dual_ashrrev_i32 v7, 31, v6 :: v_dual_ashrrev_i32 v9, 31, v8
	v_dual_ashrrev_i32 v11, 31, v10 :: v_dual_ashrrev_i32 v13, 31, v12
	;; [unrolled: 1-line block ×17, first 2 shown]
	s_wait_xcnt 0x0
	v_add_nc_u32_e32 v1, 0x120, v58
	v_mov_b32_e32 v59, v58
	s_cmp_eq_u32 s4, 0x79
	s_cbranch_scc1 .LBB99_13
; %bb.10:
	scratch_load_b64 v[76:77], off, off offset:272
	v_cmp_eq_u32_e64 s0, 35, v0
	s_movk_i32 s1, 0x48
	s_movk_i32 s14, 0x50
	;; [unrolled: 1-line block ×25, first 2 shown]
	s_wait_loadcnt 0x0
	ds_store_b64 v1, v[76:77]
	s_wait_storecnt_dscnt 0x0
	s_barrier_signal -1
	s_barrier_wait -1
	s_wait_xcnt 0x0
	s_and_saveexec_b32 s2, s0
	s_cbranch_execz .LBB99_17
; %bb.11:
	s_and_b32 vcc_lo, exec_lo, s3
	s_cbranch_vccz .LBB99_14
; %bb.12:
	scratch_load_b64 v[76:77], v59, off
	ds_load_b64 v[78:79], v1
	s_wait_loadcnt_dscnt 0x0
	v_pk_mul_f32 v[80:81], v[78:79], v[76:77] op_sel:[1,1] op_sel_hi:[0,1]
	v_pk_mul_f32 v[82:83], v[78:79], v[76:77] op_sel_hi:[1,0]
	s_delay_alu instid0(VALU_DEP_2) | instskip(NEXT) | instid1(VALU_DEP_2)
	v_pk_fma_f32 v[76:77], v[78:79], v[76:77], v[80:81] op_sel_hi:[1,0,1]
	v_sub_f32_e32 v76, v82, v80
	s_cbranch_execz .LBB99_15
	s_branch .LBB99_16
.LBB99_13:
	s_mov_b32 s1, 0
                                        ; implicit-def: $vgpr106
                                        ; implicit-def: $sgpr5
	s_cbranch_execnz .LBB99_356
	s_branch .LBB99_701
.LBB99_14:
                                        ; implicit-def: $vgpr77
.LBB99_15:
	ds_load_b64 v[76:77], v1
.LBB99_16:
	s_wait_dscnt 0x0
	v_dual_mov_b32 v78, 0 :: v_dual_mov_b32 v80, v77
	v_mov_b32_e32 v81, v76
	ds_load_b64 v[78:79], v78 offset:272
	s_wait_dscnt 0x0
	v_pk_mul_f32 v[80:81], v[80:81], v[78:79] op_sel:[0,1]
	s_delay_alu instid0(VALU_DEP_1) | instskip(SKIP_1) | instid1(VALU_DEP_2)
	v_pk_fma_f32 v[82:83], v[76:77], v[78:79], v[80:81] op_sel_hi:[1,0,1]
	v_pk_fma_f32 v[76:77], v[76:77], v[78:79], v[80:81] neg_lo:[0,0,1] neg_hi:[0,0,1]
	v_mov_b32_e32 v77, v83
	scratch_store_b64 off, v[76:77], off offset:272
.LBB99_17:
	s_wait_xcnt 0x0
	s_or_b32 exec_lo, exec_lo, s2
	scratch_load_b64 v[76:77], off, off offset:264
	s_mov_b32 s13, s1
	v_cmp_lt_u32_e64 s1, 33, v0
	s_or_b32 s4, 0, 8
	s_mov_b32 s5, 16
	s_mov_b32 s8, 24
	;; [unrolled: 1-line block ×7, first 2 shown]
	s_wait_loadcnt 0x0
	ds_store_b64 v1, v[76:77]
	s_wait_storecnt_dscnt 0x0
	s_barrier_signal -1
	s_barrier_wait -1
	s_wait_xcnt 0x0
	s_and_saveexec_b32 s39, s1
	s_cbranch_execz .LBB99_25
; %bb.18:
	s_and_not1_b32 vcc_lo, exec_lo, s3
	s_cbranch_vccnz .LBB99_20
; %bb.19:
	scratch_load_b64 v[76:77], v59, off
	ds_load_b64 v[78:79], v1
	s_wait_loadcnt_dscnt 0x0
	v_pk_mul_f32 v[80:81], v[78:79], v[76:77] op_sel:[1,1] op_sel_hi:[0,1]
	s_delay_alu instid0(VALU_DEP_1) | instskip(SKIP_1) | instid1(VALU_DEP_2)
	v_pk_fma_f32 v[82:83], v[78:79], v[76:77], v[80:81] op_sel_hi:[1,0,1]
	v_pk_fma_f32 v[76:77], v[78:79], v[76:77], v[80:81] neg_lo:[0,0,1] neg_hi:[0,0,1]
	v_mov_b32_e32 v77, v83
	s_cbranch_execz .LBB99_21
	s_branch .LBB99_22
.LBB99_20:
                                        ; implicit-def: $vgpr76_vgpr77
.LBB99_21:
	ds_load_b64 v[76:77], v1
.LBB99_22:
	s_and_saveexec_b32 s40, s0
	s_cbranch_execz .LBB99_24
; %bb.23:
	scratch_load_b64 v[78:79], off, off offset:272
	v_mov_b32_e32 v80, 0
	ds_load_b64 v[80:81], v80 offset:560
	s_wait_loadcnt_dscnt 0x0
	v_pk_mul_f32 v[82:83], v[80:81], v[78:79] op_sel:[1,1] op_sel_hi:[0,1]
	s_delay_alu instid0(VALU_DEP_1) | instskip(SKIP_1) | instid1(VALU_DEP_2)
	v_pk_fma_f32 v[84:85], v[80:81], v[78:79], v[82:83] op_sel_hi:[1,0,1]
	v_pk_fma_f32 v[78:79], v[80:81], v[78:79], v[82:83] neg_lo:[0,0,1] neg_hi:[0,0,1]
	v_mov_b32_e32 v79, v85
	s_delay_alu instid0(VALU_DEP_1)
	v_pk_add_f32 v[76:77], v[76:77], v[78:79]
.LBB99_24:
	s_or_b32 exec_lo, exec_lo, s40
	v_mov_b32_e32 v78, 0
	ds_load_b64 v[78:79], v78 offset:264
	s_wait_dscnt 0x0
	v_pk_mul_f32 v[80:81], v[76:77], v[78:79] op_sel:[1,1] op_sel_hi:[0,1]
	s_delay_alu instid0(VALU_DEP_1) | instskip(SKIP_1) | instid1(VALU_DEP_2)
	v_pk_fma_f32 v[82:83], v[76:77], v[78:79], v[80:81] op_sel_hi:[1,0,1]
	v_pk_fma_f32 v[76:77], v[76:77], v[78:79], v[80:81] neg_lo:[0,0,1] neg_hi:[0,0,1]
	v_mov_b32_e32 v77, v83
	scratch_store_b64 off, v[76:77], off offset:264
.LBB99_25:
	s_wait_xcnt 0x0
	s_or_b32 exec_lo, exec_lo, s39
	scratch_load_b64 v[76:77], off, off offset:256
	v_cmp_lt_u32_e64 s0, 32, v0
	s_wait_loadcnt 0x0
	ds_store_b64 v1, v[76:77]
	s_wait_storecnt_dscnt 0x0
	s_barrier_signal -1
	s_barrier_wait -1
	s_wait_xcnt 0x0
	s_and_saveexec_b32 s39, s0
	s_cbranch_execz .LBB99_35
; %bb.26:
	s_and_not1_b32 vcc_lo, exec_lo, s3
	s_cbranch_vccnz .LBB99_28
; %bb.27:
	scratch_load_b64 v[76:77], v59, off
	ds_load_b64 v[78:79], v1
	s_wait_loadcnt_dscnt 0x0
	v_pk_mul_f32 v[80:81], v[78:79], v[76:77] op_sel:[1,1] op_sel_hi:[0,1]
	s_delay_alu instid0(VALU_DEP_1) | instskip(SKIP_1) | instid1(VALU_DEP_2)
	v_pk_fma_f32 v[82:83], v[78:79], v[76:77], v[80:81] op_sel_hi:[1,0,1]
	v_pk_fma_f32 v[76:77], v[78:79], v[76:77], v[80:81] neg_lo:[0,0,1] neg_hi:[0,0,1]
	v_mov_b32_e32 v77, v83
	s_cbranch_execz .LBB99_29
	s_branch .LBB99_30
.LBB99_28:
                                        ; implicit-def: $vgpr76_vgpr77
.LBB99_29:
	ds_load_b64 v[76:77], v1
.LBB99_30:
	s_and_saveexec_b32 s40, s1
	s_cbranch_execz .LBB99_34
; %bb.31:
	v_subrev_nc_u32_e32 v78, 33, v0
	s_movk_i32 s41, 0x228
	s_mov_b32 s1, 0
.LBB99_32:                              ; =>This Inner Loop Header: Depth=1
	scratch_load_b64 v[80:81], off, s38
	v_dual_mov_b32 v79, s41 :: v_dual_add_nc_u32 v78, -1, v78
	s_add_co_i32 s41, s41, 8
	s_wait_xcnt 0x0
	s_add_co_i32 s38, s38, 8
	ds_load_b64 v[82:83], v79
	v_cmp_eq_u32_e32 vcc_lo, 0, v78
	s_or_b32 s1, vcc_lo, s1
	s_wait_loadcnt_dscnt 0x0
	v_pk_mul_f32 v[84:85], v[82:83], v[80:81] op_sel:[1,1] op_sel_hi:[0,1]
	s_delay_alu instid0(VALU_DEP_1) | instskip(SKIP_1) | instid1(VALU_DEP_2)
	v_pk_fma_f32 v[86:87], v[82:83], v[80:81], v[84:85] op_sel_hi:[1,0,1]
	v_pk_fma_f32 v[80:81], v[82:83], v[80:81], v[84:85] neg_lo:[0,0,1] neg_hi:[0,0,1]
	v_mov_b32_e32 v81, v87
	s_delay_alu instid0(VALU_DEP_1)
	v_pk_add_f32 v[76:77], v[76:77], v[80:81]
	s_and_not1_b32 exec_lo, exec_lo, s1
	s_cbranch_execnz .LBB99_32
; %bb.33:
	s_or_b32 exec_lo, exec_lo, s1
.LBB99_34:
	s_delay_alu instid0(SALU_CYCLE_1) | instskip(SKIP_4) | instid1(VALU_DEP_1)
	s_or_b32 exec_lo, exec_lo, s40
	v_mov_b32_e32 v78, 0
	ds_load_b64 v[78:79], v78 offset:256
	s_wait_dscnt 0x0
	v_pk_mul_f32 v[80:81], v[76:77], v[78:79] op_sel:[1,1] op_sel_hi:[0,1]
	v_pk_fma_f32 v[82:83], v[76:77], v[78:79], v[80:81] op_sel_hi:[1,0,1]
	v_pk_fma_f32 v[76:77], v[76:77], v[78:79], v[80:81] neg_lo:[0,0,1] neg_hi:[0,0,1]
	s_delay_alu instid0(VALU_DEP_2)
	v_mov_b32_e32 v77, v83
	scratch_store_b64 off, v[76:77], off offset:256
.LBB99_35:
	s_wait_xcnt 0x0
	s_or_b32 exec_lo, exec_lo, s39
	scratch_load_b64 v[76:77], off, off offset:248
	v_cmp_lt_u32_e64 s1, 31, v0
	s_wait_loadcnt 0x0
	ds_store_b64 v1, v[76:77]
	s_wait_storecnt_dscnt 0x0
	s_barrier_signal -1
	s_barrier_wait -1
	s_wait_xcnt 0x0
	s_and_saveexec_b32 s38, s1
	s_cbranch_execz .LBB99_45
; %bb.36:
	s_and_not1_b32 vcc_lo, exec_lo, s3
	s_cbranch_vccnz .LBB99_38
; %bb.37:
	scratch_load_b64 v[76:77], v59, off
	ds_load_b64 v[78:79], v1
	s_wait_loadcnt_dscnt 0x0
	v_pk_mul_f32 v[80:81], v[78:79], v[76:77] op_sel:[1,1] op_sel_hi:[0,1]
	s_delay_alu instid0(VALU_DEP_1) | instskip(SKIP_1) | instid1(VALU_DEP_2)
	v_pk_fma_f32 v[82:83], v[78:79], v[76:77], v[80:81] op_sel_hi:[1,0,1]
	v_pk_fma_f32 v[76:77], v[78:79], v[76:77], v[80:81] neg_lo:[0,0,1] neg_hi:[0,0,1]
	v_mov_b32_e32 v77, v83
	s_cbranch_execz .LBB99_39
	s_branch .LBB99_40
.LBB99_38:
                                        ; implicit-def: $vgpr76_vgpr77
.LBB99_39:
	ds_load_b64 v[76:77], v1
.LBB99_40:
	s_and_saveexec_b32 s39, s0
	s_cbranch_execz .LBB99_44
; %bb.41:
	v_subrev_nc_u32_e32 v78, 32, v0
	s_movk_i32 s40, 0x220
	s_mov_b32 s0, 0
.LBB99_42:                              ; =>This Inner Loop Header: Depth=1
	scratch_load_b64 v[80:81], off, s37
	v_dual_mov_b32 v79, s40 :: v_dual_add_nc_u32 v78, -1, v78
	s_add_co_i32 s40, s40, 8
	s_wait_xcnt 0x0
	s_add_co_i32 s37, s37, 8
	ds_load_b64 v[82:83], v79
	v_cmp_eq_u32_e32 vcc_lo, 0, v78
	s_or_b32 s0, vcc_lo, s0
	s_wait_loadcnt_dscnt 0x0
	v_pk_mul_f32 v[84:85], v[82:83], v[80:81] op_sel:[1,1] op_sel_hi:[0,1]
	s_delay_alu instid0(VALU_DEP_1) | instskip(SKIP_1) | instid1(VALU_DEP_2)
	v_pk_fma_f32 v[86:87], v[82:83], v[80:81], v[84:85] op_sel_hi:[1,0,1]
	v_pk_fma_f32 v[80:81], v[82:83], v[80:81], v[84:85] neg_lo:[0,0,1] neg_hi:[0,0,1]
	v_mov_b32_e32 v81, v87
	s_delay_alu instid0(VALU_DEP_1)
	v_pk_add_f32 v[76:77], v[76:77], v[80:81]
	s_and_not1_b32 exec_lo, exec_lo, s0
	s_cbranch_execnz .LBB99_42
; %bb.43:
	s_or_b32 exec_lo, exec_lo, s0
.LBB99_44:
	s_delay_alu instid0(SALU_CYCLE_1) | instskip(SKIP_4) | instid1(VALU_DEP_1)
	s_or_b32 exec_lo, exec_lo, s39
	v_mov_b32_e32 v78, 0
	ds_load_b64 v[78:79], v78 offset:248
	s_wait_dscnt 0x0
	v_pk_mul_f32 v[80:81], v[76:77], v[78:79] op_sel:[1,1] op_sel_hi:[0,1]
	v_pk_fma_f32 v[82:83], v[76:77], v[78:79], v[80:81] op_sel_hi:[1,0,1]
	v_pk_fma_f32 v[76:77], v[76:77], v[78:79], v[80:81] neg_lo:[0,0,1] neg_hi:[0,0,1]
	s_delay_alu instid0(VALU_DEP_2)
	v_mov_b32_e32 v77, v83
	scratch_store_b64 off, v[76:77], off offset:248
.LBB99_45:
	s_wait_xcnt 0x0
	s_or_b32 exec_lo, exec_lo, s38
	scratch_load_b64 v[76:77], off, off offset:240
	v_cmp_lt_u32_e64 s0, 30, v0
	s_wait_loadcnt 0x0
	ds_store_b64 v1, v[76:77]
	s_wait_storecnt_dscnt 0x0
	s_barrier_signal -1
	s_barrier_wait -1
	s_wait_xcnt 0x0
	s_and_saveexec_b32 s37, s0
	s_cbranch_execz .LBB99_55
; %bb.46:
	s_and_not1_b32 vcc_lo, exec_lo, s3
	s_cbranch_vccnz .LBB99_48
; %bb.47:
	scratch_load_b64 v[76:77], v59, off
	ds_load_b64 v[78:79], v1
	s_wait_loadcnt_dscnt 0x0
	v_pk_mul_f32 v[80:81], v[78:79], v[76:77] op_sel:[1,1] op_sel_hi:[0,1]
	s_delay_alu instid0(VALU_DEP_1) | instskip(SKIP_1) | instid1(VALU_DEP_2)
	v_pk_fma_f32 v[82:83], v[78:79], v[76:77], v[80:81] op_sel_hi:[1,0,1]
	v_pk_fma_f32 v[76:77], v[78:79], v[76:77], v[80:81] neg_lo:[0,0,1] neg_hi:[0,0,1]
	v_mov_b32_e32 v77, v83
	s_cbranch_execz .LBB99_49
	s_branch .LBB99_50
.LBB99_48:
                                        ; implicit-def: $vgpr76_vgpr77
.LBB99_49:
	ds_load_b64 v[76:77], v1
.LBB99_50:
	s_and_saveexec_b32 s38, s1
	s_cbranch_execz .LBB99_54
; %bb.51:
	v_subrev_nc_u32_e32 v78, 31, v0
	s_movk_i32 s39, 0x218
	s_mov_b32 s1, 0
.LBB99_52:                              ; =>This Inner Loop Header: Depth=1
	scratch_load_b64 v[80:81], off, s36
	v_dual_mov_b32 v79, s39 :: v_dual_add_nc_u32 v78, -1, v78
	s_add_co_i32 s39, s39, 8
	s_wait_xcnt 0x0
	s_add_co_i32 s36, s36, 8
	ds_load_b64 v[82:83], v79
	v_cmp_eq_u32_e32 vcc_lo, 0, v78
	s_or_b32 s1, vcc_lo, s1
	s_wait_loadcnt_dscnt 0x0
	v_pk_mul_f32 v[84:85], v[82:83], v[80:81] op_sel:[1,1] op_sel_hi:[0,1]
	s_delay_alu instid0(VALU_DEP_1) | instskip(SKIP_1) | instid1(VALU_DEP_2)
	v_pk_fma_f32 v[86:87], v[82:83], v[80:81], v[84:85] op_sel_hi:[1,0,1]
	v_pk_fma_f32 v[80:81], v[82:83], v[80:81], v[84:85] neg_lo:[0,0,1] neg_hi:[0,0,1]
	v_mov_b32_e32 v81, v87
	s_delay_alu instid0(VALU_DEP_1)
	v_pk_add_f32 v[76:77], v[76:77], v[80:81]
	s_and_not1_b32 exec_lo, exec_lo, s1
	s_cbranch_execnz .LBB99_52
; %bb.53:
	s_or_b32 exec_lo, exec_lo, s1
.LBB99_54:
	s_delay_alu instid0(SALU_CYCLE_1) | instskip(SKIP_4) | instid1(VALU_DEP_1)
	s_or_b32 exec_lo, exec_lo, s38
	v_mov_b32_e32 v78, 0
	ds_load_b64 v[78:79], v78 offset:240
	s_wait_dscnt 0x0
	v_pk_mul_f32 v[80:81], v[76:77], v[78:79] op_sel:[1,1] op_sel_hi:[0,1]
	v_pk_fma_f32 v[82:83], v[76:77], v[78:79], v[80:81] op_sel_hi:[1,0,1]
	v_pk_fma_f32 v[76:77], v[76:77], v[78:79], v[80:81] neg_lo:[0,0,1] neg_hi:[0,0,1]
	s_delay_alu instid0(VALU_DEP_2)
	v_mov_b32_e32 v77, v83
	scratch_store_b64 off, v[76:77], off offset:240
.LBB99_55:
	s_wait_xcnt 0x0
	s_or_b32 exec_lo, exec_lo, s37
	scratch_load_b64 v[76:77], off, off offset:232
	v_cmp_lt_u32_e64 s1, 29, v0
	s_wait_loadcnt 0x0
	ds_store_b64 v1, v[76:77]
	s_wait_storecnt_dscnt 0x0
	s_barrier_signal -1
	s_barrier_wait -1
	s_wait_xcnt 0x0
	s_and_saveexec_b32 s36, s1
	s_cbranch_execz .LBB99_65
; %bb.56:
	s_and_not1_b32 vcc_lo, exec_lo, s3
	s_cbranch_vccnz .LBB99_58
; %bb.57:
	scratch_load_b64 v[76:77], v59, off
	ds_load_b64 v[78:79], v1
	s_wait_loadcnt_dscnt 0x0
	v_pk_mul_f32 v[80:81], v[78:79], v[76:77] op_sel:[1,1] op_sel_hi:[0,1]
	s_delay_alu instid0(VALU_DEP_1) | instskip(SKIP_1) | instid1(VALU_DEP_2)
	v_pk_fma_f32 v[82:83], v[78:79], v[76:77], v[80:81] op_sel_hi:[1,0,1]
	v_pk_fma_f32 v[76:77], v[78:79], v[76:77], v[80:81] neg_lo:[0,0,1] neg_hi:[0,0,1]
	v_mov_b32_e32 v77, v83
	s_cbranch_execz .LBB99_59
	s_branch .LBB99_60
.LBB99_58:
                                        ; implicit-def: $vgpr76_vgpr77
.LBB99_59:
	ds_load_b64 v[76:77], v1
.LBB99_60:
	s_and_saveexec_b32 s37, s0
	s_cbranch_execz .LBB99_64
; %bb.61:
	v_subrev_nc_u32_e32 v78, 30, v0
	s_movk_i32 s38, 0x210
	s_mov_b32 s0, 0
.LBB99_62:                              ; =>This Inner Loop Header: Depth=1
	scratch_load_b64 v[80:81], off, s35
	v_dual_mov_b32 v79, s38 :: v_dual_add_nc_u32 v78, -1, v78
	s_add_co_i32 s38, s38, 8
	s_wait_xcnt 0x0
	s_add_co_i32 s35, s35, 8
	ds_load_b64 v[82:83], v79
	v_cmp_eq_u32_e32 vcc_lo, 0, v78
	s_or_b32 s0, vcc_lo, s0
	s_wait_loadcnt_dscnt 0x0
	v_pk_mul_f32 v[84:85], v[82:83], v[80:81] op_sel:[1,1] op_sel_hi:[0,1]
	s_delay_alu instid0(VALU_DEP_1) | instskip(SKIP_1) | instid1(VALU_DEP_2)
	v_pk_fma_f32 v[86:87], v[82:83], v[80:81], v[84:85] op_sel_hi:[1,0,1]
	v_pk_fma_f32 v[80:81], v[82:83], v[80:81], v[84:85] neg_lo:[0,0,1] neg_hi:[0,0,1]
	v_mov_b32_e32 v81, v87
	s_delay_alu instid0(VALU_DEP_1)
	v_pk_add_f32 v[76:77], v[76:77], v[80:81]
	s_and_not1_b32 exec_lo, exec_lo, s0
	s_cbranch_execnz .LBB99_62
; %bb.63:
	s_or_b32 exec_lo, exec_lo, s0
.LBB99_64:
	s_delay_alu instid0(SALU_CYCLE_1) | instskip(SKIP_4) | instid1(VALU_DEP_1)
	s_or_b32 exec_lo, exec_lo, s37
	v_mov_b32_e32 v78, 0
	ds_load_b64 v[78:79], v78 offset:232
	s_wait_dscnt 0x0
	v_pk_mul_f32 v[80:81], v[76:77], v[78:79] op_sel:[1,1] op_sel_hi:[0,1]
	v_pk_fma_f32 v[82:83], v[76:77], v[78:79], v[80:81] op_sel_hi:[1,0,1]
	v_pk_fma_f32 v[76:77], v[76:77], v[78:79], v[80:81] neg_lo:[0,0,1] neg_hi:[0,0,1]
	s_delay_alu instid0(VALU_DEP_2)
	v_mov_b32_e32 v77, v83
	scratch_store_b64 off, v[76:77], off offset:232
.LBB99_65:
	s_wait_xcnt 0x0
	s_or_b32 exec_lo, exec_lo, s36
	scratch_load_b64 v[76:77], off, off offset:224
	v_cmp_lt_u32_e64 s0, 28, v0
	s_wait_loadcnt 0x0
	ds_store_b64 v1, v[76:77]
	s_wait_storecnt_dscnt 0x0
	s_barrier_signal -1
	s_barrier_wait -1
	s_wait_xcnt 0x0
	s_and_saveexec_b32 s35, s0
	s_cbranch_execz .LBB99_75
; %bb.66:
	s_and_not1_b32 vcc_lo, exec_lo, s3
	s_cbranch_vccnz .LBB99_68
; %bb.67:
	scratch_load_b64 v[76:77], v59, off
	ds_load_b64 v[78:79], v1
	s_wait_loadcnt_dscnt 0x0
	v_pk_mul_f32 v[80:81], v[78:79], v[76:77] op_sel:[1,1] op_sel_hi:[0,1]
	s_delay_alu instid0(VALU_DEP_1) | instskip(SKIP_1) | instid1(VALU_DEP_2)
	v_pk_fma_f32 v[82:83], v[78:79], v[76:77], v[80:81] op_sel_hi:[1,0,1]
	v_pk_fma_f32 v[76:77], v[78:79], v[76:77], v[80:81] neg_lo:[0,0,1] neg_hi:[0,0,1]
	v_mov_b32_e32 v77, v83
	s_cbranch_execz .LBB99_69
	s_branch .LBB99_70
.LBB99_68:
                                        ; implicit-def: $vgpr76_vgpr77
.LBB99_69:
	ds_load_b64 v[76:77], v1
.LBB99_70:
	s_and_saveexec_b32 s36, s1
	s_cbranch_execz .LBB99_74
; %bb.71:
	v_subrev_nc_u32_e32 v78, 29, v0
	s_movk_i32 s37, 0x208
	s_mov_b32 s1, 0
.LBB99_72:                              ; =>This Inner Loop Header: Depth=1
	scratch_load_b64 v[80:81], off, s34
	v_dual_mov_b32 v79, s37 :: v_dual_add_nc_u32 v78, -1, v78
	s_add_co_i32 s37, s37, 8
	s_wait_xcnt 0x0
	s_add_co_i32 s34, s34, 8
	ds_load_b64 v[82:83], v79
	v_cmp_eq_u32_e32 vcc_lo, 0, v78
	s_or_b32 s1, vcc_lo, s1
	s_wait_loadcnt_dscnt 0x0
	v_pk_mul_f32 v[84:85], v[82:83], v[80:81] op_sel:[1,1] op_sel_hi:[0,1]
	s_delay_alu instid0(VALU_DEP_1) | instskip(SKIP_1) | instid1(VALU_DEP_2)
	v_pk_fma_f32 v[86:87], v[82:83], v[80:81], v[84:85] op_sel_hi:[1,0,1]
	v_pk_fma_f32 v[80:81], v[82:83], v[80:81], v[84:85] neg_lo:[0,0,1] neg_hi:[0,0,1]
	v_mov_b32_e32 v81, v87
	s_delay_alu instid0(VALU_DEP_1)
	v_pk_add_f32 v[76:77], v[76:77], v[80:81]
	s_and_not1_b32 exec_lo, exec_lo, s1
	s_cbranch_execnz .LBB99_72
; %bb.73:
	s_or_b32 exec_lo, exec_lo, s1
.LBB99_74:
	s_delay_alu instid0(SALU_CYCLE_1) | instskip(SKIP_4) | instid1(VALU_DEP_1)
	s_or_b32 exec_lo, exec_lo, s36
	v_mov_b32_e32 v78, 0
	ds_load_b64 v[78:79], v78 offset:224
	s_wait_dscnt 0x0
	v_pk_mul_f32 v[80:81], v[76:77], v[78:79] op_sel:[1,1] op_sel_hi:[0,1]
	v_pk_fma_f32 v[82:83], v[76:77], v[78:79], v[80:81] op_sel_hi:[1,0,1]
	v_pk_fma_f32 v[76:77], v[76:77], v[78:79], v[80:81] neg_lo:[0,0,1] neg_hi:[0,0,1]
	s_delay_alu instid0(VALU_DEP_2)
	v_mov_b32_e32 v77, v83
	scratch_store_b64 off, v[76:77], off offset:224
.LBB99_75:
	s_wait_xcnt 0x0
	s_or_b32 exec_lo, exec_lo, s35
	scratch_load_b64 v[76:77], off, off offset:216
	v_cmp_lt_u32_e64 s1, 27, v0
	s_wait_loadcnt 0x0
	ds_store_b64 v1, v[76:77]
	s_wait_storecnt_dscnt 0x0
	s_barrier_signal -1
	s_barrier_wait -1
	s_wait_xcnt 0x0
	s_and_saveexec_b32 s34, s1
	s_cbranch_execz .LBB99_85
; %bb.76:
	s_and_not1_b32 vcc_lo, exec_lo, s3
	s_cbranch_vccnz .LBB99_78
; %bb.77:
	scratch_load_b64 v[76:77], v59, off
	ds_load_b64 v[78:79], v1
	s_wait_loadcnt_dscnt 0x0
	v_pk_mul_f32 v[80:81], v[78:79], v[76:77] op_sel:[1,1] op_sel_hi:[0,1]
	s_delay_alu instid0(VALU_DEP_1) | instskip(SKIP_1) | instid1(VALU_DEP_2)
	v_pk_fma_f32 v[82:83], v[78:79], v[76:77], v[80:81] op_sel_hi:[1,0,1]
	v_pk_fma_f32 v[76:77], v[78:79], v[76:77], v[80:81] neg_lo:[0,0,1] neg_hi:[0,0,1]
	v_mov_b32_e32 v77, v83
	s_cbranch_execz .LBB99_79
	s_branch .LBB99_80
.LBB99_78:
                                        ; implicit-def: $vgpr76_vgpr77
.LBB99_79:
	ds_load_b64 v[76:77], v1
.LBB99_80:
	s_and_saveexec_b32 s35, s0
	s_cbranch_execz .LBB99_84
; %bb.81:
	v_subrev_nc_u32_e32 v78, 28, v0
	s_movk_i32 s36, 0x200
	s_mov_b32 s0, 0
.LBB99_82:                              ; =>This Inner Loop Header: Depth=1
	scratch_load_b64 v[80:81], off, s33
	v_dual_mov_b32 v79, s36 :: v_dual_add_nc_u32 v78, -1, v78
	s_add_co_i32 s36, s36, 8
	s_wait_xcnt 0x0
	s_add_co_i32 s33, s33, 8
	ds_load_b64 v[82:83], v79
	v_cmp_eq_u32_e32 vcc_lo, 0, v78
	s_or_b32 s0, vcc_lo, s0
	s_wait_loadcnt_dscnt 0x0
	v_pk_mul_f32 v[84:85], v[82:83], v[80:81] op_sel:[1,1] op_sel_hi:[0,1]
	s_delay_alu instid0(VALU_DEP_1) | instskip(SKIP_1) | instid1(VALU_DEP_2)
	v_pk_fma_f32 v[86:87], v[82:83], v[80:81], v[84:85] op_sel_hi:[1,0,1]
	v_pk_fma_f32 v[80:81], v[82:83], v[80:81], v[84:85] neg_lo:[0,0,1] neg_hi:[0,0,1]
	v_mov_b32_e32 v81, v87
	s_delay_alu instid0(VALU_DEP_1)
	v_pk_add_f32 v[76:77], v[76:77], v[80:81]
	s_and_not1_b32 exec_lo, exec_lo, s0
	s_cbranch_execnz .LBB99_82
; %bb.83:
	s_or_b32 exec_lo, exec_lo, s0
.LBB99_84:
	s_delay_alu instid0(SALU_CYCLE_1) | instskip(SKIP_4) | instid1(VALU_DEP_1)
	s_or_b32 exec_lo, exec_lo, s35
	v_mov_b32_e32 v78, 0
	ds_load_b64 v[78:79], v78 offset:216
	s_wait_dscnt 0x0
	v_pk_mul_f32 v[80:81], v[76:77], v[78:79] op_sel:[1,1] op_sel_hi:[0,1]
	v_pk_fma_f32 v[82:83], v[76:77], v[78:79], v[80:81] op_sel_hi:[1,0,1]
	v_pk_fma_f32 v[76:77], v[76:77], v[78:79], v[80:81] neg_lo:[0,0,1] neg_hi:[0,0,1]
	s_delay_alu instid0(VALU_DEP_2)
	v_mov_b32_e32 v77, v83
	scratch_store_b64 off, v[76:77], off offset:216
.LBB99_85:
	s_wait_xcnt 0x0
	s_or_b32 exec_lo, exec_lo, s34
	scratch_load_b64 v[76:77], off, off offset:208
	v_cmp_lt_u32_e64 s0, 26, v0
	s_wait_loadcnt 0x0
	ds_store_b64 v1, v[76:77]
	s_wait_storecnt_dscnt 0x0
	s_barrier_signal -1
	s_barrier_wait -1
	s_wait_xcnt 0x0
	s_and_saveexec_b32 s33, s0
	s_cbranch_execz .LBB99_95
; %bb.86:
	s_and_not1_b32 vcc_lo, exec_lo, s3
	s_cbranch_vccnz .LBB99_88
; %bb.87:
	scratch_load_b64 v[76:77], v59, off
	ds_load_b64 v[78:79], v1
	s_wait_loadcnt_dscnt 0x0
	v_pk_mul_f32 v[80:81], v[78:79], v[76:77] op_sel:[1,1] op_sel_hi:[0,1]
	s_delay_alu instid0(VALU_DEP_1) | instskip(SKIP_1) | instid1(VALU_DEP_2)
	v_pk_fma_f32 v[82:83], v[78:79], v[76:77], v[80:81] op_sel_hi:[1,0,1]
	v_pk_fma_f32 v[76:77], v[78:79], v[76:77], v[80:81] neg_lo:[0,0,1] neg_hi:[0,0,1]
	v_mov_b32_e32 v77, v83
	s_cbranch_execz .LBB99_89
	s_branch .LBB99_90
.LBB99_88:
                                        ; implicit-def: $vgpr76_vgpr77
.LBB99_89:
	ds_load_b64 v[76:77], v1
.LBB99_90:
	s_and_saveexec_b32 s34, s1
	s_cbranch_execz .LBB99_94
; %bb.91:
	v_subrev_nc_u32_e32 v78, 27, v0
	s_movk_i32 s35, 0x1f8
	s_mov_b32 s1, 0
.LBB99_92:                              ; =>This Inner Loop Header: Depth=1
	scratch_load_b64 v[80:81], off, s31
	v_dual_mov_b32 v79, s35 :: v_dual_add_nc_u32 v78, -1, v78
	s_add_co_i32 s35, s35, 8
	s_wait_xcnt 0x0
	s_add_co_i32 s31, s31, 8
	ds_load_b64 v[82:83], v79
	v_cmp_eq_u32_e32 vcc_lo, 0, v78
	s_or_b32 s1, vcc_lo, s1
	s_wait_loadcnt_dscnt 0x0
	v_pk_mul_f32 v[84:85], v[82:83], v[80:81] op_sel:[1,1] op_sel_hi:[0,1]
	s_delay_alu instid0(VALU_DEP_1) | instskip(SKIP_1) | instid1(VALU_DEP_2)
	v_pk_fma_f32 v[86:87], v[82:83], v[80:81], v[84:85] op_sel_hi:[1,0,1]
	v_pk_fma_f32 v[80:81], v[82:83], v[80:81], v[84:85] neg_lo:[0,0,1] neg_hi:[0,0,1]
	v_mov_b32_e32 v81, v87
	s_delay_alu instid0(VALU_DEP_1)
	v_pk_add_f32 v[76:77], v[76:77], v[80:81]
	s_and_not1_b32 exec_lo, exec_lo, s1
	s_cbranch_execnz .LBB99_92
; %bb.93:
	s_or_b32 exec_lo, exec_lo, s1
.LBB99_94:
	s_delay_alu instid0(SALU_CYCLE_1) | instskip(SKIP_4) | instid1(VALU_DEP_1)
	s_or_b32 exec_lo, exec_lo, s34
	v_mov_b32_e32 v78, 0
	ds_load_b64 v[78:79], v78 offset:208
	s_wait_dscnt 0x0
	v_pk_mul_f32 v[80:81], v[76:77], v[78:79] op_sel:[1,1] op_sel_hi:[0,1]
	v_pk_fma_f32 v[82:83], v[76:77], v[78:79], v[80:81] op_sel_hi:[1,0,1]
	v_pk_fma_f32 v[76:77], v[76:77], v[78:79], v[80:81] neg_lo:[0,0,1] neg_hi:[0,0,1]
	s_delay_alu instid0(VALU_DEP_2)
	v_mov_b32_e32 v77, v83
	scratch_store_b64 off, v[76:77], off offset:208
.LBB99_95:
	s_wait_xcnt 0x0
	s_or_b32 exec_lo, exec_lo, s33
	scratch_load_b64 v[76:77], off, off offset:200
	v_cmp_lt_u32_e64 s1, 25, v0
	s_wait_loadcnt 0x0
	ds_store_b64 v1, v[76:77]
	s_wait_storecnt_dscnt 0x0
	s_barrier_signal -1
	s_barrier_wait -1
	s_wait_xcnt 0x0
	s_and_saveexec_b32 s31, s1
	s_cbranch_execz .LBB99_105
; %bb.96:
	s_and_not1_b32 vcc_lo, exec_lo, s3
	s_cbranch_vccnz .LBB99_98
; %bb.97:
	scratch_load_b64 v[76:77], v59, off
	ds_load_b64 v[78:79], v1
	s_wait_loadcnt_dscnt 0x0
	v_pk_mul_f32 v[80:81], v[78:79], v[76:77] op_sel:[1,1] op_sel_hi:[0,1]
	s_delay_alu instid0(VALU_DEP_1) | instskip(SKIP_1) | instid1(VALU_DEP_2)
	v_pk_fma_f32 v[82:83], v[78:79], v[76:77], v[80:81] op_sel_hi:[1,0,1]
	v_pk_fma_f32 v[76:77], v[78:79], v[76:77], v[80:81] neg_lo:[0,0,1] neg_hi:[0,0,1]
	v_mov_b32_e32 v77, v83
	s_cbranch_execz .LBB99_99
	s_branch .LBB99_100
.LBB99_98:
                                        ; implicit-def: $vgpr76_vgpr77
.LBB99_99:
	ds_load_b64 v[76:77], v1
.LBB99_100:
	s_and_saveexec_b32 s33, s0
	s_cbranch_execz .LBB99_104
; %bb.101:
	v_subrev_nc_u32_e32 v78, 26, v0
	s_movk_i32 s34, 0x1f0
	s_mov_b32 s0, 0
.LBB99_102:                             ; =>This Inner Loop Header: Depth=1
	scratch_load_b64 v[80:81], off, s30
	v_dual_mov_b32 v79, s34 :: v_dual_add_nc_u32 v78, -1, v78
	s_add_co_i32 s34, s34, 8
	s_wait_xcnt 0x0
	s_add_co_i32 s30, s30, 8
	ds_load_b64 v[82:83], v79
	v_cmp_eq_u32_e32 vcc_lo, 0, v78
	s_or_b32 s0, vcc_lo, s0
	s_wait_loadcnt_dscnt 0x0
	v_pk_mul_f32 v[84:85], v[82:83], v[80:81] op_sel:[1,1] op_sel_hi:[0,1]
	s_delay_alu instid0(VALU_DEP_1) | instskip(SKIP_1) | instid1(VALU_DEP_2)
	v_pk_fma_f32 v[86:87], v[82:83], v[80:81], v[84:85] op_sel_hi:[1,0,1]
	v_pk_fma_f32 v[80:81], v[82:83], v[80:81], v[84:85] neg_lo:[0,0,1] neg_hi:[0,0,1]
	v_mov_b32_e32 v81, v87
	s_delay_alu instid0(VALU_DEP_1)
	v_pk_add_f32 v[76:77], v[76:77], v[80:81]
	s_and_not1_b32 exec_lo, exec_lo, s0
	s_cbranch_execnz .LBB99_102
; %bb.103:
	s_or_b32 exec_lo, exec_lo, s0
.LBB99_104:
	s_delay_alu instid0(SALU_CYCLE_1) | instskip(SKIP_4) | instid1(VALU_DEP_1)
	s_or_b32 exec_lo, exec_lo, s33
	v_mov_b32_e32 v78, 0
	ds_load_b64 v[78:79], v78 offset:200
	s_wait_dscnt 0x0
	v_pk_mul_f32 v[80:81], v[76:77], v[78:79] op_sel:[1,1] op_sel_hi:[0,1]
	v_pk_fma_f32 v[82:83], v[76:77], v[78:79], v[80:81] op_sel_hi:[1,0,1]
	v_pk_fma_f32 v[76:77], v[76:77], v[78:79], v[80:81] neg_lo:[0,0,1] neg_hi:[0,0,1]
	s_delay_alu instid0(VALU_DEP_2)
	v_mov_b32_e32 v77, v83
	scratch_store_b64 off, v[76:77], off offset:200
.LBB99_105:
	s_wait_xcnt 0x0
	s_or_b32 exec_lo, exec_lo, s31
	scratch_load_b64 v[76:77], off, off offset:192
	v_cmp_lt_u32_e64 s0, 24, v0
	s_wait_loadcnt 0x0
	ds_store_b64 v1, v[76:77]
	s_wait_storecnt_dscnt 0x0
	s_barrier_signal -1
	s_barrier_wait -1
	s_wait_xcnt 0x0
	s_and_saveexec_b32 s30, s0
	s_cbranch_execz .LBB99_115
; %bb.106:
	s_and_not1_b32 vcc_lo, exec_lo, s3
	s_cbranch_vccnz .LBB99_108
; %bb.107:
	scratch_load_b64 v[76:77], v59, off
	ds_load_b64 v[78:79], v1
	s_wait_loadcnt_dscnt 0x0
	v_pk_mul_f32 v[80:81], v[78:79], v[76:77] op_sel:[1,1] op_sel_hi:[0,1]
	s_delay_alu instid0(VALU_DEP_1) | instskip(SKIP_1) | instid1(VALU_DEP_2)
	v_pk_fma_f32 v[82:83], v[78:79], v[76:77], v[80:81] op_sel_hi:[1,0,1]
	v_pk_fma_f32 v[76:77], v[78:79], v[76:77], v[80:81] neg_lo:[0,0,1] neg_hi:[0,0,1]
	v_mov_b32_e32 v77, v83
	s_cbranch_execz .LBB99_109
	s_branch .LBB99_110
.LBB99_108:
                                        ; implicit-def: $vgpr76_vgpr77
.LBB99_109:
	ds_load_b64 v[76:77], v1
.LBB99_110:
	s_and_saveexec_b32 s31, s1
	s_cbranch_execz .LBB99_114
; %bb.111:
	v_subrev_nc_u32_e32 v78, 25, v0
	s_movk_i32 s33, 0x1e8
	s_mov_b32 s1, 0
.LBB99_112:                             ; =>This Inner Loop Header: Depth=1
	scratch_load_b64 v[80:81], off, s29
	v_dual_mov_b32 v79, s33 :: v_dual_add_nc_u32 v78, -1, v78
	s_add_co_i32 s33, s33, 8
	s_wait_xcnt 0x0
	s_add_co_i32 s29, s29, 8
	ds_load_b64 v[82:83], v79
	v_cmp_eq_u32_e32 vcc_lo, 0, v78
	s_or_b32 s1, vcc_lo, s1
	s_wait_loadcnt_dscnt 0x0
	v_pk_mul_f32 v[84:85], v[82:83], v[80:81] op_sel:[1,1] op_sel_hi:[0,1]
	s_delay_alu instid0(VALU_DEP_1) | instskip(SKIP_1) | instid1(VALU_DEP_2)
	v_pk_fma_f32 v[86:87], v[82:83], v[80:81], v[84:85] op_sel_hi:[1,0,1]
	v_pk_fma_f32 v[80:81], v[82:83], v[80:81], v[84:85] neg_lo:[0,0,1] neg_hi:[0,0,1]
	v_mov_b32_e32 v81, v87
	s_delay_alu instid0(VALU_DEP_1)
	v_pk_add_f32 v[76:77], v[76:77], v[80:81]
	s_and_not1_b32 exec_lo, exec_lo, s1
	s_cbranch_execnz .LBB99_112
; %bb.113:
	s_or_b32 exec_lo, exec_lo, s1
.LBB99_114:
	s_delay_alu instid0(SALU_CYCLE_1) | instskip(SKIP_4) | instid1(VALU_DEP_1)
	s_or_b32 exec_lo, exec_lo, s31
	v_mov_b32_e32 v78, 0
	ds_load_b64 v[78:79], v78 offset:192
	s_wait_dscnt 0x0
	v_pk_mul_f32 v[80:81], v[76:77], v[78:79] op_sel:[1,1] op_sel_hi:[0,1]
	v_pk_fma_f32 v[82:83], v[76:77], v[78:79], v[80:81] op_sel_hi:[1,0,1]
	v_pk_fma_f32 v[76:77], v[76:77], v[78:79], v[80:81] neg_lo:[0,0,1] neg_hi:[0,0,1]
	s_delay_alu instid0(VALU_DEP_2)
	v_mov_b32_e32 v77, v83
	scratch_store_b64 off, v[76:77], off offset:192
.LBB99_115:
	s_wait_xcnt 0x0
	s_or_b32 exec_lo, exec_lo, s30
	scratch_load_b64 v[76:77], off, off offset:184
	v_cmp_lt_u32_e64 s1, 23, v0
	s_wait_loadcnt 0x0
	ds_store_b64 v1, v[76:77]
	s_wait_storecnt_dscnt 0x0
	s_barrier_signal -1
	s_barrier_wait -1
	s_wait_xcnt 0x0
	s_and_saveexec_b32 s29, s1
	s_cbranch_execz .LBB99_125
; %bb.116:
	s_and_not1_b32 vcc_lo, exec_lo, s3
	s_cbranch_vccnz .LBB99_118
; %bb.117:
	scratch_load_b64 v[76:77], v59, off
	ds_load_b64 v[78:79], v1
	s_wait_loadcnt_dscnt 0x0
	v_pk_mul_f32 v[80:81], v[78:79], v[76:77] op_sel:[1,1] op_sel_hi:[0,1]
	s_delay_alu instid0(VALU_DEP_1) | instskip(SKIP_1) | instid1(VALU_DEP_2)
	v_pk_fma_f32 v[82:83], v[78:79], v[76:77], v[80:81] op_sel_hi:[1,0,1]
	v_pk_fma_f32 v[76:77], v[78:79], v[76:77], v[80:81] neg_lo:[0,0,1] neg_hi:[0,0,1]
	v_mov_b32_e32 v77, v83
	s_cbranch_execz .LBB99_119
	s_branch .LBB99_120
.LBB99_118:
                                        ; implicit-def: $vgpr76_vgpr77
.LBB99_119:
	ds_load_b64 v[76:77], v1
.LBB99_120:
	s_and_saveexec_b32 s30, s0
	s_cbranch_execz .LBB99_124
; %bb.121:
	v_subrev_nc_u32_e32 v78, 24, v0
	s_movk_i32 s31, 0x1e0
	s_mov_b32 s0, 0
.LBB99_122:                             ; =>This Inner Loop Header: Depth=1
	scratch_load_b64 v[80:81], off, s28
	v_dual_mov_b32 v79, s31 :: v_dual_add_nc_u32 v78, -1, v78
	s_add_co_i32 s31, s31, 8
	s_wait_xcnt 0x0
	s_add_co_i32 s28, s28, 8
	ds_load_b64 v[82:83], v79
	v_cmp_eq_u32_e32 vcc_lo, 0, v78
	s_or_b32 s0, vcc_lo, s0
	s_wait_loadcnt_dscnt 0x0
	v_pk_mul_f32 v[84:85], v[82:83], v[80:81] op_sel:[1,1] op_sel_hi:[0,1]
	s_delay_alu instid0(VALU_DEP_1) | instskip(SKIP_1) | instid1(VALU_DEP_2)
	v_pk_fma_f32 v[86:87], v[82:83], v[80:81], v[84:85] op_sel_hi:[1,0,1]
	v_pk_fma_f32 v[80:81], v[82:83], v[80:81], v[84:85] neg_lo:[0,0,1] neg_hi:[0,0,1]
	v_mov_b32_e32 v81, v87
	s_delay_alu instid0(VALU_DEP_1)
	v_pk_add_f32 v[76:77], v[76:77], v[80:81]
	s_and_not1_b32 exec_lo, exec_lo, s0
	s_cbranch_execnz .LBB99_122
; %bb.123:
	s_or_b32 exec_lo, exec_lo, s0
.LBB99_124:
	s_delay_alu instid0(SALU_CYCLE_1) | instskip(SKIP_4) | instid1(VALU_DEP_1)
	s_or_b32 exec_lo, exec_lo, s30
	v_mov_b32_e32 v78, 0
	ds_load_b64 v[78:79], v78 offset:184
	s_wait_dscnt 0x0
	v_pk_mul_f32 v[80:81], v[76:77], v[78:79] op_sel:[1,1] op_sel_hi:[0,1]
	v_pk_fma_f32 v[82:83], v[76:77], v[78:79], v[80:81] op_sel_hi:[1,0,1]
	v_pk_fma_f32 v[76:77], v[76:77], v[78:79], v[80:81] neg_lo:[0,0,1] neg_hi:[0,0,1]
	s_delay_alu instid0(VALU_DEP_2)
	v_mov_b32_e32 v77, v83
	scratch_store_b64 off, v[76:77], off offset:184
.LBB99_125:
	s_wait_xcnt 0x0
	s_or_b32 exec_lo, exec_lo, s29
	scratch_load_b64 v[76:77], off, off offset:176
	v_cmp_lt_u32_e64 s0, 22, v0
	s_wait_loadcnt 0x0
	ds_store_b64 v1, v[76:77]
	s_wait_storecnt_dscnt 0x0
	s_barrier_signal -1
	s_barrier_wait -1
	s_wait_xcnt 0x0
	s_and_saveexec_b32 s28, s0
	s_cbranch_execz .LBB99_135
; %bb.126:
	s_and_not1_b32 vcc_lo, exec_lo, s3
	s_cbranch_vccnz .LBB99_128
; %bb.127:
	scratch_load_b64 v[76:77], v59, off
	ds_load_b64 v[78:79], v1
	s_wait_loadcnt_dscnt 0x0
	v_pk_mul_f32 v[80:81], v[78:79], v[76:77] op_sel:[1,1] op_sel_hi:[0,1]
	s_delay_alu instid0(VALU_DEP_1) | instskip(SKIP_1) | instid1(VALU_DEP_2)
	v_pk_fma_f32 v[82:83], v[78:79], v[76:77], v[80:81] op_sel_hi:[1,0,1]
	v_pk_fma_f32 v[76:77], v[78:79], v[76:77], v[80:81] neg_lo:[0,0,1] neg_hi:[0,0,1]
	v_mov_b32_e32 v77, v83
	s_cbranch_execz .LBB99_129
	s_branch .LBB99_130
.LBB99_128:
                                        ; implicit-def: $vgpr76_vgpr77
.LBB99_129:
	ds_load_b64 v[76:77], v1
.LBB99_130:
	s_and_saveexec_b32 s29, s1
	s_cbranch_execz .LBB99_134
; %bb.131:
	v_subrev_nc_u32_e32 v78, 23, v0
	s_movk_i32 s30, 0x1d8
	s_mov_b32 s1, 0
.LBB99_132:                             ; =>This Inner Loop Header: Depth=1
	scratch_load_b64 v[80:81], off, s27
	v_dual_mov_b32 v79, s30 :: v_dual_add_nc_u32 v78, -1, v78
	s_add_co_i32 s30, s30, 8
	s_wait_xcnt 0x0
	s_add_co_i32 s27, s27, 8
	ds_load_b64 v[82:83], v79
	v_cmp_eq_u32_e32 vcc_lo, 0, v78
	s_or_b32 s1, vcc_lo, s1
	s_wait_loadcnt_dscnt 0x0
	v_pk_mul_f32 v[84:85], v[82:83], v[80:81] op_sel:[1,1] op_sel_hi:[0,1]
	s_delay_alu instid0(VALU_DEP_1) | instskip(SKIP_1) | instid1(VALU_DEP_2)
	v_pk_fma_f32 v[86:87], v[82:83], v[80:81], v[84:85] op_sel_hi:[1,0,1]
	v_pk_fma_f32 v[80:81], v[82:83], v[80:81], v[84:85] neg_lo:[0,0,1] neg_hi:[0,0,1]
	v_mov_b32_e32 v81, v87
	s_delay_alu instid0(VALU_DEP_1)
	v_pk_add_f32 v[76:77], v[76:77], v[80:81]
	s_and_not1_b32 exec_lo, exec_lo, s1
	s_cbranch_execnz .LBB99_132
; %bb.133:
	s_or_b32 exec_lo, exec_lo, s1
.LBB99_134:
	s_delay_alu instid0(SALU_CYCLE_1) | instskip(SKIP_4) | instid1(VALU_DEP_1)
	s_or_b32 exec_lo, exec_lo, s29
	v_mov_b32_e32 v78, 0
	ds_load_b64 v[78:79], v78 offset:176
	s_wait_dscnt 0x0
	v_pk_mul_f32 v[80:81], v[76:77], v[78:79] op_sel:[1,1] op_sel_hi:[0,1]
	v_pk_fma_f32 v[82:83], v[76:77], v[78:79], v[80:81] op_sel_hi:[1,0,1]
	v_pk_fma_f32 v[76:77], v[76:77], v[78:79], v[80:81] neg_lo:[0,0,1] neg_hi:[0,0,1]
	s_delay_alu instid0(VALU_DEP_2)
	v_mov_b32_e32 v77, v83
	scratch_store_b64 off, v[76:77], off offset:176
.LBB99_135:
	s_wait_xcnt 0x0
	s_or_b32 exec_lo, exec_lo, s28
	scratch_load_b64 v[76:77], off, off offset:168
	v_cmp_lt_u32_e64 s1, 21, v0
	s_wait_loadcnt 0x0
	ds_store_b64 v1, v[76:77]
	s_wait_storecnt_dscnt 0x0
	s_barrier_signal -1
	s_barrier_wait -1
	s_wait_xcnt 0x0
	s_and_saveexec_b32 s27, s1
	s_cbranch_execz .LBB99_145
; %bb.136:
	s_and_not1_b32 vcc_lo, exec_lo, s3
	s_cbranch_vccnz .LBB99_138
; %bb.137:
	scratch_load_b64 v[76:77], v59, off
	ds_load_b64 v[78:79], v1
	s_wait_loadcnt_dscnt 0x0
	v_pk_mul_f32 v[80:81], v[78:79], v[76:77] op_sel:[1,1] op_sel_hi:[0,1]
	s_delay_alu instid0(VALU_DEP_1) | instskip(SKIP_1) | instid1(VALU_DEP_2)
	v_pk_fma_f32 v[82:83], v[78:79], v[76:77], v[80:81] op_sel_hi:[1,0,1]
	v_pk_fma_f32 v[76:77], v[78:79], v[76:77], v[80:81] neg_lo:[0,0,1] neg_hi:[0,0,1]
	v_mov_b32_e32 v77, v83
	s_cbranch_execz .LBB99_139
	s_branch .LBB99_140
.LBB99_138:
                                        ; implicit-def: $vgpr76_vgpr77
.LBB99_139:
	ds_load_b64 v[76:77], v1
.LBB99_140:
	s_and_saveexec_b32 s28, s0
	s_cbranch_execz .LBB99_144
; %bb.141:
	v_subrev_nc_u32_e32 v78, 22, v0
	s_movk_i32 s29, 0x1d0
	s_mov_b32 s0, 0
.LBB99_142:                             ; =>This Inner Loop Header: Depth=1
	scratch_load_b64 v[80:81], off, s26
	v_dual_mov_b32 v79, s29 :: v_dual_add_nc_u32 v78, -1, v78
	s_add_co_i32 s29, s29, 8
	s_wait_xcnt 0x0
	s_add_co_i32 s26, s26, 8
	ds_load_b64 v[82:83], v79
	v_cmp_eq_u32_e32 vcc_lo, 0, v78
	s_or_b32 s0, vcc_lo, s0
	s_wait_loadcnt_dscnt 0x0
	v_pk_mul_f32 v[84:85], v[82:83], v[80:81] op_sel:[1,1] op_sel_hi:[0,1]
	s_delay_alu instid0(VALU_DEP_1) | instskip(SKIP_1) | instid1(VALU_DEP_2)
	v_pk_fma_f32 v[86:87], v[82:83], v[80:81], v[84:85] op_sel_hi:[1,0,1]
	v_pk_fma_f32 v[80:81], v[82:83], v[80:81], v[84:85] neg_lo:[0,0,1] neg_hi:[0,0,1]
	v_mov_b32_e32 v81, v87
	s_delay_alu instid0(VALU_DEP_1)
	v_pk_add_f32 v[76:77], v[76:77], v[80:81]
	s_and_not1_b32 exec_lo, exec_lo, s0
	s_cbranch_execnz .LBB99_142
; %bb.143:
	s_or_b32 exec_lo, exec_lo, s0
.LBB99_144:
	s_delay_alu instid0(SALU_CYCLE_1) | instskip(SKIP_4) | instid1(VALU_DEP_1)
	s_or_b32 exec_lo, exec_lo, s28
	v_mov_b32_e32 v78, 0
	ds_load_b64 v[78:79], v78 offset:168
	s_wait_dscnt 0x0
	v_pk_mul_f32 v[80:81], v[76:77], v[78:79] op_sel:[1,1] op_sel_hi:[0,1]
	v_pk_fma_f32 v[82:83], v[76:77], v[78:79], v[80:81] op_sel_hi:[1,0,1]
	v_pk_fma_f32 v[76:77], v[76:77], v[78:79], v[80:81] neg_lo:[0,0,1] neg_hi:[0,0,1]
	s_delay_alu instid0(VALU_DEP_2)
	v_mov_b32_e32 v77, v83
	scratch_store_b64 off, v[76:77], off offset:168
.LBB99_145:
	s_wait_xcnt 0x0
	s_or_b32 exec_lo, exec_lo, s27
	scratch_load_b64 v[76:77], off, off offset:160
	v_cmp_lt_u32_e64 s0, 20, v0
	s_wait_loadcnt 0x0
	ds_store_b64 v1, v[76:77]
	s_wait_storecnt_dscnt 0x0
	s_barrier_signal -1
	s_barrier_wait -1
	s_wait_xcnt 0x0
	s_and_saveexec_b32 s26, s0
	s_cbranch_execz .LBB99_155
; %bb.146:
	s_and_not1_b32 vcc_lo, exec_lo, s3
	s_cbranch_vccnz .LBB99_148
; %bb.147:
	scratch_load_b64 v[76:77], v59, off
	ds_load_b64 v[78:79], v1
	s_wait_loadcnt_dscnt 0x0
	v_pk_mul_f32 v[80:81], v[78:79], v[76:77] op_sel:[1,1] op_sel_hi:[0,1]
	s_delay_alu instid0(VALU_DEP_1) | instskip(SKIP_1) | instid1(VALU_DEP_2)
	v_pk_fma_f32 v[82:83], v[78:79], v[76:77], v[80:81] op_sel_hi:[1,0,1]
	v_pk_fma_f32 v[76:77], v[78:79], v[76:77], v[80:81] neg_lo:[0,0,1] neg_hi:[0,0,1]
	v_mov_b32_e32 v77, v83
	s_cbranch_execz .LBB99_149
	s_branch .LBB99_150
.LBB99_148:
                                        ; implicit-def: $vgpr76_vgpr77
.LBB99_149:
	ds_load_b64 v[76:77], v1
.LBB99_150:
	s_and_saveexec_b32 s27, s1
	s_cbranch_execz .LBB99_154
; %bb.151:
	v_subrev_nc_u32_e32 v78, 21, v0
	s_movk_i32 s28, 0x1c8
	s_mov_b32 s1, 0
.LBB99_152:                             ; =>This Inner Loop Header: Depth=1
	scratch_load_b64 v[80:81], off, s25
	v_dual_mov_b32 v79, s28 :: v_dual_add_nc_u32 v78, -1, v78
	s_add_co_i32 s28, s28, 8
	s_wait_xcnt 0x0
	s_add_co_i32 s25, s25, 8
	ds_load_b64 v[82:83], v79
	v_cmp_eq_u32_e32 vcc_lo, 0, v78
	s_or_b32 s1, vcc_lo, s1
	s_wait_loadcnt_dscnt 0x0
	v_pk_mul_f32 v[84:85], v[82:83], v[80:81] op_sel:[1,1] op_sel_hi:[0,1]
	s_delay_alu instid0(VALU_DEP_1) | instskip(SKIP_1) | instid1(VALU_DEP_2)
	v_pk_fma_f32 v[86:87], v[82:83], v[80:81], v[84:85] op_sel_hi:[1,0,1]
	v_pk_fma_f32 v[80:81], v[82:83], v[80:81], v[84:85] neg_lo:[0,0,1] neg_hi:[0,0,1]
	v_mov_b32_e32 v81, v87
	s_delay_alu instid0(VALU_DEP_1)
	v_pk_add_f32 v[76:77], v[76:77], v[80:81]
	s_and_not1_b32 exec_lo, exec_lo, s1
	s_cbranch_execnz .LBB99_152
; %bb.153:
	s_or_b32 exec_lo, exec_lo, s1
.LBB99_154:
	s_delay_alu instid0(SALU_CYCLE_1) | instskip(SKIP_4) | instid1(VALU_DEP_1)
	s_or_b32 exec_lo, exec_lo, s27
	v_mov_b32_e32 v78, 0
	ds_load_b64 v[78:79], v78 offset:160
	s_wait_dscnt 0x0
	v_pk_mul_f32 v[80:81], v[76:77], v[78:79] op_sel:[1,1] op_sel_hi:[0,1]
	v_pk_fma_f32 v[82:83], v[76:77], v[78:79], v[80:81] op_sel_hi:[1,0,1]
	v_pk_fma_f32 v[76:77], v[76:77], v[78:79], v[80:81] neg_lo:[0,0,1] neg_hi:[0,0,1]
	s_delay_alu instid0(VALU_DEP_2)
	v_mov_b32_e32 v77, v83
	scratch_store_b64 off, v[76:77], off offset:160
.LBB99_155:
	s_wait_xcnt 0x0
	s_or_b32 exec_lo, exec_lo, s26
	scratch_load_b64 v[76:77], off, off offset:152
	v_cmp_lt_u32_e64 s1, 19, v0
	s_wait_loadcnt 0x0
	ds_store_b64 v1, v[76:77]
	s_wait_storecnt_dscnt 0x0
	s_barrier_signal -1
	s_barrier_wait -1
	s_wait_xcnt 0x0
	s_and_saveexec_b32 s25, s1
	s_cbranch_execz .LBB99_165
; %bb.156:
	s_and_not1_b32 vcc_lo, exec_lo, s3
	s_cbranch_vccnz .LBB99_158
; %bb.157:
	scratch_load_b64 v[76:77], v59, off
	ds_load_b64 v[78:79], v1
	s_wait_loadcnt_dscnt 0x0
	v_pk_mul_f32 v[80:81], v[78:79], v[76:77] op_sel:[1,1] op_sel_hi:[0,1]
	s_delay_alu instid0(VALU_DEP_1) | instskip(SKIP_1) | instid1(VALU_DEP_2)
	v_pk_fma_f32 v[82:83], v[78:79], v[76:77], v[80:81] op_sel_hi:[1,0,1]
	v_pk_fma_f32 v[76:77], v[78:79], v[76:77], v[80:81] neg_lo:[0,0,1] neg_hi:[0,0,1]
	v_mov_b32_e32 v77, v83
	s_cbranch_execz .LBB99_159
	s_branch .LBB99_160
.LBB99_158:
                                        ; implicit-def: $vgpr76_vgpr77
.LBB99_159:
	ds_load_b64 v[76:77], v1
.LBB99_160:
	s_and_saveexec_b32 s26, s0
	s_cbranch_execz .LBB99_164
; %bb.161:
	v_subrev_nc_u32_e32 v78, 20, v0
	s_movk_i32 s27, 0x1c0
	s_mov_b32 s0, 0
.LBB99_162:                             ; =>This Inner Loop Header: Depth=1
	scratch_load_b64 v[80:81], off, s24
	v_dual_mov_b32 v79, s27 :: v_dual_add_nc_u32 v78, -1, v78
	s_add_co_i32 s27, s27, 8
	s_wait_xcnt 0x0
	s_add_co_i32 s24, s24, 8
	ds_load_b64 v[82:83], v79
	v_cmp_eq_u32_e32 vcc_lo, 0, v78
	s_or_b32 s0, vcc_lo, s0
	s_wait_loadcnt_dscnt 0x0
	v_pk_mul_f32 v[84:85], v[82:83], v[80:81] op_sel:[1,1] op_sel_hi:[0,1]
	s_delay_alu instid0(VALU_DEP_1) | instskip(SKIP_1) | instid1(VALU_DEP_2)
	v_pk_fma_f32 v[86:87], v[82:83], v[80:81], v[84:85] op_sel_hi:[1,0,1]
	v_pk_fma_f32 v[80:81], v[82:83], v[80:81], v[84:85] neg_lo:[0,0,1] neg_hi:[0,0,1]
	v_mov_b32_e32 v81, v87
	s_delay_alu instid0(VALU_DEP_1)
	v_pk_add_f32 v[76:77], v[76:77], v[80:81]
	s_and_not1_b32 exec_lo, exec_lo, s0
	s_cbranch_execnz .LBB99_162
; %bb.163:
	s_or_b32 exec_lo, exec_lo, s0
.LBB99_164:
	s_delay_alu instid0(SALU_CYCLE_1) | instskip(SKIP_4) | instid1(VALU_DEP_1)
	s_or_b32 exec_lo, exec_lo, s26
	v_mov_b32_e32 v78, 0
	ds_load_b64 v[78:79], v78 offset:152
	s_wait_dscnt 0x0
	v_pk_mul_f32 v[80:81], v[76:77], v[78:79] op_sel:[1,1] op_sel_hi:[0,1]
	v_pk_fma_f32 v[82:83], v[76:77], v[78:79], v[80:81] op_sel_hi:[1,0,1]
	v_pk_fma_f32 v[76:77], v[76:77], v[78:79], v[80:81] neg_lo:[0,0,1] neg_hi:[0,0,1]
	s_delay_alu instid0(VALU_DEP_2)
	v_mov_b32_e32 v77, v83
	scratch_store_b64 off, v[76:77], off offset:152
.LBB99_165:
	s_wait_xcnt 0x0
	s_or_b32 exec_lo, exec_lo, s25
	scratch_load_b64 v[76:77], off, off offset:144
	v_cmp_lt_u32_e64 s0, 18, v0
	s_wait_loadcnt 0x0
	ds_store_b64 v1, v[76:77]
	s_wait_storecnt_dscnt 0x0
	s_barrier_signal -1
	s_barrier_wait -1
	s_wait_xcnt 0x0
	s_and_saveexec_b32 s24, s0
	s_cbranch_execz .LBB99_175
; %bb.166:
	s_and_not1_b32 vcc_lo, exec_lo, s3
	s_cbranch_vccnz .LBB99_168
; %bb.167:
	scratch_load_b64 v[76:77], v59, off
	ds_load_b64 v[78:79], v1
	s_wait_loadcnt_dscnt 0x0
	v_pk_mul_f32 v[80:81], v[78:79], v[76:77] op_sel:[1,1] op_sel_hi:[0,1]
	s_delay_alu instid0(VALU_DEP_1) | instskip(SKIP_1) | instid1(VALU_DEP_2)
	v_pk_fma_f32 v[82:83], v[78:79], v[76:77], v[80:81] op_sel_hi:[1,0,1]
	v_pk_fma_f32 v[76:77], v[78:79], v[76:77], v[80:81] neg_lo:[0,0,1] neg_hi:[0,0,1]
	v_mov_b32_e32 v77, v83
	s_cbranch_execz .LBB99_169
	s_branch .LBB99_170
.LBB99_168:
                                        ; implicit-def: $vgpr76_vgpr77
.LBB99_169:
	ds_load_b64 v[76:77], v1
.LBB99_170:
	s_and_saveexec_b32 s25, s1
	s_cbranch_execz .LBB99_174
; %bb.171:
	v_subrev_nc_u32_e32 v78, 19, v0
	s_movk_i32 s26, 0x1b8
	s_mov_b32 s1, 0
.LBB99_172:                             ; =>This Inner Loop Header: Depth=1
	scratch_load_b64 v[80:81], off, s23
	v_dual_mov_b32 v79, s26 :: v_dual_add_nc_u32 v78, -1, v78
	s_add_co_i32 s26, s26, 8
	s_wait_xcnt 0x0
	s_add_co_i32 s23, s23, 8
	ds_load_b64 v[82:83], v79
	v_cmp_eq_u32_e32 vcc_lo, 0, v78
	s_or_b32 s1, vcc_lo, s1
	s_wait_loadcnt_dscnt 0x0
	v_pk_mul_f32 v[84:85], v[82:83], v[80:81] op_sel:[1,1] op_sel_hi:[0,1]
	s_delay_alu instid0(VALU_DEP_1) | instskip(SKIP_1) | instid1(VALU_DEP_2)
	v_pk_fma_f32 v[86:87], v[82:83], v[80:81], v[84:85] op_sel_hi:[1,0,1]
	v_pk_fma_f32 v[80:81], v[82:83], v[80:81], v[84:85] neg_lo:[0,0,1] neg_hi:[0,0,1]
	v_mov_b32_e32 v81, v87
	s_delay_alu instid0(VALU_DEP_1)
	v_pk_add_f32 v[76:77], v[76:77], v[80:81]
	s_and_not1_b32 exec_lo, exec_lo, s1
	s_cbranch_execnz .LBB99_172
; %bb.173:
	s_or_b32 exec_lo, exec_lo, s1
.LBB99_174:
	s_delay_alu instid0(SALU_CYCLE_1) | instskip(SKIP_4) | instid1(VALU_DEP_1)
	s_or_b32 exec_lo, exec_lo, s25
	v_mov_b32_e32 v78, 0
	ds_load_b64 v[78:79], v78 offset:144
	s_wait_dscnt 0x0
	v_pk_mul_f32 v[80:81], v[76:77], v[78:79] op_sel:[1,1] op_sel_hi:[0,1]
	v_pk_fma_f32 v[82:83], v[76:77], v[78:79], v[80:81] op_sel_hi:[1,0,1]
	v_pk_fma_f32 v[76:77], v[76:77], v[78:79], v[80:81] neg_lo:[0,0,1] neg_hi:[0,0,1]
	s_delay_alu instid0(VALU_DEP_2)
	v_mov_b32_e32 v77, v83
	scratch_store_b64 off, v[76:77], off offset:144
.LBB99_175:
	s_wait_xcnt 0x0
	s_or_b32 exec_lo, exec_lo, s24
	scratch_load_b64 v[76:77], off, off offset:136
	v_cmp_lt_u32_e64 s1, 17, v0
	s_wait_loadcnt 0x0
	ds_store_b64 v1, v[76:77]
	s_wait_storecnt_dscnt 0x0
	s_barrier_signal -1
	s_barrier_wait -1
	s_wait_xcnt 0x0
	s_and_saveexec_b32 s23, s1
	s_cbranch_execz .LBB99_185
; %bb.176:
	s_and_not1_b32 vcc_lo, exec_lo, s3
	s_cbranch_vccnz .LBB99_178
; %bb.177:
	scratch_load_b64 v[76:77], v59, off
	ds_load_b64 v[78:79], v1
	s_wait_loadcnt_dscnt 0x0
	v_pk_mul_f32 v[80:81], v[78:79], v[76:77] op_sel:[1,1] op_sel_hi:[0,1]
	s_delay_alu instid0(VALU_DEP_1) | instskip(SKIP_1) | instid1(VALU_DEP_2)
	v_pk_fma_f32 v[82:83], v[78:79], v[76:77], v[80:81] op_sel_hi:[1,0,1]
	v_pk_fma_f32 v[76:77], v[78:79], v[76:77], v[80:81] neg_lo:[0,0,1] neg_hi:[0,0,1]
	v_mov_b32_e32 v77, v83
	s_cbranch_execz .LBB99_179
	s_branch .LBB99_180
.LBB99_178:
                                        ; implicit-def: $vgpr76_vgpr77
.LBB99_179:
	ds_load_b64 v[76:77], v1
.LBB99_180:
	s_and_saveexec_b32 s24, s0
	s_cbranch_execz .LBB99_184
; %bb.181:
	v_subrev_nc_u32_e32 v78, 18, v0
	s_movk_i32 s25, 0x1b0
	s_mov_b32 s0, 0
.LBB99_182:                             ; =>This Inner Loop Header: Depth=1
	scratch_load_b64 v[80:81], off, s22
	v_dual_mov_b32 v79, s25 :: v_dual_add_nc_u32 v78, -1, v78
	s_add_co_i32 s25, s25, 8
	s_wait_xcnt 0x0
	s_add_co_i32 s22, s22, 8
	ds_load_b64 v[82:83], v79
	v_cmp_eq_u32_e32 vcc_lo, 0, v78
	s_or_b32 s0, vcc_lo, s0
	s_wait_loadcnt_dscnt 0x0
	v_pk_mul_f32 v[84:85], v[82:83], v[80:81] op_sel:[1,1] op_sel_hi:[0,1]
	s_delay_alu instid0(VALU_DEP_1) | instskip(SKIP_1) | instid1(VALU_DEP_2)
	v_pk_fma_f32 v[86:87], v[82:83], v[80:81], v[84:85] op_sel_hi:[1,0,1]
	v_pk_fma_f32 v[80:81], v[82:83], v[80:81], v[84:85] neg_lo:[0,0,1] neg_hi:[0,0,1]
	v_mov_b32_e32 v81, v87
	s_delay_alu instid0(VALU_DEP_1)
	v_pk_add_f32 v[76:77], v[76:77], v[80:81]
	s_and_not1_b32 exec_lo, exec_lo, s0
	s_cbranch_execnz .LBB99_182
; %bb.183:
	s_or_b32 exec_lo, exec_lo, s0
.LBB99_184:
	s_delay_alu instid0(SALU_CYCLE_1) | instskip(SKIP_4) | instid1(VALU_DEP_1)
	s_or_b32 exec_lo, exec_lo, s24
	v_mov_b32_e32 v78, 0
	ds_load_b64 v[78:79], v78 offset:136
	s_wait_dscnt 0x0
	v_pk_mul_f32 v[80:81], v[76:77], v[78:79] op_sel:[1,1] op_sel_hi:[0,1]
	v_pk_fma_f32 v[82:83], v[76:77], v[78:79], v[80:81] op_sel_hi:[1,0,1]
	v_pk_fma_f32 v[76:77], v[76:77], v[78:79], v[80:81] neg_lo:[0,0,1] neg_hi:[0,0,1]
	s_delay_alu instid0(VALU_DEP_2)
	v_mov_b32_e32 v77, v83
	scratch_store_b64 off, v[76:77], off offset:136
.LBB99_185:
	s_wait_xcnt 0x0
	s_or_b32 exec_lo, exec_lo, s23
	scratch_load_b64 v[76:77], off, off offset:128
	v_cmp_lt_u32_e64 s0, 16, v0
	s_wait_loadcnt 0x0
	ds_store_b64 v1, v[76:77]
	s_wait_storecnt_dscnt 0x0
	s_barrier_signal -1
	s_barrier_wait -1
	s_wait_xcnt 0x0
	s_and_saveexec_b32 s22, s0
	s_cbranch_execz .LBB99_195
; %bb.186:
	s_and_not1_b32 vcc_lo, exec_lo, s3
	s_cbranch_vccnz .LBB99_188
; %bb.187:
	scratch_load_b64 v[76:77], v59, off
	ds_load_b64 v[78:79], v1
	s_wait_loadcnt_dscnt 0x0
	v_pk_mul_f32 v[80:81], v[78:79], v[76:77] op_sel:[1,1] op_sel_hi:[0,1]
	s_delay_alu instid0(VALU_DEP_1) | instskip(SKIP_1) | instid1(VALU_DEP_2)
	v_pk_fma_f32 v[82:83], v[78:79], v[76:77], v[80:81] op_sel_hi:[1,0,1]
	v_pk_fma_f32 v[76:77], v[78:79], v[76:77], v[80:81] neg_lo:[0,0,1] neg_hi:[0,0,1]
	v_mov_b32_e32 v77, v83
	s_cbranch_execz .LBB99_189
	s_branch .LBB99_190
.LBB99_188:
                                        ; implicit-def: $vgpr76_vgpr77
.LBB99_189:
	ds_load_b64 v[76:77], v1
.LBB99_190:
	s_and_saveexec_b32 s23, s1
	s_cbranch_execz .LBB99_194
; %bb.191:
	v_subrev_nc_u32_e32 v78, 17, v0
	s_movk_i32 s24, 0x1a8
	s_mov_b32 s1, 0
.LBB99_192:                             ; =>This Inner Loop Header: Depth=1
	scratch_load_b64 v[80:81], off, s21
	v_dual_mov_b32 v79, s24 :: v_dual_add_nc_u32 v78, -1, v78
	s_add_co_i32 s24, s24, 8
	s_wait_xcnt 0x0
	s_add_co_i32 s21, s21, 8
	ds_load_b64 v[82:83], v79
	v_cmp_eq_u32_e32 vcc_lo, 0, v78
	s_or_b32 s1, vcc_lo, s1
	s_wait_loadcnt_dscnt 0x0
	v_pk_mul_f32 v[84:85], v[82:83], v[80:81] op_sel:[1,1] op_sel_hi:[0,1]
	s_delay_alu instid0(VALU_DEP_1) | instskip(SKIP_1) | instid1(VALU_DEP_2)
	v_pk_fma_f32 v[86:87], v[82:83], v[80:81], v[84:85] op_sel_hi:[1,0,1]
	v_pk_fma_f32 v[80:81], v[82:83], v[80:81], v[84:85] neg_lo:[0,0,1] neg_hi:[0,0,1]
	v_mov_b32_e32 v81, v87
	s_delay_alu instid0(VALU_DEP_1)
	v_pk_add_f32 v[76:77], v[76:77], v[80:81]
	s_and_not1_b32 exec_lo, exec_lo, s1
	s_cbranch_execnz .LBB99_192
; %bb.193:
	s_or_b32 exec_lo, exec_lo, s1
.LBB99_194:
	s_delay_alu instid0(SALU_CYCLE_1) | instskip(SKIP_4) | instid1(VALU_DEP_1)
	s_or_b32 exec_lo, exec_lo, s23
	v_mov_b32_e32 v78, 0
	ds_load_b64 v[78:79], v78 offset:128
	s_wait_dscnt 0x0
	v_pk_mul_f32 v[80:81], v[76:77], v[78:79] op_sel:[1,1] op_sel_hi:[0,1]
	v_pk_fma_f32 v[82:83], v[76:77], v[78:79], v[80:81] op_sel_hi:[1,0,1]
	v_pk_fma_f32 v[76:77], v[76:77], v[78:79], v[80:81] neg_lo:[0,0,1] neg_hi:[0,0,1]
	s_delay_alu instid0(VALU_DEP_2)
	v_mov_b32_e32 v77, v83
	scratch_store_b64 off, v[76:77], off offset:128
.LBB99_195:
	s_wait_xcnt 0x0
	s_or_b32 exec_lo, exec_lo, s22
	scratch_load_b64 v[76:77], off, off offset:120
	v_cmp_lt_u32_e64 s1, 15, v0
	s_wait_loadcnt 0x0
	ds_store_b64 v1, v[76:77]
	s_wait_storecnt_dscnt 0x0
	s_barrier_signal -1
	s_barrier_wait -1
	s_wait_xcnt 0x0
	s_and_saveexec_b32 s21, s1
	s_cbranch_execz .LBB99_205
; %bb.196:
	s_and_not1_b32 vcc_lo, exec_lo, s3
	s_cbranch_vccnz .LBB99_198
; %bb.197:
	scratch_load_b64 v[76:77], v59, off
	ds_load_b64 v[78:79], v1
	s_wait_loadcnt_dscnt 0x0
	v_pk_mul_f32 v[80:81], v[78:79], v[76:77] op_sel:[1,1] op_sel_hi:[0,1]
	s_delay_alu instid0(VALU_DEP_1) | instskip(SKIP_1) | instid1(VALU_DEP_2)
	v_pk_fma_f32 v[82:83], v[78:79], v[76:77], v[80:81] op_sel_hi:[1,0,1]
	v_pk_fma_f32 v[76:77], v[78:79], v[76:77], v[80:81] neg_lo:[0,0,1] neg_hi:[0,0,1]
	v_mov_b32_e32 v77, v83
	s_cbranch_execz .LBB99_199
	s_branch .LBB99_200
.LBB99_198:
                                        ; implicit-def: $vgpr76_vgpr77
.LBB99_199:
	ds_load_b64 v[76:77], v1
.LBB99_200:
	s_and_saveexec_b32 s22, s0
	s_cbranch_execz .LBB99_204
; %bb.201:
	v_add_nc_u32_e32 v78, -16, v0
	s_movk_i32 s23, 0x1a0
	s_mov_b32 s0, 0
.LBB99_202:                             ; =>This Inner Loop Header: Depth=1
	scratch_load_b64 v[80:81], off, s20
	v_dual_mov_b32 v79, s23 :: v_dual_add_nc_u32 v78, -1, v78
	s_add_co_i32 s23, s23, 8
	s_wait_xcnt 0x0
	s_add_co_i32 s20, s20, 8
	ds_load_b64 v[82:83], v79
	v_cmp_eq_u32_e32 vcc_lo, 0, v78
	s_or_b32 s0, vcc_lo, s0
	s_wait_loadcnt_dscnt 0x0
	v_pk_mul_f32 v[84:85], v[82:83], v[80:81] op_sel:[1,1] op_sel_hi:[0,1]
	s_delay_alu instid0(VALU_DEP_1) | instskip(SKIP_1) | instid1(VALU_DEP_2)
	v_pk_fma_f32 v[86:87], v[82:83], v[80:81], v[84:85] op_sel_hi:[1,0,1]
	v_pk_fma_f32 v[80:81], v[82:83], v[80:81], v[84:85] neg_lo:[0,0,1] neg_hi:[0,0,1]
	v_mov_b32_e32 v81, v87
	s_delay_alu instid0(VALU_DEP_1)
	v_pk_add_f32 v[76:77], v[76:77], v[80:81]
	s_and_not1_b32 exec_lo, exec_lo, s0
	s_cbranch_execnz .LBB99_202
; %bb.203:
	s_or_b32 exec_lo, exec_lo, s0
.LBB99_204:
	s_delay_alu instid0(SALU_CYCLE_1) | instskip(SKIP_4) | instid1(VALU_DEP_1)
	s_or_b32 exec_lo, exec_lo, s22
	v_mov_b32_e32 v78, 0
	ds_load_b64 v[78:79], v78 offset:120
	s_wait_dscnt 0x0
	v_pk_mul_f32 v[80:81], v[76:77], v[78:79] op_sel:[1,1] op_sel_hi:[0,1]
	v_pk_fma_f32 v[82:83], v[76:77], v[78:79], v[80:81] op_sel_hi:[1,0,1]
	v_pk_fma_f32 v[76:77], v[76:77], v[78:79], v[80:81] neg_lo:[0,0,1] neg_hi:[0,0,1]
	s_delay_alu instid0(VALU_DEP_2)
	v_mov_b32_e32 v77, v83
	scratch_store_b64 off, v[76:77], off offset:120
.LBB99_205:
	s_wait_xcnt 0x0
	s_or_b32 exec_lo, exec_lo, s21
	scratch_load_b64 v[76:77], off, off offset:112
	v_cmp_lt_u32_e64 s0, 14, v0
	s_wait_loadcnt 0x0
	ds_store_b64 v1, v[76:77]
	s_wait_storecnt_dscnt 0x0
	s_barrier_signal -1
	s_barrier_wait -1
	s_wait_xcnt 0x0
	s_and_saveexec_b32 s20, s0
	s_cbranch_execz .LBB99_215
; %bb.206:
	s_and_not1_b32 vcc_lo, exec_lo, s3
	s_cbranch_vccnz .LBB99_208
; %bb.207:
	scratch_load_b64 v[76:77], v59, off
	ds_load_b64 v[78:79], v1
	s_wait_loadcnt_dscnt 0x0
	v_pk_mul_f32 v[80:81], v[78:79], v[76:77] op_sel:[1,1] op_sel_hi:[0,1]
	s_delay_alu instid0(VALU_DEP_1) | instskip(SKIP_1) | instid1(VALU_DEP_2)
	v_pk_fma_f32 v[82:83], v[78:79], v[76:77], v[80:81] op_sel_hi:[1,0,1]
	v_pk_fma_f32 v[76:77], v[78:79], v[76:77], v[80:81] neg_lo:[0,0,1] neg_hi:[0,0,1]
	v_mov_b32_e32 v77, v83
	s_cbranch_execz .LBB99_209
	s_branch .LBB99_210
.LBB99_208:
                                        ; implicit-def: $vgpr76_vgpr77
.LBB99_209:
	ds_load_b64 v[76:77], v1
.LBB99_210:
	s_and_saveexec_b32 s21, s1
	s_cbranch_execz .LBB99_214
; %bb.211:
	v_add_nc_u32_e32 v78, -15, v0
	s_movk_i32 s22, 0x198
	s_mov_b32 s1, 0
.LBB99_212:                             ; =>This Inner Loop Header: Depth=1
	scratch_load_b64 v[80:81], off, s19
	v_dual_mov_b32 v79, s22 :: v_dual_add_nc_u32 v78, -1, v78
	s_add_co_i32 s22, s22, 8
	s_wait_xcnt 0x0
	s_add_co_i32 s19, s19, 8
	ds_load_b64 v[82:83], v79
	v_cmp_eq_u32_e32 vcc_lo, 0, v78
	s_or_b32 s1, vcc_lo, s1
	s_wait_loadcnt_dscnt 0x0
	v_pk_mul_f32 v[84:85], v[82:83], v[80:81] op_sel:[1,1] op_sel_hi:[0,1]
	s_delay_alu instid0(VALU_DEP_1) | instskip(SKIP_1) | instid1(VALU_DEP_2)
	v_pk_fma_f32 v[86:87], v[82:83], v[80:81], v[84:85] op_sel_hi:[1,0,1]
	v_pk_fma_f32 v[80:81], v[82:83], v[80:81], v[84:85] neg_lo:[0,0,1] neg_hi:[0,0,1]
	v_mov_b32_e32 v81, v87
	s_delay_alu instid0(VALU_DEP_1)
	v_pk_add_f32 v[76:77], v[76:77], v[80:81]
	s_and_not1_b32 exec_lo, exec_lo, s1
	s_cbranch_execnz .LBB99_212
; %bb.213:
	s_or_b32 exec_lo, exec_lo, s1
.LBB99_214:
	s_delay_alu instid0(SALU_CYCLE_1) | instskip(SKIP_4) | instid1(VALU_DEP_1)
	s_or_b32 exec_lo, exec_lo, s21
	v_mov_b32_e32 v78, 0
	ds_load_b64 v[78:79], v78 offset:112
	s_wait_dscnt 0x0
	v_pk_mul_f32 v[80:81], v[76:77], v[78:79] op_sel:[1,1] op_sel_hi:[0,1]
	v_pk_fma_f32 v[82:83], v[76:77], v[78:79], v[80:81] op_sel_hi:[1,0,1]
	v_pk_fma_f32 v[76:77], v[76:77], v[78:79], v[80:81] neg_lo:[0,0,1] neg_hi:[0,0,1]
	s_delay_alu instid0(VALU_DEP_2)
	v_mov_b32_e32 v77, v83
	scratch_store_b64 off, v[76:77], off offset:112
.LBB99_215:
	s_wait_xcnt 0x0
	s_or_b32 exec_lo, exec_lo, s20
	scratch_load_b64 v[76:77], off, off offset:104
	v_cmp_lt_u32_e64 s1, 13, v0
	s_wait_loadcnt 0x0
	ds_store_b64 v1, v[76:77]
	s_wait_storecnt_dscnt 0x0
	s_barrier_signal -1
	s_barrier_wait -1
	s_wait_xcnt 0x0
	s_and_saveexec_b32 s19, s1
	s_cbranch_execz .LBB99_225
; %bb.216:
	s_and_not1_b32 vcc_lo, exec_lo, s3
	s_cbranch_vccnz .LBB99_218
; %bb.217:
	scratch_load_b64 v[76:77], v59, off
	ds_load_b64 v[78:79], v1
	s_wait_loadcnt_dscnt 0x0
	v_pk_mul_f32 v[80:81], v[78:79], v[76:77] op_sel:[1,1] op_sel_hi:[0,1]
	s_delay_alu instid0(VALU_DEP_1) | instskip(SKIP_1) | instid1(VALU_DEP_2)
	v_pk_fma_f32 v[82:83], v[78:79], v[76:77], v[80:81] op_sel_hi:[1,0,1]
	v_pk_fma_f32 v[76:77], v[78:79], v[76:77], v[80:81] neg_lo:[0,0,1] neg_hi:[0,0,1]
	v_mov_b32_e32 v77, v83
	s_cbranch_execz .LBB99_219
	s_branch .LBB99_220
.LBB99_218:
                                        ; implicit-def: $vgpr76_vgpr77
.LBB99_219:
	ds_load_b64 v[76:77], v1
.LBB99_220:
	s_and_saveexec_b32 s20, s0
	s_cbranch_execz .LBB99_224
; %bb.221:
	v_add_nc_u32_e32 v78, -14, v0
	s_movk_i32 s21, 0x190
	s_mov_b32 s0, 0
.LBB99_222:                             ; =>This Inner Loop Header: Depth=1
	scratch_load_b64 v[80:81], off, s18
	v_dual_mov_b32 v79, s21 :: v_dual_add_nc_u32 v78, -1, v78
	s_add_co_i32 s21, s21, 8
	s_wait_xcnt 0x0
	s_add_co_i32 s18, s18, 8
	ds_load_b64 v[82:83], v79
	v_cmp_eq_u32_e32 vcc_lo, 0, v78
	s_or_b32 s0, vcc_lo, s0
	s_wait_loadcnt_dscnt 0x0
	v_pk_mul_f32 v[84:85], v[82:83], v[80:81] op_sel:[1,1] op_sel_hi:[0,1]
	s_delay_alu instid0(VALU_DEP_1) | instskip(SKIP_1) | instid1(VALU_DEP_2)
	v_pk_fma_f32 v[86:87], v[82:83], v[80:81], v[84:85] op_sel_hi:[1,0,1]
	v_pk_fma_f32 v[80:81], v[82:83], v[80:81], v[84:85] neg_lo:[0,0,1] neg_hi:[0,0,1]
	v_mov_b32_e32 v81, v87
	s_delay_alu instid0(VALU_DEP_1)
	v_pk_add_f32 v[76:77], v[76:77], v[80:81]
	s_and_not1_b32 exec_lo, exec_lo, s0
	s_cbranch_execnz .LBB99_222
; %bb.223:
	s_or_b32 exec_lo, exec_lo, s0
.LBB99_224:
	s_delay_alu instid0(SALU_CYCLE_1) | instskip(SKIP_4) | instid1(VALU_DEP_1)
	s_or_b32 exec_lo, exec_lo, s20
	v_mov_b32_e32 v78, 0
	ds_load_b64 v[78:79], v78 offset:104
	s_wait_dscnt 0x0
	v_pk_mul_f32 v[80:81], v[76:77], v[78:79] op_sel:[1,1] op_sel_hi:[0,1]
	v_pk_fma_f32 v[82:83], v[76:77], v[78:79], v[80:81] op_sel_hi:[1,0,1]
	v_pk_fma_f32 v[76:77], v[76:77], v[78:79], v[80:81] neg_lo:[0,0,1] neg_hi:[0,0,1]
	s_delay_alu instid0(VALU_DEP_2)
	v_mov_b32_e32 v77, v83
	scratch_store_b64 off, v[76:77], off offset:104
.LBB99_225:
	s_wait_xcnt 0x0
	s_or_b32 exec_lo, exec_lo, s19
	scratch_load_b64 v[76:77], off, off offset:96
	v_cmp_lt_u32_e64 s0, 12, v0
	s_wait_loadcnt 0x0
	ds_store_b64 v1, v[76:77]
	s_wait_storecnt_dscnt 0x0
	s_barrier_signal -1
	s_barrier_wait -1
	s_wait_xcnt 0x0
	s_and_saveexec_b32 s18, s0
	s_cbranch_execz .LBB99_235
; %bb.226:
	s_and_not1_b32 vcc_lo, exec_lo, s3
	s_cbranch_vccnz .LBB99_228
; %bb.227:
	scratch_load_b64 v[76:77], v59, off
	ds_load_b64 v[78:79], v1
	s_wait_loadcnt_dscnt 0x0
	v_pk_mul_f32 v[80:81], v[78:79], v[76:77] op_sel:[1,1] op_sel_hi:[0,1]
	s_delay_alu instid0(VALU_DEP_1) | instskip(SKIP_1) | instid1(VALU_DEP_2)
	v_pk_fma_f32 v[82:83], v[78:79], v[76:77], v[80:81] op_sel_hi:[1,0,1]
	v_pk_fma_f32 v[76:77], v[78:79], v[76:77], v[80:81] neg_lo:[0,0,1] neg_hi:[0,0,1]
	v_mov_b32_e32 v77, v83
	s_cbranch_execz .LBB99_229
	s_branch .LBB99_230
.LBB99_228:
                                        ; implicit-def: $vgpr76_vgpr77
.LBB99_229:
	ds_load_b64 v[76:77], v1
.LBB99_230:
	s_and_saveexec_b32 s19, s1
	s_cbranch_execz .LBB99_234
; %bb.231:
	v_add_nc_u32_e32 v78, -13, v0
	s_movk_i32 s20, 0x188
	s_mov_b32 s1, 0
.LBB99_232:                             ; =>This Inner Loop Header: Depth=1
	scratch_load_b64 v[80:81], off, s17
	v_dual_mov_b32 v79, s20 :: v_dual_add_nc_u32 v78, -1, v78
	s_add_co_i32 s20, s20, 8
	s_wait_xcnt 0x0
	s_add_co_i32 s17, s17, 8
	ds_load_b64 v[82:83], v79
	v_cmp_eq_u32_e32 vcc_lo, 0, v78
	s_or_b32 s1, vcc_lo, s1
	s_wait_loadcnt_dscnt 0x0
	v_pk_mul_f32 v[84:85], v[82:83], v[80:81] op_sel:[1,1] op_sel_hi:[0,1]
	s_delay_alu instid0(VALU_DEP_1) | instskip(SKIP_1) | instid1(VALU_DEP_2)
	v_pk_fma_f32 v[86:87], v[82:83], v[80:81], v[84:85] op_sel_hi:[1,0,1]
	v_pk_fma_f32 v[80:81], v[82:83], v[80:81], v[84:85] neg_lo:[0,0,1] neg_hi:[0,0,1]
	v_mov_b32_e32 v81, v87
	s_delay_alu instid0(VALU_DEP_1)
	v_pk_add_f32 v[76:77], v[76:77], v[80:81]
	s_and_not1_b32 exec_lo, exec_lo, s1
	s_cbranch_execnz .LBB99_232
; %bb.233:
	s_or_b32 exec_lo, exec_lo, s1
.LBB99_234:
	s_delay_alu instid0(SALU_CYCLE_1) | instskip(SKIP_4) | instid1(VALU_DEP_1)
	s_or_b32 exec_lo, exec_lo, s19
	v_mov_b32_e32 v78, 0
	ds_load_b64 v[78:79], v78 offset:96
	s_wait_dscnt 0x0
	v_pk_mul_f32 v[80:81], v[76:77], v[78:79] op_sel:[1,1] op_sel_hi:[0,1]
	v_pk_fma_f32 v[82:83], v[76:77], v[78:79], v[80:81] op_sel_hi:[1,0,1]
	v_pk_fma_f32 v[76:77], v[76:77], v[78:79], v[80:81] neg_lo:[0,0,1] neg_hi:[0,0,1]
	s_delay_alu instid0(VALU_DEP_2)
	v_mov_b32_e32 v77, v83
	scratch_store_b64 off, v[76:77], off offset:96
.LBB99_235:
	s_wait_xcnt 0x0
	s_or_b32 exec_lo, exec_lo, s18
	scratch_load_b64 v[76:77], off, off offset:88
	v_cmp_lt_u32_e64 s1, 11, v0
	s_wait_loadcnt 0x0
	ds_store_b64 v1, v[76:77]
	s_wait_storecnt_dscnt 0x0
	s_barrier_signal -1
	s_barrier_wait -1
	s_wait_xcnt 0x0
	s_and_saveexec_b32 s17, s1
	s_cbranch_execz .LBB99_245
; %bb.236:
	s_and_not1_b32 vcc_lo, exec_lo, s3
	s_cbranch_vccnz .LBB99_238
; %bb.237:
	scratch_load_b64 v[76:77], v59, off
	ds_load_b64 v[78:79], v1
	s_wait_loadcnt_dscnt 0x0
	v_pk_mul_f32 v[80:81], v[78:79], v[76:77] op_sel:[1,1] op_sel_hi:[0,1]
	s_delay_alu instid0(VALU_DEP_1) | instskip(SKIP_1) | instid1(VALU_DEP_2)
	v_pk_fma_f32 v[82:83], v[78:79], v[76:77], v[80:81] op_sel_hi:[1,0,1]
	v_pk_fma_f32 v[76:77], v[78:79], v[76:77], v[80:81] neg_lo:[0,0,1] neg_hi:[0,0,1]
	v_mov_b32_e32 v77, v83
	s_cbranch_execz .LBB99_239
	s_branch .LBB99_240
.LBB99_238:
                                        ; implicit-def: $vgpr76_vgpr77
.LBB99_239:
	ds_load_b64 v[76:77], v1
.LBB99_240:
	s_and_saveexec_b32 s18, s0
	s_cbranch_execz .LBB99_244
; %bb.241:
	v_add_nc_u32_e32 v78, -12, v0
	s_movk_i32 s19, 0x180
	s_mov_b32 s0, 0
.LBB99_242:                             ; =>This Inner Loop Header: Depth=1
	scratch_load_b64 v[80:81], off, s16
	v_dual_mov_b32 v79, s19 :: v_dual_add_nc_u32 v78, -1, v78
	s_add_co_i32 s19, s19, 8
	s_wait_xcnt 0x0
	s_add_co_i32 s16, s16, 8
	ds_load_b64 v[82:83], v79
	v_cmp_eq_u32_e32 vcc_lo, 0, v78
	s_or_b32 s0, vcc_lo, s0
	s_wait_loadcnt_dscnt 0x0
	v_pk_mul_f32 v[84:85], v[82:83], v[80:81] op_sel:[1,1] op_sel_hi:[0,1]
	s_delay_alu instid0(VALU_DEP_1) | instskip(SKIP_1) | instid1(VALU_DEP_2)
	v_pk_fma_f32 v[86:87], v[82:83], v[80:81], v[84:85] op_sel_hi:[1,0,1]
	v_pk_fma_f32 v[80:81], v[82:83], v[80:81], v[84:85] neg_lo:[0,0,1] neg_hi:[0,0,1]
	v_mov_b32_e32 v81, v87
	s_delay_alu instid0(VALU_DEP_1)
	v_pk_add_f32 v[76:77], v[76:77], v[80:81]
	s_and_not1_b32 exec_lo, exec_lo, s0
	s_cbranch_execnz .LBB99_242
; %bb.243:
	s_or_b32 exec_lo, exec_lo, s0
.LBB99_244:
	s_delay_alu instid0(SALU_CYCLE_1) | instskip(SKIP_4) | instid1(VALU_DEP_1)
	s_or_b32 exec_lo, exec_lo, s18
	v_mov_b32_e32 v78, 0
	ds_load_b64 v[78:79], v78 offset:88
	s_wait_dscnt 0x0
	v_pk_mul_f32 v[80:81], v[76:77], v[78:79] op_sel:[1,1] op_sel_hi:[0,1]
	v_pk_fma_f32 v[82:83], v[76:77], v[78:79], v[80:81] op_sel_hi:[1,0,1]
	v_pk_fma_f32 v[76:77], v[76:77], v[78:79], v[80:81] neg_lo:[0,0,1] neg_hi:[0,0,1]
	s_delay_alu instid0(VALU_DEP_2)
	v_mov_b32_e32 v77, v83
	scratch_store_b64 off, v[76:77], off offset:88
.LBB99_245:
	s_wait_xcnt 0x0
	s_or_b32 exec_lo, exec_lo, s17
	scratch_load_b64 v[76:77], off, off offset:80
	v_cmp_lt_u32_e64 s0, 10, v0
	s_wait_loadcnt 0x0
	ds_store_b64 v1, v[76:77]
	s_wait_storecnt_dscnt 0x0
	s_barrier_signal -1
	s_barrier_wait -1
	s_wait_xcnt 0x0
	s_and_saveexec_b32 s16, s0
	s_cbranch_execz .LBB99_255
; %bb.246:
	s_and_not1_b32 vcc_lo, exec_lo, s3
	s_cbranch_vccnz .LBB99_248
; %bb.247:
	scratch_load_b64 v[76:77], v59, off
	ds_load_b64 v[78:79], v1
	s_wait_loadcnt_dscnt 0x0
	v_pk_mul_f32 v[80:81], v[78:79], v[76:77] op_sel:[1,1] op_sel_hi:[0,1]
	s_delay_alu instid0(VALU_DEP_1) | instskip(SKIP_1) | instid1(VALU_DEP_2)
	v_pk_fma_f32 v[82:83], v[78:79], v[76:77], v[80:81] op_sel_hi:[1,0,1]
	v_pk_fma_f32 v[76:77], v[78:79], v[76:77], v[80:81] neg_lo:[0,0,1] neg_hi:[0,0,1]
	v_mov_b32_e32 v77, v83
	s_cbranch_execz .LBB99_249
	s_branch .LBB99_250
.LBB99_248:
                                        ; implicit-def: $vgpr76_vgpr77
.LBB99_249:
	ds_load_b64 v[76:77], v1
.LBB99_250:
	s_and_saveexec_b32 s17, s1
	s_cbranch_execz .LBB99_254
; %bb.251:
	v_add_nc_u32_e32 v78, -11, v0
	s_movk_i32 s18, 0x178
	s_mov_b32 s1, 0
.LBB99_252:                             ; =>This Inner Loop Header: Depth=1
	scratch_load_b64 v[80:81], off, s15
	v_dual_mov_b32 v79, s18 :: v_dual_add_nc_u32 v78, -1, v78
	s_add_co_i32 s18, s18, 8
	s_wait_xcnt 0x0
	s_add_co_i32 s15, s15, 8
	ds_load_b64 v[82:83], v79
	v_cmp_eq_u32_e32 vcc_lo, 0, v78
	s_or_b32 s1, vcc_lo, s1
	s_wait_loadcnt_dscnt 0x0
	v_pk_mul_f32 v[84:85], v[82:83], v[80:81] op_sel:[1,1] op_sel_hi:[0,1]
	s_delay_alu instid0(VALU_DEP_1) | instskip(SKIP_1) | instid1(VALU_DEP_2)
	v_pk_fma_f32 v[86:87], v[82:83], v[80:81], v[84:85] op_sel_hi:[1,0,1]
	v_pk_fma_f32 v[80:81], v[82:83], v[80:81], v[84:85] neg_lo:[0,0,1] neg_hi:[0,0,1]
	v_mov_b32_e32 v81, v87
	s_delay_alu instid0(VALU_DEP_1)
	v_pk_add_f32 v[76:77], v[76:77], v[80:81]
	s_and_not1_b32 exec_lo, exec_lo, s1
	s_cbranch_execnz .LBB99_252
; %bb.253:
	s_or_b32 exec_lo, exec_lo, s1
.LBB99_254:
	s_delay_alu instid0(SALU_CYCLE_1) | instskip(SKIP_4) | instid1(VALU_DEP_1)
	s_or_b32 exec_lo, exec_lo, s17
	v_mov_b32_e32 v78, 0
	ds_load_b64 v[78:79], v78 offset:80
	s_wait_dscnt 0x0
	v_pk_mul_f32 v[80:81], v[76:77], v[78:79] op_sel:[1,1] op_sel_hi:[0,1]
	v_pk_fma_f32 v[82:83], v[76:77], v[78:79], v[80:81] op_sel_hi:[1,0,1]
	v_pk_fma_f32 v[76:77], v[76:77], v[78:79], v[80:81] neg_lo:[0,0,1] neg_hi:[0,0,1]
	s_delay_alu instid0(VALU_DEP_2)
	v_mov_b32_e32 v77, v83
	scratch_store_b64 off, v[76:77], off offset:80
.LBB99_255:
	s_wait_xcnt 0x0
	s_or_b32 exec_lo, exec_lo, s16
	scratch_load_b64 v[76:77], off, off offset:72
	v_cmp_lt_u32_e64 s1, 9, v0
	s_wait_loadcnt 0x0
	ds_store_b64 v1, v[76:77]
	s_wait_storecnt_dscnt 0x0
	s_barrier_signal -1
	s_barrier_wait -1
	s_wait_xcnt 0x0
	s_and_saveexec_b32 s15, s1
	s_cbranch_execz .LBB99_265
; %bb.256:
	s_and_not1_b32 vcc_lo, exec_lo, s3
	s_cbranch_vccnz .LBB99_258
; %bb.257:
	scratch_load_b64 v[76:77], v59, off
	ds_load_b64 v[78:79], v1
	s_wait_loadcnt_dscnt 0x0
	v_pk_mul_f32 v[80:81], v[78:79], v[76:77] op_sel:[1,1] op_sel_hi:[0,1]
	s_delay_alu instid0(VALU_DEP_1) | instskip(SKIP_1) | instid1(VALU_DEP_2)
	v_pk_fma_f32 v[82:83], v[78:79], v[76:77], v[80:81] op_sel_hi:[1,0,1]
	v_pk_fma_f32 v[76:77], v[78:79], v[76:77], v[80:81] neg_lo:[0,0,1] neg_hi:[0,0,1]
	v_mov_b32_e32 v77, v83
	s_cbranch_execz .LBB99_259
	s_branch .LBB99_260
.LBB99_258:
                                        ; implicit-def: $vgpr76_vgpr77
.LBB99_259:
	ds_load_b64 v[76:77], v1
.LBB99_260:
	s_and_saveexec_b32 s16, s0
	s_cbranch_execz .LBB99_264
; %bb.261:
	v_add_nc_u32_e32 v78, -10, v0
	s_movk_i32 s17, 0x170
	s_mov_b32 s0, 0
.LBB99_262:                             ; =>This Inner Loop Header: Depth=1
	scratch_load_b64 v[80:81], off, s14
	v_dual_mov_b32 v79, s17 :: v_dual_add_nc_u32 v78, -1, v78
	s_add_co_i32 s17, s17, 8
	s_wait_xcnt 0x0
	s_add_co_i32 s14, s14, 8
	ds_load_b64 v[82:83], v79
	v_cmp_eq_u32_e32 vcc_lo, 0, v78
	s_or_b32 s0, vcc_lo, s0
	s_wait_loadcnt_dscnt 0x0
	v_pk_mul_f32 v[84:85], v[82:83], v[80:81] op_sel:[1,1] op_sel_hi:[0,1]
	s_delay_alu instid0(VALU_DEP_1) | instskip(SKIP_1) | instid1(VALU_DEP_2)
	v_pk_fma_f32 v[86:87], v[82:83], v[80:81], v[84:85] op_sel_hi:[1,0,1]
	v_pk_fma_f32 v[80:81], v[82:83], v[80:81], v[84:85] neg_lo:[0,0,1] neg_hi:[0,0,1]
	v_mov_b32_e32 v81, v87
	s_delay_alu instid0(VALU_DEP_1)
	v_pk_add_f32 v[76:77], v[76:77], v[80:81]
	s_and_not1_b32 exec_lo, exec_lo, s0
	s_cbranch_execnz .LBB99_262
; %bb.263:
	s_or_b32 exec_lo, exec_lo, s0
.LBB99_264:
	s_delay_alu instid0(SALU_CYCLE_1) | instskip(SKIP_4) | instid1(VALU_DEP_1)
	s_or_b32 exec_lo, exec_lo, s16
	v_mov_b32_e32 v78, 0
	ds_load_b64 v[78:79], v78 offset:72
	s_wait_dscnt 0x0
	v_pk_mul_f32 v[80:81], v[76:77], v[78:79] op_sel:[1,1] op_sel_hi:[0,1]
	v_pk_fma_f32 v[82:83], v[76:77], v[78:79], v[80:81] op_sel_hi:[1,0,1]
	v_pk_fma_f32 v[76:77], v[76:77], v[78:79], v[80:81] neg_lo:[0,0,1] neg_hi:[0,0,1]
	s_delay_alu instid0(VALU_DEP_2)
	v_mov_b32_e32 v77, v83
	scratch_store_b64 off, v[76:77], off offset:72
.LBB99_265:
	s_wait_xcnt 0x0
	s_or_b32 exec_lo, exec_lo, s15
	scratch_load_b64 v[76:77], off, off offset:64
	v_cmp_lt_u32_e64 s0, 8, v0
	s_wait_loadcnt 0x0
	ds_store_b64 v1, v[76:77]
	s_wait_storecnt_dscnt 0x0
	s_barrier_signal -1
	s_barrier_wait -1
	s_wait_xcnt 0x0
	s_and_saveexec_b32 s14, s0
	s_cbranch_execz .LBB99_275
; %bb.266:
	s_and_not1_b32 vcc_lo, exec_lo, s3
	s_cbranch_vccnz .LBB99_268
; %bb.267:
	scratch_load_b64 v[76:77], v59, off
	ds_load_b64 v[78:79], v1
	s_wait_loadcnt_dscnt 0x0
	v_pk_mul_f32 v[80:81], v[78:79], v[76:77] op_sel:[1,1] op_sel_hi:[0,1]
	s_delay_alu instid0(VALU_DEP_1) | instskip(SKIP_1) | instid1(VALU_DEP_2)
	v_pk_fma_f32 v[82:83], v[78:79], v[76:77], v[80:81] op_sel_hi:[1,0,1]
	v_pk_fma_f32 v[76:77], v[78:79], v[76:77], v[80:81] neg_lo:[0,0,1] neg_hi:[0,0,1]
	v_mov_b32_e32 v77, v83
	s_cbranch_execz .LBB99_269
	s_branch .LBB99_270
.LBB99_268:
                                        ; implicit-def: $vgpr76_vgpr77
.LBB99_269:
	ds_load_b64 v[76:77], v1
.LBB99_270:
	s_and_saveexec_b32 s15, s1
	s_cbranch_execz .LBB99_274
; %bb.271:
	v_add_nc_u32_e32 v78, -9, v0
	s_movk_i32 s16, 0x168
	s_mov_b32 s1, 0
.LBB99_272:                             ; =>This Inner Loop Header: Depth=1
	scratch_load_b64 v[80:81], off, s13
	v_dual_mov_b32 v79, s16 :: v_dual_add_nc_u32 v78, -1, v78
	s_add_co_i32 s16, s16, 8
	s_wait_xcnt 0x0
	s_add_co_i32 s13, s13, 8
	ds_load_b64 v[82:83], v79
	v_cmp_eq_u32_e32 vcc_lo, 0, v78
	s_or_b32 s1, vcc_lo, s1
	s_wait_loadcnt_dscnt 0x0
	v_pk_mul_f32 v[84:85], v[82:83], v[80:81] op_sel:[1,1] op_sel_hi:[0,1]
	s_delay_alu instid0(VALU_DEP_1) | instskip(SKIP_1) | instid1(VALU_DEP_2)
	v_pk_fma_f32 v[86:87], v[82:83], v[80:81], v[84:85] op_sel_hi:[1,0,1]
	v_pk_fma_f32 v[80:81], v[82:83], v[80:81], v[84:85] neg_lo:[0,0,1] neg_hi:[0,0,1]
	v_mov_b32_e32 v81, v87
	s_delay_alu instid0(VALU_DEP_1)
	v_pk_add_f32 v[76:77], v[76:77], v[80:81]
	s_and_not1_b32 exec_lo, exec_lo, s1
	s_cbranch_execnz .LBB99_272
; %bb.273:
	s_or_b32 exec_lo, exec_lo, s1
.LBB99_274:
	s_delay_alu instid0(SALU_CYCLE_1) | instskip(SKIP_4) | instid1(VALU_DEP_1)
	s_or_b32 exec_lo, exec_lo, s15
	v_mov_b32_e32 v78, 0
	ds_load_b64 v[78:79], v78 offset:64
	s_wait_dscnt 0x0
	v_pk_mul_f32 v[80:81], v[76:77], v[78:79] op_sel:[1,1] op_sel_hi:[0,1]
	v_pk_fma_f32 v[82:83], v[76:77], v[78:79], v[80:81] op_sel_hi:[1,0,1]
	v_pk_fma_f32 v[76:77], v[76:77], v[78:79], v[80:81] neg_lo:[0,0,1] neg_hi:[0,0,1]
	s_delay_alu instid0(VALU_DEP_2)
	v_mov_b32_e32 v77, v83
	scratch_store_b64 off, v[76:77], off offset:64
.LBB99_275:
	s_wait_xcnt 0x0
	s_or_b32 exec_lo, exec_lo, s14
	scratch_load_b64 v[76:77], off, off offset:56
	v_cmp_lt_u32_e64 s1, 7, v0
	s_wait_loadcnt 0x0
	ds_store_b64 v1, v[76:77]
	s_wait_storecnt_dscnt 0x0
	s_barrier_signal -1
	s_barrier_wait -1
	s_wait_xcnt 0x0
	s_and_saveexec_b32 s13, s1
	s_cbranch_execz .LBB99_285
; %bb.276:
	s_and_not1_b32 vcc_lo, exec_lo, s3
	s_cbranch_vccnz .LBB99_278
; %bb.277:
	scratch_load_b64 v[76:77], v59, off
	ds_load_b64 v[78:79], v1
	s_wait_loadcnt_dscnt 0x0
	v_pk_mul_f32 v[80:81], v[78:79], v[76:77] op_sel:[1,1] op_sel_hi:[0,1]
	s_delay_alu instid0(VALU_DEP_1) | instskip(SKIP_1) | instid1(VALU_DEP_2)
	v_pk_fma_f32 v[82:83], v[78:79], v[76:77], v[80:81] op_sel_hi:[1,0,1]
	v_pk_fma_f32 v[76:77], v[78:79], v[76:77], v[80:81] neg_lo:[0,0,1] neg_hi:[0,0,1]
	v_mov_b32_e32 v77, v83
	s_cbranch_execz .LBB99_279
	s_branch .LBB99_280
.LBB99_278:
                                        ; implicit-def: $vgpr76_vgpr77
.LBB99_279:
	ds_load_b64 v[76:77], v1
.LBB99_280:
	s_and_saveexec_b32 s14, s0
	s_cbranch_execz .LBB99_284
; %bb.281:
	v_add_nc_u32_e32 v78, -8, v0
	s_movk_i32 s15, 0x160
	s_mov_b32 s0, 0
.LBB99_282:                             ; =>This Inner Loop Header: Depth=1
	scratch_load_b64 v[80:81], off, s12
	v_dual_mov_b32 v79, s15 :: v_dual_add_nc_u32 v78, -1, v78
	s_add_co_i32 s15, s15, 8
	s_wait_xcnt 0x0
	s_add_co_i32 s12, s12, 8
	ds_load_b64 v[82:83], v79
	v_cmp_eq_u32_e32 vcc_lo, 0, v78
	s_or_b32 s0, vcc_lo, s0
	s_wait_loadcnt_dscnt 0x0
	v_pk_mul_f32 v[84:85], v[82:83], v[80:81] op_sel:[1,1] op_sel_hi:[0,1]
	s_delay_alu instid0(VALU_DEP_1) | instskip(SKIP_1) | instid1(VALU_DEP_2)
	v_pk_fma_f32 v[86:87], v[82:83], v[80:81], v[84:85] op_sel_hi:[1,0,1]
	v_pk_fma_f32 v[80:81], v[82:83], v[80:81], v[84:85] neg_lo:[0,0,1] neg_hi:[0,0,1]
	v_mov_b32_e32 v81, v87
	s_delay_alu instid0(VALU_DEP_1)
	v_pk_add_f32 v[76:77], v[76:77], v[80:81]
	s_and_not1_b32 exec_lo, exec_lo, s0
	s_cbranch_execnz .LBB99_282
; %bb.283:
	s_or_b32 exec_lo, exec_lo, s0
.LBB99_284:
	s_delay_alu instid0(SALU_CYCLE_1) | instskip(SKIP_4) | instid1(VALU_DEP_1)
	s_or_b32 exec_lo, exec_lo, s14
	v_mov_b32_e32 v78, 0
	ds_load_b64 v[78:79], v78 offset:56
	s_wait_dscnt 0x0
	v_pk_mul_f32 v[80:81], v[76:77], v[78:79] op_sel:[1,1] op_sel_hi:[0,1]
	v_pk_fma_f32 v[82:83], v[76:77], v[78:79], v[80:81] op_sel_hi:[1,0,1]
	v_pk_fma_f32 v[76:77], v[76:77], v[78:79], v[80:81] neg_lo:[0,0,1] neg_hi:[0,0,1]
	s_delay_alu instid0(VALU_DEP_2)
	v_mov_b32_e32 v77, v83
	scratch_store_b64 off, v[76:77], off offset:56
.LBB99_285:
	s_wait_xcnt 0x0
	s_or_b32 exec_lo, exec_lo, s13
	scratch_load_b64 v[76:77], off, off offset:48
	v_cmp_lt_u32_e64 s0, 6, v0
	s_wait_loadcnt 0x0
	ds_store_b64 v1, v[76:77]
	s_wait_storecnt_dscnt 0x0
	s_barrier_signal -1
	s_barrier_wait -1
	s_wait_xcnt 0x0
	s_and_saveexec_b32 s12, s0
	s_cbranch_execz .LBB99_295
; %bb.286:
	s_and_not1_b32 vcc_lo, exec_lo, s3
	s_cbranch_vccnz .LBB99_288
; %bb.287:
	scratch_load_b64 v[76:77], v59, off
	ds_load_b64 v[78:79], v1
	s_wait_loadcnt_dscnt 0x0
	v_pk_mul_f32 v[80:81], v[78:79], v[76:77] op_sel:[1,1] op_sel_hi:[0,1]
	s_delay_alu instid0(VALU_DEP_1) | instskip(SKIP_1) | instid1(VALU_DEP_2)
	v_pk_fma_f32 v[82:83], v[78:79], v[76:77], v[80:81] op_sel_hi:[1,0,1]
	v_pk_fma_f32 v[76:77], v[78:79], v[76:77], v[80:81] neg_lo:[0,0,1] neg_hi:[0,0,1]
	v_mov_b32_e32 v77, v83
	s_cbranch_execz .LBB99_289
	s_branch .LBB99_290
.LBB99_288:
                                        ; implicit-def: $vgpr76_vgpr77
.LBB99_289:
	ds_load_b64 v[76:77], v1
.LBB99_290:
	s_and_saveexec_b32 s13, s1
	s_cbranch_execz .LBB99_294
; %bb.291:
	v_add_nc_u32_e32 v78, -7, v0
	s_movk_i32 s14, 0x158
	s_mov_b32 s1, 0
.LBB99_292:                             ; =>This Inner Loop Header: Depth=1
	scratch_load_b64 v[80:81], off, s11
	v_dual_mov_b32 v79, s14 :: v_dual_add_nc_u32 v78, -1, v78
	s_add_co_i32 s14, s14, 8
	s_wait_xcnt 0x0
	s_add_co_i32 s11, s11, 8
	ds_load_b64 v[82:83], v79
	v_cmp_eq_u32_e32 vcc_lo, 0, v78
	s_or_b32 s1, vcc_lo, s1
	s_wait_loadcnt_dscnt 0x0
	v_pk_mul_f32 v[84:85], v[82:83], v[80:81] op_sel:[1,1] op_sel_hi:[0,1]
	s_delay_alu instid0(VALU_DEP_1) | instskip(SKIP_1) | instid1(VALU_DEP_2)
	v_pk_fma_f32 v[86:87], v[82:83], v[80:81], v[84:85] op_sel_hi:[1,0,1]
	v_pk_fma_f32 v[80:81], v[82:83], v[80:81], v[84:85] neg_lo:[0,0,1] neg_hi:[0,0,1]
	v_mov_b32_e32 v81, v87
	s_delay_alu instid0(VALU_DEP_1)
	v_pk_add_f32 v[76:77], v[76:77], v[80:81]
	s_and_not1_b32 exec_lo, exec_lo, s1
	s_cbranch_execnz .LBB99_292
; %bb.293:
	s_or_b32 exec_lo, exec_lo, s1
.LBB99_294:
	s_delay_alu instid0(SALU_CYCLE_1) | instskip(SKIP_4) | instid1(VALU_DEP_1)
	s_or_b32 exec_lo, exec_lo, s13
	v_mov_b32_e32 v78, 0
	ds_load_b64 v[78:79], v78 offset:48
	s_wait_dscnt 0x0
	v_pk_mul_f32 v[80:81], v[76:77], v[78:79] op_sel:[1,1] op_sel_hi:[0,1]
	v_pk_fma_f32 v[82:83], v[76:77], v[78:79], v[80:81] op_sel_hi:[1,0,1]
	v_pk_fma_f32 v[76:77], v[76:77], v[78:79], v[80:81] neg_lo:[0,0,1] neg_hi:[0,0,1]
	s_delay_alu instid0(VALU_DEP_2)
	v_mov_b32_e32 v77, v83
	scratch_store_b64 off, v[76:77], off offset:48
.LBB99_295:
	s_wait_xcnt 0x0
	s_or_b32 exec_lo, exec_lo, s12
	scratch_load_b64 v[76:77], off, off offset:40
	v_cmp_lt_u32_e64 s1, 5, v0
	s_wait_loadcnt 0x0
	ds_store_b64 v1, v[76:77]
	s_wait_storecnt_dscnt 0x0
	s_barrier_signal -1
	s_barrier_wait -1
	s_wait_xcnt 0x0
	s_and_saveexec_b32 s11, s1
	s_cbranch_execz .LBB99_305
; %bb.296:
	s_and_not1_b32 vcc_lo, exec_lo, s3
	s_cbranch_vccnz .LBB99_298
; %bb.297:
	scratch_load_b64 v[76:77], v59, off
	ds_load_b64 v[78:79], v1
	s_wait_loadcnt_dscnt 0x0
	v_pk_mul_f32 v[80:81], v[78:79], v[76:77] op_sel:[1,1] op_sel_hi:[0,1]
	s_delay_alu instid0(VALU_DEP_1) | instskip(SKIP_1) | instid1(VALU_DEP_2)
	v_pk_fma_f32 v[82:83], v[78:79], v[76:77], v[80:81] op_sel_hi:[1,0,1]
	v_pk_fma_f32 v[76:77], v[78:79], v[76:77], v[80:81] neg_lo:[0,0,1] neg_hi:[0,0,1]
	v_mov_b32_e32 v77, v83
	s_cbranch_execz .LBB99_299
	s_branch .LBB99_300
.LBB99_298:
                                        ; implicit-def: $vgpr76_vgpr77
.LBB99_299:
	ds_load_b64 v[76:77], v1
.LBB99_300:
	s_and_saveexec_b32 s12, s0
	s_cbranch_execz .LBB99_304
; %bb.301:
	v_add_nc_u32_e32 v78, -6, v0
	s_movk_i32 s13, 0x150
	s_mov_b32 s0, 0
.LBB99_302:                             ; =>This Inner Loop Header: Depth=1
	scratch_load_b64 v[80:81], off, s10
	v_dual_mov_b32 v79, s13 :: v_dual_add_nc_u32 v78, -1, v78
	s_add_co_i32 s13, s13, 8
	s_wait_xcnt 0x0
	s_add_co_i32 s10, s10, 8
	ds_load_b64 v[82:83], v79
	v_cmp_eq_u32_e32 vcc_lo, 0, v78
	s_or_b32 s0, vcc_lo, s0
	s_wait_loadcnt_dscnt 0x0
	v_pk_mul_f32 v[84:85], v[82:83], v[80:81] op_sel:[1,1] op_sel_hi:[0,1]
	s_delay_alu instid0(VALU_DEP_1) | instskip(SKIP_1) | instid1(VALU_DEP_2)
	v_pk_fma_f32 v[86:87], v[82:83], v[80:81], v[84:85] op_sel_hi:[1,0,1]
	v_pk_fma_f32 v[80:81], v[82:83], v[80:81], v[84:85] neg_lo:[0,0,1] neg_hi:[0,0,1]
	v_mov_b32_e32 v81, v87
	s_delay_alu instid0(VALU_DEP_1)
	v_pk_add_f32 v[76:77], v[76:77], v[80:81]
	s_and_not1_b32 exec_lo, exec_lo, s0
	s_cbranch_execnz .LBB99_302
; %bb.303:
	s_or_b32 exec_lo, exec_lo, s0
.LBB99_304:
	s_delay_alu instid0(SALU_CYCLE_1) | instskip(SKIP_4) | instid1(VALU_DEP_1)
	s_or_b32 exec_lo, exec_lo, s12
	v_mov_b32_e32 v78, 0
	ds_load_b64 v[78:79], v78 offset:40
	s_wait_dscnt 0x0
	v_pk_mul_f32 v[80:81], v[76:77], v[78:79] op_sel:[1,1] op_sel_hi:[0,1]
	v_pk_fma_f32 v[82:83], v[76:77], v[78:79], v[80:81] op_sel_hi:[1,0,1]
	v_pk_fma_f32 v[76:77], v[76:77], v[78:79], v[80:81] neg_lo:[0,0,1] neg_hi:[0,0,1]
	s_delay_alu instid0(VALU_DEP_2)
	v_mov_b32_e32 v77, v83
	scratch_store_b64 off, v[76:77], off offset:40
.LBB99_305:
	s_wait_xcnt 0x0
	s_or_b32 exec_lo, exec_lo, s11
	scratch_load_b64 v[76:77], off, off offset:32
	v_cmp_lt_u32_e64 s0, 4, v0
	s_wait_loadcnt 0x0
	ds_store_b64 v1, v[76:77]
	s_wait_storecnt_dscnt 0x0
	s_barrier_signal -1
	s_barrier_wait -1
	s_wait_xcnt 0x0
	s_and_saveexec_b32 s10, s0
	s_cbranch_execz .LBB99_315
; %bb.306:
	s_and_not1_b32 vcc_lo, exec_lo, s3
	s_cbranch_vccnz .LBB99_308
; %bb.307:
	scratch_load_b64 v[76:77], v59, off
	ds_load_b64 v[78:79], v1
	s_wait_loadcnt_dscnt 0x0
	v_pk_mul_f32 v[80:81], v[78:79], v[76:77] op_sel:[1,1] op_sel_hi:[0,1]
	s_delay_alu instid0(VALU_DEP_1) | instskip(SKIP_1) | instid1(VALU_DEP_2)
	v_pk_fma_f32 v[82:83], v[78:79], v[76:77], v[80:81] op_sel_hi:[1,0,1]
	v_pk_fma_f32 v[76:77], v[78:79], v[76:77], v[80:81] neg_lo:[0,0,1] neg_hi:[0,0,1]
	v_mov_b32_e32 v77, v83
	s_cbranch_execz .LBB99_309
	s_branch .LBB99_310
.LBB99_308:
                                        ; implicit-def: $vgpr76_vgpr77
.LBB99_309:
	ds_load_b64 v[76:77], v1
.LBB99_310:
	s_and_saveexec_b32 s11, s1
	s_cbranch_execz .LBB99_314
; %bb.311:
	v_add_nc_u32_e32 v78, -5, v0
	s_movk_i32 s12, 0x148
	s_mov_b32 s1, 0
.LBB99_312:                             ; =>This Inner Loop Header: Depth=1
	scratch_load_b64 v[80:81], off, s9
	v_dual_mov_b32 v79, s12 :: v_dual_add_nc_u32 v78, -1, v78
	s_add_co_i32 s12, s12, 8
	s_wait_xcnt 0x0
	s_add_co_i32 s9, s9, 8
	ds_load_b64 v[82:83], v79
	v_cmp_eq_u32_e32 vcc_lo, 0, v78
	s_or_b32 s1, vcc_lo, s1
	s_wait_loadcnt_dscnt 0x0
	v_pk_mul_f32 v[84:85], v[82:83], v[80:81] op_sel:[1,1] op_sel_hi:[0,1]
	s_delay_alu instid0(VALU_DEP_1) | instskip(SKIP_1) | instid1(VALU_DEP_2)
	v_pk_fma_f32 v[86:87], v[82:83], v[80:81], v[84:85] op_sel_hi:[1,0,1]
	v_pk_fma_f32 v[80:81], v[82:83], v[80:81], v[84:85] neg_lo:[0,0,1] neg_hi:[0,0,1]
	v_mov_b32_e32 v81, v87
	s_delay_alu instid0(VALU_DEP_1)
	v_pk_add_f32 v[76:77], v[76:77], v[80:81]
	s_and_not1_b32 exec_lo, exec_lo, s1
	s_cbranch_execnz .LBB99_312
; %bb.313:
	s_or_b32 exec_lo, exec_lo, s1
.LBB99_314:
	s_delay_alu instid0(SALU_CYCLE_1) | instskip(SKIP_4) | instid1(VALU_DEP_1)
	s_or_b32 exec_lo, exec_lo, s11
	v_mov_b32_e32 v78, 0
	ds_load_b64 v[78:79], v78 offset:32
	s_wait_dscnt 0x0
	v_pk_mul_f32 v[80:81], v[76:77], v[78:79] op_sel:[1,1] op_sel_hi:[0,1]
	v_pk_fma_f32 v[82:83], v[76:77], v[78:79], v[80:81] op_sel_hi:[1,0,1]
	v_pk_fma_f32 v[76:77], v[76:77], v[78:79], v[80:81] neg_lo:[0,0,1] neg_hi:[0,0,1]
	s_delay_alu instid0(VALU_DEP_2)
	v_mov_b32_e32 v77, v83
	scratch_store_b64 off, v[76:77], off offset:32
.LBB99_315:
	s_wait_xcnt 0x0
	s_or_b32 exec_lo, exec_lo, s10
	scratch_load_b64 v[76:77], off, off offset:24
	v_cmp_lt_u32_e64 s1, 3, v0
	s_wait_loadcnt 0x0
	ds_store_b64 v1, v[76:77]
	s_wait_storecnt_dscnt 0x0
	s_barrier_signal -1
	s_barrier_wait -1
	s_wait_xcnt 0x0
	s_and_saveexec_b32 s9, s1
	s_cbranch_execz .LBB99_325
; %bb.316:
	s_and_not1_b32 vcc_lo, exec_lo, s3
	s_cbranch_vccnz .LBB99_318
; %bb.317:
	scratch_load_b64 v[76:77], v59, off
	ds_load_b64 v[78:79], v1
	s_wait_loadcnt_dscnt 0x0
	v_pk_mul_f32 v[80:81], v[78:79], v[76:77] op_sel:[1,1] op_sel_hi:[0,1]
	s_delay_alu instid0(VALU_DEP_1) | instskip(SKIP_1) | instid1(VALU_DEP_2)
	v_pk_fma_f32 v[82:83], v[78:79], v[76:77], v[80:81] op_sel_hi:[1,0,1]
	v_pk_fma_f32 v[76:77], v[78:79], v[76:77], v[80:81] neg_lo:[0,0,1] neg_hi:[0,0,1]
	v_mov_b32_e32 v77, v83
	s_cbranch_execz .LBB99_319
	s_branch .LBB99_320
.LBB99_318:
                                        ; implicit-def: $vgpr76_vgpr77
.LBB99_319:
	ds_load_b64 v[76:77], v1
.LBB99_320:
	s_and_saveexec_b32 s10, s0
	s_cbranch_execz .LBB99_324
; %bb.321:
	v_add_nc_u32_e32 v78, -4, v0
	s_movk_i32 s11, 0x140
	s_mov_b32 s0, 0
.LBB99_322:                             ; =>This Inner Loop Header: Depth=1
	scratch_load_b64 v[80:81], off, s2
	v_dual_mov_b32 v79, s11 :: v_dual_add_nc_u32 v78, -1, v78
	s_add_co_i32 s11, s11, 8
	s_wait_xcnt 0x0
	s_add_co_i32 s2, s2, 8
	ds_load_b64 v[82:83], v79
	v_cmp_eq_u32_e32 vcc_lo, 0, v78
	s_or_b32 s0, vcc_lo, s0
	s_wait_loadcnt_dscnt 0x0
	v_pk_mul_f32 v[84:85], v[82:83], v[80:81] op_sel:[1,1] op_sel_hi:[0,1]
	s_delay_alu instid0(VALU_DEP_1) | instskip(SKIP_1) | instid1(VALU_DEP_2)
	v_pk_fma_f32 v[86:87], v[82:83], v[80:81], v[84:85] op_sel_hi:[1,0,1]
	v_pk_fma_f32 v[80:81], v[82:83], v[80:81], v[84:85] neg_lo:[0,0,1] neg_hi:[0,0,1]
	v_mov_b32_e32 v81, v87
	s_delay_alu instid0(VALU_DEP_1)
	v_pk_add_f32 v[76:77], v[76:77], v[80:81]
	s_and_not1_b32 exec_lo, exec_lo, s0
	s_cbranch_execnz .LBB99_322
; %bb.323:
	s_or_b32 exec_lo, exec_lo, s0
.LBB99_324:
	s_delay_alu instid0(SALU_CYCLE_1) | instskip(SKIP_4) | instid1(VALU_DEP_1)
	s_or_b32 exec_lo, exec_lo, s10
	v_mov_b32_e32 v78, 0
	ds_load_b64 v[78:79], v78 offset:24
	s_wait_dscnt 0x0
	v_pk_mul_f32 v[80:81], v[76:77], v[78:79] op_sel:[1,1] op_sel_hi:[0,1]
	v_pk_fma_f32 v[82:83], v[76:77], v[78:79], v[80:81] op_sel_hi:[1,0,1]
	v_pk_fma_f32 v[76:77], v[76:77], v[78:79], v[80:81] neg_lo:[0,0,1] neg_hi:[0,0,1]
	s_delay_alu instid0(VALU_DEP_2)
	v_mov_b32_e32 v77, v83
	scratch_store_b64 off, v[76:77], off offset:24
.LBB99_325:
	s_wait_xcnt 0x0
	s_or_b32 exec_lo, exec_lo, s9
	scratch_load_b64 v[76:77], off, off offset:16
	v_cmp_lt_u32_e64 s2, 2, v0
	s_wait_loadcnt 0x0
	ds_store_b64 v1, v[76:77]
	s_wait_storecnt_dscnt 0x0
	s_barrier_signal -1
	s_barrier_wait -1
	s_wait_xcnt 0x0
	s_and_saveexec_b32 s0, s2
	s_cbranch_execz .LBB99_335
; %bb.326:
	s_and_not1_b32 vcc_lo, exec_lo, s3
	s_cbranch_vccnz .LBB99_328
; %bb.327:
	scratch_load_b64 v[76:77], v59, off
	ds_load_b64 v[78:79], v1
	s_wait_loadcnt_dscnt 0x0
	v_pk_mul_f32 v[80:81], v[78:79], v[76:77] op_sel:[1,1] op_sel_hi:[0,1]
	s_delay_alu instid0(VALU_DEP_1) | instskip(SKIP_1) | instid1(VALU_DEP_2)
	v_pk_fma_f32 v[82:83], v[78:79], v[76:77], v[80:81] op_sel_hi:[1,0,1]
	v_pk_fma_f32 v[76:77], v[78:79], v[76:77], v[80:81] neg_lo:[0,0,1] neg_hi:[0,0,1]
	v_mov_b32_e32 v77, v83
	s_cbranch_execz .LBB99_329
	s_branch .LBB99_330
.LBB99_328:
                                        ; implicit-def: $vgpr76_vgpr77
.LBB99_329:
	ds_load_b64 v[76:77], v1
.LBB99_330:
	s_and_saveexec_b32 s9, s1
	s_cbranch_execz .LBB99_334
; %bb.331:
	v_add_nc_u32_e32 v78, -3, v0
	s_movk_i32 s10, 0x138
	s_mov_b32 s1, 0
.LBB99_332:                             ; =>This Inner Loop Header: Depth=1
	scratch_load_b64 v[80:81], off, s8
	v_dual_mov_b32 v79, s10 :: v_dual_add_nc_u32 v78, -1, v78
	s_add_co_i32 s10, s10, 8
	s_wait_xcnt 0x0
	s_add_co_i32 s8, s8, 8
	ds_load_b64 v[82:83], v79
	v_cmp_eq_u32_e32 vcc_lo, 0, v78
	s_or_b32 s1, vcc_lo, s1
	s_wait_loadcnt_dscnt 0x0
	v_pk_mul_f32 v[84:85], v[82:83], v[80:81] op_sel:[1,1] op_sel_hi:[0,1]
	s_delay_alu instid0(VALU_DEP_1) | instskip(SKIP_1) | instid1(VALU_DEP_2)
	v_pk_fma_f32 v[86:87], v[82:83], v[80:81], v[84:85] op_sel_hi:[1,0,1]
	v_pk_fma_f32 v[80:81], v[82:83], v[80:81], v[84:85] neg_lo:[0,0,1] neg_hi:[0,0,1]
	v_mov_b32_e32 v81, v87
	s_delay_alu instid0(VALU_DEP_1)
	v_pk_add_f32 v[76:77], v[76:77], v[80:81]
	s_and_not1_b32 exec_lo, exec_lo, s1
	s_cbranch_execnz .LBB99_332
; %bb.333:
	s_or_b32 exec_lo, exec_lo, s1
.LBB99_334:
	s_delay_alu instid0(SALU_CYCLE_1) | instskip(SKIP_4) | instid1(VALU_DEP_1)
	s_or_b32 exec_lo, exec_lo, s9
	v_mov_b32_e32 v78, 0
	ds_load_b64 v[78:79], v78 offset:16
	s_wait_dscnt 0x0
	v_pk_mul_f32 v[80:81], v[76:77], v[78:79] op_sel:[1,1] op_sel_hi:[0,1]
	v_pk_fma_f32 v[82:83], v[76:77], v[78:79], v[80:81] op_sel_hi:[1,0,1]
	v_pk_fma_f32 v[76:77], v[76:77], v[78:79], v[80:81] neg_lo:[0,0,1] neg_hi:[0,0,1]
	s_delay_alu instid0(VALU_DEP_2)
	v_mov_b32_e32 v77, v83
	scratch_store_b64 off, v[76:77], off offset:16
.LBB99_335:
	s_wait_xcnt 0x0
	s_or_b32 exec_lo, exec_lo, s0
	scratch_load_b64 v[76:77], off, off offset:8
	v_cmp_lt_u32_e64 s0, 1, v0
	s_wait_loadcnt 0x0
	ds_store_b64 v1, v[76:77]
	s_wait_storecnt_dscnt 0x0
	s_barrier_signal -1
	s_barrier_wait -1
	s_wait_xcnt 0x0
	s_and_saveexec_b32 s1, s0
	s_cbranch_execz .LBB99_345
; %bb.336:
	s_and_not1_b32 vcc_lo, exec_lo, s3
	s_cbranch_vccnz .LBB99_338
; %bb.337:
	scratch_load_b64 v[76:77], v59, off
	ds_load_b64 v[78:79], v1
	s_wait_loadcnt_dscnt 0x0
	v_pk_mul_f32 v[80:81], v[78:79], v[76:77] op_sel:[1,1] op_sel_hi:[0,1]
	s_delay_alu instid0(VALU_DEP_1) | instskip(SKIP_1) | instid1(VALU_DEP_2)
	v_pk_fma_f32 v[82:83], v[78:79], v[76:77], v[80:81] op_sel_hi:[1,0,1]
	v_pk_fma_f32 v[76:77], v[78:79], v[76:77], v[80:81] neg_lo:[0,0,1] neg_hi:[0,0,1]
	v_mov_b32_e32 v77, v83
	s_cbranch_execz .LBB99_339
	s_branch .LBB99_340
.LBB99_338:
                                        ; implicit-def: $vgpr76_vgpr77
.LBB99_339:
	ds_load_b64 v[76:77], v1
.LBB99_340:
	s_and_saveexec_b32 s8, s2
	s_cbranch_execz .LBB99_344
; %bb.341:
	v_add_nc_u32_e32 v78, -2, v0
	s_movk_i32 s9, 0x130
	s_mov_b32 s2, 0
.LBB99_342:                             ; =>This Inner Loop Header: Depth=1
	scratch_load_b64 v[80:81], off, s5
	v_dual_mov_b32 v79, s9 :: v_dual_add_nc_u32 v78, -1, v78
	s_add_co_i32 s9, s9, 8
	s_wait_xcnt 0x0
	s_add_co_i32 s5, s5, 8
	ds_load_b64 v[82:83], v79
	v_cmp_eq_u32_e32 vcc_lo, 0, v78
	s_or_b32 s2, vcc_lo, s2
	s_wait_loadcnt_dscnt 0x0
	v_pk_mul_f32 v[84:85], v[82:83], v[80:81] op_sel:[1,1] op_sel_hi:[0,1]
	s_delay_alu instid0(VALU_DEP_1) | instskip(SKIP_1) | instid1(VALU_DEP_2)
	v_pk_fma_f32 v[86:87], v[82:83], v[80:81], v[84:85] op_sel_hi:[1,0,1]
	v_pk_fma_f32 v[80:81], v[82:83], v[80:81], v[84:85] neg_lo:[0,0,1] neg_hi:[0,0,1]
	v_mov_b32_e32 v81, v87
	s_delay_alu instid0(VALU_DEP_1)
	v_pk_add_f32 v[76:77], v[76:77], v[80:81]
	s_and_not1_b32 exec_lo, exec_lo, s2
	s_cbranch_execnz .LBB99_342
; %bb.343:
	s_or_b32 exec_lo, exec_lo, s2
.LBB99_344:
	s_delay_alu instid0(SALU_CYCLE_1) | instskip(SKIP_4) | instid1(VALU_DEP_1)
	s_or_b32 exec_lo, exec_lo, s8
	v_mov_b32_e32 v78, 0
	ds_load_b64 v[78:79], v78 offset:8
	s_wait_dscnt 0x0
	v_pk_mul_f32 v[80:81], v[76:77], v[78:79] op_sel:[1,1] op_sel_hi:[0,1]
	v_pk_fma_f32 v[82:83], v[76:77], v[78:79], v[80:81] op_sel_hi:[1,0,1]
	v_pk_fma_f32 v[76:77], v[76:77], v[78:79], v[80:81] neg_lo:[0,0,1] neg_hi:[0,0,1]
	s_delay_alu instid0(VALU_DEP_2)
	v_mov_b32_e32 v77, v83
	scratch_store_b64 off, v[76:77], off offset:8
.LBB99_345:
	s_wait_xcnt 0x0
	s_or_b32 exec_lo, exec_lo, s1
	scratch_load_b64 v[76:77], off, off
	s_mov_b32 s2, 0
	s_mov_b32 s1, 0
	s_mov_b32 s8, exec_lo
                                        ; implicit-def: $vgpr106
                                        ; implicit-def: $sgpr5
	s_wait_loadcnt 0x0
	ds_store_b64 v1, v[76:77]
	s_wait_storecnt_dscnt 0x0
	s_barrier_signal -1
	s_barrier_wait -1
	s_wait_xcnt 0x0
	v_cmpx_ne_u32_e32 0, v0
	s_cbranch_execz .LBB99_355
; %bb.346:
	s_and_not1_b32 vcc_lo, exec_lo, s3
	s_cbranch_vccnz .LBB99_348
; %bb.347:
	scratch_load_b64 v[78:79], v59, off
	ds_load_b64 v[80:81], v1
	s_wait_loadcnt_dscnt 0x0
	v_dual_mul_f32 v76, v81, v79 :: v_dual_mul_f32 v77, v80, v79
	s_delay_alu instid0(VALU_DEP_1)
	v_dual_fma_f32 v76, v80, v78, -v76 :: v_dual_fmac_f32 v77, v81, v78
	s_and_not1_b32 vcc_lo, exec_lo, s1
	s_cbranch_vccz .LBB99_349
	s_branch .LBB99_350
.LBB99_348:
                                        ; implicit-def: $vgpr76
.LBB99_349:
	ds_load_b64 v[76:77], v1
.LBB99_350:
	s_and_saveexec_b32 s1, s0
	s_cbranch_execz .LBB99_354
; %bb.351:
	v_add_nc_u32_e32 v78, -1, v0
	s_movk_i32 s5, 0x128
	s_mov_b32 s0, 0
.LBB99_352:                             ; =>This Inner Loop Header: Depth=1
	scratch_load_b64 v[80:81], off, s4
	v_mov_b32_e32 v79, s5
	s_add_co_i32 s5, s5, 8
	s_wait_xcnt 0x0
	s_add_co_i32 s4, s4, 8
	v_add_nc_u32_e32 v78, -1, v78
	ds_load_b64 v[82:83], v79
	v_cmp_eq_u32_e32 vcc_lo, 0, v78
	s_or_b32 s0, vcc_lo, s0
	s_wait_loadcnt_dscnt 0x0
	v_dual_mul_f32 v79, v83, v81 :: v_dual_mul_f32 v81, v82, v81
	s_delay_alu instid0(VALU_DEP_1) | instskip(NEXT) | instid1(VALU_DEP_1)
	v_dual_fma_f32 v79, v82, v80, -v79 :: v_dual_fmac_f32 v81, v83, v80
	v_dual_add_f32 v76, v76, v79 :: v_dual_add_f32 v77, v77, v81
	s_and_not1_b32 exec_lo, exec_lo, s0
	s_cbranch_execnz .LBB99_352
; %bb.353:
	s_or_b32 exec_lo, exec_lo, s0
.LBB99_354:
	s_delay_alu instid0(SALU_CYCLE_1)
	s_or_b32 exec_lo, exec_lo, s1
	v_mov_b32_e32 v78, 0
	s_mov_b32 s1, exec_lo
	s_or_b32 s5, 0, 4
	ds_load_b64 v[78:79], v78
	s_wait_dscnt 0x0
	v_dual_mul_f32 v80, v77, v79 :: v_dual_mul_f32 v106, v76, v79
	s_delay_alu instid0(VALU_DEP_1)
	v_dual_fma_f32 v76, v76, v78, -v80 :: v_dual_fmac_f32 v106, v77, v78
	scratch_store_b32 off, v76, off
.LBB99_355:
	s_wait_xcnt 0x0
	s_or_b32 exec_lo, exec_lo, s8
	s_delay_alu instid0(SALU_CYCLE_1)
	s_and_b32 vcc_lo, exec_lo, s2
	s_cbranch_vccz .LBB99_701
.LBB99_356:
	scratch_load_b64 v[76:77], off, off offset:8
	v_cmp_eq_u32_e64 s0, 0, v0
	s_wait_loadcnt 0x0
	ds_store_b64 v1, v[76:77]
	s_wait_storecnt_dscnt 0x0
	s_barrier_signal -1
	s_barrier_wait -1
	s_wait_xcnt 0x0
	s_and_saveexec_b32 s2, s0
	s_cbranch_execz .LBB99_362
; %bb.357:
	s_and_b32 vcc_lo, exec_lo, s3
	s_cbranch_vccz .LBB99_359
; %bb.358:
	scratch_load_b64 v[76:77], v59, off
	ds_load_b64 v[78:79], v1
	s_wait_loadcnt_dscnt 0x0
	v_pk_mul_f32 v[80:81], v[78:79], v[76:77] op_sel:[1,1] op_sel_hi:[0,1]
	v_pk_mul_f32 v[82:83], v[78:79], v[76:77] op_sel_hi:[1,0]
	s_delay_alu instid0(VALU_DEP_2) | instskip(NEXT) | instid1(VALU_DEP_2)
	v_pk_fma_f32 v[76:77], v[78:79], v[76:77], v[80:81] op_sel_hi:[1,0,1]
	v_sub_f32_e32 v76, v82, v80
	s_cbranch_execz .LBB99_360
	s_branch .LBB99_361
.LBB99_359:
                                        ; implicit-def: $vgpr77
.LBB99_360:
	ds_load_b64 v[76:77], v1
.LBB99_361:
	s_wait_dscnt 0x0
	v_dual_mov_b32 v78, 0 :: v_dual_mov_b32 v80, v77
	v_mov_b32_e32 v81, v76
	ds_load_b64 v[78:79], v78 offset:8
	s_wait_dscnt 0x0
	v_pk_mul_f32 v[80:81], v[80:81], v[78:79] op_sel:[0,1]
	s_delay_alu instid0(VALU_DEP_1) | instskip(SKIP_1) | instid1(VALU_DEP_2)
	v_pk_fma_f32 v[82:83], v[76:77], v[78:79], v[80:81] op_sel_hi:[1,0,1]
	v_pk_fma_f32 v[76:77], v[76:77], v[78:79], v[80:81] neg_lo:[0,0,1] neg_hi:[0,0,1]
	v_mov_b32_e32 v77, v83
	scratch_store_b64 off, v[76:77], off offset:8
.LBB99_362:
	s_wait_xcnt 0x0
	s_or_b32 exec_lo, exec_lo, s2
	scratch_load_b64 v[76:77], off, off offset:16
	v_cndmask_b32_e64 v78, 0, 1, s3
	s_mov_b32 s2, exec_lo
	s_wait_loadcnt 0x0
	ds_store_b64 v1, v[76:77]
	s_wait_storecnt_dscnt 0x0
	s_barrier_signal -1
	s_barrier_wait -1
	s_wait_xcnt 0x0
	v_cmpx_gt_u32_e32 2, v0
	s_cbranch_execz .LBB99_370
; %bb.363:
	s_and_not1_b32 vcc_lo, exec_lo, s3
	s_cbranch_vccnz .LBB99_365
; %bb.364:
	scratch_load_b64 v[76:77], v59, off
	ds_load_b64 v[80:81], v1
	s_wait_loadcnt_dscnt 0x0
	v_pk_mul_f32 v[82:83], v[80:81], v[76:77] op_sel:[1,1] op_sel_hi:[0,1]
	s_delay_alu instid0(VALU_DEP_1) | instskip(SKIP_1) | instid1(VALU_DEP_2)
	v_pk_fma_f32 v[84:85], v[80:81], v[76:77], v[82:83] op_sel_hi:[1,0,1]
	v_pk_fma_f32 v[76:77], v[80:81], v[76:77], v[82:83] neg_lo:[0,0,1] neg_hi:[0,0,1]
	v_mov_b32_e32 v77, v85
	s_cbranch_execz .LBB99_366
	s_branch .LBB99_367
.LBB99_365:
                                        ; implicit-def: $vgpr76_vgpr77
.LBB99_366:
	ds_load_b64 v[76:77], v1
.LBB99_367:
	s_and_saveexec_b32 s3, s0
	s_cbranch_execz .LBB99_369
; %bb.368:
	scratch_load_b64 v[80:81], off, off offset:8
	v_mov_b32_e32 v79, 0
	ds_load_b64 v[82:83], v79 offset:296
	s_wait_loadcnt_dscnt 0x0
	v_pk_mul_f32 v[84:85], v[82:83], v[80:81] op_sel:[1,1] op_sel_hi:[0,1]
	s_delay_alu instid0(VALU_DEP_1) | instskip(SKIP_1) | instid1(VALU_DEP_2)
	v_pk_fma_f32 v[86:87], v[82:83], v[80:81], v[84:85] op_sel_hi:[1,0,1]
	v_pk_fma_f32 v[80:81], v[82:83], v[80:81], v[84:85] neg_lo:[0,0,1] neg_hi:[0,0,1]
	v_mov_b32_e32 v81, v87
	s_delay_alu instid0(VALU_DEP_1)
	v_pk_add_f32 v[76:77], v[76:77], v[80:81]
.LBB99_369:
	s_or_b32 exec_lo, exec_lo, s3
	v_mov_b32_e32 v79, 0
	ds_load_b64 v[80:81], v79 offset:16
	s_wait_dscnt 0x0
	v_pk_mul_f32 v[82:83], v[76:77], v[80:81] op_sel:[1,1] op_sel_hi:[0,1]
	s_delay_alu instid0(VALU_DEP_1) | instskip(SKIP_1) | instid1(VALU_DEP_2)
	v_pk_fma_f32 v[84:85], v[76:77], v[80:81], v[82:83] op_sel_hi:[1,0,1]
	v_pk_fma_f32 v[76:77], v[76:77], v[80:81], v[82:83] neg_lo:[0,0,1] neg_hi:[0,0,1]
	v_mov_b32_e32 v77, v85
	scratch_store_b64 off, v[76:77], off offset:16
.LBB99_370:
	s_wait_xcnt 0x0
	s_or_b32 exec_lo, exec_lo, s2
	scratch_load_b64 v[76:77], off, off offset:24
	s_mov_b32 s2, exec_lo
	s_wait_loadcnt 0x0
	ds_store_b64 v1, v[76:77]
	s_wait_storecnt_dscnt 0x0
	s_barrier_signal -1
	s_barrier_wait -1
	s_wait_xcnt 0x0
	v_cmpx_gt_u32_e32 3, v0
	s_cbranch_execz .LBB99_380
; %bb.371:
	v_cmp_ne_u32_e32 vcc_lo, 1, v78
	s_cbranch_vccnz .LBB99_373
; %bb.372:
	scratch_load_b64 v[76:77], v59, off
	ds_load_b64 v[80:81], v1
	s_wait_loadcnt_dscnt 0x0
	v_pk_mul_f32 v[82:83], v[80:81], v[76:77] op_sel:[1,1] op_sel_hi:[0,1]
	s_delay_alu instid0(VALU_DEP_1) | instskip(SKIP_1) | instid1(VALU_DEP_2)
	v_pk_fma_f32 v[84:85], v[80:81], v[76:77], v[82:83] op_sel_hi:[1,0,1]
	v_pk_fma_f32 v[76:77], v[80:81], v[76:77], v[82:83] neg_lo:[0,0,1] neg_hi:[0,0,1]
	v_mov_b32_e32 v77, v85
	s_cbranch_execz .LBB99_374
	s_branch .LBB99_375
.LBB99_373:
                                        ; implicit-def: $vgpr76_vgpr77
.LBB99_374:
	ds_load_b64 v[76:77], v1
.LBB99_375:
	s_mov_b32 s3, exec_lo
	v_cmpx_ne_u32_e32 2, v0
	s_cbranch_execz .LBB99_379
; %bb.376:
	scratch_load_b64 v[80:81], v59, off offset:8
	ds_load_b64 v[82:83], v1 offset:8
	s_wait_loadcnt_dscnt 0x0
	v_pk_mul_f32 v[84:85], v[82:83], v[80:81] op_sel:[1,1] op_sel_hi:[0,1]
	s_delay_alu instid0(VALU_DEP_1) | instskip(SKIP_1) | instid1(VALU_DEP_2)
	v_pk_fma_f32 v[86:87], v[82:83], v[80:81], v[84:85] op_sel_hi:[1,0,1]
	v_pk_fma_f32 v[80:81], v[82:83], v[80:81], v[84:85] neg_lo:[0,0,1] neg_hi:[0,0,1]
	v_mov_b32_e32 v81, v87
	s_delay_alu instid0(VALU_DEP_1)
	v_pk_add_f32 v[76:77], v[76:77], v[80:81]
	s_and_saveexec_b32 s4, s0
	s_cbranch_execz .LBB99_378
; %bb.377:
	scratch_load_b64 v[80:81], off, off offset:16
	v_mov_b32_e32 v79, 0
	ds_load_b64 v[82:83], v79 offset:304
	s_wait_loadcnt_dscnt 0x0
	v_pk_mul_f32 v[84:85], v[82:83], v[80:81] op_sel:[1,1] op_sel_hi:[0,1]
	s_delay_alu instid0(VALU_DEP_1) | instskip(SKIP_1) | instid1(VALU_DEP_2)
	v_pk_fma_f32 v[86:87], v[82:83], v[80:81], v[84:85] op_sel_hi:[1,0,1]
	v_pk_fma_f32 v[80:81], v[82:83], v[80:81], v[84:85] neg_lo:[0,0,1] neg_hi:[0,0,1]
	v_mov_b32_e32 v81, v87
	s_delay_alu instid0(VALU_DEP_1)
	v_pk_add_f32 v[76:77], v[76:77], v[80:81]
.LBB99_378:
	s_or_b32 exec_lo, exec_lo, s4
.LBB99_379:
	s_delay_alu instid0(SALU_CYCLE_1) | instskip(SKIP_4) | instid1(VALU_DEP_1)
	s_or_b32 exec_lo, exec_lo, s3
	v_mov_b32_e32 v79, 0
	ds_load_b64 v[80:81], v79 offset:24
	s_wait_dscnt 0x0
	v_pk_mul_f32 v[82:83], v[76:77], v[80:81] op_sel:[1,1] op_sel_hi:[0,1]
	v_pk_fma_f32 v[84:85], v[76:77], v[80:81], v[82:83] op_sel_hi:[1,0,1]
	v_pk_fma_f32 v[76:77], v[76:77], v[80:81], v[82:83] neg_lo:[0,0,1] neg_hi:[0,0,1]
	s_delay_alu instid0(VALU_DEP_2)
	v_mov_b32_e32 v77, v85
	scratch_store_b64 off, v[76:77], off offset:24
.LBB99_380:
	s_wait_xcnt 0x0
	s_or_b32 exec_lo, exec_lo, s2
	scratch_load_b64 v[76:77], off, off offset:32
	s_mov_b32 s0, exec_lo
	s_wait_loadcnt 0x0
	ds_store_b64 v1, v[76:77]
	s_wait_storecnt_dscnt 0x0
	s_barrier_signal -1
	s_barrier_wait -1
	s_wait_xcnt 0x0
	v_cmpx_gt_u32_e32 4, v0
	s_cbranch_execz .LBB99_390
; %bb.381:
	v_cmp_ne_u32_e32 vcc_lo, 1, v78
	s_cbranch_vccnz .LBB99_383
; %bb.382:
	scratch_load_b64 v[76:77], v59, off
	ds_load_b64 v[80:81], v1
	s_wait_loadcnt_dscnt 0x0
	v_pk_mul_f32 v[82:83], v[80:81], v[76:77] op_sel:[1,1] op_sel_hi:[0,1]
	s_delay_alu instid0(VALU_DEP_1) | instskip(SKIP_1) | instid1(VALU_DEP_2)
	v_pk_fma_f32 v[84:85], v[80:81], v[76:77], v[82:83] op_sel_hi:[1,0,1]
	v_pk_fma_f32 v[76:77], v[80:81], v[76:77], v[82:83] neg_lo:[0,0,1] neg_hi:[0,0,1]
	v_mov_b32_e32 v77, v85
	s_cbranch_execz .LBB99_384
	s_branch .LBB99_385
.LBB99_383:
                                        ; implicit-def: $vgpr76_vgpr77
.LBB99_384:
	ds_load_b64 v[76:77], v1
.LBB99_385:
	s_mov_b32 s2, exec_lo
	v_cmpx_ne_u32_e32 3, v0
	s_cbranch_execz .LBB99_389
; %bb.386:
	v_add_nc_u32_e32 v79, 0x128, v58
	v_add3_u32 v80, 0, v58, 8
	v_mov_b32_e32 v81, v0
	s_mov_b32 s3, 0
.LBB99_387:                             ; =>This Inner Loop Header: Depth=1
	scratch_load_b64 v[82:83], v80, off
	ds_load_b64 v[84:85], v79
	s_wait_xcnt 0x0
	v_dual_add_nc_u32 v79, 8, v79 :: v_dual_add_nc_u32 v80, 8, v80
	s_wait_loadcnt_dscnt 0x0
	v_pk_mul_f32 v[86:87], v[84:85], v[82:83] op_sel:[1,1] op_sel_hi:[0,1]
	s_delay_alu instid0(VALU_DEP_1) | instskip(SKIP_2) | instid1(VALU_DEP_3)
	v_pk_fma_f32 v[88:89], v[84:85], v[82:83], v[86:87] op_sel_hi:[1,0,1]
	v_add_nc_u32_e32 v81, 1, v81
	v_pk_fma_f32 v[82:83], v[84:85], v[82:83], v[86:87] neg_lo:[0,0,1] neg_hi:[0,0,1]
	v_mov_b32_e32 v83, v89
	s_delay_alu instid0(VALU_DEP_3) | instskip(NEXT) | instid1(VALU_DEP_2)
	v_cmp_lt_u32_e32 vcc_lo, 2, v81
	v_pk_add_f32 v[76:77], v[76:77], v[82:83]
	s_or_b32 s3, vcc_lo, s3
	s_delay_alu instid0(SALU_CYCLE_1)
	s_and_not1_b32 exec_lo, exec_lo, s3
	s_cbranch_execnz .LBB99_387
; %bb.388:
	s_or_b32 exec_lo, exec_lo, s3
.LBB99_389:
	s_delay_alu instid0(SALU_CYCLE_1) | instskip(SKIP_4) | instid1(VALU_DEP_1)
	s_or_b32 exec_lo, exec_lo, s2
	v_mov_b32_e32 v79, 0
	ds_load_b64 v[80:81], v79 offset:32
	s_wait_dscnt 0x0
	v_pk_mul_f32 v[82:83], v[76:77], v[80:81] op_sel:[1,1] op_sel_hi:[0,1]
	v_pk_fma_f32 v[84:85], v[76:77], v[80:81], v[82:83] op_sel_hi:[1,0,1]
	v_pk_fma_f32 v[76:77], v[76:77], v[80:81], v[82:83] neg_lo:[0,0,1] neg_hi:[0,0,1]
	s_delay_alu instid0(VALU_DEP_2)
	v_mov_b32_e32 v77, v85
	scratch_store_b64 off, v[76:77], off offset:32
.LBB99_390:
	s_wait_xcnt 0x0
	s_or_b32 exec_lo, exec_lo, s0
	scratch_load_b64 v[76:77], off, off offset:40
	s_mov_b32 s0, exec_lo
	s_wait_loadcnt 0x0
	ds_store_b64 v1, v[76:77]
	s_wait_storecnt_dscnt 0x0
	s_barrier_signal -1
	s_barrier_wait -1
	s_wait_xcnt 0x0
	v_cmpx_gt_u32_e32 5, v0
	s_cbranch_execz .LBB99_400
; %bb.391:
	v_cmp_ne_u32_e32 vcc_lo, 1, v78
	s_cbranch_vccnz .LBB99_393
; %bb.392:
	scratch_load_b64 v[76:77], v59, off
	ds_load_b64 v[80:81], v1
	s_wait_loadcnt_dscnt 0x0
	v_pk_mul_f32 v[82:83], v[80:81], v[76:77] op_sel:[1,1] op_sel_hi:[0,1]
	s_delay_alu instid0(VALU_DEP_1) | instskip(SKIP_1) | instid1(VALU_DEP_2)
	v_pk_fma_f32 v[84:85], v[80:81], v[76:77], v[82:83] op_sel_hi:[1,0,1]
	v_pk_fma_f32 v[76:77], v[80:81], v[76:77], v[82:83] neg_lo:[0,0,1] neg_hi:[0,0,1]
	v_mov_b32_e32 v77, v85
	s_cbranch_execz .LBB99_394
	s_branch .LBB99_395
.LBB99_393:
                                        ; implicit-def: $vgpr76_vgpr77
.LBB99_394:
	ds_load_b64 v[76:77], v1
.LBB99_395:
	s_mov_b32 s2, exec_lo
	v_cmpx_ne_u32_e32 4, v0
	s_cbranch_execz .LBB99_399
; %bb.396:
	v_add_nc_u32_e32 v79, 0x128, v58
	v_add3_u32 v80, 0, v58, 8
	v_mov_b32_e32 v81, v0
	s_mov_b32 s3, 0
.LBB99_397:                             ; =>This Inner Loop Header: Depth=1
	scratch_load_b64 v[82:83], v80, off
	ds_load_b64 v[84:85], v79
	s_wait_xcnt 0x0
	v_dual_add_nc_u32 v79, 8, v79 :: v_dual_add_nc_u32 v80, 8, v80
	s_wait_loadcnt_dscnt 0x0
	v_pk_mul_f32 v[86:87], v[84:85], v[82:83] op_sel:[1,1] op_sel_hi:[0,1]
	s_delay_alu instid0(VALU_DEP_1) | instskip(SKIP_2) | instid1(VALU_DEP_3)
	v_pk_fma_f32 v[88:89], v[84:85], v[82:83], v[86:87] op_sel_hi:[1,0,1]
	v_add_nc_u32_e32 v81, 1, v81
	v_pk_fma_f32 v[82:83], v[84:85], v[82:83], v[86:87] neg_lo:[0,0,1] neg_hi:[0,0,1]
	v_mov_b32_e32 v83, v89
	s_delay_alu instid0(VALU_DEP_3) | instskip(NEXT) | instid1(VALU_DEP_2)
	v_cmp_lt_u32_e32 vcc_lo, 3, v81
	v_pk_add_f32 v[76:77], v[76:77], v[82:83]
	s_or_b32 s3, vcc_lo, s3
	s_delay_alu instid0(SALU_CYCLE_1)
	s_and_not1_b32 exec_lo, exec_lo, s3
	s_cbranch_execnz .LBB99_397
; %bb.398:
	s_or_b32 exec_lo, exec_lo, s3
.LBB99_399:
	s_delay_alu instid0(SALU_CYCLE_1) | instskip(SKIP_4) | instid1(VALU_DEP_1)
	s_or_b32 exec_lo, exec_lo, s2
	v_mov_b32_e32 v79, 0
	ds_load_b64 v[80:81], v79 offset:40
	s_wait_dscnt 0x0
	v_pk_mul_f32 v[82:83], v[76:77], v[80:81] op_sel:[1,1] op_sel_hi:[0,1]
	v_pk_fma_f32 v[84:85], v[76:77], v[80:81], v[82:83] op_sel_hi:[1,0,1]
	v_pk_fma_f32 v[76:77], v[76:77], v[80:81], v[82:83] neg_lo:[0,0,1] neg_hi:[0,0,1]
	s_delay_alu instid0(VALU_DEP_2)
	v_mov_b32_e32 v77, v85
	scratch_store_b64 off, v[76:77], off offset:40
.LBB99_400:
	s_wait_xcnt 0x0
	s_or_b32 exec_lo, exec_lo, s0
	scratch_load_b64 v[76:77], off, off offset:48
	s_mov_b32 s0, exec_lo
	s_wait_loadcnt 0x0
	ds_store_b64 v1, v[76:77]
	s_wait_storecnt_dscnt 0x0
	s_barrier_signal -1
	s_barrier_wait -1
	s_wait_xcnt 0x0
	v_cmpx_gt_u32_e32 6, v0
	s_cbranch_execz .LBB99_410
; %bb.401:
	v_cmp_ne_u32_e32 vcc_lo, 1, v78
	s_cbranch_vccnz .LBB99_403
; %bb.402:
	scratch_load_b64 v[76:77], v59, off
	ds_load_b64 v[80:81], v1
	s_wait_loadcnt_dscnt 0x0
	v_pk_mul_f32 v[82:83], v[80:81], v[76:77] op_sel:[1,1] op_sel_hi:[0,1]
	s_delay_alu instid0(VALU_DEP_1) | instskip(SKIP_1) | instid1(VALU_DEP_2)
	v_pk_fma_f32 v[84:85], v[80:81], v[76:77], v[82:83] op_sel_hi:[1,0,1]
	v_pk_fma_f32 v[76:77], v[80:81], v[76:77], v[82:83] neg_lo:[0,0,1] neg_hi:[0,0,1]
	v_mov_b32_e32 v77, v85
	s_cbranch_execz .LBB99_404
	s_branch .LBB99_405
.LBB99_403:
                                        ; implicit-def: $vgpr76_vgpr77
.LBB99_404:
	ds_load_b64 v[76:77], v1
.LBB99_405:
	s_mov_b32 s2, exec_lo
	v_cmpx_ne_u32_e32 5, v0
	s_cbranch_execz .LBB99_409
; %bb.406:
	v_add_nc_u32_e32 v79, 0x128, v58
	v_add3_u32 v80, 0, v58, 8
	v_mov_b32_e32 v81, v0
	s_mov_b32 s3, 0
.LBB99_407:                             ; =>This Inner Loop Header: Depth=1
	scratch_load_b64 v[82:83], v80, off
	ds_load_b64 v[84:85], v79
	s_wait_xcnt 0x0
	v_dual_add_nc_u32 v79, 8, v79 :: v_dual_add_nc_u32 v80, 8, v80
	s_wait_loadcnt_dscnt 0x0
	v_pk_mul_f32 v[86:87], v[84:85], v[82:83] op_sel:[1,1] op_sel_hi:[0,1]
	s_delay_alu instid0(VALU_DEP_1) | instskip(SKIP_2) | instid1(VALU_DEP_3)
	v_pk_fma_f32 v[88:89], v[84:85], v[82:83], v[86:87] op_sel_hi:[1,0,1]
	v_add_nc_u32_e32 v81, 1, v81
	v_pk_fma_f32 v[82:83], v[84:85], v[82:83], v[86:87] neg_lo:[0,0,1] neg_hi:[0,0,1]
	v_mov_b32_e32 v83, v89
	s_delay_alu instid0(VALU_DEP_3) | instskip(NEXT) | instid1(VALU_DEP_2)
	v_cmp_lt_u32_e32 vcc_lo, 4, v81
	v_pk_add_f32 v[76:77], v[76:77], v[82:83]
	s_or_b32 s3, vcc_lo, s3
	s_delay_alu instid0(SALU_CYCLE_1)
	s_and_not1_b32 exec_lo, exec_lo, s3
	s_cbranch_execnz .LBB99_407
; %bb.408:
	s_or_b32 exec_lo, exec_lo, s3
.LBB99_409:
	s_delay_alu instid0(SALU_CYCLE_1) | instskip(SKIP_4) | instid1(VALU_DEP_1)
	s_or_b32 exec_lo, exec_lo, s2
	v_mov_b32_e32 v79, 0
	ds_load_b64 v[80:81], v79 offset:48
	s_wait_dscnt 0x0
	v_pk_mul_f32 v[82:83], v[76:77], v[80:81] op_sel:[1,1] op_sel_hi:[0,1]
	v_pk_fma_f32 v[84:85], v[76:77], v[80:81], v[82:83] op_sel_hi:[1,0,1]
	v_pk_fma_f32 v[76:77], v[76:77], v[80:81], v[82:83] neg_lo:[0,0,1] neg_hi:[0,0,1]
	s_delay_alu instid0(VALU_DEP_2)
	v_mov_b32_e32 v77, v85
	scratch_store_b64 off, v[76:77], off offset:48
.LBB99_410:
	s_wait_xcnt 0x0
	s_or_b32 exec_lo, exec_lo, s0
	scratch_load_b64 v[76:77], off, off offset:56
	s_mov_b32 s0, exec_lo
	s_wait_loadcnt 0x0
	ds_store_b64 v1, v[76:77]
	s_wait_storecnt_dscnt 0x0
	s_barrier_signal -1
	s_barrier_wait -1
	s_wait_xcnt 0x0
	v_cmpx_gt_u32_e32 7, v0
	s_cbranch_execz .LBB99_420
; %bb.411:
	v_cmp_ne_u32_e32 vcc_lo, 1, v78
	s_cbranch_vccnz .LBB99_413
; %bb.412:
	scratch_load_b64 v[76:77], v59, off
	ds_load_b64 v[80:81], v1
	s_wait_loadcnt_dscnt 0x0
	v_pk_mul_f32 v[82:83], v[80:81], v[76:77] op_sel:[1,1] op_sel_hi:[0,1]
	s_delay_alu instid0(VALU_DEP_1) | instskip(SKIP_1) | instid1(VALU_DEP_2)
	v_pk_fma_f32 v[84:85], v[80:81], v[76:77], v[82:83] op_sel_hi:[1,0,1]
	v_pk_fma_f32 v[76:77], v[80:81], v[76:77], v[82:83] neg_lo:[0,0,1] neg_hi:[0,0,1]
	v_mov_b32_e32 v77, v85
	s_cbranch_execz .LBB99_414
	s_branch .LBB99_415
.LBB99_413:
                                        ; implicit-def: $vgpr76_vgpr77
.LBB99_414:
	ds_load_b64 v[76:77], v1
.LBB99_415:
	s_mov_b32 s2, exec_lo
	v_cmpx_ne_u32_e32 6, v0
	s_cbranch_execz .LBB99_419
; %bb.416:
	v_add_nc_u32_e32 v79, 0x128, v58
	v_add3_u32 v80, 0, v58, 8
	v_mov_b32_e32 v81, v0
	s_mov_b32 s3, 0
.LBB99_417:                             ; =>This Inner Loop Header: Depth=1
	scratch_load_b64 v[82:83], v80, off
	ds_load_b64 v[84:85], v79
	s_wait_xcnt 0x0
	v_dual_add_nc_u32 v79, 8, v79 :: v_dual_add_nc_u32 v80, 8, v80
	s_wait_loadcnt_dscnt 0x0
	v_pk_mul_f32 v[86:87], v[84:85], v[82:83] op_sel:[1,1] op_sel_hi:[0,1]
	s_delay_alu instid0(VALU_DEP_1) | instskip(SKIP_2) | instid1(VALU_DEP_3)
	v_pk_fma_f32 v[88:89], v[84:85], v[82:83], v[86:87] op_sel_hi:[1,0,1]
	v_add_nc_u32_e32 v81, 1, v81
	v_pk_fma_f32 v[82:83], v[84:85], v[82:83], v[86:87] neg_lo:[0,0,1] neg_hi:[0,0,1]
	v_mov_b32_e32 v83, v89
	s_delay_alu instid0(VALU_DEP_3) | instskip(NEXT) | instid1(VALU_DEP_2)
	v_cmp_lt_u32_e32 vcc_lo, 5, v81
	v_pk_add_f32 v[76:77], v[76:77], v[82:83]
	s_or_b32 s3, vcc_lo, s3
	s_delay_alu instid0(SALU_CYCLE_1)
	s_and_not1_b32 exec_lo, exec_lo, s3
	s_cbranch_execnz .LBB99_417
; %bb.418:
	s_or_b32 exec_lo, exec_lo, s3
.LBB99_419:
	s_delay_alu instid0(SALU_CYCLE_1) | instskip(SKIP_4) | instid1(VALU_DEP_1)
	s_or_b32 exec_lo, exec_lo, s2
	v_mov_b32_e32 v79, 0
	ds_load_b64 v[80:81], v79 offset:56
	s_wait_dscnt 0x0
	v_pk_mul_f32 v[82:83], v[76:77], v[80:81] op_sel:[1,1] op_sel_hi:[0,1]
	v_pk_fma_f32 v[84:85], v[76:77], v[80:81], v[82:83] op_sel_hi:[1,0,1]
	v_pk_fma_f32 v[76:77], v[76:77], v[80:81], v[82:83] neg_lo:[0,0,1] neg_hi:[0,0,1]
	s_delay_alu instid0(VALU_DEP_2)
	v_mov_b32_e32 v77, v85
	scratch_store_b64 off, v[76:77], off offset:56
.LBB99_420:
	s_wait_xcnt 0x0
	s_or_b32 exec_lo, exec_lo, s0
	scratch_load_b64 v[76:77], off, off offset:64
	s_mov_b32 s0, exec_lo
	s_wait_loadcnt 0x0
	ds_store_b64 v1, v[76:77]
	s_wait_storecnt_dscnt 0x0
	s_barrier_signal -1
	s_barrier_wait -1
	s_wait_xcnt 0x0
	v_cmpx_gt_u32_e32 8, v0
	s_cbranch_execz .LBB99_430
; %bb.421:
	v_cmp_ne_u32_e32 vcc_lo, 1, v78
	s_cbranch_vccnz .LBB99_423
; %bb.422:
	scratch_load_b64 v[76:77], v59, off
	ds_load_b64 v[80:81], v1
	s_wait_loadcnt_dscnt 0x0
	v_pk_mul_f32 v[82:83], v[80:81], v[76:77] op_sel:[1,1] op_sel_hi:[0,1]
	s_delay_alu instid0(VALU_DEP_1) | instskip(SKIP_1) | instid1(VALU_DEP_2)
	v_pk_fma_f32 v[84:85], v[80:81], v[76:77], v[82:83] op_sel_hi:[1,0,1]
	v_pk_fma_f32 v[76:77], v[80:81], v[76:77], v[82:83] neg_lo:[0,0,1] neg_hi:[0,0,1]
	v_mov_b32_e32 v77, v85
	s_cbranch_execz .LBB99_424
	s_branch .LBB99_425
.LBB99_423:
                                        ; implicit-def: $vgpr76_vgpr77
.LBB99_424:
	ds_load_b64 v[76:77], v1
.LBB99_425:
	s_mov_b32 s2, exec_lo
	v_cmpx_ne_u32_e32 7, v0
	s_cbranch_execz .LBB99_429
; %bb.426:
	v_add_nc_u32_e32 v79, 0x128, v58
	v_add3_u32 v80, 0, v58, 8
	v_mov_b32_e32 v81, v0
	s_mov_b32 s3, 0
.LBB99_427:                             ; =>This Inner Loop Header: Depth=1
	scratch_load_b64 v[82:83], v80, off
	ds_load_b64 v[84:85], v79
	s_wait_xcnt 0x0
	v_dual_add_nc_u32 v79, 8, v79 :: v_dual_add_nc_u32 v80, 8, v80
	s_wait_loadcnt_dscnt 0x0
	v_pk_mul_f32 v[86:87], v[84:85], v[82:83] op_sel:[1,1] op_sel_hi:[0,1]
	s_delay_alu instid0(VALU_DEP_1) | instskip(SKIP_2) | instid1(VALU_DEP_3)
	v_pk_fma_f32 v[88:89], v[84:85], v[82:83], v[86:87] op_sel_hi:[1,0,1]
	v_add_nc_u32_e32 v81, 1, v81
	v_pk_fma_f32 v[82:83], v[84:85], v[82:83], v[86:87] neg_lo:[0,0,1] neg_hi:[0,0,1]
	v_mov_b32_e32 v83, v89
	s_delay_alu instid0(VALU_DEP_3) | instskip(NEXT) | instid1(VALU_DEP_2)
	v_cmp_lt_u32_e32 vcc_lo, 6, v81
	v_pk_add_f32 v[76:77], v[76:77], v[82:83]
	s_or_b32 s3, vcc_lo, s3
	s_delay_alu instid0(SALU_CYCLE_1)
	s_and_not1_b32 exec_lo, exec_lo, s3
	s_cbranch_execnz .LBB99_427
; %bb.428:
	s_or_b32 exec_lo, exec_lo, s3
.LBB99_429:
	s_delay_alu instid0(SALU_CYCLE_1) | instskip(SKIP_4) | instid1(VALU_DEP_1)
	s_or_b32 exec_lo, exec_lo, s2
	v_mov_b32_e32 v79, 0
	ds_load_b64 v[80:81], v79 offset:64
	s_wait_dscnt 0x0
	v_pk_mul_f32 v[82:83], v[76:77], v[80:81] op_sel:[1,1] op_sel_hi:[0,1]
	v_pk_fma_f32 v[84:85], v[76:77], v[80:81], v[82:83] op_sel_hi:[1,0,1]
	v_pk_fma_f32 v[76:77], v[76:77], v[80:81], v[82:83] neg_lo:[0,0,1] neg_hi:[0,0,1]
	s_delay_alu instid0(VALU_DEP_2)
	v_mov_b32_e32 v77, v85
	scratch_store_b64 off, v[76:77], off offset:64
.LBB99_430:
	s_wait_xcnt 0x0
	s_or_b32 exec_lo, exec_lo, s0
	scratch_load_b64 v[76:77], off, off offset:72
	s_mov_b32 s0, exec_lo
	s_wait_loadcnt 0x0
	ds_store_b64 v1, v[76:77]
	s_wait_storecnt_dscnt 0x0
	s_barrier_signal -1
	s_barrier_wait -1
	s_wait_xcnt 0x0
	v_cmpx_gt_u32_e32 9, v0
	s_cbranch_execz .LBB99_440
; %bb.431:
	v_cmp_ne_u32_e32 vcc_lo, 1, v78
	s_cbranch_vccnz .LBB99_433
; %bb.432:
	scratch_load_b64 v[76:77], v59, off
	ds_load_b64 v[80:81], v1
	s_wait_loadcnt_dscnt 0x0
	v_pk_mul_f32 v[82:83], v[80:81], v[76:77] op_sel:[1,1] op_sel_hi:[0,1]
	s_delay_alu instid0(VALU_DEP_1) | instskip(SKIP_1) | instid1(VALU_DEP_2)
	v_pk_fma_f32 v[84:85], v[80:81], v[76:77], v[82:83] op_sel_hi:[1,0,1]
	v_pk_fma_f32 v[76:77], v[80:81], v[76:77], v[82:83] neg_lo:[0,0,1] neg_hi:[0,0,1]
	v_mov_b32_e32 v77, v85
	s_cbranch_execz .LBB99_434
	s_branch .LBB99_435
.LBB99_433:
                                        ; implicit-def: $vgpr76_vgpr77
.LBB99_434:
	ds_load_b64 v[76:77], v1
.LBB99_435:
	s_mov_b32 s2, exec_lo
	v_cmpx_ne_u32_e32 8, v0
	s_cbranch_execz .LBB99_439
; %bb.436:
	v_add_nc_u32_e32 v79, 0x128, v58
	v_add3_u32 v80, 0, v58, 8
	v_mov_b32_e32 v81, v0
	s_mov_b32 s3, 0
.LBB99_437:                             ; =>This Inner Loop Header: Depth=1
	scratch_load_b64 v[82:83], v80, off
	ds_load_b64 v[84:85], v79
	s_wait_xcnt 0x0
	v_dual_add_nc_u32 v79, 8, v79 :: v_dual_add_nc_u32 v80, 8, v80
	s_wait_loadcnt_dscnt 0x0
	v_pk_mul_f32 v[86:87], v[84:85], v[82:83] op_sel:[1,1] op_sel_hi:[0,1]
	s_delay_alu instid0(VALU_DEP_1) | instskip(SKIP_2) | instid1(VALU_DEP_3)
	v_pk_fma_f32 v[88:89], v[84:85], v[82:83], v[86:87] op_sel_hi:[1,0,1]
	v_add_nc_u32_e32 v81, 1, v81
	v_pk_fma_f32 v[82:83], v[84:85], v[82:83], v[86:87] neg_lo:[0,0,1] neg_hi:[0,0,1]
	v_mov_b32_e32 v83, v89
	s_delay_alu instid0(VALU_DEP_3) | instskip(NEXT) | instid1(VALU_DEP_2)
	v_cmp_lt_u32_e32 vcc_lo, 7, v81
	v_pk_add_f32 v[76:77], v[76:77], v[82:83]
	s_or_b32 s3, vcc_lo, s3
	s_delay_alu instid0(SALU_CYCLE_1)
	s_and_not1_b32 exec_lo, exec_lo, s3
	s_cbranch_execnz .LBB99_437
; %bb.438:
	s_or_b32 exec_lo, exec_lo, s3
.LBB99_439:
	s_delay_alu instid0(SALU_CYCLE_1) | instskip(SKIP_4) | instid1(VALU_DEP_1)
	s_or_b32 exec_lo, exec_lo, s2
	v_mov_b32_e32 v79, 0
	ds_load_b64 v[80:81], v79 offset:72
	s_wait_dscnt 0x0
	v_pk_mul_f32 v[82:83], v[76:77], v[80:81] op_sel:[1,1] op_sel_hi:[0,1]
	v_pk_fma_f32 v[84:85], v[76:77], v[80:81], v[82:83] op_sel_hi:[1,0,1]
	v_pk_fma_f32 v[76:77], v[76:77], v[80:81], v[82:83] neg_lo:[0,0,1] neg_hi:[0,0,1]
	s_delay_alu instid0(VALU_DEP_2)
	v_mov_b32_e32 v77, v85
	scratch_store_b64 off, v[76:77], off offset:72
.LBB99_440:
	s_wait_xcnt 0x0
	s_or_b32 exec_lo, exec_lo, s0
	scratch_load_b64 v[76:77], off, off offset:80
	s_mov_b32 s0, exec_lo
	s_wait_loadcnt 0x0
	ds_store_b64 v1, v[76:77]
	s_wait_storecnt_dscnt 0x0
	s_barrier_signal -1
	s_barrier_wait -1
	s_wait_xcnt 0x0
	v_cmpx_gt_u32_e32 10, v0
	s_cbranch_execz .LBB99_450
; %bb.441:
	v_cmp_ne_u32_e32 vcc_lo, 1, v78
	s_cbranch_vccnz .LBB99_443
; %bb.442:
	scratch_load_b64 v[76:77], v59, off
	ds_load_b64 v[80:81], v1
	s_wait_loadcnt_dscnt 0x0
	v_pk_mul_f32 v[82:83], v[80:81], v[76:77] op_sel:[1,1] op_sel_hi:[0,1]
	s_delay_alu instid0(VALU_DEP_1) | instskip(SKIP_1) | instid1(VALU_DEP_2)
	v_pk_fma_f32 v[84:85], v[80:81], v[76:77], v[82:83] op_sel_hi:[1,0,1]
	v_pk_fma_f32 v[76:77], v[80:81], v[76:77], v[82:83] neg_lo:[0,0,1] neg_hi:[0,0,1]
	v_mov_b32_e32 v77, v85
	s_cbranch_execz .LBB99_444
	s_branch .LBB99_445
.LBB99_443:
                                        ; implicit-def: $vgpr76_vgpr77
.LBB99_444:
	ds_load_b64 v[76:77], v1
.LBB99_445:
	s_mov_b32 s2, exec_lo
	v_cmpx_ne_u32_e32 9, v0
	s_cbranch_execz .LBB99_449
; %bb.446:
	v_add_nc_u32_e32 v79, 0x128, v58
	v_add3_u32 v80, 0, v58, 8
	v_mov_b32_e32 v81, v0
	s_mov_b32 s3, 0
.LBB99_447:                             ; =>This Inner Loop Header: Depth=1
	scratch_load_b64 v[82:83], v80, off
	ds_load_b64 v[84:85], v79
	s_wait_xcnt 0x0
	v_dual_add_nc_u32 v79, 8, v79 :: v_dual_add_nc_u32 v80, 8, v80
	s_wait_loadcnt_dscnt 0x0
	v_pk_mul_f32 v[86:87], v[84:85], v[82:83] op_sel:[1,1] op_sel_hi:[0,1]
	s_delay_alu instid0(VALU_DEP_1) | instskip(SKIP_2) | instid1(VALU_DEP_3)
	v_pk_fma_f32 v[88:89], v[84:85], v[82:83], v[86:87] op_sel_hi:[1,0,1]
	v_add_nc_u32_e32 v81, 1, v81
	v_pk_fma_f32 v[82:83], v[84:85], v[82:83], v[86:87] neg_lo:[0,0,1] neg_hi:[0,0,1]
	v_mov_b32_e32 v83, v89
	s_delay_alu instid0(VALU_DEP_3) | instskip(NEXT) | instid1(VALU_DEP_2)
	v_cmp_lt_u32_e32 vcc_lo, 8, v81
	v_pk_add_f32 v[76:77], v[76:77], v[82:83]
	s_or_b32 s3, vcc_lo, s3
	s_delay_alu instid0(SALU_CYCLE_1)
	s_and_not1_b32 exec_lo, exec_lo, s3
	s_cbranch_execnz .LBB99_447
; %bb.448:
	s_or_b32 exec_lo, exec_lo, s3
.LBB99_449:
	s_delay_alu instid0(SALU_CYCLE_1) | instskip(SKIP_4) | instid1(VALU_DEP_1)
	s_or_b32 exec_lo, exec_lo, s2
	v_mov_b32_e32 v79, 0
	ds_load_b64 v[80:81], v79 offset:80
	s_wait_dscnt 0x0
	v_pk_mul_f32 v[82:83], v[76:77], v[80:81] op_sel:[1,1] op_sel_hi:[0,1]
	v_pk_fma_f32 v[84:85], v[76:77], v[80:81], v[82:83] op_sel_hi:[1,0,1]
	v_pk_fma_f32 v[76:77], v[76:77], v[80:81], v[82:83] neg_lo:[0,0,1] neg_hi:[0,0,1]
	s_delay_alu instid0(VALU_DEP_2)
	v_mov_b32_e32 v77, v85
	scratch_store_b64 off, v[76:77], off offset:80
.LBB99_450:
	s_wait_xcnt 0x0
	s_or_b32 exec_lo, exec_lo, s0
	scratch_load_b64 v[76:77], off, off offset:88
	s_mov_b32 s0, exec_lo
	s_wait_loadcnt 0x0
	ds_store_b64 v1, v[76:77]
	s_wait_storecnt_dscnt 0x0
	s_barrier_signal -1
	s_barrier_wait -1
	s_wait_xcnt 0x0
	v_cmpx_gt_u32_e32 11, v0
	s_cbranch_execz .LBB99_460
; %bb.451:
	v_cmp_ne_u32_e32 vcc_lo, 1, v78
	s_cbranch_vccnz .LBB99_453
; %bb.452:
	scratch_load_b64 v[76:77], v59, off
	ds_load_b64 v[80:81], v1
	s_wait_loadcnt_dscnt 0x0
	v_pk_mul_f32 v[82:83], v[80:81], v[76:77] op_sel:[1,1] op_sel_hi:[0,1]
	s_delay_alu instid0(VALU_DEP_1) | instskip(SKIP_1) | instid1(VALU_DEP_2)
	v_pk_fma_f32 v[84:85], v[80:81], v[76:77], v[82:83] op_sel_hi:[1,0,1]
	v_pk_fma_f32 v[76:77], v[80:81], v[76:77], v[82:83] neg_lo:[0,0,1] neg_hi:[0,0,1]
	v_mov_b32_e32 v77, v85
	s_cbranch_execz .LBB99_454
	s_branch .LBB99_455
.LBB99_453:
                                        ; implicit-def: $vgpr76_vgpr77
.LBB99_454:
	ds_load_b64 v[76:77], v1
.LBB99_455:
	s_mov_b32 s2, exec_lo
	v_cmpx_ne_u32_e32 10, v0
	s_cbranch_execz .LBB99_459
; %bb.456:
	v_add_nc_u32_e32 v79, 0x128, v58
	v_add3_u32 v80, 0, v58, 8
	v_mov_b32_e32 v81, v0
	s_mov_b32 s3, 0
.LBB99_457:                             ; =>This Inner Loop Header: Depth=1
	scratch_load_b64 v[82:83], v80, off
	ds_load_b64 v[84:85], v79
	s_wait_xcnt 0x0
	v_dual_add_nc_u32 v79, 8, v79 :: v_dual_add_nc_u32 v80, 8, v80
	s_wait_loadcnt_dscnt 0x0
	v_pk_mul_f32 v[86:87], v[84:85], v[82:83] op_sel:[1,1] op_sel_hi:[0,1]
	s_delay_alu instid0(VALU_DEP_1) | instskip(SKIP_2) | instid1(VALU_DEP_3)
	v_pk_fma_f32 v[88:89], v[84:85], v[82:83], v[86:87] op_sel_hi:[1,0,1]
	v_add_nc_u32_e32 v81, 1, v81
	v_pk_fma_f32 v[82:83], v[84:85], v[82:83], v[86:87] neg_lo:[0,0,1] neg_hi:[0,0,1]
	v_mov_b32_e32 v83, v89
	s_delay_alu instid0(VALU_DEP_3) | instskip(NEXT) | instid1(VALU_DEP_2)
	v_cmp_lt_u32_e32 vcc_lo, 9, v81
	v_pk_add_f32 v[76:77], v[76:77], v[82:83]
	s_or_b32 s3, vcc_lo, s3
	s_delay_alu instid0(SALU_CYCLE_1)
	s_and_not1_b32 exec_lo, exec_lo, s3
	s_cbranch_execnz .LBB99_457
; %bb.458:
	s_or_b32 exec_lo, exec_lo, s3
.LBB99_459:
	s_delay_alu instid0(SALU_CYCLE_1) | instskip(SKIP_4) | instid1(VALU_DEP_1)
	s_or_b32 exec_lo, exec_lo, s2
	v_mov_b32_e32 v79, 0
	ds_load_b64 v[80:81], v79 offset:88
	s_wait_dscnt 0x0
	v_pk_mul_f32 v[82:83], v[76:77], v[80:81] op_sel:[1,1] op_sel_hi:[0,1]
	v_pk_fma_f32 v[84:85], v[76:77], v[80:81], v[82:83] op_sel_hi:[1,0,1]
	v_pk_fma_f32 v[76:77], v[76:77], v[80:81], v[82:83] neg_lo:[0,0,1] neg_hi:[0,0,1]
	s_delay_alu instid0(VALU_DEP_2)
	v_mov_b32_e32 v77, v85
	scratch_store_b64 off, v[76:77], off offset:88
.LBB99_460:
	s_wait_xcnt 0x0
	s_or_b32 exec_lo, exec_lo, s0
	scratch_load_b64 v[76:77], off, off offset:96
	s_mov_b32 s0, exec_lo
	s_wait_loadcnt 0x0
	ds_store_b64 v1, v[76:77]
	s_wait_storecnt_dscnt 0x0
	s_barrier_signal -1
	s_barrier_wait -1
	s_wait_xcnt 0x0
	v_cmpx_gt_u32_e32 12, v0
	s_cbranch_execz .LBB99_470
; %bb.461:
	v_cmp_ne_u32_e32 vcc_lo, 1, v78
	s_cbranch_vccnz .LBB99_463
; %bb.462:
	scratch_load_b64 v[76:77], v59, off
	ds_load_b64 v[80:81], v1
	s_wait_loadcnt_dscnt 0x0
	v_pk_mul_f32 v[82:83], v[80:81], v[76:77] op_sel:[1,1] op_sel_hi:[0,1]
	s_delay_alu instid0(VALU_DEP_1) | instskip(SKIP_1) | instid1(VALU_DEP_2)
	v_pk_fma_f32 v[84:85], v[80:81], v[76:77], v[82:83] op_sel_hi:[1,0,1]
	v_pk_fma_f32 v[76:77], v[80:81], v[76:77], v[82:83] neg_lo:[0,0,1] neg_hi:[0,0,1]
	v_mov_b32_e32 v77, v85
	s_cbranch_execz .LBB99_464
	s_branch .LBB99_465
.LBB99_463:
                                        ; implicit-def: $vgpr76_vgpr77
.LBB99_464:
	ds_load_b64 v[76:77], v1
.LBB99_465:
	s_mov_b32 s2, exec_lo
	v_cmpx_ne_u32_e32 11, v0
	s_cbranch_execz .LBB99_469
; %bb.466:
	v_add_nc_u32_e32 v79, 0x128, v58
	v_add3_u32 v80, 0, v58, 8
	v_mov_b32_e32 v81, v0
	s_mov_b32 s3, 0
.LBB99_467:                             ; =>This Inner Loop Header: Depth=1
	scratch_load_b64 v[82:83], v80, off
	ds_load_b64 v[84:85], v79
	s_wait_xcnt 0x0
	v_dual_add_nc_u32 v79, 8, v79 :: v_dual_add_nc_u32 v80, 8, v80
	s_wait_loadcnt_dscnt 0x0
	v_pk_mul_f32 v[86:87], v[84:85], v[82:83] op_sel:[1,1] op_sel_hi:[0,1]
	s_delay_alu instid0(VALU_DEP_1) | instskip(SKIP_2) | instid1(VALU_DEP_3)
	v_pk_fma_f32 v[88:89], v[84:85], v[82:83], v[86:87] op_sel_hi:[1,0,1]
	v_add_nc_u32_e32 v81, 1, v81
	v_pk_fma_f32 v[82:83], v[84:85], v[82:83], v[86:87] neg_lo:[0,0,1] neg_hi:[0,0,1]
	v_mov_b32_e32 v83, v89
	s_delay_alu instid0(VALU_DEP_3) | instskip(NEXT) | instid1(VALU_DEP_2)
	v_cmp_lt_u32_e32 vcc_lo, 10, v81
	v_pk_add_f32 v[76:77], v[76:77], v[82:83]
	s_or_b32 s3, vcc_lo, s3
	s_delay_alu instid0(SALU_CYCLE_1)
	s_and_not1_b32 exec_lo, exec_lo, s3
	s_cbranch_execnz .LBB99_467
; %bb.468:
	s_or_b32 exec_lo, exec_lo, s3
.LBB99_469:
	s_delay_alu instid0(SALU_CYCLE_1) | instskip(SKIP_4) | instid1(VALU_DEP_1)
	s_or_b32 exec_lo, exec_lo, s2
	v_mov_b32_e32 v79, 0
	ds_load_b64 v[80:81], v79 offset:96
	s_wait_dscnt 0x0
	v_pk_mul_f32 v[82:83], v[76:77], v[80:81] op_sel:[1,1] op_sel_hi:[0,1]
	v_pk_fma_f32 v[84:85], v[76:77], v[80:81], v[82:83] op_sel_hi:[1,0,1]
	v_pk_fma_f32 v[76:77], v[76:77], v[80:81], v[82:83] neg_lo:[0,0,1] neg_hi:[0,0,1]
	s_delay_alu instid0(VALU_DEP_2)
	v_mov_b32_e32 v77, v85
	scratch_store_b64 off, v[76:77], off offset:96
.LBB99_470:
	s_wait_xcnt 0x0
	s_or_b32 exec_lo, exec_lo, s0
	scratch_load_b64 v[76:77], off, off offset:104
	s_mov_b32 s0, exec_lo
	s_wait_loadcnt 0x0
	ds_store_b64 v1, v[76:77]
	s_wait_storecnt_dscnt 0x0
	s_barrier_signal -1
	s_barrier_wait -1
	s_wait_xcnt 0x0
	v_cmpx_gt_u32_e32 13, v0
	s_cbranch_execz .LBB99_480
; %bb.471:
	v_cmp_ne_u32_e32 vcc_lo, 1, v78
	s_cbranch_vccnz .LBB99_473
; %bb.472:
	scratch_load_b64 v[76:77], v59, off
	ds_load_b64 v[80:81], v1
	s_wait_loadcnt_dscnt 0x0
	v_pk_mul_f32 v[82:83], v[80:81], v[76:77] op_sel:[1,1] op_sel_hi:[0,1]
	s_delay_alu instid0(VALU_DEP_1) | instskip(SKIP_1) | instid1(VALU_DEP_2)
	v_pk_fma_f32 v[84:85], v[80:81], v[76:77], v[82:83] op_sel_hi:[1,0,1]
	v_pk_fma_f32 v[76:77], v[80:81], v[76:77], v[82:83] neg_lo:[0,0,1] neg_hi:[0,0,1]
	v_mov_b32_e32 v77, v85
	s_cbranch_execz .LBB99_474
	s_branch .LBB99_475
.LBB99_473:
                                        ; implicit-def: $vgpr76_vgpr77
.LBB99_474:
	ds_load_b64 v[76:77], v1
.LBB99_475:
	s_mov_b32 s2, exec_lo
	v_cmpx_ne_u32_e32 12, v0
	s_cbranch_execz .LBB99_479
; %bb.476:
	v_add_nc_u32_e32 v79, 0x128, v58
	v_add3_u32 v80, 0, v58, 8
	v_mov_b32_e32 v81, v0
	s_mov_b32 s3, 0
.LBB99_477:                             ; =>This Inner Loop Header: Depth=1
	scratch_load_b64 v[82:83], v80, off
	ds_load_b64 v[84:85], v79
	s_wait_xcnt 0x0
	v_dual_add_nc_u32 v79, 8, v79 :: v_dual_add_nc_u32 v80, 8, v80
	s_wait_loadcnt_dscnt 0x0
	v_pk_mul_f32 v[86:87], v[84:85], v[82:83] op_sel:[1,1] op_sel_hi:[0,1]
	s_delay_alu instid0(VALU_DEP_1) | instskip(SKIP_2) | instid1(VALU_DEP_3)
	v_pk_fma_f32 v[88:89], v[84:85], v[82:83], v[86:87] op_sel_hi:[1,0,1]
	v_add_nc_u32_e32 v81, 1, v81
	v_pk_fma_f32 v[82:83], v[84:85], v[82:83], v[86:87] neg_lo:[0,0,1] neg_hi:[0,0,1]
	v_mov_b32_e32 v83, v89
	s_delay_alu instid0(VALU_DEP_3) | instskip(NEXT) | instid1(VALU_DEP_2)
	v_cmp_lt_u32_e32 vcc_lo, 11, v81
	v_pk_add_f32 v[76:77], v[76:77], v[82:83]
	s_or_b32 s3, vcc_lo, s3
	s_delay_alu instid0(SALU_CYCLE_1)
	s_and_not1_b32 exec_lo, exec_lo, s3
	s_cbranch_execnz .LBB99_477
; %bb.478:
	s_or_b32 exec_lo, exec_lo, s3
.LBB99_479:
	s_delay_alu instid0(SALU_CYCLE_1) | instskip(SKIP_4) | instid1(VALU_DEP_1)
	s_or_b32 exec_lo, exec_lo, s2
	v_mov_b32_e32 v79, 0
	ds_load_b64 v[80:81], v79 offset:104
	s_wait_dscnt 0x0
	v_pk_mul_f32 v[82:83], v[76:77], v[80:81] op_sel:[1,1] op_sel_hi:[0,1]
	v_pk_fma_f32 v[84:85], v[76:77], v[80:81], v[82:83] op_sel_hi:[1,0,1]
	v_pk_fma_f32 v[76:77], v[76:77], v[80:81], v[82:83] neg_lo:[0,0,1] neg_hi:[0,0,1]
	s_delay_alu instid0(VALU_DEP_2)
	v_mov_b32_e32 v77, v85
	scratch_store_b64 off, v[76:77], off offset:104
.LBB99_480:
	s_wait_xcnt 0x0
	s_or_b32 exec_lo, exec_lo, s0
	scratch_load_b64 v[76:77], off, off offset:112
	s_mov_b32 s0, exec_lo
	s_wait_loadcnt 0x0
	ds_store_b64 v1, v[76:77]
	s_wait_storecnt_dscnt 0x0
	s_barrier_signal -1
	s_barrier_wait -1
	s_wait_xcnt 0x0
	v_cmpx_gt_u32_e32 14, v0
	s_cbranch_execz .LBB99_490
; %bb.481:
	v_cmp_ne_u32_e32 vcc_lo, 1, v78
	s_cbranch_vccnz .LBB99_483
; %bb.482:
	scratch_load_b64 v[76:77], v59, off
	ds_load_b64 v[80:81], v1
	s_wait_loadcnt_dscnt 0x0
	v_pk_mul_f32 v[82:83], v[80:81], v[76:77] op_sel:[1,1] op_sel_hi:[0,1]
	s_delay_alu instid0(VALU_DEP_1) | instskip(SKIP_1) | instid1(VALU_DEP_2)
	v_pk_fma_f32 v[84:85], v[80:81], v[76:77], v[82:83] op_sel_hi:[1,0,1]
	v_pk_fma_f32 v[76:77], v[80:81], v[76:77], v[82:83] neg_lo:[0,0,1] neg_hi:[0,0,1]
	v_mov_b32_e32 v77, v85
	s_cbranch_execz .LBB99_484
	s_branch .LBB99_485
.LBB99_483:
                                        ; implicit-def: $vgpr76_vgpr77
.LBB99_484:
	ds_load_b64 v[76:77], v1
.LBB99_485:
	s_mov_b32 s2, exec_lo
	v_cmpx_ne_u32_e32 13, v0
	s_cbranch_execz .LBB99_489
; %bb.486:
	v_add_nc_u32_e32 v79, 0x128, v58
	v_add3_u32 v80, 0, v58, 8
	v_mov_b32_e32 v81, v0
	s_mov_b32 s3, 0
.LBB99_487:                             ; =>This Inner Loop Header: Depth=1
	scratch_load_b64 v[82:83], v80, off
	ds_load_b64 v[84:85], v79
	s_wait_xcnt 0x0
	v_dual_add_nc_u32 v79, 8, v79 :: v_dual_add_nc_u32 v80, 8, v80
	s_wait_loadcnt_dscnt 0x0
	v_pk_mul_f32 v[86:87], v[84:85], v[82:83] op_sel:[1,1] op_sel_hi:[0,1]
	s_delay_alu instid0(VALU_DEP_1) | instskip(SKIP_2) | instid1(VALU_DEP_3)
	v_pk_fma_f32 v[88:89], v[84:85], v[82:83], v[86:87] op_sel_hi:[1,0,1]
	v_add_nc_u32_e32 v81, 1, v81
	v_pk_fma_f32 v[82:83], v[84:85], v[82:83], v[86:87] neg_lo:[0,0,1] neg_hi:[0,0,1]
	v_mov_b32_e32 v83, v89
	s_delay_alu instid0(VALU_DEP_3) | instskip(NEXT) | instid1(VALU_DEP_2)
	v_cmp_lt_u32_e32 vcc_lo, 12, v81
	v_pk_add_f32 v[76:77], v[76:77], v[82:83]
	s_or_b32 s3, vcc_lo, s3
	s_delay_alu instid0(SALU_CYCLE_1)
	s_and_not1_b32 exec_lo, exec_lo, s3
	s_cbranch_execnz .LBB99_487
; %bb.488:
	s_or_b32 exec_lo, exec_lo, s3
.LBB99_489:
	s_delay_alu instid0(SALU_CYCLE_1) | instskip(SKIP_4) | instid1(VALU_DEP_1)
	s_or_b32 exec_lo, exec_lo, s2
	v_mov_b32_e32 v79, 0
	ds_load_b64 v[80:81], v79 offset:112
	s_wait_dscnt 0x0
	v_pk_mul_f32 v[82:83], v[76:77], v[80:81] op_sel:[1,1] op_sel_hi:[0,1]
	v_pk_fma_f32 v[84:85], v[76:77], v[80:81], v[82:83] op_sel_hi:[1,0,1]
	v_pk_fma_f32 v[76:77], v[76:77], v[80:81], v[82:83] neg_lo:[0,0,1] neg_hi:[0,0,1]
	s_delay_alu instid0(VALU_DEP_2)
	v_mov_b32_e32 v77, v85
	scratch_store_b64 off, v[76:77], off offset:112
.LBB99_490:
	s_wait_xcnt 0x0
	s_or_b32 exec_lo, exec_lo, s0
	scratch_load_b64 v[76:77], off, off offset:120
	s_mov_b32 s0, exec_lo
	s_wait_loadcnt 0x0
	ds_store_b64 v1, v[76:77]
	s_wait_storecnt_dscnt 0x0
	s_barrier_signal -1
	s_barrier_wait -1
	s_wait_xcnt 0x0
	v_cmpx_gt_u32_e32 15, v0
	s_cbranch_execz .LBB99_500
; %bb.491:
	v_cmp_ne_u32_e32 vcc_lo, 1, v78
	s_cbranch_vccnz .LBB99_493
; %bb.492:
	scratch_load_b64 v[76:77], v59, off
	ds_load_b64 v[80:81], v1
	s_wait_loadcnt_dscnt 0x0
	v_pk_mul_f32 v[82:83], v[80:81], v[76:77] op_sel:[1,1] op_sel_hi:[0,1]
	s_delay_alu instid0(VALU_DEP_1) | instskip(SKIP_1) | instid1(VALU_DEP_2)
	v_pk_fma_f32 v[84:85], v[80:81], v[76:77], v[82:83] op_sel_hi:[1,0,1]
	v_pk_fma_f32 v[76:77], v[80:81], v[76:77], v[82:83] neg_lo:[0,0,1] neg_hi:[0,0,1]
	v_mov_b32_e32 v77, v85
	s_cbranch_execz .LBB99_494
	s_branch .LBB99_495
.LBB99_493:
                                        ; implicit-def: $vgpr76_vgpr77
.LBB99_494:
	ds_load_b64 v[76:77], v1
.LBB99_495:
	s_mov_b32 s2, exec_lo
	v_cmpx_ne_u32_e32 14, v0
	s_cbranch_execz .LBB99_499
; %bb.496:
	v_add_nc_u32_e32 v79, 0x128, v58
	v_add3_u32 v80, 0, v58, 8
	v_mov_b32_e32 v81, v0
	s_mov_b32 s3, 0
.LBB99_497:                             ; =>This Inner Loop Header: Depth=1
	scratch_load_b64 v[82:83], v80, off
	ds_load_b64 v[84:85], v79
	s_wait_xcnt 0x0
	v_dual_add_nc_u32 v79, 8, v79 :: v_dual_add_nc_u32 v80, 8, v80
	s_wait_loadcnt_dscnt 0x0
	v_pk_mul_f32 v[86:87], v[84:85], v[82:83] op_sel:[1,1] op_sel_hi:[0,1]
	s_delay_alu instid0(VALU_DEP_1) | instskip(SKIP_2) | instid1(VALU_DEP_3)
	v_pk_fma_f32 v[88:89], v[84:85], v[82:83], v[86:87] op_sel_hi:[1,0,1]
	v_add_nc_u32_e32 v81, 1, v81
	v_pk_fma_f32 v[82:83], v[84:85], v[82:83], v[86:87] neg_lo:[0,0,1] neg_hi:[0,0,1]
	v_mov_b32_e32 v83, v89
	s_delay_alu instid0(VALU_DEP_3) | instskip(NEXT) | instid1(VALU_DEP_2)
	v_cmp_lt_u32_e32 vcc_lo, 13, v81
	v_pk_add_f32 v[76:77], v[76:77], v[82:83]
	s_or_b32 s3, vcc_lo, s3
	s_delay_alu instid0(SALU_CYCLE_1)
	s_and_not1_b32 exec_lo, exec_lo, s3
	s_cbranch_execnz .LBB99_497
; %bb.498:
	s_or_b32 exec_lo, exec_lo, s3
.LBB99_499:
	s_delay_alu instid0(SALU_CYCLE_1) | instskip(SKIP_4) | instid1(VALU_DEP_1)
	s_or_b32 exec_lo, exec_lo, s2
	v_mov_b32_e32 v79, 0
	ds_load_b64 v[80:81], v79 offset:120
	s_wait_dscnt 0x0
	v_pk_mul_f32 v[82:83], v[76:77], v[80:81] op_sel:[1,1] op_sel_hi:[0,1]
	v_pk_fma_f32 v[84:85], v[76:77], v[80:81], v[82:83] op_sel_hi:[1,0,1]
	v_pk_fma_f32 v[76:77], v[76:77], v[80:81], v[82:83] neg_lo:[0,0,1] neg_hi:[0,0,1]
	s_delay_alu instid0(VALU_DEP_2)
	v_mov_b32_e32 v77, v85
	scratch_store_b64 off, v[76:77], off offset:120
.LBB99_500:
	s_wait_xcnt 0x0
	s_or_b32 exec_lo, exec_lo, s0
	scratch_load_b64 v[76:77], off, off offset:128
	s_mov_b32 s0, exec_lo
	s_wait_loadcnt 0x0
	ds_store_b64 v1, v[76:77]
	s_wait_storecnt_dscnt 0x0
	s_barrier_signal -1
	s_barrier_wait -1
	s_wait_xcnt 0x0
	v_cmpx_gt_u32_e32 16, v0
	s_cbranch_execz .LBB99_510
; %bb.501:
	v_cmp_ne_u32_e32 vcc_lo, 1, v78
	s_cbranch_vccnz .LBB99_503
; %bb.502:
	scratch_load_b64 v[76:77], v59, off
	ds_load_b64 v[80:81], v1
	s_wait_loadcnt_dscnt 0x0
	v_pk_mul_f32 v[82:83], v[80:81], v[76:77] op_sel:[1,1] op_sel_hi:[0,1]
	s_delay_alu instid0(VALU_DEP_1) | instskip(SKIP_1) | instid1(VALU_DEP_2)
	v_pk_fma_f32 v[84:85], v[80:81], v[76:77], v[82:83] op_sel_hi:[1,0,1]
	v_pk_fma_f32 v[76:77], v[80:81], v[76:77], v[82:83] neg_lo:[0,0,1] neg_hi:[0,0,1]
	v_mov_b32_e32 v77, v85
	s_cbranch_execz .LBB99_504
	s_branch .LBB99_505
.LBB99_503:
                                        ; implicit-def: $vgpr76_vgpr77
.LBB99_504:
	ds_load_b64 v[76:77], v1
.LBB99_505:
	s_mov_b32 s2, exec_lo
	v_cmpx_ne_u32_e32 15, v0
	s_cbranch_execz .LBB99_509
; %bb.506:
	v_add_nc_u32_e32 v79, 0x128, v58
	v_add3_u32 v80, 0, v58, 8
	v_mov_b32_e32 v81, v0
	s_mov_b32 s3, 0
.LBB99_507:                             ; =>This Inner Loop Header: Depth=1
	scratch_load_b64 v[82:83], v80, off
	ds_load_b64 v[84:85], v79
	s_wait_xcnt 0x0
	v_dual_add_nc_u32 v79, 8, v79 :: v_dual_add_nc_u32 v80, 8, v80
	s_wait_loadcnt_dscnt 0x0
	v_pk_mul_f32 v[86:87], v[84:85], v[82:83] op_sel:[1,1] op_sel_hi:[0,1]
	s_delay_alu instid0(VALU_DEP_1) | instskip(SKIP_2) | instid1(VALU_DEP_3)
	v_pk_fma_f32 v[88:89], v[84:85], v[82:83], v[86:87] op_sel_hi:[1,0,1]
	v_add_nc_u32_e32 v81, 1, v81
	v_pk_fma_f32 v[82:83], v[84:85], v[82:83], v[86:87] neg_lo:[0,0,1] neg_hi:[0,0,1]
	v_mov_b32_e32 v83, v89
	s_delay_alu instid0(VALU_DEP_3) | instskip(NEXT) | instid1(VALU_DEP_2)
	v_cmp_lt_u32_e32 vcc_lo, 14, v81
	v_pk_add_f32 v[76:77], v[76:77], v[82:83]
	s_or_b32 s3, vcc_lo, s3
	s_delay_alu instid0(SALU_CYCLE_1)
	s_and_not1_b32 exec_lo, exec_lo, s3
	s_cbranch_execnz .LBB99_507
; %bb.508:
	s_or_b32 exec_lo, exec_lo, s3
.LBB99_509:
	s_delay_alu instid0(SALU_CYCLE_1) | instskip(SKIP_4) | instid1(VALU_DEP_1)
	s_or_b32 exec_lo, exec_lo, s2
	v_mov_b32_e32 v79, 0
	ds_load_b64 v[80:81], v79 offset:128
	s_wait_dscnt 0x0
	v_pk_mul_f32 v[82:83], v[76:77], v[80:81] op_sel:[1,1] op_sel_hi:[0,1]
	v_pk_fma_f32 v[84:85], v[76:77], v[80:81], v[82:83] op_sel_hi:[1,0,1]
	v_pk_fma_f32 v[76:77], v[76:77], v[80:81], v[82:83] neg_lo:[0,0,1] neg_hi:[0,0,1]
	s_delay_alu instid0(VALU_DEP_2)
	v_mov_b32_e32 v77, v85
	scratch_store_b64 off, v[76:77], off offset:128
.LBB99_510:
	s_wait_xcnt 0x0
	s_or_b32 exec_lo, exec_lo, s0
	scratch_load_b64 v[76:77], off, off offset:136
	s_mov_b32 s0, exec_lo
	s_wait_loadcnt 0x0
	ds_store_b64 v1, v[76:77]
	s_wait_storecnt_dscnt 0x0
	s_barrier_signal -1
	s_barrier_wait -1
	s_wait_xcnt 0x0
	v_cmpx_gt_u32_e32 17, v0
	s_cbranch_execz .LBB99_520
; %bb.511:
	v_cmp_ne_u32_e32 vcc_lo, 1, v78
	s_cbranch_vccnz .LBB99_513
; %bb.512:
	scratch_load_b64 v[76:77], v59, off
	ds_load_b64 v[80:81], v1
	s_wait_loadcnt_dscnt 0x0
	v_pk_mul_f32 v[82:83], v[80:81], v[76:77] op_sel:[1,1] op_sel_hi:[0,1]
	s_delay_alu instid0(VALU_DEP_1) | instskip(SKIP_1) | instid1(VALU_DEP_2)
	v_pk_fma_f32 v[84:85], v[80:81], v[76:77], v[82:83] op_sel_hi:[1,0,1]
	v_pk_fma_f32 v[76:77], v[80:81], v[76:77], v[82:83] neg_lo:[0,0,1] neg_hi:[0,0,1]
	v_mov_b32_e32 v77, v85
	s_cbranch_execz .LBB99_514
	s_branch .LBB99_515
.LBB99_513:
                                        ; implicit-def: $vgpr76_vgpr77
.LBB99_514:
	ds_load_b64 v[76:77], v1
.LBB99_515:
	s_mov_b32 s2, exec_lo
	v_cmpx_ne_u32_e32 16, v0
	s_cbranch_execz .LBB99_519
; %bb.516:
	v_add_nc_u32_e32 v79, 0x128, v58
	v_add3_u32 v80, 0, v58, 8
	v_mov_b32_e32 v81, v0
	s_mov_b32 s3, 0
.LBB99_517:                             ; =>This Inner Loop Header: Depth=1
	scratch_load_b64 v[82:83], v80, off
	ds_load_b64 v[84:85], v79
	s_wait_xcnt 0x0
	v_dual_add_nc_u32 v79, 8, v79 :: v_dual_add_nc_u32 v80, 8, v80
	s_wait_loadcnt_dscnt 0x0
	v_pk_mul_f32 v[86:87], v[84:85], v[82:83] op_sel:[1,1] op_sel_hi:[0,1]
	s_delay_alu instid0(VALU_DEP_1) | instskip(SKIP_2) | instid1(VALU_DEP_3)
	v_pk_fma_f32 v[88:89], v[84:85], v[82:83], v[86:87] op_sel_hi:[1,0,1]
	v_add_nc_u32_e32 v81, 1, v81
	v_pk_fma_f32 v[82:83], v[84:85], v[82:83], v[86:87] neg_lo:[0,0,1] neg_hi:[0,0,1]
	v_mov_b32_e32 v83, v89
	s_delay_alu instid0(VALU_DEP_3) | instskip(NEXT) | instid1(VALU_DEP_2)
	v_cmp_lt_u32_e32 vcc_lo, 15, v81
	v_pk_add_f32 v[76:77], v[76:77], v[82:83]
	s_or_b32 s3, vcc_lo, s3
	s_delay_alu instid0(SALU_CYCLE_1)
	s_and_not1_b32 exec_lo, exec_lo, s3
	s_cbranch_execnz .LBB99_517
; %bb.518:
	s_or_b32 exec_lo, exec_lo, s3
.LBB99_519:
	s_delay_alu instid0(SALU_CYCLE_1) | instskip(SKIP_4) | instid1(VALU_DEP_1)
	s_or_b32 exec_lo, exec_lo, s2
	v_mov_b32_e32 v79, 0
	ds_load_b64 v[80:81], v79 offset:136
	s_wait_dscnt 0x0
	v_pk_mul_f32 v[82:83], v[76:77], v[80:81] op_sel:[1,1] op_sel_hi:[0,1]
	v_pk_fma_f32 v[84:85], v[76:77], v[80:81], v[82:83] op_sel_hi:[1,0,1]
	v_pk_fma_f32 v[76:77], v[76:77], v[80:81], v[82:83] neg_lo:[0,0,1] neg_hi:[0,0,1]
	s_delay_alu instid0(VALU_DEP_2)
	v_mov_b32_e32 v77, v85
	scratch_store_b64 off, v[76:77], off offset:136
.LBB99_520:
	s_wait_xcnt 0x0
	s_or_b32 exec_lo, exec_lo, s0
	scratch_load_b64 v[76:77], off, off offset:144
	s_mov_b32 s0, exec_lo
	s_wait_loadcnt 0x0
	ds_store_b64 v1, v[76:77]
	s_wait_storecnt_dscnt 0x0
	s_barrier_signal -1
	s_barrier_wait -1
	s_wait_xcnt 0x0
	v_cmpx_gt_u32_e32 18, v0
	s_cbranch_execz .LBB99_530
; %bb.521:
	v_cmp_ne_u32_e32 vcc_lo, 1, v78
	s_cbranch_vccnz .LBB99_523
; %bb.522:
	scratch_load_b64 v[76:77], v59, off
	ds_load_b64 v[80:81], v1
	s_wait_loadcnt_dscnt 0x0
	v_pk_mul_f32 v[82:83], v[80:81], v[76:77] op_sel:[1,1] op_sel_hi:[0,1]
	s_delay_alu instid0(VALU_DEP_1) | instskip(SKIP_1) | instid1(VALU_DEP_2)
	v_pk_fma_f32 v[84:85], v[80:81], v[76:77], v[82:83] op_sel_hi:[1,0,1]
	v_pk_fma_f32 v[76:77], v[80:81], v[76:77], v[82:83] neg_lo:[0,0,1] neg_hi:[0,0,1]
	v_mov_b32_e32 v77, v85
	s_cbranch_execz .LBB99_524
	s_branch .LBB99_525
.LBB99_523:
                                        ; implicit-def: $vgpr76_vgpr77
.LBB99_524:
	ds_load_b64 v[76:77], v1
.LBB99_525:
	s_mov_b32 s2, exec_lo
	v_cmpx_ne_u32_e32 17, v0
	s_cbranch_execz .LBB99_529
; %bb.526:
	v_add_nc_u32_e32 v79, 0x128, v58
	v_add3_u32 v80, 0, v58, 8
	v_mov_b32_e32 v81, v0
	s_mov_b32 s3, 0
.LBB99_527:                             ; =>This Inner Loop Header: Depth=1
	scratch_load_b64 v[82:83], v80, off
	ds_load_b64 v[84:85], v79
	s_wait_xcnt 0x0
	v_dual_add_nc_u32 v79, 8, v79 :: v_dual_add_nc_u32 v80, 8, v80
	s_wait_loadcnt_dscnt 0x0
	v_pk_mul_f32 v[86:87], v[84:85], v[82:83] op_sel:[1,1] op_sel_hi:[0,1]
	s_delay_alu instid0(VALU_DEP_1) | instskip(SKIP_2) | instid1(VALU_DEP_3)
	v_pk_fma_f32 v[88:89], v[84:85], v[82:83], v[86:87] op_sel_hi:[1,0,1]
	v_add_nc_u32_e32 v81, 1, v81
	v_pk_fma_f32 v[82:83], v[84:85], v[82:83], v[86:87] neg_lo:[0,0,1] neg_hi:[0,0,1]
	v_mov_b32_e32 v83, v89
	s_delay_alu instid0(VALU_DEP_3) | instskip(NEXT) | instid1(VALU_DEP_2)
	v_cmp_lt_u32_e32 vcc_lo, 16, v81
	v_pk_add_f32 v[76:77], v[76:77], v[82:83]
	s_or_b32 s3, vcc_lo, s3
	s_delay_alu instid0(SALU_CYCLE_1)
	s_and_not1_b32 exec_lo, exec_lo, s3
	s_cbranch_execnz .LBB99_527
; %bb.528:
	s_or_b32 exec_lo, exec_lo, s3
.LBB99_529:
	s_delay_alu instid0(SALU_CYCLE_1) | instskip(SKIP_4) | instid1(VALU_DEP_1)
	s_or_b32 exec_lo, exec_lo, s2
	v_mov_b32_e32 v79, 0
	ds_load_b64 v[80:81], v79 offset:144
	s_wait_dscnt 0x0
	v_pk_mul_f32 v[82:83], v[76:77], v[80:81] op_sel:[1,1] op_sel_hi:[0,1]
	v_pk_fma_f32 v[84:85], v[76:77], v[80:81], v[82:83] op_sel_hi:[1,0,1]
	v_pk_fma_f32 v[76:77], v[76:77], v[80:81], v[82:83] neg_lo:[0,0,1] neg_hi:[0,0,1]
	s_delay_alu instid0(VALU_DEP_2)
	v_mov_b32_e32 v77, v85
	scratch_store_b64 off, v[76:77], off offset:144
.LBB99_530:
	s_wait_xcnt 0x0
	s_or_b32 exec_lo, exec_lo, s0
	scratch_load_b64 v[76:77], off, off offset:152
	s_mov_b32 s0, exec_lo
	s_wait_loadcnt 0x0
	ds_store_b64 v1, v[76:77]
	s_wait_storecnt_dscnt 0x0
	s_barrier_signal -1
	s_barrier_wait -1
	s_wait_xcnt 0x0
	v_cmpx_gt_u32_e32 19, v0
	s_cbranch_execz .LBB99_540
; %bb.531:
	v_cmp_ne_u32_e32 vcc_lo, 1, v78
	s_cbranch_vccnz .LBB99_533
; %bb.532:
	scratch_load_b64 v[76:77], v59, off
	ds_load_b64 v[80:81], v1
	s_wait_loadcnt_dscnt 0x0
	v_pk_mul_f32 v[82:83], v[80:81], v[76:77] op_sel:[1,1] op_sel_hi:[0,1]
	s_delay_alu instid0(VALU_DEP_1) | instskip(SKIP_1) | instid1(VALU_DEP_2)
	v_pk_fma_f32 v[84:85], v[80:81], v[76:77], v[82:83] op_sel_hi:[1,0,1]
	v_pk_fma_f32 v[76:77], v[80:81], v[76:77], v[82:83] neg_lo:[0,0,1] neg_hi:[0,0,1]
	v_mov_b32_e32 v77, v85
	s_cbranch_execz .LBB99_534
	s_branch .LBB99_535
.LBB99_533:
                                        ; implicit-def: $vgpr76_vgpr77
.LBB99_534:
	ds_load_b64 v[76:77], v1
.LBB99_535:
	s_mov_b32 s2, exec_lo
	v_cmpx_ne_u32_e32 18, v0
	s_cbranch_execz .LBB99_539
; %bb.536:
	v_add_nc_u32_e32 v79, 0x128, v58
	v_add3_u32 v80, 0, v58, 8
	v_mov_b32_e32 v81, v0
	s_mov_b32 s3, 0
.LBB99_537:                             ; =>This Inner Loop Header: Depth=1
	scratch_load_b64 v[82:83], v80, off
	ds_load_b64 v[84:85], v79
	s_wait_xcnt 0x0
	v_dual_add_nc_u32 v79, 8, v79 :: v_dual_add_nc_u32 v80, 8, v80
	s_wait_loadcnt_dscnt 0x0
	v_pk_mul_f32 v[86:87], v[84:85], v[82:83] op_sel:[1,1] op_sel_hi:[0,1]
	s_delay_alu instid0(VALU_DEP_1) | instskip(SKIP_2) | instid1(VALU_DEP_3)
	v_pk_fma_f32 v[88:89], v[84:85], v[82:83], v[86:87] op_sel_hi:[1,0,1]
	v_add_nc_u32_e32 v81, 1, v81
	v_pk_fma_f32 v[82:83], v[84:85], v[82:83], v[86:87] neg_lo:[0,0,1] neg_hi:[0,0,1]
	v_mov_b32_e32 v83, v89
	s_delay_alu instid0(VALU_DEP_3) | instskip(NEXT) | instid1(VALU_DEP_2)
	v_cmp_lt_u32_e32 vcc_lo, 17, v81
	v_pk_add_f32 v[76:77], v[76:77], v[82:83]
	s_or_b32 s3, vcc_lo, s3
	s_delay_alu instid0(SALU_CYCLE_1)
	s_and_not1_b32 exec_lo, exec_lo, s3
	s_cbranch_execnz .LBB99_537
; %bb.538:
	s_or_b32 exec_lo, exec_lo, s3
.LBB99_539:
	s_delay_alu instid0(SALU_CYCLE_1) | instskip(SKIP_4) | instid1(VALU_DEP_1)
	s_or_b32 exec_lo, exec_lo, s2
	v_mov_b32_e32 v79, 0
	ds_load_b64 v[80:81], v79 offset:152
	s_wait_dscnt 0x0
	v_pk_mul_f32 v[82:83], v[76:77], v[80:81] op_sel:[1,1] op_sel_hi:[0,1]
	v_pk_fma_f32 v[84:85], v[76:77], v[80:81], v[82:83] op_sel_hi:[1,0,1]
	v_pk_fma_f32 v[76:77], v[76:77], v[80:81], v[82:83] neg_lo:[0,0,1] neg_hi:[0,0,1]
	s_delay_alu instid0(VALU_DEP_2)
	v_mov_b32_e32 v77, v85
	scratch_store_b64 off, v[76:77], off offset:152
.LBB99_540:
	s_wait_xcnt 0x0
	s_or_b32 exec_lo, exec_lo, s0
	scratch_load_b64 v[76:77], off, off offset:160
	s_mov_b32 s0, exec_lo
	s_wait_loadcnt 0x0
	ds_store_b64 v1, v[76:77]
	s_wait_storecnt_dscnt 0x0
	s_barrier_signal -1
	s_barrier_wait -1
	s_wait_xcnt 0x0
	v_cmpx_gt_u32_e32 20, v0
	s_cbranch_execz .LBB99_550
; %bb.541:
	v_cmp_ne_u32_e32 vcc_lo, 1, v78
	s_cbranch_vccnz .LBB99_543
; %bb.542:
	scratch_load_b64 v[76:77], v59, off
	ds_load_b64 v[80:81], v1
	s_wait_loadcnt_dscnt 0x0
	v_pk_mul_f32 v[82:83], v[80:81], v[76:77] op_sel:[1,1] op_sel_hi:[0,1]
	s_delay_alu instid0(VALU_DEP_1) | instskip(SKIP_1) | instid1(VALU_DEP_2)
	v_pk_fma_f32 v[84:85], v[80:81], v[76:77], v[82:83] op_sel_hi:[1,0,1]
	v_pk_fma_f32 v[76:77], v[80:81], v[76:77], v[82:83] neg_lo:[0,0,1] neg_hi:[0,0,1]
	v_mov_b32_e32 v77, v85
	s_cbranch_execz .LBB99_544
	s_branch .LBB99_545
.LBB99_543:
                                        ; implicit-def: $vgpr76_vgpr77
.LBB99_544:
	ds_load_b64 v[76:77], v1
.LBB99_545:
	s_mov_b32 s2, exec_lo
	v_cmpx_ne_u32_e32 19, v0
	s_cbranch_execz .LBB99_549
; %bb.546:
	v_add_nc_u32_e32 v79, 0x128, v58
	v_add3_u32 v80, 0, v58, 8
	v_mov_b32_e32 v81, v0
	s_mov_b32 s3, 0
.LBB99_547:                             ; =>This Inner Loop Header: Depth=1
	scratch_load_b64 v[82:83], v80, off
	ds_load_b64 v[84:85], v79
	s_wait_xcnt 0x0
	v_dual_add_nc_u32 v79, 8, v79 :: v_dual_add_nc_u32 v80, 8, v80
	s_wait_loadcnt_dscnt 0x0
	v_pk_mul_f32 v[86:87], v[84:85], v[82:83] op_sel:[1,1] op_sel_hi:[0,1]
	s_delay_alu instid0(VALU_DEP_1) | instskip(SKIP_2) | instid1(VALU_DEP_3)
	v_pk_fma_f32 v[88:89], v[84:85], v[82:83], v[86:87] op_sel_hi:[1,0,1]
	v_add_nc_u32_e32 v81, 1, v81
	v_pk_fma_f32 v[82:83], v[84:85], v[82:83], v[86:87] neg_lo:[0,0,1] neg_hi:[0,0,1]
	v_mov_b32_e32 v83, v89
	s_delay_alu instid0(VALU_DEP_3) | instskip(NEXT) | instid1(VALU_DEP_2)
	v_cmp_lt_u32_e32 vcc_lo, 18, v81
	v_pk_add_f32 v[76:77], v[76:77], v[82:83]
	s_or_b32 s3, vcc_lo, s3
	s_delay_alu instid0(SALU_CYCLE_1)
	s_and_not1_b32 exec_lo, exec_lo, s3
	s_cbranch_execnz .LBB99_547
; %bb.548:
	s_or_b32 exec_lo, exec_lo, s3
.LBB99_549:
	s_delay_alu instid0(SALU_CYCLE_1) | instskip(SKIP_4) | instid1(VALU_DEP_1)
	s_or_b32 exec_lo, exec_lo, s2
	v_mov_b32_e32 v79, 0
	ds_load_b64 v[80:81], v79 offset:160
	s_wait_dscnt 0x0
	v_pk_mul_f32 v[82:83], v[76:77], v[80:81] op_sel:[1,1] op_sel_hi:[0,1]
	v_pk_fma_f32 v[84:85], v[76:77], v[80:81], v[82:83] op_sel_hi:[1,0,1]
	v_pk_fma_f32 v[76:77], v[76:77], v[80:81], v[82:83] neg_lo:[0,0,1] neg_hi:[0,0,1]
	s_delay_alu instid0(VALU_DEP_2)
	v_mov_b32_e32 v77, v85
	scratch_store_b64 off, v[76:77], off offset:160
.LBB99_550:
	s_wait_xcnt 0x0
	s_or_b32 exec_lo, exec_lo, s0
	scratch_load_b64 v[76:77], off, off offset:168
	s_mov_b32 s0, exec_lo
	s_wait_loadcnt 0x0
	ds_store_b64 v1, v[76:77]
	s_wait_storecnt_dscnt 0x0
	s_barrier_signal -1
	s_barrier_wait -1
	s_wait_xcnt 0x0
	v_cmpx_gt_u32_e32 21, v0
	s_cbranch_execz .LBB99_560
; %bb.551:
	v_cmp_ne_u32_e32 vcc_lo, 1, v78
	s_cbranch_vccnz .LBB99_553
; %bb.552:
	scratch_load_b64 v[76:77], v59, off
	ds_load_b64 v[80:81], v1
	s_wait_loadcnt_dscnt 0x0
	v_pk_mul_f32 v[82:83], v[80:81], v[76:77] op_sel:[1,1] op_sel_hi:[0,1]
	s_delay_alu instid0(VALU_DEP_1) | instskip(SKIP_1) | instid1(VALU_DEP_2)
	v_pk_fma_f32 v[84:85], v[80:81], v[76:77], v[82:83] op_sel_hi:[1,0,1]
	v_pk_fma_f32 v[76:77], v[80:81], v[76:77], v[82:83] neg_lo:[0,0,1] neg_hi:[0,0,1]
	v_mov_b32_e32 v77, v85
	s_cbranch_execz .LBB99_554
	s_branch .LBB99_555
.LBB99_553:
                                        ; implicit-def: $vgpr76_vgpr77
.LBB99_554:
	ds_load_b64 v[76:77], v1
.LBB99_555:
	s_mov_b32 s2, exec_lo
	v_cmpx_ne_u32_e32 20, v0
	s_cbranch_execz .LBB99_559
; %bb.556:
	v_add_nc_u32_e32 v79, 0x128, v58
	v_add3_u32 v80, 0, v58, 8
	v_mov_b32_e32 v81, v0
	s_mov_b32 s3, 0
.LBB99_557:                             ; =>This Inner Loop Header: Depth=1
	scratch_load_b64 v[82:83], v80, off
	ds_load_b64 v[84:85], v79
	s_wait_xcnt 0x0
	v_dual_add_nc_u32 v79, 8, v79 :: v_dual_add_nc_u32 v80, 8, v80
	s_wait_loadcnt_dscnt 0x0
	v_pk_mul_f32 v[86:87], v[84:85], v[82:83] op_sel:[1,1] op_sel_hi:[0,1]
	s_delay_alu instid0(VALU_DEP_1) | instskip(SKIP_2) | instid1(VALU_DEP_3)
	v_pk_fma_f32 v[88:89], v[84:85], v[82:83], v[86:87] op_sel_hi:[1,0,1]
	v_add_nc_u32_e32 v81, 1, v81
	v_pk_fma_f32 v[82:83], v[84:85], v[82:83], v[86:87] neg_lo:[0,0,1] neg_hi:[0,0,1]
	v_mov_b32_e32 v83, v89
	s_delay_alu instid0(VALU_DEP_3) | instskip(NEXT) | instid1(VALU_DEP_2)
	v_cmp_lt_u32_e32 vcc_lo, 19, v81
	v_pk_add_f32 v[76:77], v[76:77], v[82:83]
	s_or_b32 s3, vcc_lo, s3
	s_delay_alu instid0(SALU_CYCLE_1)
	s_and_not1_b32 exec_lo, exec_lo, s3
	s_cbranch_execnz .LBB99_557
; %bb.558:
	s_or_b32 exec_lo, exec_lo, s3
.LBB99_559:
	s_delay_alu instid0(SALU_CYCLE_1) | instskip(SKIP_4) | instid1(VALU_DEP_1)
	s_or_b32 exec_lo, exec_lo, s2
	v_mov_b32_e32 v79, 0
	ds_load_b64 v[80:81], v79 offset:168
	s_wait_dscnt 0x0
	v_pk_mul_f32 v[82:83], v[76:77], v[80:81] op_sel:[1,1] op_sel_hi:[0,1]
	v_pk_fma_f32 v[84:85], v[76:77], v[80:81], v[82:83] op_sel_hi:[1,0,1]
	v_pk_fma_f32 v[76:77], v[76:77], v[80:81], v[82:83] neg_lo:[0,0,1] neg_hi:[0,0,1]
	s_delay_alu instid0(VALU_DEP_2)
	v_mov_b32_e32 v77, v85
	scratch_store_b64 off, v[76:77], off offset:168
.LBB99_560:
	s_wait_xcnt 0x0
	s_or_b32 exec_lo, exec_lo, s0
	scratch_load_b64 v[76:77], off, off offset:176
	s_mov_b32 s0, exec_lo
	s_wait_loadcnt 0x0
	ds_store_b64 v1, v[76:77]
	s_wait_storecnt_dscnt 0x0
	s_barrier_signal -1
	s_barrier_wait -1
	s_wait_xcnt 0x0
	v_cmpx_gt_u32_e32 22, v0
	s_cbranch_execz .LBB99_570
; %bb.561:
	v_cmp_ne_u32_e32 vcc_lo, 1, v78
	s_cbranch_vccnz .LBB99_563
; %bb.562:
	scratch_load_b64 v[76:77], v59, off
	ds_load_b64 v[80:81], v1
	s_wait_loadcnt_dscnt 0x0
	v_pk_mul_f32 v[82:83], v[80:81], v[76:77] op_sel:[1,1] op_sel_hi:[0,1]
	s_delay_alu instid0(VALU_DEP_1) | instskip(SKIP_1) | instid1(VALU_DEP_2)
	v_pk_fma_f32 v[84:85], v[80:81], v[76:77], v[82:83] op_sel_hi:[1,0,1]
	v_pk_fma_f32 v[76:77], v[80:81], v[76:77], v[82:83] neg_lo:[0,0,1] neg_hi:[0,0,1]
	v_mov_b32_e32 v77, v85
	s_cbranch_execz .LBB99_564
	s_branch .LBB99_565
.LBB99_563:
                                        ; implicit-def: $vgpr76_vgpr77
.LBB99_564:
	ds_load_b64 v[76:77], v1
.LBB99_565:
	s_mov_b32 s2, exec_lo
	v_cmpx_ne_u32_e32 21, v0
	s_cbranch_execz .LBB99_569
; %bb.566:
	v_add_nc_u32_e32 v79, 0x128, v58
	v_add3_u32 v80, 0, v58, 8
	v_mov_b32_e32 v81, v0
	s_mov_b32 s3, 0
.LBB99_567:                             ; =>This Inner Loop Header: Depth=1
	scratch_load_b64 v[82:83], v80, off
	ds_load_b64 v[84:85], v79
	s_wait_xcnt 0x0
	v_dual_add_nc_u32 v79, 8, v79 :: v_dual_add_nc_u32 v80, 8, v80
	s_wait_loadcnt_dscnt 0x0
	v_pk_mul_f32 v[86:87], v[84:85], v[82:83] op_sel:[1,1] op_sel_hi:[0,1]
	s_delay_alu instid0(VALU_DEP_1) | instskip(SKIP_2) | instid1(VALU_DEP_3)
	v_pk_fma_f32 v[88:89], v[84:85], v[82:83], v[86:87] op_sel_hi:[1,0,1]
	v_add_nc_u32_e32 v81, 1, v81
	v_pk_fma_f32 v[82:83], v[84:85], v[82:83], v[86:87] neg_lo:[0,0,1] neg_hi:[0,0,1]
	v_mov_b32_e32 v83, v89
	s_delay_alu instid0(VALU_DEP_3) | instskip(NEXT) | instid1(VALU_DEP_2)
	v_cmp_lt_u32_e32 vcc_lo, 20, v81
	v_pk_add_f32 v[76:77], v[76:77], v[82:83]
	s_or_b32 s3, vcc_lo, s3
	s_delay_alu instid0(SALU_CYCLE_1)
	s_and_not1_b32 exec_lo, exec_lo, s3
	s_cbranch_execnz .LBB99_567
; %bb.568:
	s_or_b32 exec_lo, exec_lo, s3
.LBB99_569:
	s_delay_alu instid0(SALU_CYCLE_1) | instskip(SKIP_4) | instid1(VALU_DEP_1)
	s_or_b32 exec_lo, exec_lo, s2
	v_mov_b32_e32 v79, 0
	ds_load_b64 v[80:81], v79 offset:176
	s_wait_dscnt 0x0
	v_pk_mul_f32 v[82:83], v[76:77], v[80:81] op_sel:[1,1] op_sel_hi:[0,1]
	v_pk_fma_f32 v[84:85], v[76:77], v[80:81], v[82:83] op_sel_hi:[1,0,1]
	v_pk_fma_f32 v[76:77], v[76:77], v[80:81], v[82:83] neg_lo:[0,0,1] neg_hi:[0,0,1]
	s_delay_alu instid0(VALU_DEP_2)
	v_mov_b32_e32 v77, v85
	scratch_store_b64 off, v[76:77], off offset:176
.LBB99_570:
	s_wait_xcnt 0x0
	s_or_b32 exec_lo, exec_lo, s0
	scratch_load_b64 v[76:77], off, off offset:184
	s_mov_b32 s0, exec_lo
	s_wait_loadcnt 0x0
	ds_store_b64 v1, v[76:77]
	s_wait_storecnt_dscnt 0x0
	s_barrier_signal -1
	s_barrier_wait -1
	s_wait_xcnt 0x0
	v_cmpx_gt_u32_e32 23, v0
	s_cbranch_execz .LBB99_580
; %bb.571:
	v_cmp_ne_u32_e32 vcc_lo, 1, v78
	s_cbranch_vccnz .LBB99_573
; %bb.572:
	scratch_load_b64 v[76:77], v59, off
	ds_load_b64 v[80:81], v1
	s_wait_loadcnt_dscnt 0x0
	v_pk_mul_f32 v[82:83], v[80:81], v[76:77] op_sel:[1,1] op_sel_hi:[0,1]
	s_delay_alu instid0(VALU_DEP_1) | instskip(SKIP_1) | instid1(VALU_DEP_2)
	v_pk_fma_f32 v[84:85], v[80:81], v[76:77], v[82:83] op_sel_hi:[1,0,1]
	v_pk_fma_f32 v[76:77], v[80:81], v[76:77], v[82:83] neg_lo:[0,0,1] neg_hi:[0,0,1]
	v_mov_b32_e32 v77, v85
	s_cbranch_execz .LBB99_574
	s_branch .LBB99_575
.LBB99_573:
                                        ; implicit-def: $vgpr76_vgpr77
.LBB99_574:
	ds_load_b64 v[76:77], v1
.LBB99_575:
	s_mov_b32 s2, exec_lo
	v_cmpx_ne_u32_e32 22, v0
	s_cbranch_execz .LBB99_579
; %bb.576:
	v_add_nc_u32_e32 v79, 0x128, v58
	v_add3_u32 v80, 0, v58, 8
	v_mov_b32_e32 v81, v0
	s_mov_b32 s3, 0
.LBB99_577:                             ; =>This Inner Loop Header: Depth=1
	scratch_load_b64 v[82:83], v80, off
	ds_load_b64 v[84:85], v79
	s_wait_xcnt 0x0
	v_dual_add_nc_u32 v79, 8, v79 :: v_dual_add_nc_u32 v80, 8, v80
	s_wait_loadcnt_dscnt 0x0
	v_pk_mul_f32 v[86:87], v[84:85], v[82:83] op_sel:[1,1] op_sel_hi:[0,1]
	s_delay_alu instid0(VALU_DEP_1) | instskip(SKIP_2) | instid1(VALU_DEP_3)
	v_pk_fma_f32 v[88:89], v[84:85], v[82:83], v[86:87] op_sel_hi:[1,0,1]
	v_add_nc_u32_e32 v81, 1, v81
	v_pk_fma_f32 v[82:83], v[84:85], v[82:83], v[86:87] neg_lo:[0,0,1] neg_hi:[0,0,1]
	v_mov_b32_e32 v83, v89
	s_delay_alu instid0(VALU_DEP_3) | instskip(NEXT) | instid1(VALU_DEP_2)
	v_cmp_lt_u32_e32 vcc_lo, 21, v81
	v_pk_add_f32 v[76:77], v[76:77], v[82:83]
	s_or_b32 s3, vcc_lo, s3
	s_delay_alu instid0(SALU_CYCLE_1)
	s_and_not1_b32 exec_lo, exec_lo, s3
	s_cbranch_execnz .LBB99_577
; %bb.578:
	s_or_b32 exec_lo, exec_lo, s3
.LBB99_579:
	s_delay_alu instid0(SALU_CYCLE_1) | instskip(SKIP_4) | instid1(VALU_DEP_1)
	s_or_b32 exec_lo, exec_lo, s2
	v_mov_b32_e32 v79, 0
	ds_load_b64 v[80:81], v79 offset:184
	s_wait_dscnt 0x0
	v_pk_mul_f32 v[82:83], v[76:77], v[80:81] op_sel:[1,1] op_sel_hi:[0,1]
	v_pk_fma_f32 v[84:85], v[76:77], v[80:81], v[82:83] op_sel_hi:[1,0,1]
	v_pk_fma_f32 v[76:77], v[76:77], v[80:81], v[82:83] neg_lo:[0,0,1] neg_hi:[0,0,1]
	s_delay_alu instid0(VALU_DEP_2)
	v_mov_b32_e32 v77, v85
	scratch_store_b64 off, v[76:77], off offset:184
.LBB99_580:
	s_wait_xcnt 0x0
	s_or_b32 exec_lo, exec_lo, s0
	scratch_load_b64 v[76:77], off, off offset:192
	s_mov_b32 s0, exec_lo
	s_wait_loadcnt 0x0
	ds_store_b64 v1, v[76:77]
	s_wait_storecnt_dscnt 0x0
	s_barrier_signal -1
	s_barrier_wait -1
	s_wait_xcnt 0x0
	v_cmpx_gt_u32_e32 24, v0
	s_cbranch_execz .LBB99_590
; %bb.581:
	v_cmp_ne_u32_e32 vcc_lo, 1, v78
	s_cbranch_vccnz .LBB99_583
; %bb.582:
	scratch_load_b64 v[76:77], v59, off
	ds_load_b64 v[80:81], v1
	s_wait_loadcnt_dscnt 0x0
	v_pk_mul_f32 v[82:83], v[80:81], v[76:77] op_sel:[1,1] op_sel_hi:[0,1]
	s_delay_alu instid0(VALU_DEP_1) | instskip(SKIP_1) | instid1(VALU_DEP_2)
	v_pk_fma_f32 v[84:85], v[80:81], v[76:77], v[82:83] op_sel_hi:[1,0,1]
	v_pk_fma_f32 v[76:77], v[80:81], v[76:77], v[82:83] neg_lo:[0,0,1] neg_hi:[0,0,1]
	v_mov_b32_e32 v77, v85
	s_cbranch_execz .LBB99_584
	s_branch .LBB99_585
.LBB99_583:
                                        ; implicit-def: $vgpr76_vgpr77
.LBB99_584:
	ds_load_b64 v[76:77], v1
.LBB99_585:
	s_mov_b32 s2, exec_lo
	v_cmpx_ne_u32_e32 23, v0
	s_cbranch_execz .LBB99_589
; %bb.586:
	v_add_nc_u32_e32 v79, 0x128, v58
	v_add3_u32 v80, 0, v58, 8
	v_mov_b32_e32 v81, v0
	s_mov_b32 s3, 0
.LBB99_587:                             ; =>This Inner Loop Header: Depth=1
	scratch_load_b64 v[82:83], v80, off
	ds_load_b64 v[84:85], v79
	s_wait_xcnt 0x0
	v_dual_add_nc_u32 v79, 8, v79 :: v_dual_add_nc_u32 v80, 8, v80
	s_wait_loadcnt_dscnt 0x0
	v_pk_mul_f32 v[86:87], v[84:85], v[82:83] op_sel:[1,1] op_sel_hi:[0,1]
	s_delay_alu instid0(VALU_DEP_1) | instskip(SKIP_2) | instid1(VALU_DEP_3)
	v_pk_fma_f32 v[88:89], v[84:85], v[82:83], v[86:87] op_sel_hi:[1,0,1]
	v_add_nc_u32_e32 v81, 1, v81
	v_pk_fma_f32 v[82:83], v[84:85], v[82:83], v[86:87] neg_lo:[0,0,1] neg_hi:[0,0,1]
	v_mov_b32_e32 v83, v89
	s_delay_alu instid0(VALU_DEP_3) | instskip(NEXT) | instid1(VALU_DEP_2)
	v_cmp_lt_u32_e32 vcc_lo, 22, v81
	v_pk_add_f32 v[76:77], v[76:77], v[82:83]
	s_or_b32 s3, vcc_lo, s3
	s_delay_alu instid0(SALU_CYCLE_1)
	s_and_not1_b32 exec_lo, exec_lo, s3
	s_cbranch_execnz .LBB99_587
; %bb.588:
	s_or_b32 exec_lo, exec_lo, s3
.LBB99_589:
	s_delay_alu instid0(SALU_CYCLE_1) | instskip(SKIP_4) | instid1(VALU_DEP_1)
	s_or_b32 exec_lo, exec_lo, s2
	v_mov_b32_e32 v79, 0
	ds_load_b64 v[80:81], v79 offset:192
	s_wait_dscnt 0x0
	v_pk_mul_f32 v[82:83], v[76:77], v[80:81] op_sel:[1,1] op_sel_hi:[0,1]
	v_pk_fma_f32 v[84:85], v[76:77], v[80:81], v[82:83] op_sel_hi:[1,0,1]
	v_pk_fma_f32 v[76:77], v[76:77], v[80:81], v[82:83] neg_lo:[0,0,1] neg_hi:[0,0,1]
	s_delay_alu instid0(VALU_DEP_2)
	v_mov_b32_e32 v77, v85
	scratch_store_b64 off, v[76:77], off offset:192
.LBB99_590:
	s_wait_xcnt 0x0
	s_or_b32 exec_lo, exec_lo, s0
	scratch_load_b64 v[76:77], off, off offset:200
	s_mov_b32 s0, exec_lo
	s_wait_loadcnt 0x0
	ds_store_b64 v1, v[76:77]
	s_wait_storecnt_dscnt 0x0
	s_barrier_signal -1
	s_barrier_wait -1
	s_wait_xcnt 0x0
	v_cmpx_gt_u32_e32 25, v0
	s_cbranch_execz .LBB99_600
; %bb.591:
	v_cmp_ne_u32_e32 vcc_lo, 1, v78
	s_cbranch_vccnz .LBB99_593
; %bb.592:
	scratch_load_b64 v[76:77], v59, off
	ds_load_b64 v[80:81], v1
	s_wait_loadcnt_dscnt 0x0
	v_pk_mul_f32 v[82:83], v[80:81], v[76:77] op_sel:[1,1] op_sel_hi:[0,1]
	s_delay_alu instid0(VALU_DEP_1) | instskip(SKIP_1) | instid1(VALU_DEP_2)
	v_pk_fma_f32 v[84:85], v[80:81], v[76:77], v[82:83] op_sel_hi:[1,0,1]
	v_pk_fma_f32 v[76:77], v[80:81], v[76:77], v[82:83] neg_lo:[0,0,1] neg_hi:[0,0,1]
	v_mov_b32_e32 v77, v85
	s_cbranch_execz .LBB99_594
	s_branch .LBB99_595
.LBB99_593:
                                        ; implicit-def: $vgpr76_vgpr77
.LBB99_594:
	ds_load_b64 v[76:77], v1
.LBB99_595:
	s_mov_b32 s2, exec_lo
	v_cmpx_ne_u32_e32 24, v0
	s_cbranch_execz .LBB99_599
; %bb.596:
	v_add_nc_u32_e32 v79, 0x128, v58
	v_add3_u32 v80, 0, v58, 8
	v_mov_b32_e32 v81, v0
	s_mov_b32 s3, 0
.LBB99_597:                             ; =>This Inner Loop Header: Depth=1
	scratch_load_b64 v[82:83], v80, off
	ds_load_b64 v[84:85], v79
	s_wait_xcnt 0x0
	v_dual_add_nc_u32 v79, 8, v79 :: v_dual_add_nc_u32 v80, 8, v80
	s_wait_loadcnt_dscnt 0x0
	v_pk_mul_f32 v[86:87], v[84:85], v[82:83] op_sel:[1,1] op_sel_hi:[0,1]
	s_delay_alu instid0(VALU_DEP_1) | instskip(SKIP_2) | instid1(VALU_DEP_3)
	v_pk_fma_f32 v[88:89], v[84:85], v[82:83], v[86:87] op_sel_hi:[1,0,1]
	v_add_nc_u32_e32 v81, 1, v81
	v_pk_fma_f32 v[82:83], v[84:85], v[82:83], v[86:87] neg_lo:[0,0,1] neg_hi:[0,0,1]
	v_mov_b32_e32 v83, v89
	s_delay_alu instid0(VALU_DEP_3) | instskip(NEXT) | instid1(VALU_DEP_2)
	v_cmp_lt_u32_e32 vcc_lo, 23, v81
	v_pk_add_f32 v[76:77], v[76:77], v[82:83]
	s_or_b32 s3, vcc_lo, s3
	s_delay_alu instid0(SALU_CYCLE_1)
	s_and_not1_b32 exec_lo, exec_lo, s3
	s_cbranch_execnz .LBB99_597
; %bb.598:
	s_or_b32 exec_lo, exec_lo, s3
.LBB99_599:
	s_delay_alu instid0(SALU_CYCLE_1) | instskip(SKIP_4) | instid1(VALU_DEP_1)
	s_or_b32 exec_lo, exec_lo, s2
	v_mov_b32_e32 v79, 0
	ds_load_b64 v[80:81], v79 offset:200
	s_wait_dscnt 0x0
	v_pk_mul_f32 v[82:83], v[76:77], v[80:81] op_sel:[1,1] op_sel_hi:[0,1]
	v_pk_fma_f32 v[84:85], v[76:77], v[80:81], v[82:83] op_sel_hi:[1,0,1]
	v_pk_fma_f32 v[76:77], v[76:77], v[80:81], v[82:83] neg_lo:[0,0,1] neg_hi:[0,0,1]
	s_delay_alu instid0(VALU_DEP_2)
	v_mov_b32_e32 v77, v85
	scratch_store_b64 off, v[76:77], off offset:200
.LBB99_600:
	s_wait_xcnt 0x0
	s_or_b32 exec_lo, exec_lo, s0
	scratch_load_b64 v[76:77], off, off offset:208
	s_mov_b32 s0, exec_lo
	s_wait_loadcnt 0x0
	ds_store_b64 v1, v[76:77]
	s_wait_storecnt_dscnt 0x0
	s_barrier_signal -1
	s_barrier_wait -1
	s_wait_xcnt 0x0
	v_cmpx_gt_u32_e32 26, v0
	s_cbranch_execz .LBB99_610
; %bb.601:
	v_cmp_ne_u32_e32 vcc_lo, 1, v78
	s_cbranch_vccnz .LBB99_603
; %bb.602:
	scratch_load_b64 v[76:77], v59, off
	ds_load_b64 v[80:81], v1
	s_wait_loadcnt_dscnt 0x0
	v_pk_mul_f32 v[82:83], v[80:81], v[76:77] op_sel:[1,1] op_sel_hi:[0,1]
	s_delay_alu instid0(VALU_DEP_1) | instskip(SKIP_1) | instid1(VALU_DEP_2)
	v_pk_fma_f32 v[84:85], v[80:81], v[76:77], v[82:83] op_sel_hi:[1,0,1]
	v_pk_fma_f32 v[76:77], v[80:81], v[76:77], v[82:83] neg_lo:[0,0,1] neg_hi:[0,0,1]
	v_mov_b32_e32 v77, v85
	s_cbranch_execz .LBB99_604
	s_branch .LBB99_605
.LBB99_603:
                                        ; implicit-def: $vgpr76_vgpr77
.LBB99_604:
	ds_load_b64 v[76:77], v1
.LBB99_605:
	s_mov_b32 s2, exec_lo
	v_cmpx_ne_u32_e32 25, v0
	s_cbranch_execz .LBB99_609
; %bb.606:
	v_add_nc_u32_e32 v79, 0x128, v58
	v_add3_u32 v80, 0, v58, 8
	v_mov_b32_e32 v81, v0
	s_mov_b32 s3, 0
.LBB99_607:                             ; =>This Inner Loop Header: Depth=1
	scratch_load_b64 v[82:83], v80, off
	ds_load_b64 v[84:85], v79
	s_wait_xcnt 0x0
	v_dual_add_nc_u32 v79, 8, v79 :: v_dual_add_nc_u32 v80, 8, v80
	s_wait_loadcnt_dscnt 0x0
	v_pk_mul_f32 v[86:87], v[84:85], v[82:83] op_sel:[1,1] op_sel_hi:[0,1]
	s_delay_alu instid0(VALU_DEP_1) | instskip(SKIP_2) | instid1(VALU_DEP_3)
	v_pk_fma_f32 v[88:89], v[84:85], v[82:83], v[86:87] op_sel_hi:[1,0,1]
	v_add_nc_u32_e32 v81, 1, v81
	v_pk_fma_f32 v[82:83], v[84:85], v[82:83], v[86:87] neg_lo:[0,0,1] neg_hi:[0,0,1]
	v_mov_b32_e32 v83, v89
	s_delay_alu instid0(VALU_DEP_3) | instskip(NEXT) | instid1(VALU_DEP_2)
	v_cmp_lt_u32_e32 vcc_lo, 24, v81
	v_pk_add_f32 v[76:77], v[76:77], v[82:83]
	s_or_b32 s3, vcc_lo, s3
	s_delay_alu instid0(SALU_CYCLE_1)
	s_and_not1_b32 exec_lo, exec_lo, s3
	s_cbranch_execnz .LBB99_607
; %bb.608:
	s_or_b32 exec_lo, exec_lo, s3
.LBB99_609:
	s_delay_alu instid0(SALU_CYCLE_1) | instskip(SKIP_4) | instid1(VALU_DEP_1)
	s_or_b32 exec_lo, exec_lo, s2
	v_mov_b32_e32 v79, 0
	ds_load_b64 v[80:81], v79 offset:208
	s_wait_dscnt 0x0
	v_pk_mul_f32 v[82:83], v[76:77], v[80:81] op_sel:[1,1] op_sel_hi:[0,1]
	v_pk_fma_f32 v[84:85], v[76:77], v[80:81], v[82:83] op_sel_hi:[1,0,1]
	v_pk_fma_f32 v[76:77], v[76:77], v[80:81], v[82:83] neg_lo:[0,0,1] neg_hi:[0,0,1]
	s_delay_alu instid0(VALU_DEP_2)
	v_mov_b32_e32 v77, v85
	scratch_store_b64 off, v[76:77], off offset:208
.LBB99_610:
	s_wait_xcnt 0x0
	s_or_b32 exec_lo, exec_lo, s0
	scratch_load_b64 v[76:77], off, off offset:216
	s_mov_b32 s0, exec_lo
	s_wait_loadcnt 0x0
	ds_store_b64 v1, v[76:77]
	s_wait_storecnt_dscnt 0x0
	s_barrier_signal -1
	s_barrier_wait -1
	s_wait_xcnt 0x0
	v_cmpx_gt_u32_e32 27, v0
	s_cbranch_execz .LBB99_620
; %bb.611:
	v_cmp_ne_u32_e32 vcc_lo, 1, v78
	s_cbranch_vccnz .LBB99_613
; %bb.612:
	scratch_load_b64 v[76:77], v59, off
	ds_load_b64 v[80:81], v1
	s_wait_loadcnt_dscnt 0x0
	v_pk_mul_f32 v[82:83], v[80:81], v[76:77] op_sel:[1,1] op_sel_hi:[0,1]
	s_delay_alu instid0(VALU_DEP_1) | instskip(SKIP_1) | instid1(VALU_DEP_2)
	v_pk_fma_f32 v[84:85], v[80:81], v[76:77], v[82:83] op_sel_hi:[1,0,1]
	v_pk_fma_f32 v[76:77], v[80:81], v[76:77], v[82:83] neg_lo:[0,0,1] neg_hi:[0,0,1]
	v_mov_b32_e32 v77, v85
	s_cbranch_execz .LBB99_614
	s_branch .LBB99_615
.LBB99_613:
                                        ; implicit-def: $vgpr76_vgpr77
.LBB99_614:
	ds_load_b64 v[76:77], v1
.LBB99_615:
	s_mov_b32 s2, exec_lo
	v_cmpx_ne_u32_e32 26, v0
	s_cbranch_execz .LBB99_619
; %bb.616:
	v_add_nc_u32_e32 v79, 0x128, v58
	v_add3_u32 v80, 0, v58, 8
	v_mov_b32_e32 v81, v0
	s_mov_b32 s3, 0
.LBB99_617:                             ; =>This Inner Loop Header: Depth=1
	scratch_load_b64 v[82:83], v80, off
	ds_load_b64 v[84:85], v79
	s_wait_xcnt 0x0
	v_dual_add_nc_u32 v79, 8, v79 :: v_dual_add_nc_u32 v80, 8, v80
	s_wait_loadcnt_dscnt 0x0
	v_pk_mul_f32 v[86:87], v[84:85], v[82:83] op_sel:[1,1] op_sel_hi:[0,1]
	s_delay_alu instid0(VALU_DEP_1) | instskip(SKIP_2) | instid1(VALU_DEP_3)
	v_pk_fma_f32 v[88:89], v[84:85], v[82:83], v[86:87] op_sel_hi:[1,0,1]
	v_add_nc_u32_e32 v81, 1, v81
	v_pk_fma_f32 v[82:83], v[84:85], v[82:83], v[86:87] neg_lo:[0,0,1] neg_hi:[0,0,1]
	v_mov_b32_e32 v83, v89
	s_delay_alu instid0(VALU_DEP_3) | instskip(NEXT) | instid1(VALU_DEP_2)
	v_cmp_lt_u32_e32 vcc_lo, 25, v81
	v_pk_add_f32 v[76:77], v[76:77], v[82:83]
	s_or_b32 s3, vcc_lo, s3
	s_delay_alu instid0(SALU_CYCLE_1)
	s_and_not1_b32 exec_lo, exec_lo, s3
	s_cbranch_execnz .LBB99_617
; %bb.618:
	s_or_b32 exec_lo, exec_lo, s3
.LBB99_619:
	s_delay_alu instid0(SALU_CYCLE_1) | instskip(SKIP_4) | instid1(VALU_DEP_1)
	s_or_b32 exec_lo, exec_lo, s2
	v_mov_b32_e32 v79, 0
	ds_load_b64 v[80:81], v79 offset:216
	s_wait_dscnt 0x0
	v_pk_mul_f32 v[82:83], v[76:77], v[80:81] op_sel:[1,1] op_sel_hi:[0,1]
	v_pk_fma_f32 v[84:85], v[76:77], v[80:81], v[82:83] op_sel_hi:[1,0,1]
	v_pk_fma_f32 v[76:77], v[76:77], v[80:81], v[82:83] neg_lo:[0,0,1] neg_hi:[0,0,1]
	s_delay_alu instid0(VALU_DEP_2)
	v_mov_b32_e32 v77, v85
	scratch_store_b64 off, v[76:77], off offset:216
.LBB99_620:
	s_wait_xcnt 0x0
	s_or_b32 exec_lo, exec_lo, s0
	scratch_load_b64 v[76:77], off, off offset:224
	s_mov_b32 s0, exec_lo
	s_wait_loadcnt 0x0
	ds_store_b64 v1, v[76:77]
	s_wait_storecnt_dscnt 0x0
	s_barrier_signal -1
	s_barrier_wait -1
	s_wait_xcnt 0x0
	v_cmpx_gt_u32_e32 28, v0
	s_cbranch_execz .LBB99_630
; %bb.621:
	v_cmp_ne_u32_e32 vcc_lo, 1, v78
	s_cbranch_vccnz .LBB99_623
; %bb.622:
	scratch_load_b64 v[76:77], v59, off
	ds_load_b64 v[80:81], v1
	s_wait_loadcnt_dscnt 0x0
	v_pk_mul_f32 v[82:83], v[80:81], v[76:77] op_sel:[1,1] op_sel_hi:[0,1]
	s_delay_alu instid0(VALU_DEP_1) | instskip(SKIP_1) | instid1(VALU_DEP_2)
	v_pk_fma_f32 v[84:85], v[80:81], v[76:77], v[82:83] op_sel_hi:[1,0,1]
	v_pk_fma_f32 v[76:77], v[80:81], v[76:77], v[82:83] neg_lo:[0,0,1] neg_hi:[0,0,1]
	v_mov_b32_e32 v77, v85
	s_cbranch_execz .LBB99_624
	s_branch .LBB99_625
.LBB99_623:
                                        ; implicit-def: $vgpr76_vgpr77
.LBB99_624:
	ds_load_b64 v[76:77], v1
.LBB99_625:
	s_mov_b32 s2, exec_lo
	v_cmpx_ne_u32_e32 27, v0
	s_cbranch_execz .LBB99_629
; %bb.626:
	v_add_nc_u32_e32 v79, 0x128, v58
	v_add3_u32 v80, 0, v58, 8
	v_mov_b32_e32 v81, v0
	s_mov_b32 s3, 0
.LBB99_627:                             ; =>This Inner Loop Header: Depth=1
	scratch_load_b64 v[82:83], v80, off
	ds_load_b64 v[84:85], v79
	s_wait_xcnt 0x0
	v_dual_add_nc_u32 v79, 8, v79 :: v_dual_add_nc_u32 v80, 8, v80
	s_wait_loadcnt_dscnt 0x0
	v_pk_mul_f32 v[86:87], v[84:85], v[82:83] op_sel:[1,1] op_sel_hi:[0,1]
	s_delay_alu instid0(VALU_DEP_1) | instskip(SKIP_2) | instid1(VALU_DEP_3)
	v_pk_fma_f32 v[88:89], v[84:85], v[82:83], v[86:87] op_sel_hi:[1,0,1]
	v_add_nc_u32_e32 v81, 1, v81
	v_pk_fma_f32 v[82:83], v[84:85], v[82:83], v[86:87] neg_lo:[0,0,1] neg_hi:[0,0,1]
	v_mov_b32_e32 v83, v89
	s_delay_alu instid0(VALU_DEP_3) | instskip(NEXT) | instid1(VALU_DEP_2)
	v_cmp_lt_u32_e32 vcc_lo, 26, v81
	v_pk_add_f32 v[76:77], v[76:77], v[82:83]
	s_or_b32 s3, vcc_lo, s3
	s_delay_alu instid0(SALU_CYCLE_1)
	s_and_not1_b32 exec_lo, exec_lo, s3
	s_cbranch_execnz .LBB99_627
; %bb.628:
	s_or_b32 exec_lo, exec_lo, s3
.LBB99_629:
	s_delay_alu instid0(SALU_CYCLE_1) | instskip(SKIP_4) | instid1(VALU_DEP_1)
	s_or_b32 exec_lo, exec_lo, s2
	v_mov_b32_e32 v79, 0
	ds_load_b64 v[80:81], v79 offset:224
	s_wait_dscnt 0x0
	v_pk_mul_f32 v[82:83], v[76:77], v[80:81] op_sel:[1,1] op_sel_hi:[0,1]
	v_pk_fma_f32 v[84:85], v[76:77], v[80:81], v[82:83] op_sel_hi:[1,0,1]
	v_pk_fma_f32 v[76:77], v[76:77], v[80:81], v[82:83] neg_lo:[0,0,1] neg_hi:[0,0,1]
	s_delay_alu instid0(VALU_DEP_2)
	v_mov_b32_e32 v77, v85
	scratch_store_b64 off, v[76:77], off offset:224
.LBB99_630:
	s_wait_xcnt 0x0
	s_or_b32 exec_lo, exec_lo, s0
	scratch_load_b64 v[76:77], off, off offset:232
	s_mov_b32 s0, exec_lo
	s_wait_loadcnt 0x0
	ds_store_b64 v1, v[76:77]
	s_wait_storecnt_dscnt 0x0
	s_barrier_signal -1
	s_barrier_wait -1
	s_wait_xcnt 0x0
	v_cmpx_gt_u32_e32 29, v0
	s_cbranch_execz .LBB99_640
; %bb.631:
	v_cmp_ne_u32_e32 vcc_lo, 1, v78
	s_cbranch_vccnz .LBB99_633
; %bb.632:
	scratch_load_b64 v[76:77], v59, off
	ds_load_b64 v[80:81], v1
	s_wait_loadcnt_dscnt 0x0
	v_pk_mul_f32 v[82:83], v[80:81], v[76:77] op_sel:[1,1] op_sel_hi:[0,1]
	s_delay_alu instid0(VALU_DEP_1) | instskip(SKIP_1) | instid1(VALU_DEP_2)
	v_pk_fma_f32 v[84:85], v[80:81], v[76:77], v[82:83] op_sel_hi:[1,0,1]
	v_pk_fma_f32 v[76:77], v[80:81], v[76:77], v[82:83] neg_lo:[0,0,1] neg_hi:[0,0,1]
	v_mov_b32_e32 v77, v85
	s_cbranch_execz .LBB99_634
	s_branch .LBB99_635
.LBB99_633:
                                        ; implicit-def: $vgpr76_vgpr77
.LBB99_634:
	ds_load_b64 v[76:77], v1
.LBB99_635:
	s_mov_b32 s2, exec_lo
	v_cmpx_ne_u32_e32 28, v0
	s_cbranch_execz .LBB99_639
; %bb.636:
	v_add_nc_u32_e32 v79, 0x128, v58
	v_add3_u32 v80, 0, v58, 8
	v_mov_b32_e32 v81, v0
	s_mov_b32 s3, 0
.LBB99_637:                             ; =>This Inner Loop Header: Depth=1
	scratch_load_b64 v[82:83], v80, off
	ds_load_b64 v[84:85], v79
	s_wait_xcnt 0x0
	v_dual_add_nc_u32 v79, 8, v79 :: v_dual_add_nc_u32 v80, 8, v80
	s_wait_loadcnt_dscnt 0x0
	v_pk_mul_f32 v[86:87], v[84:85], v[82:83] op_sel:[1,1] op_sel_hi:[0,1]
	s_delay_alu instid0(VALU_DEP_1) | instskip(SKIP_2) | instid1(VALU_DEP_3)
	v_pk_fma_f32 v[88:89], v[84:85], v[82:83], v[86:87] op_sel_hi:[1,0,1]
	v_add_nc_u32_e32 v81, 1, v81
	v_pk_fma_f32 v[82:83], v[84:85], v[82:83], v[86:87] neg_lo:[0,0,1] neg_hi:[0,0,1]
	v_mov_b32_e32 v83, v89
	s_delay_alu instid0(VALU_DEP_3) | instskip(NEXT) | instid1(VALU_DEP_2)
	v_cmp_lt_u32_e32 vcc_lo, 27, v81
	v_pk_add_f32 v[76:77], v[76:77], v[82:83]
	s_or_b32 s3, vcc_lo, s3
	s_delay_alu instid0(SALU_CYCLE_1)
	s_and_not1_b32 exec_lo, exec_lo, s3
	s_cbranch_execnz .LBB99_637
; %bb.638:
	s_or_b32 exec_lo, exec_lo, s3
.LBB99_639:
	s_delay_alu instid0(SALU_CYCLE_1) | instskip(SKIP_4) | instid1(VALU_DEP_1)
	s_or_b32 exec_lo, exec_lo, s2
	v_mov_b32_e32 v79, 0
	ds_load_b64 v[80:81], v79 offset:232
	s_wait_dscnt 0x0
	v_pk_mul_f32 v[82:83], v[76:77], v[80:81] op_sel:[1,1] op_sel_hi:[0,1]
	v_pk_fma_f32 v[84:85], v[76:77], v[80:81], v[82:83] op_sel_hi:[1,0,1]
	v_pk_fma_f32 v[76:77], v[76:77], v[80:81], v[82:83] neg_lo:[0,0,1] neg_hi:[0,0,1]
	s_delay_alu instid0(VALU_DEP_2)
	v_mov_b32_e32 v77, v85
	scratch_store_b64 off, v[76:77], off offset:232
.LBB99_640:
	s_wait_xcnt 0x0
	s_or_b32 exec_lo, exec_lo, s0
	scratch_load_b64 v[76:77], off, off offset:240
	s_mov_b32 s0, exec_lo
	s_wait_loadcnt 0x0
	ds_store_b64 v1, v[76:77]
	s_wait_storecnt_dscnt 0x0
	s_barrier_signal -1
	s_barrier_wait -1
	s_wait_xcnt 0x0
	v_cmpx_gt_u32_e32 30, v0
	s_cbranch_execz .LBB99_650
; %bb.641:
	v_cmp_ne_u32_e32 vcc_lo, 1, v78
	s_cbranch_vccnz .LBB99_643
; %bb.642:
	scratch_load_b64 v[76:77], v59, off
	ds_load_b64 v[80:81], v1
	s_wait_loadcnt_dscnt 0x0
	v_pk_mul_f32 v[82:83], v[80:81], v[76:77] op_sel:[1,1] op_sel_hi:[0,1]
	s_delay_alu instid0(VALU_DEP_1) | instskip(SKIP_1) | instid1(VALU_DEP_2)
	v_pk_fma_f32 v[84:85], v[80:81], v[76:77], v[82:83] op_sel_hi:[1,0,1]
	v_pk_fma_f32 v[76:77], v[80:81], v[76:77], v[82:83] neg_lo:[0,0,1] neg_hi:[0,0,1]
	v_mov_b32_e32 v77, v85
	s_cbranch_execz .LBB99_644
	s_branch .LBB99_645
.LBB99_643:
                                        ; implicit-def: $vgpr76_vgpr77
.LBB99_644:
	ds_load_b64 v[76:77], v1
.LBB99_645:
	s_mov_b32 s2, exec_lo
	v_cmpx_ne_u32_e32 29, v0
	s_cbranch_execz .LBB99_649
; %bb.646:
	v_add_nc_u32_e32 v79, 0x128, v58
	v_add3_u32 v80, 0, v58, 8
	v_mov_b32_e32 v81, v0
	s_mov_b32 s3, 0
.LBB99_647:                             ; =>This Inner Loop Header: Depth=1
	scratch_load_b64 v[82:83], v80, off
	ds_load_b64 v[84:85], v79
	s_wait_xcnt 0x0
	v_dual_add_nc_u32 v79, 8, v79 :: v_dual_add_nc_u32 v80, 8, v80
	s_wait_loadcnt_dscnt 0x0
	v_pk_mul_f32 v[86:87], v[84:85], v[82:83] op_sel:[1,1] op_sel_hi:[0,1]
	s_delay_alu instid0(VALU_DEP_1) | instskip(SKIP_2) | instid1(VALU_DEP_3)
	v_pk_fma_f32 v[88:89], v[84:85], v[82:83], v[86:87] op_sel_hi:[1,0,1]
	v_add_nc_u32_e32 v81, 1, v81
	v_pk_fma_f32 v[82:83], v[84:85], v[82:83], v[86:87] neg_lo:[0,0,1] neg_hi:[0,0,1]
	v_mov_b32_e32 v83, v89
	s_delay_alu instid0(VALU_DEP_3) | instskip(NEXT) | instid1(VALU_DEP_2)
	v_cmp_lt_u32_e32 vcc_lo, 28, v81
	v_pk_add_f32 v[76:77], v[76:77], v[82:83]
	s_or_b32 s3, vcc_lo, s3
	s_delay_alu instid0(SALU_CYCLE_1)
	s_and_not1_b32 exec_lo, exec_lo, s3
	s_cbranch_execnz .LBB99_647
; %bb.648:
	s_or_b32 exec_lo, exec_lo, s3
.LBB99_649:
	s_delay_alu instid0(SALU_CYCLE_1) | instskip(SKIP_4) | instid1(VALU_DEP_1)
	s_or_b32 exec_lo, exec_lo, s2
	v_mov_b32_e32 v79, 0
	ds_load_b64 v[80:81], v79 offset:240
	s_wait_dscnt 0x0
	v_pk_mul_f32 v[82:83], v[76:77], v[80:81] op_sel:[1,1] op_sel_hi:[0,1]
	v_pk_fma_f32 v[84:85], v[76:77], v[80:81], v[82:83] op_sel_hi:[1,0,1]
	v_pk_fma_f32 v[76:77], v[76:77], v[80:81], v[82:83] neg_lo:[0,0,1] neg_hi:[0,0,1]
	s_delay_alu instid0(VALU_DEP_2)
	v_mov_b32_e32 v77, v85
	scratch_store_b64 off, v[76:77], off offset:240
.LBB99_650:
	s_wait_xcnt 0x0
	s_or_b32 exec_lo, exec_lo, s0
	scratch_load_b64 v[76:77], off, off offset:248
	s_mov_b32 s0, exec_lo
	s_wait_loadcnt 0x0
	ds_store_b64 v1, v[76:77]
	s_wait_storecnt_dscnt 0x0
	s_barrier_signal -1
	s_barrier_wait -1
	s_wait_xcnt 0x0
	v_cmpx_gt_u32_e32 31, v0
	s_cbranch_execz .LBB99_660
; %bb.651:
	v_cmp_ne_u32_e32 vcc_lo, 1, v78
	s_cbranch_vccnz .LBB99_653
; %bb.652:
	scratch_load_b64 v[76:77], v59, off
	ds_load_b64 v[80:81], v1
	s_wait_loadcnt_dscnt 0x0
	v_pk_mul_f32 v[82:83], v[80:81], v[76:77] op_sel:[1,1] op_sel_hi:[0,1]
	s_delay_alu instid0(VALU_DEP_1) | instskip(SKIP_1) | instid1(VALU_DEP_2)
	v_pk_fma_f32 v[84:85], v[80:81], v[76:77], v[82:83] op_sel_hi:[1,0,1]
	v_pk_fma_f32 v[76:77], v[80:81], v[76:77], v[82:83] neg_lo:[0,0,1] neg_hi:[0,0,1]
	v_mov_b32_e32 v77, v85
	s_cbranch_execz .LBB99_654
	s_branch .LBB99_655
.LBB99_653:
                                        ; implicit-def: $vgpr76_vgpr77
.LBB99_654:
	ds_load_b64 v[76:77], v1
.LBB99_655:
	s_mov_b32 s2, exec_lo
	v_cmpx_ne_u32_e32 30, v0
	s_cbranch_execz .LBB99_659
; %bb.656:
	v_add_nc_u32_e32 v79, 0x128, v58
	v_add3_u32 v80, 0, v58, 8
	v_mov_b32_e32 v81, v0
	s_mov_b32 s3, 0
.LBB99_657:                             ; =>This Inner Loop Header: Depth=1
	scratch_load_b64 v[82:83], v80, off
	ds_load_b64 v[84:85], v79
	s_wait_xcnt 0x0
	v_dual_add_nc_u32 v79, 8, v79 :: v_dual_add_nc_u32 v80, 8, v80
	s_wait_loadcnt_dscnt 0x0
	v_pk_mul_f32 v[86:87], v[84:85], v[82:83] op_sel:[1,1] op_sel_hi:[0,1]
	s_delay_alu instid0(VALU_DEP_1) | instskip(SKIP_2) | instid1(VALU_DEP_3)
	v_pk_fma_f32 v[88:89], v[84:85], v[82:83], v[86:87] op_sel_hi:[1,0,1]
	v_add_nc_u32_e32 v81, 1, v81
	v_pk_fma_f32 v[82:83], v[84:85], v[82:83], v[86:87] neg_lo:[0,0,1] neg_hi:[0,0,1]
	v_mov_b32_e32 v83, v89
	s_delay_alu instid0(VALU_DEP_3) | instskip(NEXT) | instid1(VALU_DEP_2)
	v_cmp_lt_u32_e32 vcc_lo, 29, v81
	v_pk_add_f32 v[76:77], v[76:77], v[82:83]
	s_or_b32 s3, vcc_lo, s3
	s_delay_alu instid0(SALU_CYCLE_1)
	s_and_not1_b32 exec_lo, exec_lo, s3
	s_cbranch_execnz .LBB99_657
; %bb.658:
	s_or_b32 exec_lo, exec_lo, s3
.LBB99_659:
	s_delay_alu instid0(SALU_CYCLE_1) | instskip(SKIP_4) | instid1(VALU_DEP_1)
	s_or_b32 exec_lo, exec_lo, s2
	v_mov_b32_e32 v79, 0
	ds_load_b64 v[80:81], v79 offset:248
	s_wait_dscnt 0x0
	v_pk_mul_f32 v[82:83], v[76:77], v[80:81] op_sel:[1,1] op_sel_hi:[0,1]
	v_pk_fma_f32 v[84:85], v[76:77], v[80:81], v[82:83] op_sel_hi:[1,0,1]
	v_pk_fma_f32 v[76:77], v[76:77], v[80:81], v[82:83] neg_lo:[0,0,1] neg_hi:[0,0,1]
	s_delay_alu instid0(VALU_DEP_2)
	v_mov_b32_e32 v77, v85
	scratch_store_b64 off, v[76:77], off offset:248
.LBB99_660:
	s_wait_xcnt 0x0
	s_or_b32 exec_lo, exec_lo, s0
	scratch_load_b64 v[76:77], off, off offset:256
	s_mov_b32 s0, exec_lo
	s_wait_loadcnt 0x0
	ds_store_b64 v1, v[76:77]
	s_wait_storecnt_dscnt 0x0
	s_barrier_signal -1
	s_barrier_wait -1
	s_wait_xcnt 0x0
	v_cmpx_gt_u32_e32 32, v0
	s_cbranch_execz .LBB99_670
; %bb.661:
	v_cmp_ne_u32_e32 vcc_lo, 1, v78
	s_cbranch_vccnz .LBB99_663
; %bb.662:
	scratch_load_b64 v[76:77], v59, off
	ds_load_b64 v[80:81], v1
	s_wait_loadcnt_dscnt 0x0
	v_pk_mul_f32 v[82:83], v[80:81], v[76:77] op_sel:[1,1] op_sel_hi:[0,1]
	s_delay_alu instid0(VALU_DEP_1) | instskip(SKIP_1) | instid1(VALU_DEP_2)
	v_pk_fma_f32 v[84:85], v[80:81], v[76:77], v[82:83] op_sel_hi:[1,0,1]
	v_pk_fma_f32 v[76:77], v[80:81], v[76:77], v[82:83] neg_lo:[0,0,1] neg_hi:[0,0,1]
	v_mov_b32_e32 v77, v85
	s_cbranch_execz .LBB99_664
	s_branch .LBB99_665
.LBB99_663:
                                        ; implicit-def: $vgpr76_vgpr77
.LBB99_664:
	ds_load_b64 v[76:77], v1
.LBB99_665:
	s_mov_b32 s2, exec_lo
	v_cmpx_ne_u32_e32 31, v0
	s_cbranch_execz .LBB99_669
; %bb.666:
	v_add_nc_u32_e32 v79, 0x128, v58
	v_add3_u32 v80, 0, v58, 8
	v_mov_b32_e32 v81, v0
	s_mov_b32 s3, 0
.LBB99_667:                             ; =>This Inner Loop Header: Depth=1
	scratch_load_b64 v[82:83], v80, off
	ds_load_b64 v[84:85], v79
	s_wait_xcnt 0x0
	v_dual_add_nc_u32 v79, 8, v79 :: v_dual_add_nc_u32 v80, 8, v80
	s_wait_loadcnt_dscnt 0x0
	v_pk_mul_f32 v[86:87], v[84:85], v[82:83] op_sel:[1,1] op_sel_hi:[0,1]
	s_delay_alu instid0(VALU_DEP_1) | instskip(SKIP_2) | instid1(VALU_DEP_3)
	v_pk_fma_f32 v[88:89], v[84:85], v[82:83], v[86:87] op_sel_hi:[1,0,1]
	v_add_nc_u32_e32 v81, 1, v81
	v_pk_fma_f32 v[82:83], v[84:85], v[82:83], v[86:87] neg_lo:[0,0,1] neg_hi:[0,0,1]
	v_mov_b32_e32 v83, v89
	s_delay_alu instid0(VALU_DEP_3) | instskip(NEXT) | instid1(VALU_DEP_2)
	v_cmp_lt_u32_e32 vcc_lo, 30, v81
	v_pk_add_f32 v[76:77], v[76:77], v[82:83]
	s_or_b32 s3, vcc_lo, s3
	s_delay_alu instid0(SALU_CYCLE_1)
	s_and_not1_b32 exec_lo, exec_lo, s3
	s_cbranch_execnz .LBB99_667
; %bb.668:
	s_or_b32 exec_lo, exec_lo, s3
.LBB99_669:
	s_delay_alu instid0(SALU_CYCLE_1) | instskip(SKIP_4) | instid1(VALU_DEP_1)
	s_or_b32 exec_lo, exec_lo, s2
	v_mov_b32_e32 v79, 0
	ds_load_b64 v[80:81], v79 offset:256
	s_wait_dscnt 0x0
	v_pk_mul_f32 v[82:83], v[76:77], v[80:81] op_sel:[1,1] op_sel_hi:[0,1]
	v_pk_fma_f32 v[84:85], v[76:77], v[80:81], v[82:83] op_sel_hi:[1,0,1]
	v_pk_fma_f32 v[76:77], v[76:77], v[80:81], v[82:83] neg_lo:[0,0,1] neg_hi:[0,0,1]
	s_delay_alu instid0(VALU_DEP_2)
	v_mov_b32_e32 v77, v85
	scratch_store_b64 off, v[76:77], off offset:256
.LBB99_670:
	s_wait_xcnt 0x0
	s_or_b32 exec_lo, exec_lo, s0
	scratch_load_b64 v[76:77], off, off offset:264
	s_mov_b32 s0, exec_lo
	s_wait_loadcnt 0x0
	ds_store_b64 v1, v[76:77]
	s_wait_storecnt_dscnt 0x0
	s_barrier_signal -1
	s_barrier_wait -1
	s_wait_xcnt 0x0
	v_cmpx_gt_u32_e32 33, v0
	s_cbranch_execz .LBB99_680
; %bb.671:
	v_cmp_ne_u32_e32 vcc_lo, 1, v78
	s_cbranch_vccnz .LBB99_673
; %bb.672:
	scratch_load_b64 v[76:77], v59, off
	ds_load_b64 v[80:81], v1
	s_wait_loadcnt_dscnt 0x0
	v_pk_mul_f32 v[82:83], v[80:81], v[76:77] op_sel:[1,1] op_sel_hi:[0,1]
	s_delay_alu instid0(VALU_DEP_1) | instskip(SKIP_1) | instid1(VALU_DEP_2)
	v_pk_fma_f32 v[84:85], v[80:81], v[76:77], v[82:83] op_sel_hi:[1,0,1]
	v_pk_fma_f32 v[76:77], v[80:81], v[76:77], v[82:83] neg_lo:[0,0,1] neg_hi:[0,0,1]
	v_mov_b32_e32 v77, v85
	s_cbranch_execz .LBB99_674
	s_branch .LBB99_675
.LBB99_673:
                                        ; implicit-def: $vgpr76_vgpr77
.LBB99_674:
	ds_load_b64 v[76:77], v1
.LBB99_675:
	s_mov_b32 s2, exec_lo
	v_cmpx_ne_u32_e32 32, v0
	s_cbranch_execz .LBB99_679
; %bb.676:
	v_add_nc_u32_e32 v79, 0x128, v58
	v_add3_u32 v80, 0, v58, 8
	v_mov_b32_e32 v81, v0
	s_mov_b32 s3, 0
.LBB99_677:                             ; =>This Inner Loop Header: Depth=1
	scratch_load_b64 v[82:83], v80, off
	ds_load_b64 v[84:85], v79
	s_wait_xcnt 0x0
	v_dual_add_nc_u32 v79, 8, v79 :: v_dual_add_nc_u32 v80, 8, v80
	s_wait_loadcnt_dscnt 0x0
	v_pk_mul_f32 v[86:87], v[84:85], v[82:83] op_sel:[1,1] op_sel_hi:[0,1]
	s_delay_alu instid0(VALU_DEP_1) | instskip(SKIP_2) | instid1(VALU_DEP_3)
	v_pk_fma_f32 v[88:89], v[84:85], v[82:83], v[86:87] op_sel_hi:[1,0,1]
	v_add_nc_u32_e32 v81, 1, v81
	v_pk_fma_f32 v[82:83], v[84:85], v[82:83], v[86:87] neg_lo:[0,0,1] neg_hi:[0,0,1]
	v_mov_b32_e32 v83, v89
	s_delay_alu instid0(VALU_DEP_3) | instskip(NEXT) | instid1(VALU_DEP_2)
	v_cmp_lt_u32_e32 vcc_lo, 31, v81
	v_pk_add_f32 v[76:77], v[76:77], v[82:83]
	s_or_b32 s3, vcc_lo, s3
	s_delay_alu instid0(SALU_CYCLE_1)
	s_and_not1_b32 exec_lo, exec_lo, s3
	s_cbranch_execnz .LBB99_677
; %bb.678:
	s_or_b32 exec_lo, exec_lo, s3
.LBB99_679:
	s_delay_alu instid0(SALU_CYCLE_1) | instskip(SKIP_4) | instid1(VALU_DEP_1)
	s_or_b32 exec_lo, exec_lo, s2
	v_mov_b32_e32 v79, 0
	ds_load_b64 v[80:81], v79 offset:264
	s_wait_dscnt 0x0
	v_pk_mul_f32 v[82:83], v[76:77], v[80:81] op_sel:[1,1] op_sel_hi:[0,1]
	v_pk_fma_f32 v[84:85], v[76:77], v[80:81], v[82:83] op_sel_hi:[1,0,1]
	v_pk_fma_f32 v[76:77], v[76:77], v[80:81], v[82:83] neg_lo:[0,0,1] neg_hi:[0,0,1]
	s_delay_alu instid0(VALU_DEP_2)
	v_mov_b32_e32 v77, v85
	scratch_store_b64 off, v[76:77], off offset:264
.LBB99_680:
	s_wait_xcnt 0x0
	s_or_b32 exec_lo, exec_lo, s0
	scratch_load_b64 v[76:77], off, off offset:272
	v_cmp_gt_u32_e64 s0, 34, v0
	s_wait_loadcnt 0x0
	ds_store_b64 v1, v[76:77]
	s_wait_storecnt_dscnt 0x0
	s_barrier_signal -1
	s_barrier_wait -1
	s_wait_xcnt 0x0
	s_and_saveexec_b32 s2, s0
	s_cbranch_execz .LBB99_690
; %bb.681:
	v_cmp_ne_u32_e32 vcc_lo, 1, v78
	s_cbranch_vccnz .LBB99_683
; %bb.682:
	scratch_load_b64 v[76:77], v59, off
	ds_load_b64 v[80:81], v1
	s_wait_loadcnt_dscnt 0x0
	v_pk_mul_f32 v[82:83], v[80:81], v[76:77] op_sel:[1,1] op_sel_hi:[0,1]
	s_delay_alu instid0(VALU_DEP_1) | instskip(SKIP_1) | instid1(VALU_DEP_2)
	v_pk_fma_f32 v[84:85], v[80:81], v[76:77], v[82:83] op_sel_hi:[1,0,1]
	v_pk_fma_f32 v[76:77], v[80:81], v[76:77], v[82:83] neg_lo:[0,0,1] neg_hi:[0,0,1]
	v_mov_b32_e32 v77, v85
	s_cbranch_execz .LBB99_684
	s_branch .LBB99_685
.LBB99_683:
                                        ; implicit-def: $vgpr76_vgpr77
.LBB99_684:
	ds_load_b64 v[76:77], v1
.LBB99_685:
	s_mov_b32 s3, exec_lo
	v_cmpx_ne_u32_e32 33, v0
	s_cbranch_execz .LBB99_689
; %bb.686:
	v_add_nc_u32_e32 v79, 0x128, v58
	v_add3_u32 v80, 0, v58, 8
	v_mov_b32_e32 v81, v0
	s_mov_b32 s4, 0
.LBB99_687:                             ; =>This Inner Loop Header: Depth=1
	scratch_load_b64 v[82:83], v80, off
	ds_load_b64 v[84:85], v79
	s_wait_xcnt 0x0
	v_dual_add_nc_u32 v79, 8, v79 :: v_dual_add_nc_u32 v80, 8, v80
	s_wait_loadcnt_dscnt 0x0
	v_pk_mul_f32 v[86:87], v[84:85], v[82:83] op_sel:[1,1] op_sel_hi:[0,1]
	s_delay_alu instid0(VALU_DEP_1) | instskip(SKIP_2) | instid1(VALU_DEP_3)
	v_pk_fma_f32 v[88:89], v[84:85], v[82:83], v[86:87] op_sel_hi:[1,0,1]
	v_add_nc_u32_e32 v81, 1, v81
	v_pk_fma_f32 v[82:83], v[84:85], v[82:83], v[86:87] neg_lo:[0,0,1] neg_hi:[0,0,1]
	v_mov_b32_e32 v83, v89
	s_delay_alu instid0(VALU_DEP_3) | instskip(NEXT) | instid1(VALU_DEP_2)
	v_cmp_lt_u32_e32 vcc_lo, 32, v81
	v_pk_add_f32 v[76:77], v[76:77], v[82:83]
	s_or_b32 s4, vcc_lo, s4
	s_delay_alu instid0(SALU_CYCLE_1)
	s_and_not1_b32 exec_lo, exec_lo, s4
	s_cbranch_execnz .LBB99_687
; %bb.688:
	s_or_b32 exec_lo, exec_lo, s4
.LBB99_689:
	s_delay_alu instid0(SALU_CYCLE_1) | instskip(SKIP_4) | instid1(VALU_DEP_1)
	s_or_b32 exec_lo, exec_lo, s3
	v_mov_b32_e32 v79, 0
	ds_load_b64 v[80:81], v79 offset:272
	s_wait_dscnt 0x0
	v_pk_mul_f32 v[82:83], v[76:77], v[80:81] op_sel:[1,1] op_sel_hi:[0,1]
	v_pk_fma_f32 v[84:85], v[76:77], v[80:81], v[82:83] op_sel_hi:[1,0,1]
	v_pk_fma_f32 v[76:77], v[76:77], v[80:81], v[82:83] neg_lo:[0,0,1] neg_hi:[0,0,1]
	s_delay_alu instid0(VALU_DEP_2)
	v_mov_b32_e32 v77, v85
	scratch_store_b64 off, v[76:77], off offset:272
.LBB99_690:
	s_wait_xcnt 0x0
	s_or_b32 exec_lo, exec_lo, s2
	scratch_load_b64 v[76:77], off, off offset:280
	s_mov_b32 s2, exec_lo
                                        ; implicit-def: $vgpr106
                                        ; implicit-def: $sgpr5
	s_wait_loadcnt 0x0
	ds_store_b64 v1, v[76:77]
	s_wait_storecnt_dscnt 0x0
	s_barrier_signal -1
	s_barrier_wait -1
	s_wait_xcnt 0x0
	v_cmpx_ne_u32_e32 35, v0
	s_cbranch_execz .LBB99_700
; %bb.691:
	v_cmp_ne_u32_e32 vcc_lo, 1, v78
	s_cbranch_vccnz .LBB99_693
; %bb.692:
	scratch_load_b64 v[78:79], v59, off
	ds_load_b64 v[80:81], v1
	s_wait_loadcnt_dscnt 0x0
	v_dual_mul_f32 v59, v81, v79 :: v_dual_mul_f32 v77, v80, v79
	s_delay_alu instid0(VALU_DEP_1)
	v_dual_fma_f32 v76, v80, v78, -v59 :: v_dual_fmac_f32 v77, v81, v78
	s_cbranch_execz .LBB99_694
	s_branch .LBB99_695
.LBB99_693:
                                        ; implicit-def: $vgpr77
.LBB99_694:
	ds_load_b64 v[76:77], v1
.LBB99_695:
	s_and_saveexec_b32 s3, s0
	s_cbranch_execz .LBB99_699
; %bb.696:
	v_add_nc_u32_e32 v1, 0x128, v58
	v_add3_u32 v58, 0, v58, 8
	s_mov_b32 s0, 0
.LBB99_697:                             ; =>This Inner Loop Header: Depth=1
	scratch_load_b64 v[78:79], v58, off
	ds_load_b64 v[80:81], v1
	s_wait_loadcnt_dscnt 0x0
	v_dual_add_nc_u32 v1, 8, v1 :: v_dual_mul_f32 v59, v81, v79
	v_dual_mul_f32 v79, v80, v79 :: v_dual_add_nc_u32 v0, 1, v0
	s_delay_alu instid0(VALU_DEP_2) | instskip(NEXT) | instid1(VALU_DEP_2)
	v_fma_f32 v59, v80, v78, -v59
	v_fmac_f32_e32 v79, v81, v78
	s_delay_alu instid0(VALU_DEP_3) | instskip(NEXT) | instid1(VALU_DEP_3)
	v_cmp_lt_u32_e32 vcc_lo, 33, v0
	v_dual_add_nc_u32 v58, 8, v58 :: v_dual_add_f32 v76, v76, v59
	s_delay_alu instid0(VALU_DEP_3) | instskip(SKIP_1) | instid1(SALU_CYCLE_1)
	v_add_f32_e32 v77, v77, v79
	s_or_b32 s0, vcc_lo, s0
	s_and_not1_b32 exec_lo, exec_lo, s0
	s_cbranch_execnz .LBB99_697
; %bb.698:
	s_or_b32 exec_lo, exec_lo, s0
.LBB99_699:
	s_delay_alu instid0(SALU_CYCLE_1)
	s_or_b32 exec_lo, exec_lo, s3
	v_mov_b32_e32 v0, 0
	s_movk_i32 s5, 0x11c
	s_or_b32 s1, s1, exec_lo
	ds_load_b64 v[0:1], v0 offset:280
	s_wait_dscnt 0x0
	v_dual_mul_f32 v58, v77, v1 :: v_dual_mul_f32 v106, v76, v1
	s_delay_alu instid0(VALU_DEP_1) | instskip(NEXT) | instid1(VALU_DEP_2)
	v_fma_f32 v1, v76, v0, -v58
	v_fmac_f32_e32 v106, v77, v0
	scratch_store_b32 off, v1, off offset:280
.LBB99_700:
	s_wait_xcnt 0x0
	s_or_b32 exec_lo, exec_lo, s2
.LBB99_701:
	v_lshl_add_u64 v[104:105], v[6:7], 3, s[6:7]
	v_lshl_add_u64 v[102:103], v[8:9], 3, s[6:7]
	;; [unrolled: 1-line block ×34, first 2 shown]
	s_and_saveexec_b32 s0, s1
	s_cbranch_execz .LBB99_703
; %bb.702:
	scratch_store_b32 off, v106, s5
.LBB99_703:
	s_wait_xcnt 0x0
	s_or_b32 exec_lo, exec_lo, s0
	scratch_load_b64 v[40:41], off, off
	s_wait_loadcnt 0x0
	flat_store_b64 v[2:3], v[40:41]
	scratch_load_b64 v[2:3], off, off offset:8
	s_wait_loadcnt 0x0
	flat_store_b64 v[4:5], v[2:3]
	scratch_load_b64 v[2:3], off, off offset:16
	;; [unrolled: 3-line block ×35, first 2 shown]
	s_wait_loadcnt 0x0
	flat_store_b64 v[0:1], v[2:3]
.LBB99_704:
	s_sendmsg sendmsg(MSG_DEALLOC_VGPRS)
	s_endpgm
	.section	.rodata,"a",@progbits
	.p2align	6, 0x0
	.amdhsa_kernel _ZN9rocsolver6v33100L18trti2_kernel_smallILi36E19rocblas_complex_numIfEPKPS3_EEv13rocblas_fill_17rocblas_diagonal_T1_iil
		.amdhsa_group_segment_fixed_size 576
		.amdhsa_private_segment_fixed_size 304
		.amdhsa_kernarg_size 32
		.amdhsa_user_sgpr_count 2
		.amdhsa_user_sgpr_dispatch_ptr 0
		.amdhsa_user_sgpr_queue_ptr 0
		.amdhsa_user_sgpr_kernarg_segment_ptr 1
		.amdhsa_user_sgpr_dispatch_id 0
		.amdhsa_user_sgpr_kernarg_preload_length 0
		.amdhsa_user_sgpr_kernarg_preload_offset 0
		.amdhsa_user_sgpr_private_segment_size 0
		.amdhsa_wavefront_size32 1
		.amdhsa_uses_dynamic_stack 0
		.amdhsa_enable_private_segment 1
		.amdhsa_system_sgpr_workgroup_id_x 1
		.amdhsa_system_sgpr_workgroup_id_y 0
		.amdhsa_system_sgpr_workgroup_id_z 0
		.amdhsa_system_sgpr_workgroup_info 0
		.amdhsa_system_vgpr_workitem_id 0
		.amdhsa_next_free_vgpr 107
		.amdhsa_next_free_sgpr 42
		.amdhsa_named_barrier_count 0
		.amdhsa_reserve_vcc 1
		.amdhsa_float_round_mode_32 0
		.amdhsa_float_round_mode_16_64 0
		.amdhsa_float_denorm_mode_32 3
		.amdhsa_float_denorm_mode_16_64 3
		.amdhsa_fp16_overflow 0
		.amdhsa_memory_ordered 1
		.amdhsa_forward_progress 1
		.amdhsa_inst_pref_size 217
		.amdhsa_round_robin_scheduling 0
		.amdhsa_exception_fp_ieee_invalid_op 0
		.amdhsa_exception_fp_denorm_src 0
		.amdhsa_exception_fp_ieee_div_zero 0
		.amdhsa_exception_fp_ieee_overflow 0
		.amdhsa_exception_fp_ieee_underflow 0
		.amdhsa_exception_fp_ieee_inexact 0
		.amdhsa_exception_int_div_zero 0
	.end_amdhsa_kernel
	.section	.text._ZN9rocsolver6v33100L18trti2_kernel_smallILi36E19rocblas_complex_numIfEPKPS3_EEv13rocblas_fill_17rocblas_diagonal_T1_iil,"axG",@progbits,_ZN9rocsolver6v33100L18trti2_kernel_smallILi36E19rocblas_complex_numIfEPKPS3_EEv13rocblas_fill_17rocblas_diagonal_T1_iil,comdat
.Lfunc_end99:
	.size	_ZN9rocsolver6v33100L18trti2_kernel_smallILi36E19rocblas_complex_numIfEPKPS3_EEv13rocblas_fill_17rocblas_diagonal_T1_iil, .Lfunc_end99-_ZN9rocsolver6v33100L18trti2_kernel_smallILi36E19rocblas_complex_numIfEPKPS3_EEv13rocblas_fill_17rocblas_diagonal_T1_iil
                                        ; -- End function
	.set _ZN9rocsolver6v33100L18trti2_kernel_smallILi36E19rocblas_complex_numIfEPKPS3_EEv13rocblas_fill_17rocblas_diagonal_T1_iil.num_vgpr, 107
	.set _ZN9rocsolver6v33100L18trti2_kernel_smallILi36E19rocblas_complex_numIfEPKPS3_EEv13rocblas_fill_17rocblas_diagonal_T1_iil.num_agpr, 0
	.set _ZN9rocsolver6v33100L18trti2_kernel_smallILi36E19rocblas_complex_numIfEPKPS3_EEv13rocblas_fill_17rocblas_diagonal_T1_iil.numbered_sgpr, 42
	.set _ZN9rocsolver6v33100L18trti2_kernel_smallILi36E19rocblas_complex_numIfEPKPS3_EEv13rocblas_fill_17rocblas_diagonal_T1_iil.num_named_barrier, 0
	.set _ZN9rocsolver6v33100L18trti2_kernel_smallILi36E19rocblas_complex_numIfEPKPS3_EEv13rocblas_fill_17rocblas_diagonal_T1_iil.private_seg_size, 304
	.set _ZN9rocsolver6v33100L18trti2_kernel_smallILi36E19rocblas_complex_numIfEPKPS3_EEv13rocblas_fill_17rocblas_diagonal_T1_iil.uses_vcc, 1
	.set _ZN9rocsolver6v33100L18trti2_kernel_smallILi36E19rocblas_complex_numIfEPKPS3_EEv13rocblas_fill_17rocblas_diagonal_T1_iil.uses_flat_scratch, 0
	.set _ZN9rocsolver6v33100L18trti2_kernel_smallILi36E19rocblas_complex_numIfEPKPS3_EEv13rocblas_fill_17rocblas_diagonal_T1_iil.has_dyn_sized_stack, 0
	.set _ZN9rocsolver6v33100L18trti2_kernel_smallILi36E19rocblas_complex_numIfEPKPS3_EEv13rocblas_fill_17rocblas_diagonal_T1_iil.has_recursion, 0
	.set _ZN9rocsolver6v33100L18trti2_kernel_smallILi36E19rocblas_complex_numIfEPKPS3_EEv13rocblas_fill_17rocblas_diagonal_T1_iil.has_indirect_call, 0
	.section	.AMDGPU.csdata,"",@progbits
; Kernel info:
; codeLenInByte = 27724
; TotalNumSgprs: 44
; NumVgprs: 107
; ScratchSize: 304
; MemoryBound: 0
; FloatMode: 240
; IeeeMode: 1
; LDSByteSize: 576 bytes/workgroup (compile time only)
; SGPRBlocks: 0
; VGPRBlocks: 6
; NumSGPRsForWavesPerEU: 44
; NumVGPRsForWavesPerEU: 107
; NamedBarCnt: 0
; Occupancy: 9
; WaveLimiterHint : 1
; COMPUTE_PGM_RSRC2:SCRATCH_EN: 1
; COMPUTE_PGM_RSRC2:USER_SGPR: 2
; COMPUTE_PGM_RSRC2:TRAP_HANDLER: 0
; COMPUTE_PGM_RSRC2:TGID_X_EN: 1
; COMPUTE_PGM_RSRC2:TGID_Y_EN: 0
; COMPUTE_PGM_RSRC2:TGID_Z_EN: 0
; COMPUTE_PGM_RSRC2:TIDIG_COMP_CNT: 0
	.section	.text._ZN9rocsolver6v33100L18trti2_kernel_smallILi37E19rocblas_complex_numIfEPKPS3_EEv13rocblas_fill_17rocblas_diagonal_T1_iil,"axG",@progbits,_ZN9rocsolver6v33100L18trti2_kernel_smallILi37E19rocblas_complex_numIfEPKPS3_EEv13rocblas_fill_17rocblas_diagonal_T1_iil,comdat
	.globl	_ZN9rocsolver6v33100L18trti2_kernel_smallILi37E19rocblas_complex_numIfEPKPS3_EEv13rocblas_fill_17rocblas_diagonal_T1_iil ; -- Begin function _ZN9rocsolver6v33100L18trti2_kernel_smallILi37E19rocblas_complex_numIfEPKPS3_EEv13rocblas_fill_17rocblas_diagonal_T1_iil
	.p2align	8
	.type	_ZN9rocsolver6v33100L18trti2_kernel_smallILi37E19rocblas_complex_numIfEPKPS3_EEv13rocblas_fill_17rocblas_diagonal_T1_iil,@function
_ZN9rocsolver6v33100L18trti2_kernel_smallILi37E19rocblas_complex_numIfEPKPS3_EEv13rocblas_fill_17rocblas_diagonal_T1_iil: ; @_ZN9rocsolver6v33100L18trti2_kernel_smallILi37E19rocblas_complex_numIfEPKPS3_EEv13rocblas_fill_17rocblas_diagonal_T1_iil
; %bb.0:
	s_mov_b32 s2, exec_lo
	v_cmpx_gt_u32_e32 37, v0
	s_cbranch_execz .LBB100_724
; %bb.1:
	s_clause 0x1
	s_load_b64 s[8:9], s[0:1], 0x10
	s_load_b128 s[4:7], s[0:1], 0x0
	s_wait_xcnt 0x0
	s_bfe_u32 s0, ttmp6, 0x4000c
	s_and_b32 s1, ttmp6, 15
	s_add_co_i32 s0, s0, 1
	s_getreg_b32 s2, hwreg(HW_REG_IB_STS2, 6, 4)
	s_mul_i32 s0, ttmp9, s0
	v_dual_mov_b32 v59, 0 :: v_dual_lshlrev_b32 v58, 3, v0
	s_add_co_i32 s0, s1, s0
	s_wait_kmcnt 0x0
	s_ashr_i32 s1, s8, 31
	s_cmp_eq_u32 s2, 0
	s_cselect_b32 s2, ttmp9, s0
	s_mov_b32 s0, s8
	s_ashr_i32 s3, s2, 31
	s_lshl_b64 s[0:1], s[0:1], 3
	s_lshl_b64 s[2:3], s[2:3], 3
	s_delay_alu instid0(SALU_CYCLE_1)
	s_add_nc_u64 s[2:3], s[6:7], s[2:3]
	s_load_b64 s[2:3], s[2:3], 0x0
	s_wait_kmcnt 0x0
	s_add_nc_u64 s[2:3], s[2:3], s[0:1]
	s_mov_b32 s0, s9
	flat_load_b64 v[6:7], v0, s[2:3] scale_offset
	v_add_nc_u64_e32 v[2:3], s[2:3], v[58:59]
	s_ashr_i32 s1, s9, 31
	s_cmp_lg_u32 s5, 0x84
	s_cselect_b32 s5, -1, 0
	s_delay_alu instid0(SALU_CYCLE_1) | instskip(NEXT) | instid1(VALU_DEP_1)
	s_and_b32 vcc_lo, exec_lo, s5
	v_lshl_add_u64 v[4:5], s[0:1], 3, v[2:3]
	s_mov_b32 s0, -1
	s_wait_loadcnt_dscnt 0x0
	scratch_store_b64 off, v[6:7], off
	flat_load_b64 v[8:9], v[4:5]
	s_wait_xcnt 0x1
	v_add3_u32 v6, s9, s9, v0
	s_wait_loadcnt_dscnt 0x0
	scratch_store_b64 off, v[8:9], off offset:8
	flat_load_b64 v[10:11], v6, s[2:3] scale_offset
	s_wait_xcnt 0x1
	v_add_nc_u32_e32 v8, s9, v6
	s_wait_loadcnt_dscnt 0x0
	scratch_store_b64 off, v[10:11], off offset:16
	flat_load_b64 v[12:13], v8, s[2:3] scale_offset
	s_wait_xcnt 0x1
	v_add_nc_u32_e32 v10, s9, v8
	;; [unrolled: 5-line block ×34, first 2 shown]
	s_wait_loadcnt_dscnt 0x0
	scratch_store_b64 off, v[78:79], off offset:280
	flat_load_b64 v[78:79], v76, s[2:3] scale_offset
	s_wait_loadcnt_dscnt 0x0
	scratch_store_b64 off, v[78:79], off offset:288
	s_cbranch_vccz .LBB100_7
; %bb.2:
	scratch_load_b64 v[78:79], v0, off scale_offset
                                        ; implicit-def: $vgpr83
                                        ; implicit-def: $vgpr80
	s_wait_loadcnt 0x0
	v_cmp_ngt_f32_e64 s0, |v78|, |v79|
	s_wait_xcnt 0x0
	s_and_saveexec_b32 s1, s0
	s_delay_alu instid0(SALU_CYCLE_1)
	s_xor_b32 s0, exec_lo, s1
	s_cbranch_execz .LBB100_4
; %bb.3:
	v_div_scale_f32 v1, null, v79, v79, v78
	v_div_scale_f32 v11, vcc_lo, v78, v79, v78
	s_delay_alu instid0(VALU_DEP_2) | instskip(SKIP_1) | instid1(TRANS32_DEP_1)
	v_rcp_f32_e32 v7, v1
	v_nop
	v_fma_f32 v9, -v1, v7, 1.0
	s_delay_alu instid0(VALU_DEP_1) | instskip(NEXT) | instid1(VALU_DEP_1)
	v_fmac_f32_e32 v7, v9, v7
	v_mul_f32_e32 v9, v11, v7
	s_delay_alu instid0(VALU_DEP_1) | instskip(NEXT) | instid1(VALU_DEP_1)
	v_fma_f32 v13, -v1, v9, v11
	v_fmac_f32_e32 v9, v13, v7
	s_delay_alu instid0(VALU_DEP_1) | instskip(NEXT) | instid1(VALU_DEP_1)
	v_fma_f32 v1, -v1, v9, v11
	v_div_fmas_f32 v1, v1, v7, v9
	s_delay_alu instid0(VALU_DEP_1) | instskip(NEXT) | instid1(VALU_DEP_1)
	v_div_fixup_f32 v1, v1, v79, v78
	v_fmac_f32_e32 v79, v78, v1
	s_delay_alu instid0(VALU_DEP_1) | instskip(NEXT) | instid1(VALU_DEP_1)
	v_div_scale_f32 v7, null, v79, v79, -1.0
	v_rcp_f32_e32 v9, v7
	v_nop
	s_delay_alu instid0(TRANS32_DEP_1) | instskip(NEXT) | instid1(VALU_DEP_1)
	v_fma_f32 v11, -v7, v9, 1.0
	v_fmac_f32_e32 v9, v11, v9
	v_div_scale_f32 v11, vcc_lo, -1.0, v79, -1.0
	s_delay_alu instid0(VALU_DEP_1) | instskip(NEXT) | instid1(VALU_DEP_1)
	v_mul_f32_e32 v13, v11, v9
	v_fma_f32 v15, -v7, v13, v11
	s_delay_alu instid0(VALU_DEP_1) | instskip(NEXT) | instid1(VALU_DEP_1)
	v_fmac_f32_e32 v13, v15, v9
	v_fma_f32 v7, -v7, v13, v11
	s_delay_alu instid0(VALU_DEP_1) | instskip(NEXT) | instid1(VALU_DEP_1)
	v_div_fmas_f32 v7, v7, v9, v13
	v_div_fixup_f32 v83, v7, v79, -1.0
                                        ; implicit-def: $vgpr78_vgpr79
	s_delay_alu instid0(VALU_DEP_1) | instskip(NEXT) | instid1(VALU_DEP_1)
	v_mul_f32_e32 v80, v1, v83
	v_xor_b32_e32 v82, 0x80000000, v80
.LBB100_4:
	s_or_saveexec_b32 s0, s0
	v_lshl_add_u32 v1, v0, 3, 0
	s_xor_b32 exec_lo, exec_lo, s0
	s_cbranch_execz .LBB100_6
; %bb.5:
	v_div_scale_f32 v7, null, v78, v78, v79
	v_div_scale_f32 v13, vcc_lo, v79, v78, v79
	s_delay_alu instid0(VALU_DEP_2) | instskip(SKIP_1) | instid1(TRANS32_DEP_1)
	v_rcp_f32_e32 v9, v7
	v_nop
	v_fma_f32 v11, -v7, v9, 1.0
	s_delay_alu instid0(VALU_DEP_1) | instskip(NEXT) | instid1(VALU_DEP_1)
	v_fmac_f32_e32 v9, v11, v9
	v_mul_f32_e32 v11, v13, v9
	s_delay_alu instid0(VALU_DEP_1) | instskip(NEXT) | instid1(VALU_DEP_1)
	v_fma_f32 v15, -v7, v11, v13
	v_fmac_f32_e32 v11, v15, v9
	s_delay_alu instid0(VALU_DEP_1) | instskip(NEXT) | instid1(VALU_DEP_1)
	v_fma_f32 v7, -v7, v11, v13
	v_div_fmas_f32 v7, v7, v9, v11
	s_delay_alu instid0(VALU_DEP_1) | instskip(NEXT) | instid1(VALU_DEP_1)
	v_div_fixup_f32 v7, v7, v78, v79
	v_fmac_f32_e32 v78, v79, v7
	s_delay_alu instid0(VALU_DEP_1) | instskip(SKIP_1) | instid1(VALU_DEP_2)
	v_div_scale_f32 v9, null, v78, v78, 1.0
	v_div_scale_f32 v15, vcc_lo, 1.0, v78, 1.0
	v_rcp_f32_e32 v11, v9
	v_nop
	s_delay_alu instid0(TRANS32_DEP_1) | instskip(NEXT) | instid1(VALU_DEP_1)
	v_fma_f32 v13, -v9, v11, 1.0
	v_fmac_f32_e32 v11, v13, v11
	s_delay_alu instid0(VALU_DEP_1) | instskip(NEXT) | instid1(VALU_DEP_1)
	v_mul_f32_e32 v13, v15, v11
	v_fma_f32 v17, -v9, v13, v15
	s_delay_alu instid0(VALU_DEP_1) | instskip(NEXT) | instid1(VALU_DEP_1)
	v_fmac_f32_e32 v13, v17, v11
	v_fma_f32 v9, -v9, v13, v15
	s_delay_alu instid0(VALU_DEP_1) | instskip(NEXT) | instid1(VALU_DEP_1)
	v_div_fmas_f32 v9, v9, v11, v13
	v_div_fixup_f32 v82, v9, v78, 1.0
	s_delay_alu instid0(VALU_DEP_1)
	v_xor_b32_e32 v80, 0x80000000, v82
	v_mul_f32_e64 v83, v7, -v82
.LBB100_6:
	s_or_b32 exec_lo, exec_lo, s0
	s_delay_alu instid0(VALU_DEP_1)
	v_xor_b32_e32 v81, 0x80000000, v83
	s_mov_b32 s0, 0
	scratch_store_b64 v1, v[82:83], off
	ds_store_b64 v58, v[80:81]
.LBB100_7:
	s_and_b32 vcc_lo, exec_lo, s0
	s_cbranch_vccz .LBB100_9
; %bb.8:
	s_mov_b64 s[0:1], 0xbf800000
	s_wait_xcnt 0x0
	v_mov_b64_e32 v[78:79], s[0:1]
	ds_store_b64 v58, v[78:79]
.LBB100_9:
	v_dual_ashrrev_i32 v7, 31, v6 :: v_dual_ashrrev_i32 v9, 31, v8
	v_dual_ashrrev_i32 v11, 31, v10 :: v_dual_ashrrev_i32 v13, 31, v12
	;; [unrolled: 1-line block ×17, first 2 shown]
	v_dual_ashrrev_i32 v77, 31, v76 :: v_dual_mov_b32 v59, v58
	s_wait_xcnt 0x0
	v_add_nc_u32_e32 v1, 0x130, v58
	s_cmp_eq_u32 s4, 0x79
	s_cbranch_scc1 .LBB100_13
; %bb.10:
	scratch_load_b64 v[78:79], off, off offset:280
	v_cmp_eq_u32_e64 s0, 36, v0
	s_movk_i32 s1, 0x48
	s_movk_i32 s14, 0x50
	s_movk_i32 s15, 0x58
	s_movk_i32 s16, 0x60
	s_movk_i32 s17, 0x68
	s_movk_i32 s18, 0x70
	s_movk_i32 s19, 0x78
	s_movk_i32 s20, 0x80
	s_movk_i32 s21, 0x88
	s_movk_i32 s22, 0x90
	s_movk_i32 s23, 0x98
	s_movk_i32 s24, 0xa0
	s_movk_i32 s25, 0xa8
	s_movk_i32 s26, 0xb0
	s_movk_i32 s27, 0xb8
	s_movk_i32 s28, 0xc0
	s_movk_i32 s29, 0xc8
	s_movk_i32 s30, 0xd0
	s_movk_i32 s31, 0xd8
	s_movk_i32 s33, 0xe0
	s_movk_i32 s34, 0xe8
	s_movk_i32 s35, 0xf0
	s_movk_i32 s36, 0xf8
	s_movk_i32 s37, 0x100
	s_movk_i32 s38, 0x108
	s_movk_i32 s39, 0x110
	s_wait_loadcnt 0x0
	ds_store_b64 v1, v[78:79]
	s_wait_storecnt_dscnt 0x0
	s_barrier_signal -1
	s_barrier_wait -1
	s_wait_xcnt 0x0
	s_and_saveexec_b32 s4, s0
	s_cbranch_execz .LBB100_17
; %bb.11:
	s_and_b32 vcc_lo, exec_lo, s5
	s_cbranch_vccz .LBB100_14
; %bb.12:
	scratch_load_b64 v[78:79], v59, off
	ds_load_b64 v[80:81], v1
	s_wait_loadcnt_dscnt 0x0
	v_pk_mul_f32 v[82:83], v[80:81], v[78:79] op_sel:[1,1] op_sel_hi:[0,1]
	v_pk_mul_f32 v[84:85], v[80:81], v[78:79] op_sel_hi:[1,0]
	s_delay_alu instid0(VALU_DEP_2) | instskip(NEXT) | instid1(VALU_DEP_2)
	v_pk_fma_f32 v[78:79], v[80:81], v[78:79], v[82:83] op_sel_hi:[1,0,1]
	v_sub_f32_e32 v78, v84, v82
	s_cbranch_execz .LBB100_15
	s_branch .LBB100_16
.LBB100_13:
	s_mov_b32 s1, 0
                                        ; implicit-def: $vgpr110
                                        ; implicit-def: $sgpr7
	s_cbranch_execnz .LBB100_366
	s_branch .LBB100_721
.LBB100_14:
                                        ; implicit-def: $vgpr79
.LBB100_15:
	ds_load_b64 v[78:79], v1
.LBB100_16:
	s_wait_dscnt 0x0
	v_dual_mov_b32 v80, 0 :: v_dual_mov_b32 v82, v79
	v_mov_b32_e32 v83, v78
	ds_load_b64 v[80:81], v80 offset:280
	s_wait_dscnt 0x0
	v_pk_mul_f32 v[82:83], v[82:83], v[80:81] op_sel:[0,1]
	s_delay_alu instid0(VALU_DEP_1) | instskip(SKIP_1) | instid1(VALU_DEP_2)
	v_pk_fma_f32 v[84:85], v[78:79], v[80:81], v[82:83] op_sel_hi:[1,0,1]
	v_pk_fma_f32 v[78:79], v[78:79], v[80:81], v[82:83] neg_lo:[0,0,1] neg_hi:[0,0,1]
	v_mov_b32_e32 v79, v85
	scratch_store_b64 off, v[78:79], off offset:280
.LBB100_17:
	s_wait_xcnt 0x0
	s_or_b32 exec_lo, exec_lo, s4
	scratch_load_b64 v[78:79], off, off offset:272
	s_mov_b32 s13, s1
	v_cmp_lt_u32_e64 s1, 34, v0
	s_or_b32 s4, 0, 8
	s_mov_b32 s6, 16
	s_mov_b32 s7, 24
	;; [unrolled: 1-line block ×7, first 2 shown]
	s_wait_loadcnt 0x0
	ds_store_b64 v1, v[78:79]
	s_wait_storecnt_dscnt 0x0
	s_barrier_signal -1
	s_barrier_wait -1
	s_wait_xcnt 0x0
	s_and_saveexec_b32 s40, s1
	s_cbranch_execz .LBB100_25
; %bb.18:
	s_and_not1_b32 vcc_lo, exec_lo, s5
	s_cbranch_vccnz .LBB100_20
; %bb.19:
	scratch_load_b64 v[78:79], v59, off
	ds_load_b64 v[80:81], v1
	s_wait_loadcnt_dscnt 0x0
	v_pk_mul_f32 v[82:83], v[80:81], v[78:79] op_sel:[1,1] op_sel_hi:[0,1]
	s_delay_alu instid0(VALU_DEP_1) | instskip(SKIP_1) | instid1(VALU_DEP_2)
	v_pk_fma_f32 v[84:85], v[80:81], v[78:79], v[82:83] op_sel_hi:[1,0,1]
	v_pk_fma_f32 v[78:79], v[80:81], v[78:79], v[82:83] neg_lo:[0,0,1] neg_hi:[0,0,1]
	v_mov_b32_e32 v79, v85
	s_cbranch_execz .LBB100_21
	s_branch .LBB100_22
.LBB100_20:
                                        ; implicit-def: $vgpr78_vgpr79
.LBB100_21:
	ds_load_b64 v[78:79], v1
.LBB100_22:
	s_and_saveexec_b32 s41, s0
	s_cbranch_execz .LBB100_24
; %bb.23:
	scratch_load_b64 v[80:81], off, off offset:280
	v_mov_b32_e32 v82, 0
	ds_load_b64 v[82:83], v82 offset:584
	s_wait_loadcnt_dscnt 0x0
	v_pk_mul_f32 v[84:85], v[82:83], v[80:81] op_sel:[1,1] op_sel_hi:[0,1]
	s_delay_alu instid0(VALU_DEP_1) | instskip(SKIP_1) | instid1(VALU_DEP_2)
	v_pk_fma_f32 v[86:87], v[82:83], v[80:81], v[84:85] op_sel_hi:[1,0,1]
	v_pk_fma_f32 v[80:81], v[82:83], v[80:81], v[84:85] neg_lo:[0,0,1] neg_hi:[0,0,1]
	v_mov_b32_e32 v81, v87
	s_delay_alu instid0(VALU_DEP_1)
	v_pk_add_f32 v[78:79], v[78:79], v[80:81]
.LBB100_24:
	s_or_b32 exec_lo, exec_lo, s41
	v_mov_b32_e32 v80, 0
	ds_load_b64 v[80:81], v80 offset:272
	s_wait_dscnt 0x0
	v_pk_mul_f32 v[82:83], v[78:79], v[80:81] op_sel:[1,1] op_sel_hi:[0,1]
	s_delay_alu instid0(VALU_DEP_1) | instskip(SKIP_1) | instid1(VALU_DEP_2)
	v_pk_fma_f32 v[84:85], v[78:79], v[80:81], v[82:83] op_sel_hi:[1,0,1]
	v_pk_fma_f32 v[78:79], v[78:79], v[80:81], v[82:83] neg_lo:[0,0,1] neg_hi:[0,0,1]
	v_mov_b32_e32 v79, v85
	scratch_store_b64 off, v[78:79], off offset:272
.LBB100_25:
	s_wait_xcnt 0x0
	s_or_b32 exec_lo, exec_lo, s40
	scratch_load_b64 v[78:79], off, off offset:264
	v_cmp_lt_u32_e64 s0, 33, v0
	s_wait_loadcnt 0x0
	ds_store_b64 v1, v[78:79]
	s_wait_storecnt_dscnt 0x0
	s_barrier_signal -1
	s_barrier_wait -1
	s_wait_xcnt 0x0
	s_and_saveexec_b32 s40, s0
	s_cbranch_execz .LBB100_35
; %bb.26:
	s_and_not1_b32 vcc_lo, exec_lo, s5
	s_cbranch_vccnz .LBB100_28
; %bb.27:
	scratch_load_b64 v[78:79], v59, off
	ds_load_b64 v[80:81], v1
	s_wait_loadcnt_dscnt 0x0
	v_pk_mul_f32 v[82:83], v[80:81], v[78:79] op_sel:[1,1] op_sel_hi:[0,1]
	s_delay_alu instid0(VALU_DEP_1) | instskip(SKIP_1) | instid1(VALU_DEP_2)
	v_pk_fma_f32 v[84:85], v[80:81], v[78:79], v[82:83] op_sel_hi:[1,0,1]
	v_pk_fma_f32 v[78:79], v[80:81], v[78:79], v[82:83] neg_lo:[0,0,1] neg_hi:[0,0,1]
	v_mov_b32_e32 v79, v85
	s_cbranch_execz .LBB100_29
	s_branch .LBB100_30
.LBB100_28:
                                        ; implicit-def: $vgpr78_vgpr79
.LBB100_29:
	ds_load_b64 v[78:79], v1
.LBB100_30:
	s_and_saveexec_b32 s41, s1
	s_cbranch_execz .LBB100_34
; %bb.31:
	v_subrev_nc_u32_e32 v80, 34, v0
	s_movk_i32 s42, 0x240
	s_mov_b32 s1, 0
.LBB100_32:                             ; =>This Inner Loop Header: Depth=1
	scratch_load_b64 v[82:83], off, s39
	v_dual_mov_b32 v81, s42 :: v_dual_add_nc_u32 v80, -1, v80
	s_add_co_i32 s42, s42, 8
	s_wait_xcnt 0x0
	s_add_co_i32 s39, s39, 8
	ds_load_b64 v[84:85], v81
	v_cmp_eq_u32_e32 vcc_lo, 0, v80
	s_or_b32 s1, vcc_lo, s1
	s_wait_loadcnt_dscnt 0x0
	v_pk_mul_f32 v[86:87], v[84:85], v[82:83] op_sel:[1,1] op_sel_hi:[0,1]
	s_delay_alu instid0(VALU_DEP_1) | instskip(SKIP_1) | instid1(VALU_DEP_2)
	v_pk_fma_f32 v[88:89], v[84:85], v[82:83], v[86:87] op_sel_hi:[1,0,1]
	v_pk_fma_f32 v[82:83], v[84:85], v[82:83], v[86:87] neg_lo:[0,0,1] neg_hi:[0,0,1]
	v_mov_b32_e32 v83, v89
	s_delay_alu instid0(VALU_DEP_1)
	v_pk_add_f32 v[78:79], v[78:79], v[82:83]
	s_and_not1_b32 exec_lo, exec_lo, s1
	s_cbranch_execnz .LBB100_32
; %bb.33:
	s_or_b32 exec_lo, exec_lo, s1
.LBB100_34:
	s_delay_alu instid0(SALU_CYCLE_1) | instskip(SKIP_4) | instid1(VALU_DEP_1)
	s_or_b32 exec_lo, exec_lo, s41
	v_mov_b32_e32 v80, 0
	ds_load_b64 v[80:81], v80 offset:264
	s_wait_dscnt 0x0
	v_pk_mul_f32 v[82:83], v[78:79], v[80:81] op_sel:[1,1] op_sel_hi:[0,1]
	v_pk_fma_f32 v[84:85], v[78:79], v[80:81], v[82:83] op_sel_hi:[1,0,1]
	v_pk_fma_f32 v[78:79], v[78:79], v[80:81], v[82:83] neg_lo:[0,0,1] neg_hi:[0,0,1]
	s_delay_alu instid0(VALU_DEP_2)
	v_mov_b32_e32 v79, v85
	scratch_store_b64 off, v[78:79], off offset:264
.LBB100_35:
	s_wait_xcnt 0x0
	s_or_b32 exec_lo, exec_lo, s40
	scratch_load_b64 v[78:79], off, off offset:256
	v_cmp_lt_u32_e64 s1, 32, v0
	s_wait_loadcnt 0x0
	ds_store_b64 v1, v[78:79]
	s_wait_storecnt_dscnt 0x0
	s_barrier_signal -1
	s_barrier_wait -1
	s_wait_xcnt 0x0
	s_and_saveexec_b32 s39, s1
	s_cbranch_execz .LBB100_45
; %bb.36:
	s_and_not1_b32 vcc_lo, exec_lo, s5
	s_cbranch_vccnz .LBB100_38
; %bb.37:
	scratch_load_b64 v[78:79], v59, off
	ds_load_b64 v[80:81], v1
	s_wait_loadcnt_dscnt 0x0
	v_pk_mul_f32 v[82:83], v[80:81], v[78:79] op_sel:[1,1] op_sel_hi:[0,1]
	s_delay_alu instid0(VALU_DEP_1) | instskip(SKIP_1) | instid1(VALU_DEP_2)
	v_pk_fma_f32 v[84:85], v[80:81], v[78:79], v[82:83] op_sel_hi:[1,0,1]
	v_pk_fma_f32 v[78:79], v[80:81], v[78:79], v[82:83] neg_lo:[0,0,1] neg_hi:[0,0,1]
	v_mov_b32_e32 v79, v85
	s_cbranch_execz .LBB100_39
	s_branch .LBB100_40
.LBB100_38:
                                        ; implicit-def: $vgpr78_vgpr79
.LBB100_39:
	ds_load_b64 v[78:79], v1
.LBB100_40:
	s_and_saveexec_b32 s40, s0
	s_cbranch_execz .LBB100_44
; %bb.41:
	v_subrev_nc_u32_e32 v80, 33, v0
	s_movk_i32 s41, 0x238
	s_mov_b32 s0, 0
.LBB100_42:                             ; =>This Inner Loop Header: Depth=1
	scratch_load_b64 v[82:83], off, s38
	v_dual_mov_b32 v81, s41 :: v_dual_add_nc_u32 v80, -1, v80
	s_add_co_i32 s41, s41, 8
	s_wait_xcnt 0x0
	s_add_co_i32 s38, s38, 8
	ds_load_b64 v[84:85], v81
	v_cmp_eq_u32_e32 vcc_lo, 0, v80
	s_or_b32 s0, vcc_lo, s0
	s_wait_loadcnt_dscnt 0x0
	v_pk_mul_f32 v[86:87], v[84:85], v[82:83] op_sel:[1,1] op_sel_hi:[0,1]
	s_delay_alu instid0(VALU_DEP_1) | instskip(SKIP_1) | instid1(VALU_DEP_2)
	v_pk_fma_f32 v[88:89], v[84:85], v[82:83], v[86:87] op_sel_hi:[1,0,1]
	v_pk_fma_f32 v[82:83], v[84:85], v[82:83], v[86:87] neg_lo:[0,0,1] neg_hi:[0,0,1]
	v_mov_b32_e32 v83, v89
	s_delay_alu instid0(VALU_DEP_1)
	v_pk_add_f32 v[78:79], v[78:79], v[82:83]
	s_and_not1_b32 exec_lo, exec_lo, s0
	s_cbranch_execnz .LBB100_42
; %bb.43:
	s_or_b32 exec_lo, exec_lo, s0
.LBB100_44:
	s_delay_alu instid0(SALU_CYCLE_1) | instskip(SKIP_4) | instid1(VALU_DEP_1)
	s_or_b32 exec_lo, exec_lo, s40
	v_mov_b32_e32 v80, 0
	ds_load_b64 v[80:81], v80 offset:256
	s_wait_dscnt 0x0
	v_pk_mul_f32 v[82:83], v[78:79], v[80:81] op_sel:[1,1] op_sel_hi:[0,1]
	v_pk_fma_f32 v[84:85], v[78:79], v[80:81], v[82:83] op_sel_hi:[1,0,1]
	v_pk_fma_f32 v[78:79], v[78:79], v[80:81], v[82:83] neg_lo:[0,0,1] neg_hi:[0,0,1]
	s_delay_alu instid0(VALU_DEP_2)
	v_mov_b32_e32 v79, v85
	scratch_store_b64 off, v[78:79], off offset:256
.LBB100_45:
	s_wait_xcnt 0x0
	s_or_b32 exec_lo, exec_lo, s39
	scratch_load_b64 v[78:79], off, off offset:248
	v_cmp_lt_u32_e64 s0, 31, v0
	s_wait_loadcnt 0x0
	ds_store_b64 v1, v[78:79]
	s_wait_storecnt_dscnt 0x0
	s_barrier_signal -1
	s_barrier_wait -1
	s_wait_xcnt 0x0
	s_and_saveexec_b32 s38, s0
	s_cbranch_execz .LBB100_55
; %bb.46:
	s_and_not1_b32 vcc_lo, exec_lo, s5
	s_cbranch_vccnz .LBB100_48
; %bb.47:
	scratch_load_b64 v[78:79], v59, off
	ds_load_b64 v[80:81], v1
	s_wait_loadcnt_dscnt 0x0
	v_pk_mul_f32 v[82:83], v[80:81], v[78:79] op_sel:[1,1] op_sel_hi:[0,1]
	s_delay_alu instid0(VALU_DEP_1) | instskip(SKIP_1) | instid1(VALU_DEP_2)
	v_pk_fma_f32 v[84:85], v[80:81], v[78:79], v[82:83] op_sel_hi:[1,0,1]
	v_pk_fma_f32 v[78:79], v[80:81], v[78:79], v[82:83] neg_lo:[0,0,1] neg_hi:[0,0,1]
	v_mov_b32_e32 v79, v85
	s_cbranch_execz .LBB100_49
	s_branch .LBB100_50
.LBB100_48:
                                        ; implicit-def: $vgpr78_vgpr79
.LBB100_49:
	ds_load_b64 v[78:79], v1
.LBB100_50:
	s_and_saveexec_b32 s39, s1
	s_cbranch_execz .LBB100_54
; %bb.51:
	v_subrev_nc_u32_e32 v80, 32, v0
	s_movk_i32 s40, 0x230
	s_mov_b32 s1, 0
.LBB100_52:                             ; =>This Inner Loop Header: Depth=1
	scratch_load_b64 v[82:83], off, s37
	v_dual_mov_b32 v81, s40 :: v_dual_add_nc_u32 v80, -1, v80
	s_add_co_i32 s40, s40, 8
	s_wait_xcnt 0x0
	s_add_co_i32 s37, s37, 8
	ds_load_b64 v[84:85], v81
	v_cmp_eq_u32_e32 vcc_lo, 0, v80
	s_or_b32 s1, vcc_lo, s1
	s_wait_loadcnt_dscnt 0x0
	v_pk_mul_f32 v[86:87], v[84:85], v[82:83] op_sel:[1,1] op_sel_hi:[0,1]
	s_delay_alu instid0(VALU_DEP_1) | instskip(SKIP_1) | instid1(VALU_DEP_2)
	v_pk_fma_f32 v[88:89], v[84:85], v[82:83], v[86:87] op_sel_hi:[1,0,1]
	v_pk_fma_f32 v[82:83], v[84:85], v[82:83], v[86:87] neg_lo:[0,0,1] neg_hi:[0,0,1]
	v_mov_b32_e32 v83, v89
	s_delay_alu instid0(VALU_DEP_1)
	v_pk_add_f32 v[78:79], v[78:79], v[82:83]
	s_and_not1_b32 exec_lo, exec_lo, s1
	s_cbranch_execnz .LBB100_52
; %bb.53:
	s_or_b32 exec_lo, exec_lo, s1
.LBB100_54:
	s_delay_alu instid0(SALU_CYCLE_1) | instskip(SKIP_4) | instid1(VALU_DEP_1)
	s_or_b32 exec_lo, exec_lo, s39
	v_mov_b32_e32 v80, 0
	ds_load_b64 v[80:81], v80 offset:248
	s_wait_dscnt 0x0
	v_pk_mul_f32 v[82:83], v[78:79], v[80:81] op_sel:[1,1] op_sel_hi:[0,1]
	v_pk_fma_f32 v[84:85], v[78:79], v[80:81], v[82:83] op_sel_hi:[1,0,1]
	v_pk_fma_f32 v[78:79], v[78:79], v[80:81], v[82:83] neg_lo:[0,0,1] neg_hi:[0,0,1]
	s_delay_alu instid0(VALU_DEP_2)
	v_mov_b32_e32 v79, v85
	scratch_store_b64 off, v[78:79], off offset:248
.LBB100_55:
	s_wait_xcnt 0x0
	s_or_b32 exec_lo, exec_lo, s38
	scratch_load_b64 v[78:79], off, off offset:240
	v_cmp_lt_u32_e64 s1, 30, v0
	s_wait_loadcnt 0x0
	ds_store_b64 v1, v[78:79]
	s_wait_storecnt_dscnt 0x0
	s_barrier_signal -1
	s_barrier_wait -1
	s_wait_xcnt 0x0
	s_and_saveexec_b32 s37, s1
	s_cbranch_execz .LBB100_65
; %bb.56:
	s_and_not1_b32 vcc_lo, exec_lo, s5
	s_cbranch_vccnz .LBB100_58
; %bb.57:
	scratch_load_b64 v[78:79], v59, off
	ds_load_b64 v[80:81], v1
	s_wait_loadcnt_dscnt 0x0
	v_pk_mul_f32 v[82:83], v[80:81], v[78:79] op_sel:[1,1] op_sel_hi:[0,1]
	s_delay_alu instid0(VALU_DEP_1) | instskip(SKIP_1) | instid1(VALU_DEP_2)
	v_pk_fma_f32 v[84:85], v[80:81], v[78:79], v[82:83] op_sel_hi:[1,0,1]
	v_pk_fma_f32 v[78:79], v[80:81], v[78:79], v[82:83] neg_lo:[0,0,1] neg_hi:[0,0,1]
	v_mov_b32_e32 v79, v85
	s_cbranch_execz .LBB100_59
	s_branch .LBB100_60
.LBB100_58:
                                        ; implicit-def: $vgpr78_vgpr79
.LBB100_59:
	ds_load_b64 v[78:79], v1
.LBB100_60:
	s_and_saveexec_b32 s38, s0
	s_cbranch_execz .LBB100_64
; %bb.61:
	v_subrev_nc_u32_e32 v80, 31, v0
	s_movk_i32 s39, 0x228
	s_mov_b32 s0, 0
.LBB100_62:                             ; =>This Inner Loop Header: Depth=1
	scratch_load_b64 v[82:83], off, s36
	v_dual_mov_b32 v81, s39 :: v_dual_add_nc_u32 v80, -1, v80
	s_add_co_i32 s39, s39, 8
	s_wait_xcnt 0x0
	s_add_co_i32 s36, s36, 8
	ds_load_b64 v[84:85], v81
	v_cmp_eq_u32_e32 vcc_lo, 0, v80
	s_or_b32 s0, vcc_lo, s0
	s_wait_loadcnt_dscnt 0x0
	v_pk_mul_f32 v[86:87], v[84:85], v[82:83] op_sel:[1,1] op_sel_hi:[0,1]
	s_delay_alu instid0(VALU_DEP_1) | instskip(SKIP_1) | instid1(VALU_DEP_2)
	v_pk_fma_f32 v[88:89], v[84:85], v[82:83], v[86:87] op_sel_hi:[1,0,1]
	v_pk_fma_f32 v[82:83], v[84:85], v[82:83], v[86:87] neg_lo:[0,0,1] neg_hi:[0,0,1]
	v_mov_b32_e32 v83, v89
	s_delay_alu instid0(VALU_DEP_1)
	v_pk_add_f32 v[78:79], v[78:79], v[82:83]
	s_and_not1_b32 exec_lo, exec_lo, s0
	s_cbranch_execnz .LBB100_62
; %bb.63:
	s_or_b32 exec_lo, exec_lo, s0
.LBB100_64:
	s_delay_alu instid0(SALU_CYCLE_1) | instskip(SKIP_4) | instid1(VALU_DEP_1)
	s_or_b32 exec_lo, exec_lo, s38
	v_mov_b32_e32 v80, 0
	ds_load_b64 v[80:81], v80 offset:240
	s_wait_dscnt 0x0
	v_pk_mul_f32 v[82:83], v[78:79], v[80:81] op_sel:[1,1] op_sel_hi:[0,1]
	v_pk_fma_f32 v[84:85], v[78:79], v[80:81], v[82:83] op_sel_hi:[1,0,1]
	v_pk_fma_f32 v[78:79], v[78:79], v[80:81], v[82:83] neg_lo:[0,0,1] neg_hi:[0,0,1]
	s_delay_alu instid0(VALU_DEP_2)
	v_mov_b32_e32 v79, v85
	scratch_store_b64 off, v[78:79], off offset:240
.LBB100_65:
	s_wait_xcnt 0x0
	s_or_b32 exec_lo, exec_lo, s37
	scratch_load_b64 v[78:79], off, off offset:232
	v_cmp_lt_u32_e64 s0, 29, v0
	s_wait_loadcnt 0x0
	ds_store_b64 v1, v[78:79]
	s_wait_storecnt_dscnt 0x0
	s_barrier_signal -1
	s_barrier_wait -1
	s_wait_xcnt 0x0
	s_and_saveexec_b32 s36, s0
	s_cbranch_execz .LBB100_75
; %bb.66:
	s_and_not1_b32 vcc_lo, exec_lo, s5
	s_cbranch_vccnz .LBB100_68
; %bb.67:
	scratch_load_b64 v[78:79], v59, off
	ds_load_b64 v[80:81], v1
	s_wait_loadcnt_dscnt 0x0
	v_pk_mul_f32 v[82:83], v[80:81], v[78:79] op_sel:[1,1] op_sel_hi:[0,1]
	s_delay_alu instid0(VALU_DEP_1) | instskip(SKIP_1) | instid1(VALU_DEP_2)
	v_pk_fma_f32 v[84:85], v[80:81], v[78:79], v[82:83] op_sel_hi:[1,0,1]
	v_pk_fma_f32 v[78:79], v[80:81], v[78:79], v[82:83] neg_lo:[0,0,1] neg_hi:[0,0,1]
	v_mov_b32_e32 v79, v85
	s_cbranch_execz .LBB100_69
	s_branch .LBB100_70
.LBB100_68:
                                        ; implicit-def: $vgpr78_vgpr79
.LBB100_69:
	ds_load_b64 v[78:79], v1
.LBB100_70:
	s_and_saveexec_b32 s37, s1
	s_cbranch_execz .LBB100_74
; %bb.71:
	v_subrev_nc_u32_e32 v80, 30, v0
	s_movk_i32 s38, 0x220
	s_mov_b32 s1, 0
.LBB100_72:                             ; =>This Inner Loop Header: Depth=1
	scratch_load_b64 v[82:83], off, s35
	v_dual_mov_b32 v81, s38 :: v_dual_add_nc_u32 v80, -1, v80
	s_add_co_i32 s38, s38, 8
	s_wait_xcnt 0x0
	s_add_co_i32 s35, s35, 8
	ds_load_b64 v[84:85], v81
	v_cmp_eq_u32_e32 vcc_lo, 0, v80
	s_or_b32 s1, vcc_lo, s1
	s_wait_loadcnt_dscnt 0x0
	v_pk_mul_f32 v[86:87], v[84:85], v[82:83] op_sel:[1,1] op_sel_hi:[0,1]
	s_delay_alu instid0(VALU_DEP_1) | instskip(SKIP_1) | instid1(VALU_DEP_2)
	v_pk_fma_f32 v[88:89], v[84:85], v[82:83], v[86:87] op_sel_hi:[1,0,1]
	v_pk_fma_f32 v[82:83], v[84:85], v[82:83], v[86:87] neg_lo:[0,0,1] neg_hi:[0,0,1]
	v_mov_b32_e32 v83, v89
	s_delay_alu instid0(VALU_DEP_1)
	v_pk_add_f32 v[78:79], v[78:79], v[82:83]
	s_and_not1_b32 exec_lo, exec_lo, s1
	s_cbranch_execnz .LBB100_72
; %bb.73:
	s_or_b32 exec_lo, exec_lo, s1
.LBB100_74:
	s_delay_alu instid0(SALU_CYCLE_1) | instskip(SKIP_4) | instid1(VALU_DEP_1)
	s_or_b32 exec_lo, exec_lo, s37
	v_mov_b32_e32 v80, 0
	ds_load_b64 v[80:81], v80 offset:232
	s_wait_dscnt 0x0
	v_pk_mul_f32 v[82:83], v[78:79], v[80:81] op_sel:[1,1] op_sel_hi:[0,1]
	v_pk_fma_f32 v[84:85], v[78:79], v[80:81], v[82:83] op_sel_hi:[1,0,1]
	v_pk_fma_f32 v[78:79], v[78:79], v[80:81], v[82:83] neg_lo:[0,0,1] neg_hi:[0,0,1]
	s_delay_alu instid0(VALU_DEP_2)
	v_mov_b32_e32 v79, v85
	scratch_store_b64 off, v[78:79], off offset:232
.LBB100_75:
	s_wait_xcnt 0x0
	s_or_b32 exec_lo, exec_lo, s36
	scratch_load_b64 v[78:79], off, off offset:224
	v_cmp_lt_u32_e64 s1, 28, v0
	s_wait_loadcnt 0x0
	ds_store_b64 v1, v[78:79]
	s_wait_storecnt_dscnt 0x0
	s_barrier_signal -1
	s_barrier_wait -1
	s_wait_xcnt 0x0
	s_and_saveexec_b32 s35, s1
	s_cbranch_execz .LBB100_85
; %bb.76:
	s_and_not1_b32 vcc_lo, exec_lo, s5
	s_cbranch_vccnz .LBB100_78
; %bb.77:
	scratch_load_b64 v[78:79], v59, off
	ds_load_b64 v[80:81], v1
	s_wait_loadcnt_dscnt 0x0
	v_pk_mul_f32 v[82:83], v[80:81], v[78:79] op_sel:[1,1] op_sel_hi:[0,1]
	s_delay_alu instid0(VALU_DEP_1) | instskip(SKIP_1) | instid1(VALU_DEP_2)
	v_pk_fma_f32 v[84:85], v[80:81], v[78:79], v[82:83] op_sel_hi:[1,0,1]
	v_pk_fma_f32 v[78:79], v[80:81], v[78:79], v[82:83] neg_lo:[0,0,1] neg_hi:[0,0,1]
	v_mov_b32_e32 v79, v85
	s_cbranch_execz .LBB100_79
	s_branch .LBB100_80
.LBB100_78:
                                        ; implicit-def: $vgpr78_vgpr79
.LBB100_79:
	ds_load_b64 v[78:79], v1
.LBB100_80:
	s_and_saveexec_b32 s36, s0
	s_cbranch_execz .LBB100_84
; %bb.81:
	v_subrev_nc_u32_e32 v80, 29, v0
	s_movk_i32 s37, 0x218
	s_mov_b32 s0, 0
.LBB100_82:                             ; =>This Inner Loop Header: Depth=1
	scratch_load_b64 v[82:83], off, s34
	v_dual_mov_b32 v81, s37 :: v_dual_add_nc_u32 v80, -1, v80
	s_add_co_i32 s37, s37, 8
	s_wait_xcnt 0x0
	s_add_co_i32 s34, s34, 8
	ds_load_b64 v[84:85], v81
	v_cmp_eq_u32_e32 vcc_lo, 0, v80
	s_or_b32 s0, vcc_lo, s0
	s_wait_loadcnt_dscnt 0x0
	v_pk_mul_f32 v[86:87], v[84:85], v[82:83] op_sel:[1,1] op_sel_hi:[0,1]
	s_delay_alu instid0(VALU_DEP_1) | instskip(SKIP_1) | instid1(VALU_DEP_2)
	v_pk_fma_f32 v[88:89], v[84:85], v[82:83], v[86:87] op_sel_hi:[1,0,1]
	v_pk_fma_f32 v[82:83], v[84:85], v[82:83], v[86:87] neg_lo:[0,0,1] neg_hi:[0,0,1]
	v_mov_b32_e32 v83, v89
	s_delay_alu instid0(VALU_DEP_1)
	v_pk_add_f32 v[78:79], v[78:79], v[82:83]
	s_and_not1_b32 exec_lo, exec_lo, s0
	s_cbranch_execnz .LBB100_82
; %bb.83:
	s_or_b32 exec_lo, exec_lo, s0
.LBB100_84:
	s_delay_alu instid0(SALU_CYCLE_1) | instskip(SKIP_4) | instid1(VALU_DEP_1)
	s_or_b32 exec_lo, exec_lo, s36
	v_mov_b32_e32 v80, 0
	ds_load_b64 v[80:81], v80 offset:224
	s_wait_dscnt 0x0
	v_pk_mul_f32 v[82:83], v[78:79], v[80:81] op_sel:[1,1] op_sel_hi:[0,1]
	v_pk_fma_f32 v[84:85], v[78:79], v[80:81], v[82:83] op_sel_hi:[1,0,1]
	v_pk_fma_f32 v[78:79], v[78:79], v[80:81], v[82:83] neg_lo:[0,0,1] neg_hi:[0,0,1]
	s_delay_alu instid0(VALU_DEP_2)
	v_mov_b32_e32 v79, v85
	scratch_store_b64 off, v[78:79], off offset:224
.LBB100_85:
	s_wait_xcnt 0x0
	s_or_b32 exec_lo, exec_lo, s35
	scratch_load_b64 v[78:79], off, off offset:216
	v_cmp_lt_u32_e64 s0, 27, v0
	s_wait_loadcnt 0x0
	ds_store_b64 v1, v[78:79]
	s_wait_storecnt_dscnt 0x0
	s_barrier_signal -1
	s_barrier_wait -1
	s_wait_xcnt 0x0
	s_and_saveexec_b32 s34, s0
	s_cbranch_execz .LBB100_95
; %bb.86:
	s_and_not1_b32 vcc_lo, exec_lo, s5
	s_cbranch_vccnz .LBB100_88
; %bb.87:
	scratch_load_b64 v[78:79], v59, off
	ds_load_b64 v[80:81], v1
	s_wait_loadcnt_dscnt 0x0
	v_pk_mul_f32 v[82:83], v[80:81], v[78:79] op_sel:[1,1] op_sel_hi:[0,1]
	s_delay_alu instid0(VALU_DEP_1) | instskip(SKIP_1) | instid1(VALU_DEP_2)
	v_pk_fma_f32 v[84:85], v[80:81], v[78:79], v[82:83] op_sel_hi:[1,0,1]
	v_pk_fma_f32 v[78:79], v[80:81], v[78:79], v[82:83] neg_lo:[0,0,1] neg_hi:[0,0,1]
	v_mov_b32_e32 v79, v85
	s_cbranch_execz .LBB100_89
	s_branch .LBB100_90
.LBB100_88:
                                        ; implicit-def: $vgpr78_vgpr79
.LBB100_89:
	ds_load_b64 v[78:79], v1
.LBB100_90:
	s_and_saveexec_b32 s35, s1
	s_cbranch_execz .LBB100_94
; %bb.91:
	v_subrev_nc_u32_e32 v80, 28, v0
	s_movk_i32 s36, 0x210
	s_mov_b32 s1, 0
.LBB100_92:                             ; =>This Inner Loop Header: Depth=1
	scratch_load_b64 v[82:83], off, s33
	v_dual_mov_b32 v81, s36 :: v_dual_add_nc_u32 v80, -1, v80
	s_add_co_i32 s36, s36, 8
	s_wait_xcnt 0x0
	s_add_co_i32 s33, s33, 8
	ds_load_b64 v[84:85], v81
	v_cmp_eq_u32_e32 vcc_lo, 0, v80
	s_or_b32 s1, vcc_lo, s1
	s_wait_loadcnt_dscnt 0x0
	v_pk_mul_f32 v[86:87], v[84:85], v[82:83] op_sel:[1,1] op_sel_hi:[0,1]
	s_delay_alu instid0(VALU_DEP_1) | instskip(SKIP_1) | instid1(VALU_DEP_2)
	v_pk_fma_f32 v[88:89], v[84:85], v[82:83], v[86:87] op_sel_hi:[1,0,1]
	v_pk_fma_f32 v[82:83], v[84:85], v[82:83], v[86:87] neg_lo:[0,0,1] neg_hi:[0,0,1]
	v_mov_b32_e32 v83, v89
	s_delay_alu instid0(VALU_DEP_1)
	v_pk_add_f32 v[78:79], v[78:79], v[82:83]
	s_and_not1_b32 exec_lo, exec_lo, s1
	s_cbranch_execnz .LBB100_92
; %bb.93:
	s_or_b32 exec_lo, exec_lo, s1
.LBB100_94:
	s_delay_alu instid0(SALU_CYCLE_1) | instskip(SKIP_4) | instid1(VALU_DEP_1)
	s_or_b32 exec_lo, exec_lo, s35
	v_mov_b32_e32 v80, 0
	ds_load_b64 v[80:81], v80 offset:216
	s_wait_dscnt 0x0
	v_pk_mul_f32 v[82:83], v[78:79], v[80:81] op_sel:[1,1] op_sel_hi:[0,1]
	v_pk_fma_f32 v[84:85], v[78:79], v[80:81], v[82:83] op_sel_hi:[1,0,1]
	v_pk_fma_f32 v[78:79], v[78:79], v[80:81], v[82:83] neg_lo:[0,0,1] neg_hi:[0,0,1]
	s_delay_alu instid0(VALU_DEP_2)
	v_mov_b32_e32 v79, v85
	scratch_store_b64 off, v[78:79], off offset:216
.LBB100_95:
	s_wait_xcnt 0x0
	s_or_b32 exec_lo, exec_lo, s34
	scratch_load_b64 v[78:79], off, off offset:208
	v_cmp_lt_u32_e64 s1, 26, v0
	s_wait_loadcnt 0x0
	ds_store_b64 v1, v[78:79]
	s_wait_storecnt_dscnt 0x0
	s_barrier_signal -1
	s_barrier_wait -1
	s_wait_xcnt 0x0
	s_and_saveexec_b32 s33, s1
	s_cbranch_execz .LBB100_105
; %bb.96:
	s_and_not1_b32 vcc_lo, exec_lo, s5
	s_cbranch_vccnz .LBB100_98
; %bb.97:
	scratch_load_b64 v[78:79], v59, off
	ds_load_b64 v[80:81], v1
	s_wait_loadcnt_dscnt 0x0
	v_pk_mul_f32 v[82:83], v[80:81], v[78:79] op_sel:[1,1] op_sel_hi:[0,1]
	s_delay_alu instid0(VALU_DEP_1) | instskip(SKIP_1) | instid1(VALU_DEP_2)
	v_pk_fma_f32 v[84:85], v[80:81], v[78:79], v[82:83] op_sel_hi:[1,0,1]
	v_pk_fma_f32 v[78:79], v[80:81], v[78:79], v[82:83] neg_lo:[0,0,1] neg_hi:[0,0,1]
	v_mov_b32_e32 v79, v85
	s_cbranch_execz .LBB100_99
	s_branch .LBB100_100
.LBB100_98:
                                        ; implicit-def: $vgpr78_vgpr79
.LBB100_99:
	ds_load_b64 v[78:79], v1
.LBB100_100:
	s_and_saveexec_b32 s34, s0
	s_cbranch_execz .LBB100_104
; %bb.101:
	v_subrev_nc_u32_e32 v80, 27, v0
	s_movk_i32 s35, 0x208
	s_mov_b32 s0, 0
.LBB100_102:                            ; =>This Inner Loop Header: Depth=1
	scratch_load_b64 v[82:83], off, s31
	v_dual_mov_b32 v81, s35 :: v_dual_add_nc_u32 v80, -1, v80
	s_add_co_i32 s35, s35, 8
	s_wait_xcnt 0x0
	s_add_co_i32 s31, s31, 8
	ds_load_b64 v[84:85], v81
	v_cmp_eq_u32_e32 vcc_lo, 0, v80
	s_or_b32 s0, vcc_lo, s0
	s_wait_loadcnt_dscnt 0x0
	v_pk_mul_f32 v[86:87], v[84:85], v[82:83] op_sel:[1,1] op_sel_hi:[0,1]
	s_delay_alu instid0(VALU_DEP_1) | instskip(SKIP_1) | instid1(VALU_DEP_2)
	v_pk_fma_f32 v[88:89], v[84:85], v[82:83], v[86:87] op_sel_hi:[1,0,1]
	v_pk_fma_f32 v[82:83], v[84:85], v[82:83], v[86:87] neg_lo:[0,0,1] neg_hi:[0,0,1]
	v_mov_b32_e32 v83, v89
	s_delay_alu instid0(VALU_DEP_1)
	v_pk_add_f32 v[78:79], v[78:79], v[82:83]
	s_and_not1_b32 exec_lo, exec_lo, s0
	s_cbranch_execnz .LBB100_102
; %bb.103:
	s_or_b32 exec_lo, exec_lo, s0
.LBB100_104:
	s_delay_alu instid0(SALU_CYCLE_1) | instskip(SKIP_4) | instid1(VALU_DEP_1)
	s_or_b32 exec_lo, exec_lo, s34
	v_mov_b32_e32 v80, 0
	ds_load_b64 v[80:81], v80 offset:208
	s_wait_dscnt 0x0
	v_pk_mul_f32 v[82:83], v[78:79], v[80:81] op_sel:[1,1] op_sel_hi:[0,1]
	v_pk_fma_f32 v[84:85], v[78:79], v[80:81], v[82:83] op_sel_hi:[1,0,1]
	v_pk_fma_f32 v[78:79], v[78:79], v[80:81], v[82:83] neg_lo:[0,0,1] neg_hi:[0,0,1]
	s_delay_alu instid0(VALU_DEP_2)
	v_mov_b32_e32 v79, v85
	scratch_store_b64 off, v[78:79], off offset:208
.LBB100_105:
	s_wait_xcnt 0x0
	s_or_b32 exec_lo, exec_lo, s33
	scratch_load_b64 v[78:79], off, off offset:200
	v_cmp_lt_u32_e64 s0, 25, v0
	s_wait_loadcnt 0x0
	ds_store_b64 v1, v[78:79]
	s_wait_storecnt_dscnt 0x0
	s_barrier_signal -1
	s_barrier_wait -1
	s_wait_xcnt 0x0
	s_and_saveexec_b32 s31, s0
	s_cbranch_execz .LBB100_115
; %bb.106:
	s_and_not1_b32 vcc_lo, exec_lo, s5
	s_cbranch_vccnz .LBB100_108
; %bb.107:
	scratch_load_b64 v[78:79], v59, off
	ds_load_b64 v[80:81], v1
	s_wait_loadcnt_dscnt 0x0
	v_pk_mul_f32 v[82:83], v[80:81], v[78:79] op_sel:[1,1] op_sel_hi:[0,1]
	s_delay_alu instid0(VALU_DEP_1) | instskip(SKIP_1) | instid1(VALU_DEP_2)
	v_pk_fma_f32 v[84:85], v[80:81], v[78:79], v[82:83] op_sel_hi:[1,0,1]
	v_pk_fma_f32 v[78:79], v[80:81], v[78:79], v[82:83] neg_lo:[0,0,1] neg_hi:[0,0,1]
	v_mov_b32_e32 v79, v85
	s_cbranch_execz .LBB100_109
	s_branch .LBB100_110
.LBB100_108:
                                        ; implicit-def: $vgpr78_vgpr79
.LBB100_109:
	ds_load_b64 v[78:79], v1
.LBB100_110:
	s_and_saveexec_b32 s33, s1
	s_cbranch_execz .LBB100_114
; %bb.111:
	v_subrev_nc_u32_e32 v80, 26, v0
	s_movk_i32 s34, 0x200
	s_mov_b32 s1, 0
.LBB100_112:                            ; =>This Inner Loop Header: Depth=1
	scratch_load_b64 v[82:83], off, s30
	v_dual_mov_b32 v81, s34 :: v_dual_add_nc_u32 v80, -1, v80
	s_add_co_i32 s34, s34, 8
	s_wait_xcnt 0x0
	s_add_co_i32 s30, s30, 8
	ds_load_b64 v[84:85], v81
	v_cmp_eq_u32_e32 vcc_lo, 0, v80
	s_or_b32 s1, vcc_lo, s1
	s_wait_loadcnt_dscnt 0x0
	v_pk_mul_f32 v[86:87], v[84:85], v[82:83] op_sel:[1,1] op_sel_hi:[0,1]
	s_delay_alu instid0(VALU_DEP_1) | instskip(SKIP_1) | instid1(VALU_DEP_2)
	v_pk_fma_f32 v[88:89], v[84:85], v[82:83], v[86:87] op_sel_hi:[1,0,1]
	v_pk_fma_f32 v[82:83], v[84:85], v[82:83], v[86:87] neg_lo:[0,0,1] neg_hi:[0,0,1]
	v_mov_b32_e32 v83, v89
	s_delay_alu instid0(VALU_DEP_1)
	v_pk_add_f32 v[78:79], v[78:79], v[82:83]
	s_and_not1_b32 exec_lo, exec_lo, s1
	s_cbranch_execnz .LBB100_112
; %bb.113:
	s_or_b32 exec_lo, exec_lo, s1
.LBB100_114:
	s_delay_alu instid0(SALU_CYCLE_1) | instskip(SKIP_4) | instid1(VALU_DEP_1)
	s_or_b32 exec_lo, exec_lo, s33
	v_mov_b32_e32 v80, 0
	ds_load_b64 v[80:81], v80 offset:200
	s_wait_dscnt 0x0
	v_pk_mul_f32 v[82:83], v[78:79], v[80:81] op_sel:[1,1] op_sel_hi:[0,1]
	v_pk_fma_f32 v[84:85], v[78:79], v[80:81], v[82:83] op_sel_hi:[1,0,1]
	v_pk_fma_f32 v[78:79], v[78:79], v[80:81], v[82:83] neg_lo:[0,0,1] neg_hi:[0,0,1]
	s_delay_alu instid0(VALU_DEP_2)
	v_mov_b32_e32 v79, v85
	scratch_store_b64 off, v[78:79], off offset:200
.LBB100_115:
	s_wait_xcnt 0x0
	s_or_b32 exec_lo, exec_lo, s31
	scratch_load_b64 v[78:79], off, off offset:192
	v_cmp_lt_u32_e64 s1, 24, v0
	s_wait_loadcnt 0x0
	ds_store_b64 v1, v[78:79]
	s_wait_storecnt_dscnt 0x0
	s_barrier_signal -1
	s_barrier_wait -1
	s_wait_xcnt 0x0
	s_and_saveexec_b32 s30, s1
	s_cbranch_execz .LBB100_125
; %bb.116:
	s_and_not1_b32 vcc_lo, exec_lo, s5
	s_cbranch_vccnz .LBB100_118
; %bb.117:
	scratch_load_b64 v[78:79], v59, off
	ds_load_b64 v[80:81], v1
	s_wait_loadcnt_dscnt 0x0
	v_pk_mul_f32 v[82:83], v[80:81], v[78:79] op_sel:[1,1] op_sel_hi:[0,1]
	s_delay_alu instid0(VALU_DEP_1) | instskip(SKIP_1) | instid1(VALU_DEP_2)
	v_pk_fma_f32 v[84:85], v[80:81], v[78:79], v[82:83] op_sel_hi:[1,0,1]
	v_pk_fma_f32 v[78:79], v[80:81], v[78:79], v[82:83] neg_lo:[0,0,1] neg_hi:[0,0,1]
	v_mov_b32_e32 v79, v85
	s_cbranch_execz .LBB100_119
	s_branch .LBB100_120
.LBB100_118:
                                        ; implicit-def: $vgpr78_vgpr79
.LBB100_119:
	ds_load_b64 v[78:79], v1
.LBB100_120:
	s_and_saveexec_b32 s31, s0
	s_cbranch_execz .LBB100_124
; %bb.121:
	v_subrev_nc_u32_e32 v80, 25, v0
	s_movk_i32 s33, 0x1f8
	s_mov_b32 s0, 0
.LBB100_122:                            ; =>This Inner Loop Header: Depth=1
	scratch_load_b64 v[82:83], off, s29
	v_dual_mov_b32 v81, s33 :: v_dual_add_nc_u32 v80, -1, v80
	s_add_co_i32 s33, s33, 8
	s_wait_xcnt 0x0
	s_add_co_i32 s29, s29, 8
	ds_load_b64 v[84:85], v81
	v_cmp_eq_u32_e32 vcc_lo, 0, v80
	s_or_b32 s0, vcc_lo, s0
	s_wait_loadcnt_dscnt 0x0
	v_pk_mul_f32 v[86:87], v[84:85], v[82:83] op_sel:[1,1] op_sel_hi:[0,1]
	s_delay_alu instid0(VALU_DEP_1) | instskip(SKIP_1) | instid1(VALU_DEP_2)
	v_pk_fma_f32 v[88:89], v[84:85], v[82:83], v[86:87] op_sel_hi:[1,0,1]
	v_pk_fma_f32 v[82:83], v[84:85], v[82:83], v[86:87] neg_lo:[0,0,1] neg_hi:[0,0,1]
	v_mov_b32_e32 v83, v89
	s_delay_alu instid0(VALU_DEP_1)
	v_pk_add_f32 v[78:79], v[78:79], v[82:83]
	s_and_not1_b32 exec_lo, exec_lo, s0
	s_cbranch_execnz .LBB100_122
; %bb.123:
	s_or_b32 exec_lo, exec_lo, s0
.LBB100_124:
	s_delay_alu instid0(SALU_CYCLE_1) | instskip(SKIP_4) | instid1(VALU_DEP_1)
	s_or_b32 exec_lo, exec_lo, s31
	v_mov_b32_e32 v80, 0
	ds_load_b64 v[80:81], v80 offset:192
	s_wait_dscnt 0x0
	v_pk_mul_f32 v[82:83], v[78:79], v[80:81] op_sel:[1,1] op_sel_hi:[0,1]
	v_pk_fma_f32 v[84:85], v[78:79], v[80:81], v[82:83] op_sel_hi:[1,0,1]
	v_pk_fma_f32 v[78:79], v[78:79], v[80:81], v[82:83] neg_lo:[0,0,1] neg_hi:[0,0,1]
	s_delay_alu instid0(VALU_DEP_2)
	v_mov_b32_e32 v79, v85
	scratch_store_b64 off, v[78:79], off offset:192
.LBB100_125:
	s_wait_xcnt 0x0
	s_or_b32 exec_lo, exec_lo, s30
	scratch_load_b64 v[78:79], off, off offset:184
	v_cmp_lt_u32_e64 s0, 23, v0
	s_wait_loadcnt 0x0
	ds_store_b64 v1, v[78:79]
	s_wait_storecnt_dscnt 0x0
	s_barrier_signal -1
	s_barrier_wait -1
	s_wait_xcnt 0x0
	s_and_saveexec_b32 s29, s0
	s_cbranch_execz .LBB100_135
; %bb.126:
	s_and_not1_b32 vcc_lo, exec_lo, s5
	s_cbranch_vccnz .LBB100_128
; %bb.127:
	scratch_load_b64 v[78:79], v59, off
	ds_load_b64 v[80:81], v1
	s_wait_loadcnt_dscnt 0x0
	v_pk_mul_f32 v[82:83], v[80:81], v[78:79] op_sel:[1,1] op_sel_hi:[0,1]
	s_delay_alu instid0(VALU_DEP_1) | instskip(SKIP_1) | instid1(VALU_DEP_2)
	v_pk_fma_f32 v[84:85], v[80:81], v[78:79], v[82:83] op_sel_hi:[1,0,1]
	v_pk_fma_f32 v[78:79], v[80:81], v[78:79], v[82:83] neg_lo:[0,0,1] neg_hi:[0,0,1]
	v_mov_b32_e32 v79, v85
	s_cbranch_execz .LBB100_129
	s_branch .LBB100_130
.LBB100_128:
                                        ; implicit-def: $vgpr78_vgpr79
.LBB100_129:
	ds_load_b64 v[78:79], v1
.LBB100_130:
	s_and_saveexec_b32 s30, s1
	s_cbranch_execz .LBB100_134
; %bb.131:
	v_subrev_nc_u32_e32 v80, 24, v0
	s_movk_i32 s31, 0x1f0
	s_mov_b32 s1, 0
.LBB100_132:                            ; =>This Inner Loop Header: Depth=1
	scratch_load_b64 v[82:83], off, s28
	v_dual_mov_b32 v81, s31 :: v_dual_add_nc_u32 v80, -1, v80
	s_add_co_i32 s31, s31, 8
	s_wait_xcnt 0x0
	s_add_co_i32 s28, s28, 8
	ds_load_b64 v[84:85], v81
	v_cmp_eq_u32_e32 vcc_lo, 0, v80
	s_or_b32 s1, vcc_lo, s1
	s_wait_loadcnt_dscnt 0x0
	v_pk_mul_f32 v[86:87], v[84:85], v[82:83] op_sel:[1,1] op_sel_hi:[0,1]
	s_delay_alu instid0(VALU_DEP_1) | instskip(SKIP_1) | instid1(VALU_DEP_2)
	v_pk_fma_f32 v[88:89], v[84:85], v[82:83], v[86:87] op_sel_hi:[1,0,1]
	v_pk_fma_f32 v[82:83], v[84:85], v[82:83], v[86:87] neg_lo:[0,0,1] neg_hi:[0,0,1]
	v_mov_b32_e32 v83, v89
	s_delay_alu instid0(VALU_DEP_1)
	v_pk_add_f32 v[78:79], v[78:79], v[82:83]
	s_and_not1_b32 exec_lo, exec_lo, s1
	s_cbranch_execnz .LBB100_132
; %bb.133:
	s_or_b32 exec_lo, exec_lo, s1
.LBB100_134:
	s_delay_alu instid0(SALU_CYCLE_1) | instskip(SKIP_4) | instid1(VALU_DEP_1)
	s_or_b32 exec_lo, exec_lo, s30
	v_mov_b32_e32 v80, 0
	ds_load_b64 v[80:81], v80 offset:184
	s_wait_dscnt 0x0
	v_pk_mul_f32 v[82:83], v[78:79], v[80:81] op_sel:[1,1] op_sel_hi:[0,1]
	v_pk_fma_f32 v[84:85], v[78:79], v[80:81], v[82:83] op_sel_hi:[1,0,1]
	v_pk_fma_f32 v[78:79], v[78:79], v[80:81], v[82:83] neg_lo:[0,0,1] neg_hi:[0,0,1]
	s_delay_alu instid0(VALU_DEP_2)
	v_mov_b32_e32 v79, v85
	scratch_store_b64 off, v[78:79], off offset:184
.LBB100_135:
	s_wait_xcnt 0x0
	s_or_b32 exec_lo, exec_lo, s29
	scratch_load_b64 v[78:79], off, off offset:176
	v_cmp_lt_u32_e64 s1, 22, v0
	s_wait_loadcnt 0x0
	ds_store_b64 v1, v[78:79]
	s_wait_storecnt_dscnt 0x0
	s_barrier_signal -1
	s_barrier_wait -1
	s_wait_xcnt 0x0
	s_and_saveexec_b32 s28, s1
	s_cbranch_execz .LBB100_145
; %bb.136:
	s_and_not1_b32 vcc_lo, exec_lo, s5
	s_cbranch_vccnz .LBB100_138
; %bb.137:
	scratch_load_b64 v[78:79], v59, off
	ds_load_b64 v[80:81], v1
	s_wait_loadcnt_dscnt 0x0
	v_pk_mul_f32 v[82:83], v[80:81], v[78:79] op_sel:[1,1] op_sel_hi:[0,1]
	s_delay_alu instid0(VALU_DEP_1) | instskip(SKIP_1) | instid1(VALU_DEP_2)
	v_pk_fma_f32 v[84:85], v[80:81], v[78:79], v[82:83] op_sel_hi:[1,0,1]
	v_pk_fma_f32 v[78:79], v[80:81], v[78:79], v[82:83] neg_lo:[0,0,1] neg_hi:[0,0,1]
	v_mov_b32_e32 v79, v85
	s_cbranch_execz .LBB100_139
	s_branch .LBB100_140
.LBB100_138:
                                        ; implicit-def: $vgpr78_vgpr79
.LBB100_139:
	ds_load_b64 v[78:79], v1
.LBB100_140:
	s_and_saveexec_b32 s29, s0
	s_cbranch_execz .LBB100_144
; %bb.141:
	v_subrev_nc_u32_e32 v80, 23, v0
	s_movk_i32 s30, 0x1e8
	s_mov_b32 s0, 0
.LBB100_142:                            ; =>This Inner Loop Header: Depth=1
	scratch_load_b64 v[82:83], off, s27
	v_dual_mov_b32 v81, s30 :: v_dual_add_nc_u32 v80, -1, v80
	s_add_co_i32 s30, s30, 8
	s_wait_xcnt 0x0
	s_add_co_i32 s27, s27, 8
	ds_load_b64 v[84:85], v81
	v_cmp_eq_u32_e32 vcc_lo, 0, v80
	s_or_b32 s0, vcc_lo, s0
	s_wait_loadcnt_dscnt 0x0
	v_pk_mul_f32 v[86:87], v[84:85], v[82:83] op_sel:[1,1] op_sel_hi:[0,1]
	s_delay_alu instid0(VALU_DEP_1) | instskip(SKIP_1) | instid1(VALU_DEP_2)
	v_pk_fma_f32 v[88:89], v[84:85], v[82:83], v[86:87] op_sel_hi:[1,0,1]
	v_pk_fma_f32 v[82:83], v[84:85], v[82:83], v[86:87] neg_lo:[0,0,1] neg_hi:[0,0,1]
	v_mov_b32_e32 v83, v89
	s_delay_alu instid0(VALU_DEP_1)
	v_pk_add_f32 v[78:79], v[78:79], v[82:83]
	s_and_not1_b32 exec_lo, exec_lo, s0
	s_cbranch_execnz .LBB100_142
; %bb.143:
	s_or_b32 exec_lo, exec_lo, s0
.LBB100_144:
	s_delay_alu instid0(SALU_CYCLE_1) | instskip(SKIP_4) | instid1(VALU_DEP_1)
	s_or_b32 exec_lo, exec_lo, s29
	v_mov_b32_e32 v80, 0
	ds_load_b64 v[80:81], v80 offset:176
	s_wait_dscnt 0x0
	v_pk_mul_f32 v[82:83], v[78:79], v[80:81] op_sel:[1,1] op_sel_hi:[0,1]
	v_pk_fma_f32 v[84:85], v[78:79], v[80:81], v[82:83] op_sel_hi:[1,0,1]
	v_pk_fma_f32 v[78:79], v[78:79], v[80:81], v[82:83] neg_lo:[0,0,1] neg_hi:[0,0,1]
	s_delay_alu instid0(VALU_DEP_2)
	v_mov_b32_e32 v79, v85
	scratch_store_b64 off, v[78:79], off offset:176
.LBB100_145:
	s_wait_xcnt 0x0
	s_or_b32 exec_lo, exec_lo, s28
	scratch_load_b64 v[78:79], off, off offset:168
	v_cmp_lt_u32_e64 s0, 21, v0
	s_wait_loadcnt 0x0
	ds_store_b64 v1, v[78:79]
	s_wait_storecnt_dscnt 0x0
	s_barrier_signal -1
	s_barrier_wait -1
	s_wait_xcnt 0x0
	s_and_saveexec_b32 s27, s0
	s_cbranch_execz .LBB100_155
; %bb.146:
	s_and_not1_b32 vcc_lo, exec_lo, s5
	s_cbranch_vccnz .LBB100_148
; %bb.147:
	scratch_load_b64 v[78:79], v59, off
	ds_load_b64 v[80:81], v1
	s_wait_loadcnt_dscnt 0x0
	v_pk_mul_f32 v[82:83], v[80:81], v[78:79] op_sel:[1,1] op_sel_hi:[0,1]
	s_delay_alu instid0(VALU_DEP_1) | instskip(SKIP_1) | instid1(VALU_DEP_2)
	v_pk_fma_f32 v[84:85], v[80:81], v[78:79], v[82:83] op_sel_hi:[1,0,1]
	v_pk_fma_f32 v[78:79], v[80:81], v[78:79], v[82:83] neg_lo:[0,0,1] neg_hi:[0,0,1]
	v_mov_b32_e32 v79, v85
	s_cbranch_execz .LBB100_149
	s_branch .LBB100_150
.LBB100_148:
                                        ; implicit-def: $vgpr78_vgpr79
.LBB100_149:
	ds_load_b64 v[78:79], v1
.LBB100_150:
	s_and_saveexec_b32 s28, s1
	s_cbranch_execz .LBB100_154
; %bb.151:
	v_subrev_nc_u32_e32 v80, 22, v0
	s_movk_i32 s29, 0x1e0
	s_mov_b32 s1, 0
.LBB100_152:                            ; =>This Inner Loop Header: Depth=1
	scratch_load_b64 v[82:83], off, s26
	v_dual_mov_b32 v81, s29 :: v_dual_add_nc_u32 v80, -1, v80
	s_add_co_i32 s29, s29, 8
	s_wait_xcnt 0x0
	s_add_co_i32 s26, s26, 8
	ds_load_b64 v[84:85], v81
	v_cmp_eq_u32_e32 vcc_lo, 0, v80
	s_or_b32 s1, vcc_lo, s1
	s_wait_loadcnt_dscnt 0x0
	v_pk_mul_f32 v[86:87], v[84:85], v[82:83] op_sel:[1,1] op_sel_hi:[0,1]
	s_delay_alu instid0(VALU_DEP_1) | instskip(SKIP_1) | instid1(VALU_DEP_2)
	v_pk_fma_f32 v[88:89], v[84:85], v[82:83], v[86:87] op_sel_hi:[1,0,1]
	v_pk_fma_f32 v[82:83], v[84:85], v[82:83], v[86:87] neg_lo:[0,0,1] neg_hi:[0,0,1]
	v_mov_b32_e32 v83, v89
	s_delay_alu instid0(VALU_DEP_1)
	v_pk_add_f32 v[78:79], v[78:79], v[82:83]
	s_and_not1_b32 exec_lo, exec_lo, s1
	s_cbranch_execnz .LBB100_152
; %bb.153:
	s_or_b32 exec_lo, exec_lo, s1
.LBB100_154:
	s_delay_alu instid0(SALU_CYCLE_1) | instskip(SKIP_4) | instid1(VALU_DEP_1)
	s_or_b32 exec_lo, exec_lo, s28
	v_mov_b32_e32 v80, 0
	ds_load_b64 v[80:81], v80 offset:168
	s_wait_dscnt 0x0
	v_pk_mul_f32 v[82:83], v[78:79], v[80:81] op_sel:[1,1] op_sel_hi:[0,1]
	v_pk_fma_f32 v[84:85], v[78:79], v[80:81], v[82:83] op_sel_hi:[1,0,1]
	v_pk_fma_f32 v[78:79], v[78:79], v[80:81], v[82:83] neg_lo:[0,0,1] neg_hi:[0,0,1]
	s_delay_alu instid0(VALU_DEP_2)
	v_mov_b32_e32 v79, v85
	scratch_store_b64 off, v[78:79], off offset:168
.LBB100_155:
	s_wait_xcnt 0x0
	s_or_b32 exec_lo, exec_lo, s27
	scratch_load_b64 v[78:79], off, off offset:160
	v_cmp_lt_u32_e64 s1, 20, v0
	s_wait_loadcnt 0x0
	ds_store_b64 v1, v[78:79]
	s_wait_storecnt_dscnt 0x0
	s_barrier_signal -1
	s_barrier_wait -1
	s_wait_xcnt 0x0
	s_and_saveexec_b32 s26, s1
	s_cbranch_execz .LBB100_165
; %bb.156:
	s_and_not1_b32 vcc_lo, exec_lo, s5
	s_cbranch_vccnz .LBB100_158
; %bb.157:
	scratch_load_b64 v[78:79], v59, off
	ds_load_b64 v[80:81], v1
	s_wait_loadcnt_dscnt 0x0
	v_pk_mul_f32 v[82:83], v[80:81], v[78:79] op_sel:[1,1] op_sel_hi:[0,1]
	s_delay_alu instid0(VALU_DEP_1) | instskip(SKIP_1) | instid1(VALU_DEP_2)
	v_pk_fma_f32 v[84:85], v[80:81], v[78:79], v[82:83] op_sel_hi:[1,0,1]
	v_pk_fma_f32 v[78:79], v[80:81], v[78:79], v[82:83] neg_lo:[0,0,1] neg_hi:[0,0,1]
	v_mov_b32_e32 v79, v85
	s_cbranch_execz .LBB100_159
	s_branch .LBB100_160
.LBB100_158:
                                        ; implicit-def: $vgpr78_vgpr79
.LBB100_159:
	ds_load_b64 v[78:79], v1
.LBB100_160:
	s_and_saveexec_b32 s27, s0
	s_cbranch_execz .LBB100_164
; %bb.161:
	v_subrev_nc_u32_e32 v80, 21, v0
	s_movk_i32 s28, 0x1d8
	s_mov_b32 s0, 0
.LBB100_162:                            ; =>This Inner Loop Header: Depth=1
	scratch_load_b64 v[82:83], off, s25
	v_dual_mov_b32 v81, s28 :: v_dual_add_nc_u32 v80, -1, v80
	s_add_co_i32 s28, s28, 8
	s_wait_xcnt 0x0
	s_add_co_i32 s25, s25, 8
	ds_load_b64 v[84:85], v81
	v_cmp_eq_u32_e32 vcc_lo, 0, v80
	s_or_b32 s0, vcc_lo, s0
	s_wait_loadcnt_dscnt 0x0
	v_pk_mul_f32 v[86:87], v[84:85], v[82:83] op_sel:[1,1] op_sel_hi:[0,1]
	s_delay_alu instid0(VALU_DEP_1) | instskip(SKIP_1) | instid1(VALU_DEP_2)
	v_pk_fma_f32 v[88:89], v[84:85], v[82:83], v[86:87] op_sel_hi:[1,0,1]
	v_pk_fma_f32 v[82:83], v[84:85], v[82:83], v[86:87] neg_lo:[0,0,1] neg_hi:[0,0,1]
	v_mov_b32_e32 v83, v89
	s_delay_alu instid0(VALU_DEP_1)
	v_pk_add_f32 v[78:79], v[78:79], v[82:83]
	s_and_not1_b32 exec_lo, exec_lo, s0
	s_cbranch_execnz .LBB100_162
; %bb.163:
	s_or_b32 exec_lo, exec_lo, s0
.LBB100_164:
	s_delay_alu instid0(SALU_CYCLE_1) | instskip(SKIP_4) | instid1(VALU_DEP_1)
	s_or_b32 exec_lo, exec_lo, s27
	v_mov_b32_e32 v80, 0
	ds_load_b64 v[80:81], v80 offset:160
	s_wait_dscnt 0x0
	v_pk_mul_f32 v[82:83], v[78:79], v[80:81] op_sel:[1,1] op_sel_hi:[0,1]
	v_pk_fma_f32 v[84:85], v[78:79], v[80:81], v[82:83] op_sel_hi:[1,0,1]
	v_pk_fma_f32 v[78:79], v[78:79], v[80:81], v[82:83] neg_lo:[0,0,1] neg_hi:[0,0,1]
	s_delay_alu instid0(VALU_DEP_2)
	v_mov_b32_e32 v79, v85
	scratch_store_b64 off, v[78:79], off offset:160
.LBB100_165:
	s_wait_xcnt 0x0
	s_or_b32 exec_lo, exec_lo, s26
	scratch_load_b64 v[78:79], off, off offset:152
	v_cmp_lt_u32_e64 s0, 19, v0
	s_wait_loadcnt 0x0
	ds_store_b64 v1, v[78:79]
	s_wait_storecnt_dscnt 0x0
	s_barrier_signal -1
	s_barrier_wait -1
	s_wait_xcnt 0x0
	s_and_saveexec_b32 s25, s0
	s_cbranch_execz .LBB100_175
; %bb.166:
	s_and_not1_b32 vcc_lo, exec_lo, s5
	s_cbranch_vccnz .LBB100_168
; %bb.167:
	scratch_load_b64 v[78:79], v59, off
	ds_load_b64 v[80:81], v1
	s_wait_loadcnt_dscnt 0x0
	v_pk_mul_f32 v[82:83], v[80:81], v[78:79] op_sel:[1,1] op_sel_hi:[0,1]
	s_delay_alu instid0(VALU_DEP_1) | instskip(SKIP_1) | instid1(VALU_DEP_2)
	v_pk_fma_f32 v[84:85], v[80:81], v[78:79], v[82:83] op_sel_hi:[1,0,1]
	v_pk_fma_f32 v[78:79], v[80:81], v[78:79], v[82:83] neg_lo:[0,0,1] neg_hi:[0,0,1]
	v_mov_b32_e32 v79, v85
	s_cbranch_execz .LBB100_169
	s_branch .LBB100_170
.LBB100_168:
                                        ; implicit-def: $vgpr78_vgpr79
.LBB100_169:
	ds_load_b64 v[78:79], v1
.LBB100_170:
	s_and_saveexec_b32 s26, s1
	s_cbranch_execz .LBB100_174
; %bb.171:
	v_subrev_nc_u32_e32 v80, 20, v0
	s_movk_i32 s27, 0x1d0
	s_mov_b32 s1, 0
.LBB100_172:                            ; =>This Inner Loop Header: Depth=1
	scratch_load_b64 v[82:83], off, s24
	v_dual_mov_b32 v81, s27 :: v_dual_add_nc_u32 v80, -1, v80
	s_add_co_i32 s27, s27, 8
	s_wait_xcnt 0x0
	s_add_co_i32 s24, s24, 8
	ds_load_b64 v[84:85], v81
	v_cmp_eq_u32_e32 vcc_lo, 0, v80
	s_or_b32 s1, vcc_lo, s1
	s_wait_loadcnt_dscnt 0x0
	v_pk_mul_f32 v[86:87], v[84:85], v[82:83] op_sel:[1,1] op_sel_hi:[0,1]
	s_delay_alu instid0(VALU_DEP_1) | instskip(SKIP_1) | instid1(VALU_DEP_2)
	v_pk_fma_f32 v[88:89], v[84:85], v[82:83], v[86:87] op_sel_hi:[1,0,1]
	v_pk_fma_f32 v[82:83], v[84:85], v[82:83], v[86:87] neg_lo:[0,0,1] neg_hi:[0,0,1]
	v_mov_b32_e32 v83, v89
	s_delay_alu instid0(VALU_DEP_1)
	v_pk_add_f32 v[78:79], v[78:79], v[82:83]
	s_and_not1_b32 exec_lo, exec_lo, s1
	s_cbranch_execnz .LBB100_172
; %bb.173:
	s_or_b32 exec_lo, exec_lo, s1
.LBB100_174:
	s_delay_alu instid0(SALU_CYCLE_1) | instskip(SKIP_4) | instid1(VALU_DEP_1)
	s_or_b32 exec_lo, exec_lo, s26
	v_mov_b32_e32 v80, 0
	ds_load_b64 v[80:81], v80 offset:152
	s_wait_dscnt 0x0
	v_pk_mul_f32 v[82:83], v[78:79], v[80:81] op_sel:[1,1] op_sel_hi:[0,1]
	v_pk_fma_f32 v[84:85], v[78:79], v[80:81], v[82:83] op_sel_hi:[1,0,1]
	v_pk_fma_f32 v[78:79], v[78:79], v[80:81], v[82:83] neg_lo:[0,0,1] neg_hi:[0,0,1]
	s_delay_alu instid0(VALU_DEP_2)
	v_mov_b32_e32 v79, v85
	scratch_store_b64 off, v[78:79], off offset:152
.LBB100_175:
	s_wait_xcnt 0x0
	s_or_b32 exec_lo, exec_lo, s25
	scratch_load_b64 v[78:79], off, off offset:144
	v_cmp_lt_u32_e64 s1, 18, v0
	s_wait_loadcnt 0x0
	ds_store_b64 v1, v[78:79]
	s_wait_storecnt_dscnt 0x0
	s_barrier_signal -1
	s_barrier_wait -1
	s_wait_xcnt 0x0
	s_and_saveexec_b32 s24, s1
	s_cbranch_execz .LBB100_185
; %bb.176:
	s_and_not1_b32 vcc_lo, exec_lo, s5
	s_cbranch_vccnz .LBB100_178
; %bb.177:
	scratch_load_b64 v[78:79], v59, off
	ds_load_b64 v[80:81], v1
	s_wait_loadcnt_dscnt 0x0
	v_pk_mul_f32 v[82:83], v[80:81], v[78:79] op_sel:[1,1] op_sel_hi:[0,1]
	s_delay_alu instid0(VALU_DEP_1) | instskip(SKIP_1) | instid1(VALU_DEP_2)
	v_pk_fma_f32 v[84:85], v[80:81], v[78:79], v[82:83] op_sel_hi:[1,0,1]
	v_pk_fma_f32 v[78:79], v[80:81], v[78:79], v[82:83] neg_lo:[0,0,1] neg_hi:[0,0,1]
	v_mov_b32_e32 v79, v85
	s_cbranch_execz .LBB100_179
	s_branch .LBB100_180
.LBB100_178:
                                        ; implicit-def: $vgpr78_vgpr79
.LBB100_179:
	ds_load_b64 v[78:79], v1
.LBB100_180:
	s_and_saveexec_b32 s25, s0
	s_cbranch_execz .LBB100_184
; %bb.181:
	v_subrev_nc_u32_e32 v80, 19, v0
	s_movk_i32 s26, 0x1c8
	s_mov_b32 s0, 0
.LBB100_182:                            ; =>This Inner Loop Header: Depth=1
	scratch_load_b64 v[82:83], off, s23
	v_dual_mov_b32 v81, s26 :: v_dual_add_nc_u32 v80, -1, v80
	s_add_co_i32 s26, s26, 8
	s_wait_xcnt 0x0
	s_add_co_i32 s23, s23, 8
	ds_load_b64 v[84:85], v81
	v_cmp_eq_u32_e32 vcc_lo, 0, v80
	s_or_b32 s0, vcc_lo, s0
	s_wait_loadcnt_dscnt 0x0
	v_pk_mul_f32 v[86:87], v[84:85], v[82:83] op_sel:[1,1] op_sel_hi:[0,1]
	s_delay_alu instid0(VALU_DEP_1) | instskip(SKIP_1) | instid1(VALU_DEP_2)
	v_pk_fma_f32 v[88:89], v[84:85], v[82:83], v[86:87] op_sel_hi:[1,0,1]
	v_pk_fma_f32 v[82:83], v[84:85], v[82:83], v[86:87] neg_lo:[0,0,1] neg_hi:[0,0,1]
	v_mov_b32_e32 v83, v89
	s_delay_alu instid0(VALU_DEP_1)
	v_pk_add_f32 v[78:79], v[78:79], v[82:83]
	s_and_not1_b32 exec_lo, exec_lo, s0
	s_cbranch_execnz .LBB100_182
; %bb.183:
	s_or_b32 exec_lo, exec_lo, s0
.LBB100_184:
	s_delay_alu instid0(SALU_CYCLE_1) | instskip(SKIP_4) | instid1(VALU_DEP_1)
	s_or_b32 exec_lo, exec_lo, s25
	v_mov_b32_e32 v80, 0
	ds_load_b64 v[80:81], v80 offset:144
	s_wait_dscnt 0x0
	v_pk_mul_f32 v[82:83], v[78:79], v[80:81] op_sel:[1,1] op_sel_hi:[0,1]
	v_pk_fma_f32 v[84:85], v[78:79], v[80:81], v[82:83] op_sel_hi:[1,0,1]
	v_pk_fma_f32 v[78:79], v[78:79], v[80:81], v[82:83] neg_lo:[0,0,1] neg_hi:[0,0,1]
	s_delay_alu instid0(VALU_DEP_2)
	v_mov_b32_e32 v79, v85
	scratch_store_b64 off, v[78:79], off offset:144
.LBB100_185:
	s_wait_xcnt 0x0
	s_or_b32 exec_lo, exec_lo, s24
	scratch_load_b64 v[78:79], off, off offset:136
	v_cmp_lt_u32_e64 s0, 17, v0
	s_wait_loadcnt 0x0
	ds_store_b64 v1, v[78:79]
	s_wait_storecnt_dscnt 0x0
	s_barrier_signal -1
	s_barrier_wait -1
	s_wait_xcnt 0x0
	s_and_saveexec_b32 s23, s0
	s_cbranch_execz .LBB100_195
; %bb.186:
	s_and_not1_b32 vcc_lo, exec_lo, s5
	s_cbranch_vccnz .LBB100_188
; %bb.187:
	scratch_load_b64 v[78:79], v59, off
	ds_load_b64 v[80:81], v1
	s_wait_loadcnt_dscnt 0x0
	v_pk_mul_f32 v[82:83], v[80:81], v[78:79] op_sel:[1,1] op_sel_hi:[0,1]
	s_delay_alu instid0(VALU_DEP_1) | instskip(SKIP_1) | instid1(VALU_DEP_2)
	v_pk_fma_f32 v[84:85], v[80:81], v[78:79], v[82:83] op_sel_hi:[1,0,1]
	v_pk_fma_f32 v[78:79], v[80:81], v[78:79], v[82:83] neg_lo:[0,0,1] neg_hi:[0,0,1]
	v_mov_b32_e32 v79, v85
	s_cbranch_execz .LBB100_189
	s_branch .LBB100_190
.LBB100_188:
                                        ; implicit-def: $vgpr78_vgpr79
.LBB100_189:
	ds_load_b64 v[78:79], v1
.LBB100_190:
	s_and_saveexec_b32 s24, s1
	s_cbranch_execz .LBB100_194
; %bb.191:
	v_subrev_nc_u32_e32 v80, 18, v0
	s_movk_i32 s25, 0x1c0
	s_mov_b32 s1, 0
.LBB100_192:                            ; =>This Inner Loop Header: Depth=1
	scratch_load_b64 v[82:83], off, s22
	v_dual_mov_b32 v81, s25 :: v_dual_add_nc_u32 v80, -1, v80
	s_add_co_i32 s25, s25, 8
	s_wait_xcnt 0x0
	s_add_co_i32 s22, s22, 8
	ds_load_b64 v[84:85], v81
	v_cmp_eq_u32_e32 vcc_lo, 0, v80
	s_or_b32 s1, vcc_lo, s1
	s_wait_loadcnt_dscnt 0x0
	v_pk_mul_f32 v[86:87], v[84:85], v[82:83] op_sel:[1,1] op_sel_hi:[0,1]
	s_delay_alu instid0(VALU_DEP_1) | instskip(SKIP_1) | instid1(VALU_DEP_2)
	v_pk_fma_f32 v[88:89], v[84:85], v[82:83], v[86:87] op_sel_hi:[1,0,1]
	v_pk_fma_f32 v[82:83], v[84:85], v[82:83], v[86:87] neg_lo:[0,0,1] neg_hi:[0,0,1]
	v_mov_b32_e32 v83, v89
	s_delay_alu instid0(VALU_DEP_1)
	v_pk_add_f32 v[78:79], v[78:79], v[82:83]
	s_and_not1_b32 exec_lo, exec_lo, s1
	s_cbranch_execnz .LBB100_192
; %bb.193:
	s_or_b32 exec_lo, exec_lo, s1
.LBB100_194:
	s_delay_alu instid0(SALU_CYCLE_1) | instskip(SKIP_4) | instid1(VALU_DEP_1)
	s_or_b32 exec_lo, exec_lo, s24
	v_mov_b32_e32 v80, 0
	ds_load_b64 v[80:81], v80 offset:136
	s_wait_dscnt 0x0
	v_pk_mul_f32 v[82:83], v[78:79], v[80:81] op_sel:[1,1] op_sel_hi:[0,1]
	v_pk_fma_f32 v[84:85], v[78:79], v[80:81], v[82:83] op_sel_hi:[1,0,1]
	v_pk_fma_f32 v[78:79], v[78:79], v[80:81], v[82:83] neg_lo:[0,0,1] neg_hi:[0,0,1]
	s_delay_alu instid0(VALU_DEP_2)
	v_mov_b32_e32 v79, v85
	scratch_store_b64 off, v[78:79], off offset:136
.LBB100_195:
	s_wait_xcnt 0x0
	s_or_b32 exec_lo, exec_lo, s23
	scratch_load_b64 v[78:79], off, off offset:128
	v_cmp_lt_u32_e64 s1, 16, v0
	s_wait_loadcnt 0x0
	ds_store_b64 v1, v[78:79]
	s_wait_storecnt_dscnt 0x0
	s_barrier_signal -1
	s_barrier_wait -1
	s_wait_xcnt 0x0
	s_and_saveexec_b32 s22, s1
	s_cbranch_execz .LBB100_205
; %bb.196:
	s_and_not1_b32 vcc_lo, exec_lo, s5
	s_cbranch_vccnz .LBB100_198
; %bb.197:
	scratch_load_b64 v[78:79], v59, off
	ds_load_b64 v[80:81], v1
	s_wait_loadcnt_dscnt 0x0
	v_pk_mul_f32 v[82:83], v[80:81], v[78:79] op_sel:[1,1] op_sel_hi:[0,1]
	s_delay_alu instid0(VALU_DEP_1) | instskip(SKIP_1) | instid1(VALU_DEP_2)
	v_pk_fma_f32 v[84:85], v[80:81], v[78:79], v[82:83] op_sel_hi:[1,0,1]
	v_pk_fma_f32 v[78:79], v[80:81], v[78:79], v[82:83] neg_lo:[0,0,1] neg_hi:[0,0,1]
	v_mov_b32_e32 v79, v85
	s_cbranch_execz .LBB100_199
	s_branch .LBB100_200
.LBB100_198:
                                        ; implicit-def: $vgpr78_vgpr79
.LBB100_199:
	ds_load_b64 v[78:79], v1
.LBB100_200:
	s_and_saveexec_b32 s23, s0
	s_cbranch_execz .LBB100_204
; %bb.201:
	v_subrev_nc_u32_e32 v80, 17, v0
	s_movk_i32 s24, 0x1b8
	s_mov_b32 s0, 0
.LBB100_202:                            ; =>This Inner Loop Header: Depth=1
	scratch_load_b64 v[82:83], off, s21
	v_dual_mov_b32 v81, s24 :: v_dual_add_nc_u32 v80, -1, v80
	s_add_co_i32 s24, s24, 8
	s_wait_xcnt 0x0
	s_add_co_i32 s21, s21, 8
	ds_load_b64 v[84:85], v81
	v_cmp_eq_u32_e32 vcc_lo, 0, v80
	s_or_b32 s0, vcc_lo, s0
	s_wait_loadcnt_dscnt 0x0
	v_pk_mul_f32 v[86:87], v[84:85], v[82:83] op_sel:[1,1] op_sel_hi:[0,1]
	s_delay_alu instid0(VALU_DEP_1) | instskip(SKIP_1) | instid1(VALU_DEP_2)
	v_pk_fma_f32 v[88:89], v[84:85], v[82:83], v[86:87] op_sel_hi:[1,0,1]
	v_pk_fma_f32 v[82:83], v[84:85], v[82:83], v[86:87] neg_lo:[0,0,1] neg_hi:[0,0,1]
	v_mov_b32_e32 v83, v89
	s_delay_alu instid0(VALU_DEP_1)
	v_pk_add_f32 v[78:79], v[78:79], v[82:83]
	s_and_not1_b32 exec_lo, exec_lo, s0
	s_cbranch_execnz .LBB100_202
; %bb.203:
	s_or_b32 exec_lo, exec_lo, s0
.LBB100_204:
	s_delay_alu instid0(SALU_CYCLE_1) | instskip(SKIP_4) | instid1(VALU_DEP_1)
	s_or_b32 exec_lo, exec_lo, s23
	v_mov_b32_e32 v80, 0
	ds_load_b64 v[80:81], v80 offset:128
	s_wait_dscnt 0x0
	v_pk_mul_f32 v[82:83], v[78:79], v[80:81] op_sel:[1,1] op_sel_hi:[0,1]
	v_pk_fma_f32 v[84:85], v[78:79], v[80:81], v[82:83] op_sel_hi:[1,0,1]
	v_pk_fma_f32 v[78:79], v[78:79], v[80:81], v[82:83] neg_lo:[0,0,1] neg_hi:[0,0,1]
	s_delay_alu instid0(VALU_DEP_2)
	v_mov_b32_e32 v79, v85
	scratch_store_b64 off, v[78:79], off offset:128
.LBB100_205:
	s_wait_xcnt 0x0
	s_or_b32 exec_lo, exec_lo, s22
	scratch_load_b64 v[78:79], off, off offset:120
	v_cmp_lt_u32_e64 s0, 15, v0
	s_wait_loadcnt 0x0
	ds_store_b64 v1, v[78:79]
	s_wait_storecnt_dscnt 0x0
	s_barrier_signal -1
	s_barrier_wait -1
	s_wait_xcnt 0x0
	s_and_saveexec_b32 s21, s0
	s_cbranch_execz .LBB100_215
; %bb.206:
	s_and_not1_b32 vcc_lo, exec_lo, s5
	s_cbranch_vccnz .LBB100_208
; %bb.207:
	scratch_load_b64 v[78:79], v59, off
	ds_load_b64 v[80:81], v1
	s_wait_loadcnt_dscnt 0x0
	v_pk_mul_f32 v[82:83], v[80:81], v[78:79] op_sel:[1,1] op_sel_hi:[0,1]
	s_delay_alu instid0(VALU_DEP_1) | instskip(SKIP_1) | instid1(VALU_DEP_2)
	v_pk_fma_f32 v[84:85], v[80:81], v[78:79], v[82:83] op_sel_hi:[1,0,1]
	v_pk_fma_f32 v[78:79], v[80:81], v[78:79], v[82:83] neg_lo:[0,0,1] neg_hi:[0,0,1]
	v_mov_b32_e32 v79, v85
	s_cbranch_execz .LBB100_209
	s_branch .LBB100_210
.LBB100_208:
                                        ; implicit-def: $vgpr78_vgpr79
.LBB100_209:
	ds_load_b64 v[78:79], v1
.LBB100_210:
	s_and_saveexec_b32 s22, s1
	s_cbranch_execz .LBB100_214
; %bb.211:
	v_add_nc_u32_e32 v80, -16, v0
	s_movk_i32 s23, 0x1b0
	s_mov_b32 s1, 0
.LBB100_212:                            ; =>This Inner Loop Header: Depth=1
	scratch_load_b64 v[82:83], off, s20
	v_dual_mov_b32 v81, s23 :: v_dual_add_nc_u32 v80, -1, v80
	s_add_co_i32 s23, s23, 8
	s_wait_xcnt 0x0
	s_add_co_i32 s20, s20, 8
	ds_load_b64 v[84:85], v81
	v_cmp_eq_u32_e32 vcc_lo, 0, v80
	s_or_b32 s1, vcc_lo, s1
	s_wait_loadcnt_dscnt 0x0
	v_pk_mul_f32 v[86:87], v[84:85], v[82:83] op_sel:[1,1] op_sel_hi:[0,1]
	s_delay_alu instid0(VALU_DEP_1) | instskip(SKIP_1) | instid1(VALU_DEP_2)
	v_pk_fma_f32 v[88:89], v[84:85], v[82:83], v[86:87] op_sel_hi:[1,0,1]
	v_pk_fma_f32 v[82:83], v[84:85], v[82:83], v[86:87] neg_lo:[0,0,1] neg_hi:[0,0,1]
	v_mov_b32_e32 v83, v89
	s_delay_alu instid0(VALU_DEP_1)
	v_pk_add_f32 v[78:79], v[78:79], v[82:83]
	s_and_not1_b32 exec_lo, exec_lo, s1
	s_cbranch_execnz .LBB100_212
; %bb.213:
	s_or_b32 exec_lo, exec_lo, s1
.LBB100_214:
	s_delay_alu instid0(SALU_CYCLE_1) | instskip(SKIP_4) | instid1(VALU_DEP_1)
	s_or_b32 exec_lo, exec_lo, s22
	v_mov_b32_e32 v80, 0
	ds_load_b64 v[80:81], v80 offset:120
	s_wait_dscnt 0x0
	v_pk_mul_f32 v[82:83], v[78:79], v[80:81] op_sel:[1,1] op_sel_hi:[0,1]
	v_pk_fma_f32 v[84:85], v[78:79], v[80:81], v[82:83] op_sel_hi:[1,0,1]
	v_pk_fma_f32 v[78:79], v[78:79], v[80:81], v[82:83] neg_lo:[0,0,1] neg_hi:[0,0,1]
	s_delay_alu instid0(VALU_DEP_2)
	v_mov_b32_e32 v79, v85
	scratch_store_b64 off, v[78:79], off offset:120
.LBB100_215:
	s_wait_xcnt 0x0
	s_or_b32 exec_lo, exec_lo, s21
	scratch_load_b64 v[78:79], off, off offset:112
	v_cmp_lt_u32_e64 s1, 14, v0
	s_wait_loadcnt 0x0
	ds_store_b64 v1, v[78:79]
	s_wait_storecnt_dscnt 0x0
	s_barrier_signal -1
	s_barrier_wait -1
	s_wait_xcnt 0x0
	s_and_saveexec_b32 s20, s1
	s_cbranch_execz .LBB100_225
; %bb.216:
	s_and_not1_b32 vcc_lo, exec_lo, s5
	s_cbranch_vccnz .LBB100_218
; %bb.217:
	scratch_load_b64 v[78:79], v59, off
	ds_load_b64 v[80:81], v1
	s_wait_loadcnt_dscnt 0x0
	v_pk_mul_f32 v[82:83], v[80:81], v[78:79] op_sel:[1,1] op_sel_hi:[0,1]
	s_delay_alu instid0(VALU_DEP_1) | instskip(SKIP_1) | instid1(VALU_DEP_2)
	v_pk_fma_f32 v[84:85], v[80:81], v[78:79], v[82:83] op_sel_hi:[1,0,1]
	v_pk_fma_f32 v[78:79], v[80:81], v[78:79], v[82:83] neg_lo:[0,0,1] neg_hi:[0,0,1]
	v_mov_b32_e32 v79, v85
	s_cbranch_execz .LBB100_219
	s_branch .LBB100_220
.LBB100_218:
                                        ; implicit-def: $vgpr78_vgpr79
.LBB100_219:
	ds_load_b64 v[78:79], v1
.LBB100_220:
	s_and_saveexec_b32 s21, s0
	s_cbranch_execz .LBB100_224
; %bb.221:
	v_add_nc_u32_e32 v80, -15, v0
	s_movk_i32 s22, 0x1a8
	s_mov_b32 s0, 0
.LBB100_222:                            ; =>This Inner Loop Header: Depth=1
	scratch_load_b64 v[82:83], off, s19
	v_dual_mov_b32 v81, s22 :: v_dual_add_nc_u32 v80, -1, v80
	s_add_co_i32 s22, s22, 8
	s_wait_xcnt 0x0
	s_add_co_i32 s19, s19, 8
	ds_load_b64 v[84:85], v81
	v_cmp_eq_u32_e32 vcc_lo, 0, v80
	s_or_b32 s0, vcc_lo, s0
	s_wait_loadcnt_dscnt 0x0
	v_pk_mul_f32 v[86:87], v[84:85], v[82:83] op_sel:[1,1] op_sel_hi:[0,1]
	s_delay_alu instid0(VALU_DEP_1) | instskip(SKIP_1) | instid1(VALU_DEP_2)
	v_pk_fma_f32 v[88:89], v[84:85], v[82:83], v[86:87] op_sel_hi:[1,0,1]
	v_pk_fma_f32 v[82:83], v[84:85], v[82:83], v[86:87] neg_lo:[0,0,1] neg_hi:[0,0,1]
	v_mov_b32_e32 v83, v89
	s_delay_alu instid0(VALU_DEP_1)
	v_pk_add_f32 v[78:79], v[78:79], v[82:83]
	s_and_not1_b32 exec_lo, exec_lo, s0
	s_cbranch_execnz .LBB100_222
; %bb.223:
	s_or_b32 exec_lo, exec_lo, s0
.LBB100_224:
	s_delay_alu instid0(SALU_CYCLE_1) | instskip(SKIP_4) | instid1(VALU_DEP_1)
	s_or_b32 exec_lo, exec_lo, s21
	v_mov_b32_e32 v80, 0
	ds_load_b64 v[80:81], v80 offset:112
	s_wait_dscnt 0x0
	v_pk_mul_f32 v[82:83], v[78:79], v[80:81] op_sel:[1,1] op_sel_hi:[0,1]
	v_pk_fma_f32 v[84:85], v[78:79], v[80:81], v[82:83] op_sel_hi:[1,0,1]
	v_pk_fma_f32 v[78:79], v[78:79], v[80:81], v[82:83] neg_lo:[0,0,1] neg_hi:[0,0,1]
	s_delay_alu instid0(VALU_DEP_2)
	v_mov_b32_e32 v79, v85
	scratch_store_b64 off, v[78:79], off offset:112
.LBB100_225:
	s_wait_xcnt 0x0
	s_or_b32 exec_lo, exec_lo, s20
	scratch_load_b64 v[78:79], off, off offset:104
	v_cmp_lt_u32_e64 s0, 13, v0
	s_wait_loadcnt 0x0
	ds_store_b64 v1, v[78:79]
	s_wait_storecnt_dscnt 0x0
	s_barrier_signal -1
	s_barrier_wait -1
	s_wait_xcnt 0x0
	s_and_saveexec_b32 s19, s0
	s_cbranch_execz .LBB100_235
; %bb.226:
	s_and_not1_b32 vcc_lo, exec_lo, s5
	s_cbranch_vccnz .LBB100_228
; %bb.227:
	scratch_load_b64 v[78:79], v59, off
	ds_load_b64 v[80:81], v1
	s_wait_loadcnt_dscnt 0x0
	v_pk_mul_f32 v[82:83], v[80:81], v[78:79] op_sel:[1,1] op_sel_hi:[0,1]
	s_delay_alu instid0(VALU_DEP_1) | instskip(SKIP_1) | instid1(VALU_DEP_2)
	v_pk_fma_f32 v[84:85], v[80:81], v[78:79], v[82:83] op_sel_hi:[1,0,1]
	v_pk_fma_f32 v[78:79], v[80:81], v[78:79], v[82:83] neg_lo:[0,0,1] neg_hi:[0,0,1]
	v_mov_b32_e32 v79, v85
	s_cbranch_execz .LBB100_229
	s_branch .LBB100_230
.LBB100_228:
                                        ; implicit-def: $vgpr78_vgpr79
.LBB100_229:
	ds_load_b64 v[78:79], v1
.LBB100_230:
	s_and_saveexec_b32 s20, s1
	s_cbranch_execz .LBB100_234
; %bb.231:
	v_add_nc_u32_e32 v80, -14, v0
	s_movk_i32 s21, 0x1a0
	s_mov_b32 s1, 0
.LBB100_232:                            ; =>This Inner Loop Header: Depth=1
	scratch_load_b64 v[82:83], off, s18
	v_dual_mov_b32 v81, s21 :: v_dual_add_nc_u32 v80, -1, v80
	s_add_co_i32 s21, s21, 8
	s_wait_xcnt 0x0
	s_add_co_i32 s18, s18, 8
	ds_load_b64 v[84:85], v81
	v_cmp_eq_u32_e32 vcc_lo, 0, v80
	s_or_b32 s1, vcc_lo, s1
	s_wait_loadcnt_dscnt 0x0
	v_pk_mul_f32 v[86:87], v[84:85], v[82:83] op_sel:[1,1] op_sel_hi:[0,1]
	s_delay_alu instid0(VALU_DEP_1) | instskip(SKIP_1) | instid1(VALU_DEP_2)
	v_pk_fma_f32 v[88:89], v[84:85], v[82:83], v[86:87] op_sel_hi:[1,0,1]
	v_pk_fma_f32 v[82:83], v[84:85], v[82:83], v[86:87] neg_lo:[0,0,1] neg_hi:[0,0,1]
	v_mov_b32_e32 v83, v89
	s_delay_alu instid0(VALU_DEP_1)
	v_pk_add_f32 v[78:79], v[78:79], v[82:83]
	s_and_not1_b32 exec_lo, exec_lo, s1
	s_cbranch_execnz .LBB100_232
; %bb.233:
	s_or_b32 exec_lo, exec_lo, s1
.LBB100_234:
	s_delay_alu instid0(SALU_CYCLE_1) | instskip(SKIP_4) | instid1(VALU_DEP_1)
	s_or_b32 exec_lo, exec_lo, s20
	v_mov_b32_e32 v80, 0
	ds_load_b64 v[80:81], v80 offset:104
	s_wait_dscnt 0x0
	v_pk_mul_f32 v[82:83], v[78:79], v[80:81] op_sel:[1,1] op_sel_hi:[0,1]
	v_pk_fma_f32 v[84:85], v[78:79], v[80:81], v[82:83] op_sel_hi:[1,0,1]
	v_pk_fma_f32 v[78:79], v[78:79], v[80:81], v[82:83] neg_lo:[0,0,1] neg_hi:[0,0,1]
	s_delay_alu instid0(VALU_DEP_2)
	v_mov_b32_e32 v79, v85
	scratch_store_b64 off, v[78:79], off offset:104
.LBB100_235:
	s_wait_xcnt 0x0
	s_or_b32 exec_lo, exec_lo, s19
	scratch_load_b64 v[78:79], off, off offset:96
	v_cmp_lt_u32_e64 s1, 12, v0
	s_wait_loadcnt 0x0
	ds_store_b64 v1, v[78:79]
	s_wait_storecnt_dscnt 0x0
	s_barrier_signal -1
	s_barrier_wait -1
	s_wait_xcnt 0x0
	s_and_saveexec_b32 s18, s1
	s_cbranch_execz .LBB100_245
; %bb.236:
	s_and_not1_b32 vcc_lo, exec_lo, s5
	s_cbranch_vccnz .LBB100_238
; %bb.237:
	scratch_load_b64 v[78:79], v59, off
	ds_load_b64 v[80:81], v1
	s_wait_loadcnt_dscnt 0x0
	v_pk_mul_f32 v[82:83], v[80:81], v[78:79] op_sel:[1,1] op_sel_hi:[0,1]
	s_delay_alu instid0(VALU_DEP_1) | instskip(SKIP_1) | instid1(VALU_DEP_2)
	v_pk_fma_f32 v[84:85], v[80:81], v[78:79], v[82:83] op_sel_hi:[1,0,1]
	v_pk_fma_f32 v[78:79], v[80:81], v[78:79], v[82:83] neg_lo:[0,0,1] neg_hi:[0,0,1]
	v_mov_b32_e32 v79, v85
	s_cbranch_execz .LBB100_239
	s_branch .LBB100_240
.LBB100_238:
                                        ; implicit-def: $vgpr78_vgpr79
.LBB100_239:
	ds_load_b64 v[78:79], v1
.LBB100_240:
	s_and_saveexec_b32 s19, s0
	s_cbranch_execz .LBB100_244
; %bb.241:
	v_add_nc_u32_e32 v80, -13, v0
	s_movk_i32 s20, 0x198
	s_mov_b32 s0, 0
.LBB100_242:                            ; =>This Inner Loop Header: Depth=1
	scratch_load_b64 v[82:83], off, s17
	v_dual_mov_b32 v81, s20 :: v_dual_add_nc_u32 v80, -1, v80
	s_add_co_i32 s20, s20, 8
	s_wait_xcnt 0x0
	s_add_co_i32 s17, s17, 8
	ds_load_b64 v[84:85], v81
	v_cmp_eq_u32_e32 vcc_lo, 0, v80
	s_or_b32 s0, vcc_lo, s0
	s_wait_loadcnt_dscnt 0x0
	v_pk_mul_f32 v[86:87], v[84:85], v[82:83] op_sel:[1,1] op_sel_hi:[0,1]
	s_delay_alu instid0(VALU_DEP_1) | instskip(SKIP_1) | instid1(VALU_DEP_2)
	v_pk_fma_f32 v[88:89], v[84:85], v[82:83], v[86:87] op_sel_hi:[1,0,1]
	v_pk_fma_f32 v[82:83], v[84:85], v[82:83], v[86:87] neg_lo:[0,0,1] neg_hi:[0,0,1]
	v_mov_b32_e32 v83, v89
	s_delay_alu instid0(VALU_DEP_1)
	v_pk_add_f32 v[78:79], v[78:79], v[82:83]
	s_and_not1_b32 exec_lo, exec_lo, s0
	s_cbranch_execnz .LBB100_242
; %bb.243:
	s_or_b32 exec_lo, exec_lo, s0
.LBB100_244:
	s_delay_alu instid0(SALU_CYCLE_1) | instskip(SKIP_4) | instid1(VALU_DEP_1)
	s_or_b32 exec_lo, exec_lo, s19
	v_mov_b32_e32 v80, 0
	ds_load_b64 v[80:81], v80 offset:96
	s_wait_dscnt 0x0
	v_pk_mul_f32 v[82:83], v[78:79], v[80:81] op_sel:[1,1] op_sel_hi:[0,1]
	v_pk_fma_f32 v[84:85], v[78:79], v[80:81], v[82:83] op_sel_hi:[1,0,1]
	v_pk_fma_f32 v[78:79], v[78:79], v[80:81], v[82:83] neg_lo:[0,0,1] neg_hi:[0,0,1]
	s_delay_alu instid0(VALU_DEP_2)
	v_mov_b32_e32 v79, v85
	scratch_store_b64 off, v[78:79], off offset:96
.LBB100_245:
	s_wait_xcnt 0x0
	s_or_b32 exec_lo, exec_lo, s18
	scratch_load_b64 v[78:79], off, off offset:88
	v_cmp_lt_u32_e64 s0, 11, v0
	s_wait_loadcnt 0x0
	ds_store_b64 v1, v[78:79]
	s_wait_storecnt_dscnt 0x0
	s_barrier_signal -1
	s_barrier_wait -1
	s_wait_xcnt 0x0
	s_and_saveexec_b32 s17, s0
	s_cbranch_execz .LBB100_255
; %bb.246:
	s_and_not1_b32 vcc_lo, exec_lo, s5
	s_cbranch_vccnz .LBB100_248
; %bb.247:
	scratch_load_b64 v[78:79], v59, off
	ds_load_b64 v[80:81], v1
	s_wait_loadcnt_dscnt 0x0
	v_pk_mul_f32 v[82:83], v[80:81], v[78:79] op_sel:[1,1] op_sel_hi:[0,1]
	s_delay_alu instid0(VALU_DEP_1) | instskip(SKIP_1) | instid1(VALU_DEP_2)
	v_pk_fma_f32 v[84:85], v[80:81], v[78:79], v[82:83] op_sel_hi:[1,0,1]
	v_pk_fma_f32 v[78:79], v[80:81], v[78:79], v[82:83] neg_lo:[0,0,1] neg_hi:[0,0,1]
	v_mov_b32_e32 v79, v85
	s_cbranch_execz .LBB100_249
	s_branch .LBB100_250
.LBB100_248:
                                        ; implicit-def: $vgpr78_vgpr79
.LBB100_249:
	ds_load_b64 v[78:79], v1
.LBB100_250:
	s_and_saveexec_b32 s18, s1
	s_cbranch_execz .LBB100_254
; %bb.251:
	v_add_nc_u32_e32 v80, -12, v0
	s_movk_i32 s19, 0x190
	s_mov_b32 s1, 0
.LBB100_252:                            ; =>This Inner Loop Header: Depth=1
	scratch_load_b64 v[82:83], off, s16
	v_dual_mov_b32 v81, s19 :: v_dual_add_nc_u32 v80, -1, v80
	s_add_co_i32 s19, s19, 8
	s_wait_xcnt 0x0
	s_add_co_i32 s16, s16, 8
	ds_load_b64 v[84:85], v81
	v_cmp_eq_u32_e32 vcc_lo, 0, v80
	s_or_b32 s1, vcc_lo, s1
	s_wait_loadcnt_dscnt 0x0
	v_pk_mul_f32 v[86:87], v[84:85], v[82:83] op_sel:[1,1] op_sel_hi:[0,1]
	s_delay_alu instid0(VALU_DEP_1) | instskip(SKIP_1) | instid1(VALU_DEP_2)
	v_pk_fma_f32 v[88:89], v[84:85], v[82:83], v[86:87] op_sel_hi:[1,0,1]
	v_pk_fma_f32 v[82:83], v[84:85], v[82:83], v[86:87] neg_lo:[0,0,1] neg_hi:[0,0,1]
	v_mov_b32_e32 v83, v89
	s_delay_alu instid0(VALU_DEP_1)
	v_pk_add_f32 v[78:79], v[78:79], v[82:83]
	s_and_not1_b32 exec_lo, exec_lo, s1
	s_cbranch_execnz .LBB100_252
; %bb.253:
	s_or_b32 exec_lo, exec_lo, s1
.LBB100_254:
	s_delay_alu instid0(SALU_CYCLE_1) | instskip(SKIP_4) | instid1(VALU_DEP_1)
	s_or_b32 exec_lo, exec_lo, s18
	v_mov_b32_e32 v80, 0
	ds_load_b64 v[80:81], v80 offset:88
	s_wait_dscnt 0x0
	v_pk_mul_f32 v[82:83], v[78:79], v[80:81] op_sel:[1,1] op_sel_hi:[0,1]
	v_pk_fma_f32 v[84:85], v[78:79], v[80:81], v[82:83] op_sel_hi:[1,0,1]
	v_pk_fma_f32 v[78:79], v[78:79], v[80:81], v[82:83] neg_lo:[0,0,1] neg_hi:[0,0,1]
	s_delay_alu instid0(VALU_DEP_2)
	v_mov_b32_e32 v79, v85
	scratch_store_b64 off, v[78:79], off offset:88
.LBB100_255:
	s_wait_xcnt 0x0
	s_or_b32 exec_lo, exec_lo, s17
	scratch_load_b64 v[78:79], off, off offset:80
	v_cmp_lt_u32_e64 s1, 10, v0
	s_wait_loadcnt 0x0
	ds_store_b64 v1, v[78:79]
	s_wait_storecnt_dscnt 0x0
	s_barrier_signal -1
	s_barrier_wait -1
	s_wait_xcnt 0x0
	s_and_saveexec_b32 s16, s1
	s_cbranch_execz .LBB100_265
; %bb.256:
	s_and_not1_b32 vcc_lo, exec_lo, s5
	s_cbranch_vccnz .LBB100_258
; %bb.257:
	scratch_load_b64 v[78:79], v59, off
	ds_load_b64 v[80:81], v1
	s_wait_loadcnt_dscnt 0x0
	v_pk_mul_f32 v[82:83], v[80:81], v[78:79] op_sel:[1,1] op_sel_hi:[0,1]
	s_delay_alu instid0(VALU_DEP_1) | instskip(SKIP_1) | instid1(VALU_DEP_2)
	v_pk_fma_f32 v[84:85], v[80:81], v[78:79], v[82:83] op_sel_hi:[1,0,1]
	v_pk_fma_f32 v[78:79], v[80:81], v[78:79], v[82:83] neg_lo:[0,0,1] neg_hi:[0,0,1]
	v_mov_b32_e32 v79, v85
	s_cbranch_execz .LBB100_259
	s_branch .LBB100_260
.LBB100_258:
                                        ; implicit-def: $vgpr78_vgpr79
.LBB100_259:
	ds_load_b64 v[78:79], v1
.LBB100_260:
	s_and_saveexec_b32 s17, s0
	s_cbranch_execz .LBB100_264
; %bb.261:
	v_add_nc_u32_e32 v80, -11, v0
	s_movk_i32 s18, 0x188
	s_mov_b32 s0, 0
.LBB100_262:                            ; =>This Inner Loop Header: Depth=1
	scratch_load_b64 v[82:83], off, s15
	v_dual_mov_b32 v81, s18 :: v_dual_add_nc_u32 v80, -1, v80
	s_add_co_i32 s18, s18, 8
	s_wait_xcnt 0x0
	s_add_co_i32 s15, s15, 8
	ds_load_b64 v[84:85], v81
	v_cmp_eq_u32_e32 vcc_lo, 0, v80
	s_or_b32 s0, vcc_lo, s0
	s_wait_loadcnt_dscnt 0x0
	v_pk_mul_f32 v[86:87], v[84:85], v[82:83] op_sel:[1,1] op_sel_hi:[0,1]
	s_delay_alu instid0(VALU_DEP_1) | instskip(SKIP_1) | instid1(VALU_DEP_2)
	v_pk_fma_f32 v[88:89], v[84:85], v[82:83], v[86:87] op_sel_hi:[1,0,1]
	v_pk_fma_f32 v[82:83], v[84:85], v[82:83], v[86:87] neg_lo:[0,0,1] neg_hi:[0,0,1]
	v_mov_b32_e32 v83, v89
	s_delay_alu instid0(VALU_DEP_1)
	v_pk_add_f32 v[78:79], v[78:79], v[82:83]
	s_and_not1_b32 exec_lo, exec_lo, s0
	s_cbranch_execnz .LBB100_262
; %bb.263:
	s_or_b32 exec_lo, exec_lo, s0
.LBB100_264:
	s_delay_alu instid0(SALU_CYCLE_1) | instskip(SKIP_4) | instid1(VALU_DEP_1)
	s_or_b32 exec_lo, exec_lo, s17
	v_mov_b32_e32 v80, 0
	ds_load_b64 v[80:81], v80 offset:80
	s_wait_dscnt 0x0
	v_pk_mul_f32 v[82:83], v[78:79], v[80:81] op_sel:[1,1] op_sel_hi:[0,1]
	v_pk_fma_f32 v[84:85], v[78:79], v[80:81], v[82:83] op_sel_hi:[1,0,1]
	v_pk_fma_f32 v[78:79], v[78:79], v[80:81], v[82:83] neg_lo:[0,0,1] neg_hi:[0,0,1]
	s_delay_alu instid0(VALU_DEP_2)
	v_mov_b32_e32 v79, v85
	scratch_store_b64 off, v[78:79], off offset:80
.LBB100_265:
	s_wait_xcnt 0x0
	s_or_b32 exec_lo, exec_lo, s16
	scratch_load_b64 v[78:79], off, off offset:72
	v_cmp_lt_u32_e64 s0, 9, v0
	s_wait_loadcnt 0x0
	ds_store_b64 v1, v[78:79]
	s_wait_storecnt_dscnt 0x0
	s_barrier_signal -1
	s_barrier_wait -1
	s_wait_xcnt 0x0
	s_and_saveexec_b32 s15, s0
	s_cbranch_execz .LBB100_275
; %bb.266:
	s_and_not1_b32 vcc_lo, exec_lo, s5
	s_cbranch_vccnz .LBB100_268
; %bb.267:
	scratch_load_b64 v[78:79], v59, off
	ds_load_b64 v[80:81], v1
	s_wait_loadcnt_dscnt 0x0
	v_pk_mul_f32 v[82:83], v[80:81], v[78:79] op_sel:[1,1] op_sel_hi:[0,1]
	s_delay_alu instid0(VALU_DEP_1) | instskip(SKIP_1) | instid1(VALU_DEP_2)
	v_pk_fma_f32 v[84:85], v[80:81], v[78:79], v[82:83] op_sel_hi:[1,0,1]
	v_pk_fma_f32 v[78:79], v[80:81], v[78:79], v[82:83] neg_lo:[0,0,1] neg_hi:[0,0,1]
	v_mov_b32_e32 v79, v85
	s_cbranch_execz .LBB100_269
	s_branch .LBB100_270
.LBB100_268:
                                        ; implicit-def: $vgpr78_vgpr79
.LBB100_269:
	ds_load_b64 v[78:79], v1
.LBB100_270:
	s_and_saveexec_b32 s16, s1
	s_cbranch_execz .LBB100_274
; %bb.271:
	v_add_nc_u32_e32 v80, -10, v0
	s_movk_i32 s17, 0x180
	s_mov_b32 s1, 0
.LBB100_272:                            ; =>This Inner Loop Header: Depth=1
	scratch_load_b64 v[82:83], off, s14
	v_dual_mov_b32 v81, s17 :: v_dual_add_nc_u32 v80, -1, v80
	s_add_co_i32 s17, s17, 8
	s_wait_xcnt 0x0
	s_add_co_i32 s14, s14, 8
	ds_load_b64 v[84:85], v81
	v_cmp_eq_u32_e32 vcc_lo, 0, v80
	s_or_b32 s1, vcc_lo, s1
	s_wait_loadcnt_dscnt 0x0
	v_pk_mul_f32 v[86:87], v[84:85], v[82:83] op_sel:[1,1] op_sel_hi:[0,1]
	s_delay_alu instid0(VALU_DEP_1) | instskip(SKIP_1) | instid1(VALU_DEP_2)
	v_pk_fma_f32 v[88:89], v[84:85], v[82:83], v[86:87] op_sel_hi:[1,0,1]
	v_pk_fma_f32 v[82:83], v[84:85], v[82:83], v[86:87] neg_lo:[0,0,1] neg_hi:[0,0,1]
	v_mov_b32_e32 v83, v89
	s_delay_alu instid0(VALU_DEP_1)
	v_pk_add_f32 v[78:79], v[78:79], v[82:83]
	s_and_not1_b32 exec_lo, exec_lo, s1
	s_cbranch_execnz .LBB100_272
; %bb.273:
	s_or_b32 exec_lo, exec_lo, s1
.LBB100_274:
	s_delay_alu instid0(SALU_CYCLE_1) | instskip(SKIP_4) | instid1(VALU_DEP_1)
	s_or_b32 exec_lo, exec_lo, s16
	v_mov_b32_e32 v80, 0
	ds_load_b64 v[80:81], v80 offset:72
	s_wait_dscnt 0x0
	v_pk_mul_f32 v[82:83], v[78:79], v[80:81] op_sel:[1,1] op_sel_hi:[0,1]
	v_pk_fma_f32 v[84:85], v[78:79], v[80:81], v[82:83] op_sel_hi:[1,0,1]
	v_pk_fma_f32 v[78:79], v[78:79], v[80:81], v[82:83] neg_lo:[0,0,1] neg_hi:[0,0,1]
	s_delay_alu instid0(VALU_DEP_2)
	v_mov_b32_e32 v79, v85
	scratch_store_b64 off, v[78:79], off offset:72
.LBB100_275:
	s_wait_xcnt 0x0
	s_or_b32 exec_lo, exec_lo, s15
	scratch_load_b64 v[78:79], off, off offset:64
	v_cmp_lt_u32_e64 s1, 8, v0
	s_wait_loadcnt 0x0
	ds_store_b64 v1, v[78:79]
	s_wait_storecnt_dscnt 0x0
	s_barrier_signal -1
	s_barrier_wait -1
	s_wait_xcnt 0x0
	s_and_saveexec_b32 s14, s1
	s_cbranch_execz .LBB100_285
; %bb.276:
	s_and_not1_b32 vcc_lo, exec_lo, s5
	s_cbranch_vccnz .LBB100_278
; %bb.277:
	scratch_load_b64 v[78:79], v59, off
	ds_load_b64 v[80:81], v1
	s_wait_loadcnt_dscnt 0x0
	v_pk_mul_f32 v[82:83], v[80:81], v[78:79] op_sel:[1,1] op_sel_hi:[0,1]
	s_delay_alu instid0(VALU_DEP_1) | instskip(SKIP_1) | instid1(VALU_DEP_2)
	v_pk_fma_f32 v[84:85], v[80:81], v[78:79], v[82:83] op_sel_hi:[1,0,1]
	v_pk_fma_f32 v[78:79], v[80:81], v[78:79], v[82:83] neg_lo:[0,0,1] neg_hi:[0,0,1]
	v_mov_b32_e32 v79, v85
	s_cbranch_execz .LBB100_279
	s_branch .LBB100_280
.LBB100_278:
                                        ; implicit-def: $vgpr78_vgpr79
.LBB100_279:
	ds_load_b64 v[78:79], v1
.LBB100_280:
	s_and_saveexec_b32 s15, s0
	s_cbranch_execz .LBB100_284
; %bb.281:
	v_add_nc_u32_e32 v80, -9, v0
	s_movk_i32 s16, 0x178
	s_mov_b32 s0, 0
.LBB100_282:                            ; =>This Inner Loop Header: Depth=1
	scratch_load_b64 v[82:83], off, s13
	v_dual_mov_b32 v81, s16 :: v_dual_add_nc_u32 v80, -1, v80
	s_add_co_i32 s16, s16, 8
	s_wait_xcnt 0x0
	s_add_co_i32 s13, s13, 8
	ds_load_b64 v[84:85], v81
	v_cmp_eq_u32_e32 vcc_lo, 0, v80
	s_or_b32 s0, vcc_lo, s0
	s_wait_loadcnt_dscnt 0x0
	v_pk_mul_f32 v[86:87], v[84:85], v[82:83] op_sel:[1,1] op_sel_hi:[0,1]
	s_delay_alu instid0(VALU_DEP_1) | instskip(SKIP_1) | instid1(VALU_DEP_2)
	v_pk_fma_f32 v[88:89], v[84:85], v[82:83], v[86:87] op_sel_hi:[1,0,1]
	v_pk_fma_f32 v[82:83], v[84:85], v[82:83], v[86:87] neg_lo:[0,0,1] neg_hi:[0,0,1]
	v_mov_b32_e32 v83, v89
	s_delay_alu instid0(VALU_DEP_1)
	v_pk_add_f32 v[78:79], v[78:79], v[82:83]
	s_and_not1_b32 exec_lo, exec_lo, s0
	s_cbranch_execnz .LBB100_282
; %bb.283:
	s_or_b32 exec_lo, exec_lo, s0
.LBB100_284:
	s_delay_alu instid0(SALU_CYCLE_1) | instskip(SKIP_4) | instid1(VALU_DEP_1)
	s_or_b32 exec_lo, exec_lo, s15
	v_mov_b32_e32 v80, 0
	ds_load_b64 v[80:81], v80 offset:64
	s_wait_dscnt 0x0
	v_pk_mul_f32 v[82:83], v[78:79], v[80:81] op_sel:[1,1] op_sel_hi:[0,1]
	v_pk_fma_f32 v[84:85], v[78:79], v[80:81], v[82:83] op_sel_hi:[1,0,1]
	v_pk_fma_f32 v[78:79], v[78:79], v[80:81], v[82:83] neg_lo:[0,0,1] neg_hi:[0,0,1]
	s_delay_alu instid0(VALU_DEP_2)
	v_mov_b32_e32 v79, v85
	scratch_store_b64 off, v[78:79], off offset:64
.LBB100_285:
	s_wait_xcnt 0x0
	s_or_b32 exec_lo, exec_lo, s14
	scratch_load_b64 v[78:79], off, off offset:56
	v_cmp_lt_u32_e64 s0, 7, v0
	s_wait_loadcnt 0x0
	ds_store_b64 v1, v[78:79]
	s_wait_storecnt_dscnt 0x0
	s_barrier_signal -1
	s_barrier_wait -1
	s_wait_xcnt 0x0
	s_and_saveexec_b32 s13, s0
	s_cbranch_execz .LBB100_295
; %bb.286:
	s_and_not1_b32 vcc_lo, exec_lo, s5
	s_cbranch_vccnz .LBB100_288
; %bb.287:
	scratch_load_b64 v[78:79], v59, off
	ds_load_b64 v[80:81], v1
	s_wait_loadcnt_dscnt 0x0
	v_pk_mul_f32 v[82:83], v[80:81], v[78:79] op_sel:[1,1] op_sel_hi:[0,1]
	s_delay_alu instid0(VALU_DEP_1) | instskip(SKIP_1) | instid1(VALU_DEP_2)
	v_pk_fma_f32 v[84:85], v[80:81], v[78:79], v[82:83] op_sel_hi:[1,0,1]
	v_pk_fma_f32 v[78:79], v[80:81], v[78:79], v[82:83] neg_lo:[0,0,1] neg_hi:[0,0,1]
	v_mov_b32_e32 v79, v85
	s_cbranch_execz .LBB100_289
	s_branch .LBB100_290
.LBB100_288:
                                        ; implicit-def: $vgpr78_vgpr79
.LBB100_289:
	ds_load_b64 v[78:79], v1
.LBB100_290:
	s_and_saveexec_b32 s14, s1
	s_cbranch_execz .LBB100_294
; %bb.291:
	v_add_nc_u32_e32 v80, -8, v0
	s_movk_i32 s15, 0x170
	s_mov_b32 s1, 0
.LBB100_292:                            ; =>This Inner Loop Header: Depth=1
	scratch_load_b64 v[82:83], off, s12
	v_dual_mov_b32 v81, s15 :: v_dual_add_nc_u32 v80, -1, v80
	s_add_co_i32 s15, s15, 8
	s_wait_xcnt 0x0
	s_add_co_i32 s12, s12, 8
	ds_load_b64 v[84:85], v81
	v_cmp_eq_u32_e32 vcc_lo, 0, v80
	s_or_b32 s1, vcc_lo, s1
	s_wait_loadcnt_dscnt 0x0
	v_pk_mul_f32 v[86:87], v[84:85], v[82:83] op_sel:[1,1] op_sel_hi:[0,1]
	s_delay_alu instid0(VALU_DEP_1) | instskip(SKIP_1) | instid1(VALU_DEP_2)
	v_pk_fma_f32 v[88:89], v[84:85], v[82:83], v[86:87] op_sel_hi:[1,0,1]
	v_pk_fma_f32 v[82:83], v[84:85], v[82:83], v[86:87] neg_lo:[0,0,1] neg_hi:[0,0,1]
	v_mov_b32_e32 v83, v89
	s_delay_alu instid0(VALU_DEP_1)
	v_pk_add_f32 v[78:79], v[78:79], v[82:83]
	s_and_not1_b32 exec_lo, exec_lo, s1
	s_cbranch_execnz .LBB100_292
; %bb.293:
	s_or_b32 exec_lo, exec_lo, s1
.LBB100_294:
	s_delay_alu instid0(SALU_CYCLE_1) | instskip(SKIP_4) | instid1(VALU_DEP_1)
	s_or_b32 exec_lo, exec_lo, s14
	v_mov_b32_e32 v80, 0
	ds_load_b64 v[80:81], v80 offset:56
	s_wait_dscnt 0x0
	v_pk_mul_f32 v[82:83], v[78:79], v[80:81] op_sel:[1,1] op_sel_hi:[0,1]
	v_pk_fma_f32 v[84:85], v[78:79], v[80:81], v[82:83] op_sel_hi:[1,0,1]
	v_pk_fma_f32 v[78:79], v[78:79], v[80:81], v[82:83] neg_lo:[0,0,1] neg_hi:[0,0,1]
	s_delay_alu instid0(VALU_DEP_2)
	v_mov_b32_e32 v79, v85
	scratch_store_b64 off, v[78:79], off offset:56
.LBB100_295:
	s_wait_xcnt 0x0
	s_or_b32 exec_lo, exec_lo, s13
	scratch_load_b64 v[78:79], off, off offset:48
	v_cmp_lt_u32_e64 s1, 6, v0
	s_wait_loadcnt 0x0
	ds_store_b64 v1, v[78:79]
	s_wait_storecnt_dscnt 0x0
	s_barrier_signal -1
	s_barrier_wait -1
	s_wait_xcnt 0x0
	s_and_saveexec_b32 s12, s1
	s_cbranch_execz .LBB100_305
; %bb.296:
	s_and_not1_b32 vcc_lo, exec_lo, s5
	s_cbranch_vccnz .LBB100_298
; %bb.297:
	scratch_load_b64 v[78:79], v59, off
	ds_load_b64 v[80:81], v1
	s_wait_loadcnt_dscnt 0x0
	v_pk_mul_f32 v[82:83], v[80:81], v[78:79] op_sel:[1,1] op_sel_hi:[0,1]
	s_delay_alu instid0(VALU_DEP_1) | instskip(SKIP_1) | instid1(VALU_DEP_2)
	v_pk_fma_f32 v[84:85], v[80:81], v[78:79], v[82:83] op_sel_hi:[1,0,1]
	v_pk_fma_f32 v[78:79], v[80:81], v[78:79], v[82:83] neg_lo:[0,0,1] neg_hi:[0,0,1]
	v_mov_b32_e32 v79, v85
	s_cbranch_execz .LBB100_299
	s_branch .LBB100_300
.LBB100_298:
                                        ; implicit-def: $vgpr78_vgpr79
.LBB100_299:
	ds_load_b64 v[78:79], v1
.LBB100_300:
	s_and_saveexec_b32 s13, s0
	s_cbranch_execz .LBB100_304
; %bb.301:
	v_add_nc_u32_e32 v80, -7, v0
	s_movk_i32 s14, 0x168
	s_mov_b32 s0, 0
.LBB100_302:                            ; =>This Inner Loop Header: Depth=1
	scratch_load_b64 v[82:83], off, s11
	v_dual_mov_b32 v81, s14 :: v_dual_add_nc_u32 v80, -1, v80
	s_add_co_i32 s14, s14, 8
	s_wait_xcnt 0x0
	s_add_co_i32 s11, s11, 8
	ds_load_b64 v[84:85], v81
	v_cmp_eq_u32_e32 vcc_lo, 0, v80
	s_or_b32 s0, vcc_lo, s0
	s_wait_loadcnt_dscnt 0x0
	v_pk_mul_f32 v[86:87], v[84:85], v[82:83] op_sel:[1,1] op_sel_hi:[0,1]
	s_delay_alu instid0(VALU_DEP_1) | instskip(SKIP_1) | instid1(VALU_DEP_2)
	v_pk_fma_f32 v[88:89], v[84:85], v[82:83], v[86:87] op_sel_hi:[1,0,1]
	v_pk_fma_f32 v[82:83], v[84:85], v[82:83], v[86:87] neg_lo:[0,0,1] neg_hi:[0,0,1]
	v_mov_b32_e32 v83, v89
	s_delay_alu instid0(VALU_DEP_1)
	v_pk_add_f32 v[78:79], v[78:79], v[82:83]
	s_and_not1_b32 exec_lo, exec_lo, s0
	s_cbranch_execnz .LBB100_302
; %bb.303:
	s_or_b32 exec_lo, exec_lo, s0
.LBB100_304:
	s_delay_alu instid0(SALU_CYCLE_1) | instskip(SKIP_4) | instid1(VALU_DEP_1)
	s_or_b32 exec_lo, exec_lo, s13
	v_mov_b32_e32 v80, 0
	ds_load_b64 v[80:81], v80 offset:48
	s_wait_dscnt 0x0
	v_pk_mul_f32 v[82:83], v[78:79], v[80:81] op_sel:[1,1] op_sel_hi:[0,1]
	v_pk_fma_f32 v[84:85], v[78:79], v[80:81], v[82:83] op_sel_hi:[1,0,1]
	v_pk_fma_f32 v[78:79], v[78:79], v[80:81], v[82:83] neg_lo:[0,0,1] neg_hi:[0,0,1]
	s_delay_alu instid0(VALU_DEP_2)
	v_mov_b32_e32 v79, v85
	scratch_store_b64 off, v[78:79], off offset:48
.LBB100_305:
	s_wait_xcnt 0x0
	s_or_b32 exec_lo, exec_lo, s12
	scratch_load_b64 v[78:79], off, off offset:40
	v_cmp_lt_u32_e64 s0, 5, v0
	s_wait_loadcnt 0x0
	ds_store_b64 v1, v[78:79]
	s_wait_storecnt_dscnt 0x0
	s_barrier_signal -1
	s_barrier_wait -1
	s_wait_xcnt 0x0
	s_and_saveexec_b32 s11, s0
	s_cbranch_execz .LBB100_315
; %bb.306:
	s_and_not1_b32 vcc_lo, exec_lo, s5
	s_cbranch_vccnz .LBB100_308
; %bb.307:
	scratch_load_b64 v[78:79], v59, off
	ds_load_b64 v[80:81], v1
	s_wait_loadcnt_dscnt 0x0
	v_pk_mul_f32 v[82:83], v[80:81], v[78:79] op_sel:[1,1] op_sel_hi:[0,1]
	s_delay_alu instid0(VALU_DEP_1) | instskip(SKIP_1) | instid1(VALU_DEP_2)
	v_pk_fma_f32 v[84:85], v[80:81], v[78:79], v[82:83] op_sel_hi:[1,0,1]
	v_pk_fma_f32 v[78:79], v[80:81], v[78:79], v[82:83] neg_lo:[0,0,1] neg_hi:[0,0,1]
	v_mov_b32_e32 v79, v85
	s_cbranch_execz .LBB100_309
	s_branch .LBB100_310
.LBB100_308:
                                        ; implicit-def: $vgpr78_vgpr79
.LBB100_309:
	ds_load_b64 v[78:79], v1
.LBB100_310:
	s_and_saveexec_b32 s12, s1
	s_cbranch_execz .LBB100_314
; %bb.311:
	v_add_nc_u32_e32 v80, -6, v0
	s_movk_i32 s13, 0x160
	s_mov_b32 s1, 0
.LBB100_312:                            ; =>This Inner Loop Header: Depth=1
	scratch_load_b64 v[82:83], off, s10
	v_dual_mov_b32 v81, s13 :: v_dual_add_nc_u32 v80, -1, v80
	s_add_co_i32 s13, s13, 8
	s_wait_xcnt 0x0
	s_add_co_i32 s10, s10, 8
	ds_load_b64 v[84:85], v81
	v_cmp_eq_u32_e32 vcc_lo, 0, v80
	s_or_b32 s1, vcc_lo, s1
	s_wait_loadcnt_dscnt 0x0
	v_pk_mul_f32 v[86:87], v[84:85], v[82:83] op_sel:[1,1] op_sel_hi:[0,1]
	s_delay_alu instid0(VALU_DEP_1) | instskip(SKIP_1) | instid1(VALU_DEP_2)
	v_pk_fma_f32 v[88:89], v[84:85], v[82:83], v[86:87] op_sel_hi:[1,0,1]
	v_pk_fma_f32 v[82:83], v[84:85], v[82:83], v[86:87] neg_lo:[0,0,1] neg_hi:[0,0,1]
	v_mov_b32_e32 v83, v89
	s_delay_alu instid0(VALU_DEP_1)
	v_pk_add_f32 v[78:79], v[78:79], v[82:83]
	s_and_not1_b32 exec_lo, exec_lo, s1
	s_cbranch_execnz .LBB100_312
; %bb.313:
	s_or_b32 exec_lo, exec_lo, s1
.LBB100_314:
	s_delay_alu instid0(SALU_CYCLE_1) | instskip(SKIP_4) | instid1(VALU_DEP_1)
	s_or_b32 exec_lo, exec_lo, s12
	v_mov_b32_e32 v80, 0
	ds_load_b64 v[80:81], v80 offset:40
	s_wait_dscnt 0x0
	v_pk_mul_f32 v[82:83], v[78:79], v[80:81] op_sel:[1,1] op_sel_hi:[0,1]
	v_pk_fma_f32 v[84:85], v[78:79], v[80:81], v[82:83] op_sel_hi:[1,0,1]
	v_pk_fma_f32 v[78:79], v[78:79], v[80:81], v[82:83] neg_lo:[0,0,1] neg_hi:[0,0,1]
	s_delay_alu instid0(VALU_DEP_2)
	v_mov_b32_e32 v79, v85
	scratch_store_b64 off, v[78:79], off offset:40
.LBB100_315:
	s_wait_xcnt 0x0
	s_or_b32 exec_lo, exec_lo, s11
	scratch_load_b64 v[78:79], off, off offset:32
	v_cmp_lt_u32_e64 s1, 4, v0
	s_wait_loadcnt 0x0
	ds_store_b64 v1, v[78:79]
	s_wait_storecnt_dscnt 0x0
	s_barrier_signal -1
	s_barrier_wait -1
	s_wait_xcnt 0x0
	s_and_saveexec_b32 s10, s1
	s_cbranch_execz .LBB100_325
; %bb.316:
	s_and_not1_b32 vcc_lo, exec_lo, s5
	s_cbranch_vccnz .LBB100_318
; %bb.317:
	scratch_load_b64 v[78:79], v59, off
	ds_load_b64 v[80:81], v1
	s_wait_loadcnt_dscnt 0x0
	v_pk_mul_f32 v[82:83], v[80:81], v[78:79] op_sel:[1,1] op_sel_hi:[0,1]
	s_delay_alu instid0(VALU_DEP_1) | instskip(SKIP_1) | instid1(VALU_DEP_2)
	v_pk_fma_f32 v[84:85], v[80:81], v[78:79], v[82:83] op_sel_hi:[1,0,1]
	v_pk_fma_f32 v[78:79], v[80:81], v[78:79], v[82:83] neg_lo:[0,0,1] neg_hi:[0,0,1]
	v_mov_b32_e32 v79, v85
	s_cbranch_execz .LBB100_319
	s_branch .LBB100_320
.LBB100_318:
                                        ; implicit-def: $vgpr78_vgpr79
.LBB100_319:
	ds_load_b64 v[78:79], v1
.LBB100_320:
	s_and_saveexec_b32 s11, s0
	s_cbranch_execz .LBB100_324
; %bb.321:
	v_add_nc_u32_e32 v80, -5, v0
	s_movk_i32 s12, 0x158
	s_mov_b32 s0, 0
.LBB100_322:                            ; =>This Inner Loop Header: Depth=1
	scratch_load_b64 v[82:83], off, s9
	v_dual_mov_b32 v81, s12 :: v_dual_add_nc_u32 v80, -1, v80
	s_add_co_i32 s12, s12, 8
	s_wait_xcnt 0x0
	s_add_co_i32 s9, s9, 8
	ds_load_b64 v[84:85], v81
	v_cmp_eq_u32_e32 vcc_lo, 0, v80
	s_or_b32 s0, vcc_lo, s0
	s_wait_loadcnt_dscnt 0x0
	v_pk_mul_f32 v[86:87], v[84:85], v[82:83] op_sel:[1,1] op_sel_hi:[0,1]
	s_delay_alu instid0(VALU_DEP_1) | instskip(SKIP_1) | instid1(VALU_DEP_2)
	v_pk_fma_f32 v[88:89], v[84:85], v[82:83], v[86:87] op_sel_hi:[1,0,1]
	v_pk_fma_f32 v[82:83], v[84:85], v[82:83], v[86:87] neg_lo:[0,0,1] neg_hi:[0,0,1]
	v_mov_b32_e32 v83, v89
	s_delay_alu instid0(VALU_DEP_1)
	v_pk_add_f32 v[78:79], v[78:79], v[82:83]
	s_and_not1_b32 exec_lo, exec_lo, s0
	s_cbranch_execnz .LBB100_322
; %bb.323:
	s_or_b32 exec_lo, exec_lo, s0
.LBB100_324:
	s_delay_alu instid0(SALU_CYCLE_1) | instskip(SKIP_4) | instid1(VALU_DEP_1)
	s_or_b32 exec_lo, exec_lo, s11
	v_mov_b32_e32 v80, 0
	ds_load_b64 v[80:81], v80 offset:32
	s_wait_dscnt 0x0
	v_pk_mul_f32 v[82:83], v[78:79], v[80:81] op_sel:[1,1] op_sel_hi:[0,1]
	v_pk_fma_f32 v[84:85], v[78:79], v[80:81], v[82:83] op_sel_hi:[1,0,1]
	v_pk_fma_f32 v[78:79], v[78:79], v[80:81], v[82:83] neg_lo:[0,0,1] neg_hi:[0,0,1]
	s_delay_alu instid0(VALU_DEP_2)
	v_mov_b32_e32 v79, v85
	scratch_store_b64 off, v[78:79], off offset:32
.LBB100_325:
	s_wait_xcnt 0x0
	s_or_b32 exec_lo, exec_lo, s10
	scratch_load_b64 v[78:79], off, off offset:24
	v_cmp_lt_u32_e64 s0, 3, v0
	s_wait_loadcnt 0x0
	ds_store_b64 v1, v[78:79]
	s_wait_storecnt_dscnt 0x0
	s_barrier_signal -1
	s_barrier_wait -1
	s_wait_xcnt 0x0
	s_and_saveexec_b32 s9, s0
	s_cbranch_execz .LBB100_335
; %bb.326:
	s_and_not1_b32 vcc_lo, exec_lo, s5
	s_cbranch_vccnz .LBB100_328
; %bb.327:
	scratch_load_b64 v[78:79], v59, off
	ds_load_b64 v[80:81], v1
	s_wait_loadcnt_dscnt 0x0
	v_pk_mul_f32 v[82:83], v[80:81], v[78:79] op_sel:[1,1] op_sel_hi:[0,1]
	s_delay_alu instid0(VALU_DEP_1) | instskip(SKIP_1) | instid1(VALU_DEP_2)
	v_pk_fma_f32 v[84:85], v[80:81], v[78:79], v[82:83] op_sel_hi:[1,0,1]
	v_pk_fma_f32 v[78:79], v[80:81], v[78:79], v[82:83] neg_lo:[0,0,1] neg_hi:[0,0,1]
	v_mov_b32_e32 v79, v85
	s_cbranch_execz .LBB100_329
	s_branch .LBB100_330
.LBB100_328:
                                        ; implicit-def: $vgpr78_vgpr79
.LBB100_329:
	ds_load_b64 v[78:79], v1
.LBB100_330:
	s_and_saveexec_b32 s10, s1
	s_cbranch_execz .LBB100_334
; %bb.331:
	v_add_nc_u32_e32 v80, -4, v0
	s_movk_i32 s11, 0x150
	s_mov_b32 s1, 0
.LBB100_332:                            ; =>This Inner Loop Header: Depth=1
	scratch_load_b64 v[82:83], off, s8
	v_dual_mov_b32 v81, s11 :: v_dual_add_nc_u32 v80, -1, v80
	s_add_co_i32 s11, s11, 8
	s_wait_xcnt 0x0
	s_add_co_i32 s8, s8, 8
	ds_load_b64 v[84:85], v81
	v_cmp_eq_u32_e32 vcc_lo, 0, v80
	s_or_b32 s1, vcc_lo, s1
	s_wait_loadcnt_dscnt 0x0
	v_pk_mul_f32 v[86:87], v[84:85], v[82:83] op_sel:[1,1] op_sel_hi:[0,1]
	s_delay_alu instid0(VALU_DEP_1) | instskip(SKIP_1) | instid1(VALU_DEP_2)
	v_pk_fma_f32 v[88:89], v[84:85], v[82:83], v[86:87] op_sel_hi:[1,0,1]
	v_pk_fma_f32 v[82:83], v[84:85], v[82:83], v[86:87] neg_lo:[0,0,1] neg_hi:[0,0,1]
	v_mov_b32_e32 v83, v89
	s_delay_alu instid0(VALU_DEP_1)
	v_pk_add_f32 v[78:79], v[78:79], v[82:83]
	s_and_not1_b32 exec_lo, exec_lo, s1
	s_cbranch_execnz .LBB100_332
; %bb.333:
	s_or_b32 exec_lo, exec_lo, s1
.LBB100_334:
	s_delay_alu instid0(SALU_CYCLE_1) | instskip(SKIP_4) | instid1(VALU_DEP_1)
	s_or_b32 exec_lo, exec_lo, s10
	v_mov_b32_e32 v80, 0
	ds_load_b64 v[80:81], v80 offset:24
	s_wait_dscnt 0x0
	v_pk_mul_f32 v[82:83], v[78:79], v[80:81] op_sel:[1,1] op_sel_hi:[0,1]
	v_pk_fma_f32 v[84:85], v[78:79], v[80:81], v[82:83] op_sel_hi:[1,0,1]
	v_pk_fma_f32 v[78:79], v[78:79], v[80:81], v[82:83] neg_lo:[0,0,1] neg_hi:[0,0,1]
	s_delay_alu instid0(VALU_DEP_2)
	v_mov_b32_e32 v79, v85
	scratch_store_b64 off, v[78:79], off offset:24
.LBB100_335:
	s_wait_xcnt 0x0
	s_or_b32 exec_lo, exec_lo, s9
	scratch_load_b64 v[78:79], off, off offset:16
	v_cmp_lt_u32_e64 s1, 2, v0
	s_wait_loadcnt 0x0
	ds_store_b64 v1, v[78:79]
	s_wait_storecnt_dscnt 0x0
	s_barrier_signal -1
	s_barrier_wait -1
	s_wait_xcnt 0x0
	s_and_saveexec_b32 s8, s1
	s_cbranch_execz .LBB100_345
; %bb.336:
	s_and_not1_b32 vcc_lo, exec_lo, s5
	s_cbranch_vccnz .LBB100_338
; %bb.337:
	scratch_load_b64 v[78:79], v59, off
	ds_load_b64 v[80:81], v1
	s_wait_loadcnt_dscnt 0x0
	v_pk_mul_f32 v[82:83], v[80:81], v[78:79] op_sel:[1,1] op_sel_hi:[0,1]
	s_delay_alu instid0(VALU_DEP_1) | instskip(SKIP_1) | instid1(VALU_DEP_2)
	v_pk_fma_f32 v[84:85], v[80:81], v[78:79], v[82:83] op_sel_hi:[1,0,1]
	v_pk_fma_f32 v[78:79], v[80:81], v[78:79], v[82:83] neg_lo:[0,0,1] neg_hi:[0,0,1]
	v_mov_b32_e32 v79, v85
	s_cbranch_execz .LBB100_339
	s_branch .LBB100_340
.LBB100_338:
                                        ; implicit-def: $vgpr78_vgpr79
.LBB100_339:
	ds_load_b64 v[78:79], v1
.LBB100_340:
	s_and_saveexec_b32 s9, s0
	s_cbranch_execz .LBB100_344
; %bb.341:
	v_add_nc_u32_e32 v80, -3, v0
	s_movk_i32 s10, 0x148
	s_mov_b32 s0, 0
.LBB100_342:                            ; =>This Inner Loop Header: Depth=1
	scratch_load_b64 v[82:83], off, s7
	v_dual_mov_b32 v81, s10 :: v_dual_add_nc_u32 v80, -1, v80
	s_add_co_i32 s10, s10, 8
	s_wait_xcnt 0x0
	s_add_co_i32 s7, s7, 8
	ds_load_b64 v[84:85], v81
	v_cmp_eq_u32_e32 vcc_lo, 0, v80
	s_or_b32 s0, vcc_lo, s0
	s_wait_loadcnt_dscnt 0x0
	v_pk_mul_f32 v[86:87], v[84:85], v[82:83] op_sel:[1,1] op_sel_hi:[0,1]
	s_delay_alu instid0(VALU_DEP_1) | instskip(SKIP_1) | instid1(VALU_DEP_2)
	v_pk_fma_f32 v[88:89], v[84:85], v[82:83], v[86:87] op_sel_hi:[1,0,1]
	v_pk_fma_f32 v[82:83], v[84:85], v[82:83], v[86:87] neg_lo:[0,0,1] neg_hi:[0,0,1]
	v_mov_b32_e32 v83, v89
	s_delay_alu instid0(VALU_DEP_1)
	v_pk_add_f32 v[78:79], v[78:79], v[82:83]
	s_and_not1_b32 exec_lo, exec_lo, s0
	s_cbranch_execnz .LBB100_342
; %bb.343:
	s_or_b32 exec_lo, exec_lo, s0
.LBB100_344:
	s_delay_alu instid0(SALU_CYCLE_1) | instskip(SKIP_4) | instid1(VALU_DEP_1)
	s_or_b32 exec_lo, exec_lo, s9
	v_mov_b32_e32 v80, 0
	ds_load_b64 v[80:81], v80 offset:16
	s_wait_dscnt 0x0
	v_pk_mul_f32 v[82:83], v[78:79], v[80:81] op_sel:[1,1] op_sel_hi:[0,1]
	v_pk_fma_f32 v[84:85], v[78:79], v[80:81], v[82:83] op_sel_hi:[1,0,1]
	v_pk_fma_f32 v[78:79], v[78:79], v[80:81], v[82:83] neg_lo:[0,0,1] neg_hi:[0,0,1]
	s_delay_alu instid0(VALU_DEP_2)
	v_mov_b32_e32 v79, v85
	scratch_store_b64 off, v[78:79], off offset:16
.LBB100_345:
	s_wait_xcnt 0x0
	s_or_b32 exec_lo, exec_lo, s8
	scratch_load_b64 v[78:79], off, off offset:8
	v_cmp_lt_u32_e64 s0, 1, v0
	s_wait_loadcnt 0x0
	ds_store_b64 v1, v[78:79]
	s_wait_storecnt_dscnt 0x0
	s_barrier_signal -1
	s_barrier_wait -1
	s_wait_xcnt 0x0
	s_and_saveexec_b32 s7, s0
	s_cbranch_execz .LBB100_355
; %bb.346:
	s_and_not1_b32 vcc_lo, exec_lo, s5
	s_cbranch_vccnz .LBB100_348
; %bb.347:
	scratch_load_b64 v[78:79], v59, off
	ds_load_b64 v[80:81], v1
	s_wait_loadcnt_dscnt 0x0
	v_pk_mul_f32 v[82:83], v[80:81], v[78:79] op_sel:[1,1] op_sel_hi:[0,1]
	s_delay_alu instid0(VALU_DEP_1) | instskip(SKIP_1) | instid1(VALU_DEP_2)
	v_pk_fma_f32 v[84:85], v[80:81], v[78:79], v[82:83] op_sel_hi:[1,0,1]
	v_pk_fma_f32 v[78:79], v[80:81], v[78:79], v[82:83] neg_lo:[0,0,1] neg_hi:[0,0,1]
	v_mov_b32_e32 v79, v85
	s_cbranch_execz .LBB100_349
	s_branch .LBB100_350
.LBB100_348:
                                        ; implicit-def: $vgpr78_vgpr79
.LBB100_349:
	ds_load_b64 v[78:79], v1
.LBB100_350:
	s_and_saveexec_b32 s8, s1
	s_cbranch_execz .LBB100_354
; %bb.351:
	v_add_nc_u32_e32 v80, -2, v0
	s_movk_i32 s9, 0x140
	s_mov_b32 s1, 0
.LBB100_352:                            ; =>This Inner Loop Header: Depth=1
	scratch_load_b64 v[82:83], off, s6
	v_dual_mov_b32 v81, s9 :: v_dual_add_nc_u32 v80, -1, v80
	s_add_co_i32 s9, s9, 8
	s_wait_xcnt 0x0
	s_add_co_i32 s6, s6, 8
	ds_load_b64 v[84:85], v81
	v_cmp_eq_u32_e32 vcc_lo, 0, v80
	s_or_b32 s1, vcc_lo, s1
	s_wait_loadcnt_dscnt 0x0
	v_pk_mul_f32 v[86:87], v[84:85], v[82:83] op_sel:[1,1] op_sel_hi:[0,1]
	s_delay_alu instid0(VALU_DEP_1) | instskip(SKIP_1) | instid1(VALU_DEP_2)
	v_pk_fma_f32 v[88:89], v[84:85], v[82:83], v[86:87] op_sel_hi:[1,0,1]
	v_pk_fma_f32 v[82:83], v[84:85], v[82:83], v[86:87] neg_lo:[0,0,1] neg_hi:[0,0,1]
	v_mov_b32_e32 v83, v89
	s_delay_alu instid0(VALU_DEP_1)
	v_pk_add_f32 v[78:79], v[78:79], v[82:83]
	s_and_not1_b32 exec_lo, exec_lo, s1
	s_cbranch_execnz .LBB100_352
; %bb.353:
	s_or_b32 exec_lo, exec_lo, s1
.LBB100_354:
	s_delay_alu instid0(SALU_CYCLE_1) | instskip(SKIP_4) | instid1(VALU_DEP_1)
	s_or_b32 exec_lo, exec_lo, s8
	v_mov_b32_e32 v80, 0
	ds_load_b64 v[80:81], v80 offset:8
	s_wait_dscnt 0x0
	v_pk_mul_f32 v[82:83], v[78:79], v[80:81] op_sel:[1,1] op_sel_hi:[0,1]
	v_pk_fma_f32 v[84:85], v[78:79], v[80:81], v[82:83] op_sel_hi:[1,0,1]
	v_pk_fma_f32 v[78:79], v[78:79], v[80:81], v[82:83] neg_lo:[0,0,1] neg_hi:[0,0,1]
	s_delay_alu instid0(VALU_DEP_2)
	v_mov_b32_e32 v79, v85
	scratch_store_b64 off, v[78:79], off offset:8
.LBB100_355:
	s_wait_xcnt 0x0
	s_or_b32 exec_lo, exec_lo, s7
	scratch_load_b64 v[78:79], off, off
	s_mov_b32 s6, 0
	s_mov_b32 s1, 0
	s_mov_b32 s8, exec_lo
                                        ; implicit-def: $vgpr110
                                        ; implicit-def: $sgpr7
	s_wait_loadcnt 0x0
	ds_store_b64 v1, v[78:79]
	s_wait_storecnt_dscnt 0x0
	s_barrier_signal -1
	s_barrier_wait -1
	s_wait_xcnt 0x0
	v_cmpx_ne_u32_e32 0, v0
	s_cbranch_execz .LBB100_365
; %bb.356:
	s_and_not1_b32 vcc_lo, exec_lo, s5
	s_cbranch_vccnz .LBB100_358
; %bb.357:
	scratch_load_b64 v[80:81], v59, off
	ds_load_b64 v[82:83], v1
	s_wait_loadcnt_dscnt 0x0
	v_dual_mul_f32 v78, v83, v81 :: v_dual_mul_f32 v79, v82, v81
	s_delay_alu instid0(VALU_DEP_1)
	v_dual_fma_f32 v78, v82, v80, -v78 :: v_dual_fmac_f32 v79, v83, v80
	s_and_not1_b32 vcc_lo, exec_lo, s1
	s_cbranch_vccz .LBB100_359
	s_branch .LBB100_360
.LBB100_358:
                                        ; implicit-def: $vgpr78
.LBB100_359:
	ds_load_b64 v[78:79], v1
.LBB100_360:
	s_and_saveexec_b32 s1, s0
	s_cbranch_execz .LBB100_364
; %bb.361:
	v_add_nc_u32_e32 v80, -1, v0
	s_movk_i32 s7, 0x138
	s_mov_b32 s0, 0
.LBB100_362:                            ; =>This Inner Loop Header: Depth=1
	scratch_load_b64 v[82:83], off, s4
	v_mov_b32_e32 v81, s7
	s_add_co_i32 s7, s7, 8
	s_wait_xcnt 0x0
	s_add_co_i32 s4, s4, 8
	v_add_nc_u32_e32 v80, -1, v80
	ds_load_b64 v[84:85], v81
	v_cmp_eq_u32_e32 vcc_lo, 0, v80
	s_or_b32 s0, vcc_lo, s0
	s_wait_loadcnt_dscnt 0x0
	v_dual_mul_f32 v81, v85, v83 :: v_dual_mul_f32 v83, v84, v83
	s_delay_alu instid0(VALU_DEP_1) | instskip(NEXT) | instid1(VALU_DEP_1)
	v_dual_fma_f32 v81, v84, v82, -v81 :: v_dual_fmac_f32 v83, v85, v82
	v_dual_add_f32 v78, v78, v81 :: v_dual_add_f32 v79, v79, v83
	s_and_not1_b32 exec_lo, exec_lo, s0
	s_cbranch_execnz .LBB100_362
; %bb.363:
	s_or_b32 exec_lo, exec_lo, s0
.LBB100_364:
	s_delay_alu instid0(SALU_CYCLE_1)
	s_or_b32 exec_lo, exec_lo, s1
	v_mov_b32_e32 v80, 0
	s_mov_b32 s1, exec_lo
	s_or_b32 s7, 0, 4
	ds_load_b64 v[80:81], v80
	s_wait_dscnt 0x0
	v_dual_mul_f32 v82, v79, v81 :: v_dual_mul_f32 v110, v78, v81
	s_delay_alu instid0(VALU_DEP_1) | instskip(NEXT) | instid1(VALU_DEP_2)
	v_fma_f32 v78, v78, v80, -v82
	v_fmac_f32_e32 v110, v79, v80
	scratch_store_b32 off, v78, off
.LBB100_365:
	s_wait_xcnt 0x0
	s_or_b32 exec_lo, exec_lo, s8
	s_delay_alu instid0(SALU_CYCLE_1)
	s_and_b32 vcc_lo, exec_lo, s6
	s_cbranch_vccz .LBB100_721
.LBB100_366:
	scratch_load_b64 v[78:79], off, off offset:8
	v_cmp_eq_u32_e64 s0, 0, v0
	s_wait_loadcnt 0x0
	ds_store_b64 v1, v[78:79]
	s_wait_storecnt_dscnt 0x0
	s_barrier_signal -1
	s_barrier_wait -1
	s_wait_xcnt 0x0
	s_and_saveexec_b32 s4, s0
	s_cbranch_execz .LBB100_372
; %bb.367:
	s_and_b32 vcc_lo, exec_lo, s5
	s_cbranch_vccz .LBB100_369
; %bb.368:
	scratch_load_b64 v[78:79], v59, off
	ds_load_b64 v[80:81], v1
	s_wait_loadcnt_dscnt 0x0
	v_pk_mul_f32 v[82:83], v[80:81], v[78:79] op_sel:[1,1] op_sel_hi:[0,1]
	v_pk_mul_f32 v[84:85], v[80:81], v[78:79] op_sel_hi:[1,0]
	s_delay_alu instid0(VALU_DEP_2) | instskip(NEXT) | instid1(VALU_DEP_2)
	v_pk_fma_f32 v[78:79], v[80:81], v[78:79], v[82:83] op_sel_hi:[1,0,1]
	v_sub_f32_e32 v78, v84, v82
	s_cbranch_execz .LBB100_370
	s_branch .LBB100_371
.LBB100_369:
                                        ; implicit-def: $vgpr79
.LBB100_370:
	ds_load_b64 v[78:79], v1
.LBB100_371:
	s_wait_dscnt 0x0
	v_dual_mov_b32 v80, 0 :: v_dual_mov_b32 v82, v79
	v_mov_b32_e32 v83, v78
	ds_load_b64 v[80:81], v80 offset:8
	s_wait_dscnt 0x0
	v_pk_mul_f32 v[82:83], v[82:83], v[80:81] op_sel:[0,1]
	s_delay_alu instid0(VALU_DEP_1) | instskip(SKIP_1) | instid1(VALU_DEP_2)
	v_pk_fma_f32 v[84:85], v[78:79], v[80:81], v[82:83] op_sel_hi:[1,0,1]
	v_pk_fma_f32 v[78:79], v[78:79], v[80:81], v[82:83] neg_lo:[0,0,1] neg_hi:[0,0,1]
	v_mov_b32_e32 v79, v85
	scratch_store_b64 off, v[78:79], off offset:8
.LBB100_372:
	s_wait_xcnt 0x0
	s_or_b32 exec_lo, exec_lo, s4
	scratch_load_b64 v[78:79], off, off offset:16
	v_cndmask_b32_e64 v80, 0, 1, s5
	s_mov_b32 s4, exec_lo
	s_wait_loadcnt 0x0
	ds_store_b64 v1, v[78:79]
	s_wait_storecnt_dscnt 0x0
	s_barrier_signal -1
	s_barrier_wait -1
	s_wait_xcnt 0x0
	v_cmpx_gt_u32_e32 2, v0
	s_cbranch_execz .LBB100_380
; %bb.373:
	s_and_not1_b32 vcc_lo, exec_lo, s5
	s_cbranch_vccnz .LBB100_375
; %bb.374:
	scratch_load_b64 v[78:79], v59, off
	ds_load_b64 v[82:83], v1
	s_wait_loadcnt_dscnt 0x0
	v_pk_mul_f32 v[84:85], v[82:83], v[78:79] op_sel:[1,1] op_sel_hi:[0,1]
	s_delay_alu instid0(VALU_DEP_1) | instskip(SKIP_1) | instid1(VALU_DEP_2)
	v_pk_fma_f32 v[86:87], v[82:83], v[78:79], v[84:85] op_sel_hi:[1,0,1]
	v_pk_fma_f32 v[78:79], v[82:83], v[78:79], v[84:85] neg_lo:[0,0,1] neg_hi:[0,0,1]
	v_mov_b32_e32 v79, v87
	s_cbranch_execz .LBB100_376
	s_branch .LBB100_377
.LBB100_375:
                                        ; implicit-def: $vgpr78_vgpr79
.LBB100_376:
	ds_load_b64 v[78:79], v1
.LBB100_377:
	s_and_saveexec_b32 s5, s0
	s_cbranch_execz .LBB100_379
; %bb.378:
	scratch_load_b64 v[82:83], off, off offset:8
	v_mov_b32_e32 v81, 0
	ds_load_b64 v[84:85], v81 offset:312
	s_wait_loadcnt_dscnt 0x0
	v_pk_mul_f32 v[86:87], v[84:85], v[82:83] op_sel:[1,1] op_sel_hi:[0,1]
	s_delay_alu instid0(VALU_DEP_1) | instskip(SKIP_1) | instid1(VALU_DEP_2)
	v_pk_fma_f32 v[88:89], v[84:85], v[82:83], v[86:87] op_sel_hi:[1,0,1]
	v_pk_fma_f32 v[82:83], v[84:85], v[82:83], v[86:87] neg_lo:[0,0,1] neg_hi:[0,0,1]
	v_mov_b32_e32 v83, v89
	s_delay_alu instid0(VALU_DEP_1)
	v_pk_add_f32 v[78:79], v[78:79], v[82:83]
.LBB100_379:
	s_or_b32 exec_lo, exec_lo, s5
	v_mov_b32_e32 v81, 0
	ds_load_b64 v[82:83], v81 offset:16
	s_wait_dscnt 0x0
	v_pk_mul_f32 v[84:85], v[78:79], v[82:83] op_sel:[1,1] op_sel_hi:[0,1]
	s_delay_alu instid0(VALU_DEP_1) | instskip(SKIP_1) | instid1(VALU_DEP_2)
	v_pk_fma_f32 v[86:87], v[78:79], v[82:83], v[84:85] op_sel_hi:[1,0,1]
	v_pk_fma_f32 v[78:79], v[78:79], v[82:83], v[84:85] neg_lo:[0,0,1] neg_hi:[0,0,1]
	v_mov_b32_e32 v79, v87
	scratch_store_b64 off, v[78:79], off offset:16
.LBB100_380:
	s_wait_xcnt 0x0
	s_or_b32 exec_lo, exec_lo, s4
	scratch_load_b64 v[78:79], off, off offset:24
	s_mov_b32 s4, exec_lo
	s_wait_loadcnt 0x0
	ds_store_b64 v1, v[78:79]
	s_wait_storecnt_dscnt 0x0
	s_barrier_signal -1
	s_barrier_wait -1
	s_wait_xcnt 0x0
	v_cmpx_gt_u32_e32 3, v0
	s_cbranch_execz .LBB100_390
; %bb.381:
	v_cmp_ne_u32_e32 vcc_lo, 1, v80
	s_cbranch_vccnz .LBB100_383
; %bb.382:
	scratch_load_b64 v[78:79], v59, off
	ds_load_b64 v[82:83], v1
	s_wait_loadcnt_dscnt 0x0
	v_pk_mul_f32 v[84:85], v[82:83], v[78:79] op_sel:[1,1] op_sel_hi:[0,1]
	s_delay_alu instid0(VALU_DEP_1) | instskip(SKIP_1) | instid1(VALU_DEP_2)
	v_pk_fma_f32 v[86:87], v[82:83], v[78:79], v[84:85] op_sel_hi:[1,0,1]
	v_pk_fma_f32 v[78:79], v[82:83], v[78:79], v[84:85] neg_lo:[0,0,1] neg_hi:[0,0,1]
	v_mov_b32_e32 v79, v87
	s_cbranch_execz .LBB100_384
	s_branch .LBB100_385
.LBB100_383:
                                        ; implicit-def: $vgpr78_vgpr79
.LBB100_384:
	ds_load_b64 v[78:79], v1
.LBB100_385:
	s_mov_b32 s5, exec_lo
	v_cmpx_ne_u32_e32 2, v0
	s_cbranch_execz .LBB100_389
; %bb.386:
	scratch_load_b64 v[82:83], v59, off offset:8
	ds_load_b64 v[84:85], v1 offset:8
	s_wait_loadcnt_dscnt 0x0
	v_pk_mul_f32 v[86:87], v[84:85], v[82:83] op_sel:[1,1] op_sel_hi:[0,1]
	s_delay_alu instid0(VALU_DEP_1) | instskip(SKIP_1) | instid1(VALU_DEP_2)
	v_pk_fma_f32 v[88:89], v[84:85], v[82:83], v[86:87] op_sel_hi:[1,0,1]
	v_pk_fma_f32 v[82:83], v[84:85], v[82:83], v[86:87] neg_lo:[0,0,1] neg_hi:[0,0,1]
	v_mov_b32_e32 v83, v89
	s_delay_alu instid0(VALU_DEP_1)
	v_pk_add_f32 v[78:79], v[78:79], v[82:83]
	s_and_saveexec_b32 s6, s0
	s_cbranch_execz .LBB100_388
; %bb.387:
	scratch_load_b64 v[82:83], off, off offset:16
	v_mov_b32_e32 v81, 0
	ds_load_b64 v[84:85], v81 offset:320
	s_wait_loadcnt_dscnt 0x0
	v_pk_mul_f32 v[86:87], v[84:85], v[82:83] op_sel:[1,1] op_sel_hi:[0,1]
	s_delay_alu instid0(VALU_DEP_1) | instskip(SKIP_1) | instid1(VALU_DEP_2)
	v_pk_fma_f32 v[88:89], v[84:85], v[82:83], v[86:87] op_sel_hi:[1,0,1]
	v_pk_fma_f32 v[82:83], v[84:85], v[82:83], v[86:87] neg_lo:[0,0,1] neg_hi:[0,0,1]
	v_mov_b32_e32 v83, v89
	s_delay_alu instid0(VALU_DEP_1)
	v_pk_add_f32 v[78:79], v[78:79], v[82:83]
.LBB100_388:
	s_or_b32 exec_lo, exec_lo, s6
.LBB100_389:
	s_delay_alu instid0(SALU_CYCLE_1) | instskip(SKIP_4) | instid1(VALU_DEP_1)
	s_or_b32 exec_lo, exec_lo, s5
	v_mov_b32_e32 v81, 0
	ds_load_b64 v[82:83], v81 offset:24
	s_wait_dscnt 0x0
	v_pk_mul_f32 v[84:85], v[78:79], v[82:83] op_sel:[1,1] op_sel_hi:[0,1]
	v_pk_fma_f32 v[86:87], v[78:79], v[82:83], v[84:85] op_sel_hi:[1,0,1]
	v_pk_fma_f32 v[78:79], v[78:79], v[82:83], v[84:85] neg_lo:[0,0,1] neg_hi:[0,0,1]
	s_delay_alu instid0(VALU_DEP_2)
	v_mov_b32_e32 v79, v87
	scratch_store_b64 off, v[78:79], off offset:24
.LBB100_390:
	s_wait_xcnt 0x0
	s_or_b32 exec_lo, exec_lo, s4
	scratch_load_b64 v[78:79], off, off offset:32
	s_mov_b32 s0, exec_lo
	s_wait_loadcnt 0x0
	ds_store_b64 v1, v[78:79]
	s_wait_storecnt_dscnt 0x0
	s_barrier_signal -1
	s_barrier_wait -1
	s_wait_xcnt 0x0
	v_cmpx_gt_u32_e32 4, v0
	s_cbranch_execz .LBB100_400
; %bb.391:
	v_cmp_ne_u32_e32 vcc_lo, 1, v80
	s_cbranch_vccnz .LBB100_393
; %bb.392:
	scratch_load_b64 v[78:79], v59, off
	ds_load_b64 v[82:83], v1
	s_wait_loadcnt_dscnt 0x0
	v_pk_mul_f32 v[84:85], v[82:83], v[78:79] op_sel:[1,1] op_sel_hi:[0,1]
	s_delay_alu instid0(VALU_DEP_1) | instskip(SKIP_1) | instid1(VALU_DEP_2)
	v_pk_fma_f32 v[86:87], v[82:83], v[78:79], v[84:85] op_sel_hi:[1,0,1]
	v_pk_fma_f32 v[78:79], v[82:83], v[78:79], v[84:85] neg_lo:[0,0,1] neg_hi:[0,0,1]
	v_mov_b32_e32 v79, v87
	s_cbranch_execz .LBB100_394
	s_branch .LBB100_395
.LBB100_393:
                                        ; implicit-def: $vgpr78_vgpr79
.LBB100_394:
	ds_load_b64 v[78:79], v1
.LBB100_395:
	s_mov_b32 s4, exec_lo
	v_cmpx_ne_u32_e32 3, v0
	s_cbranch_execz .LBB100_399
; %bb.396:
	v_add_nc_u32_e32 v81, 0x138, v58
	v_add3_u32 v82, 0, v58, 8
	v_mov_b32_e32 v83, v0
	s_mov_b32 s5, 0
.LBB100_397:                            ; =>This Inner Loop Header: Depth=1
	scratch_load_b64 v[84:85], v82, off
	ds_load_b64 v[86:87], v81
	s_wait_xcnt 0x0
	v_dual_add_nc_u32 v81, 8, v81 :: v_dual_add_nc_u32 v82, 8, v82
	s_wait_loadcnt_dscnt 0x0
	v_pk_mul_f32 v[88:89], v[86:87], v[84:85] op_sel:[1,1] op_sel_hi:[0,1]
	s_delay_alu instid0(VALU_DEP_1) | instskip(SKIP_2) | instid1(VALU_DEP_3)
	v_pk_fma_f32 v[90:91], v[86:87], v[84:85], v[88:89] op_sel_hi:[1,0,1]
	v_add_nc_u32_e32 v83, 1, v83
	v_pk_fma_f32 v[84:85], v[86:87], v[84:85], v[88:89] neg_lo:[0,0,1] neg_hi:[0,0,1]
	v_mov_b32_e32 v85, v91
	s_delay_alu instid0(VALU_DEP_3) | instskip(NEXT) | instid1(VALU_DEP_2)
	v_cmp_lt_u32_e32 vcc_lo, 2, v83
	v_pk_add_f32 v[78:79], v[78:79], v[84:85]
	s_or_b32 s5, vcc_lo, s5
	s_delay_alu instid0(SALU_CYCLE_1)
	s_and_not1_b32 exec_lo, exec_lo, s5
	s_cbranch_execnz .LBB100_397
; %bb.398:
	s_or_b32 exec_lo, exec_lo, s5
.LBB100_399:
	s_delay_alu instid0(SALU_CYCLE_1) | instskip(SKIP_4) | instid1(VALU_DEP_1)
	s_or_b32 exec_lo, exec_lo, s4
	v_mov_b32_e32 v81, 0
	ds_load_b64 v[82:83], v81 offset:32
	s_wait_dscnt 0x0
	v_pk_mul_f32 v[84:85], v[78:79], v[82:83] op_sel:[1,1] op_sel_hi:[0,1]
	v_pk_fma_f32 v[86:87], v[78:79], v[82:83], v[84:85] op_sel_hi:[1,0,1]
	v_pk_fma_f32 v[78:79], v[78:79], v[82:83], v[84:85] neg_lo:[0,0,1] neg_hi:[0,0,1]
	s_delay_alu instid0(VALU_DEP_2)
	v_mov_b32_e32 v79, v87
	scratch_store_b64 off, v[78:79], off offset:32
.LBB100_400:
	s_wait_xcnt 0x0
	s_or_b32 exec_lo, exec_lo, s0
	scratch_load_b64 v[78:79], off, off offset:40
	s_mov_b32 s0, exec_lo
	s_wait_loadcnt 0x0
	ds_store_b64 v1, v[78:79]
	s_wait_storecnt_dscnt 0x0
	s_barrier_signal -1
	s_barrier_wait -1
	s_wait_xcnt 0x0
	v_cmpx_gt_u32_e32 5, v0
	s_cbranch_execz .LBB100_410
; %bb.401:
	v_cmp_ne_u32_e32 vcc_lo, 1, v80
	s_cbranch_vccnz .LBB100_403
; %bb.402:
	scratch_load_b64 v[78:79], v59, off
	ds_load_b64 v[82:83], v1
	s_wait_loadcnt_dscnt 0x0
	v_pk_mul_f32 v[84:85], v[82:83], v[78:79] op_sel:[1,1] op_sel_hi:[0,1]
	s_delay_alu instid0(VALU_DEP_1) | instskip(SKIP_1) | instid1(VALU_DEP_2)
	v_pk_fma_f32 v[86:87], v[82:83], v[78:79], v[84:85] op_sel_hi:[1,0,1]
	v_pk_fma_f32 v[78:79], v[82:83], v[78:79], v[84:85] neg_lo:[0,0,1] neg_hi:[0,0,1]
	v_mov_b32_e32 v79, v87
	s_cbranch_execz .LBB100_404
	s_branch .LBB100_405
.LBB100_403:
                                        ; implicit-def: $vgpr78_vgpr79
.LBB100_404:
	ds_load_b64 v[78:79], v1
.LBB100_405:
	s_mov_b32 s4, exec_lo
	v_cmpx_ne_u32_e32 4, v0
	s_cbranch_execz .LBB100_409
; %bb.406:
	v_add_nc_u32_e32 v81, 0x138, v58
	v_add3_u32 v82, 0, v58, 8
	v_mov_b32_e32 v83, v0
	s_mov_b32 s5, 0
.LBB100_407:                            ; =>This Inner Loop Header: Depth=1
	scratch_load_b64 v[84:85], v82, off
	ds_load_b64 v[86:87], v81
	s_wait_xcnt 0x0
	v_dual_add_nc_u32 v81, 8, v81 :: v_dual_add_nc_u32 v82, 8, v82
	s_wait_loadcnt_dscnt 0x0
	v_pk_mul_f32 v[88:89], v[86:87], v[84:85] op_sel:[1,1] op_sel_hi:[0,1]
	s_delay_alu instid0(VALU_DEP_1) | instskip(SKIP_2) | instid1(VALU_DEP_3)
	v_pk_fma_f32 v[90:91], v[86:87], v[84:85], v[88:89] op_sel_hi:[1,0,1]
	v_add_nc_u32_e32 v83, 1, v83
	v_pk_fma_f32 v[84:85], v[86:87], v[84:85], v[88:89] neg_lo:[0,0,1] neg_hi:[0,0,1]
	v_mov_b32_e32 v85, v91
	s_delay_alu instid0(VALU_DEP_3) | instskip(NEXT) | instid1(VALU_DEP_2)
	v_cmp_lt_u32_e32 vcc_lo, 3, v83
	v_pk_add_f32 v[78:79], v[78:79], v[84:85]
	s_or_b32 s5, vcc_lo, s5
	s_delay_alu instid0(SALU_CYCLE_1)
	s_and_not1_b32 exec_lo, exec_lo, s5
	s_cbranch_execnz .LBB100_407
; %bb.408:
	s_or_b32 exec_lo, exec_lo, s5
.LBB100_409:
	s_delay_alu instid0(SALU_CYCLE_1) | instskip(SKIP_4) | instid1(VALU_DEP_1)
	s_or_b32 exec_lo, exec_lo, s4
	v_mov_b32_e32 v81, 0
	ds_load_b64 v[82:83], v81 offset:40
	s_wait_dscnt 0x0
	v_pk_mul_f32 v[84:85], v[78:79], v[82:83] op_sel:[1,1] op_sel_hi:[0,1]
	v_pk_fma_f32 v[86:87], v[78:79], v[82:83], v[84:85] op_sel_hi:[1,0,1]
	v_pk_fma_f32 v[78:79], v[78:79], v[82:83], v[84:85] neg_lo:[0,0,1] neg_hi:[0,0,1]
	s_delay_alu instid0(VALU_DEP_2)
	v_mov_b32_e32 v79, v87
	scratch_store_b64 off, v[78:79], off offset:40
.LBB100_410:
	s_wait_xcnt 0x0
	s_or_b32 exec_lo, exec_lo, s0
	scratch_load_b64 v[78:79], off, off offset:48
	s_mov_b32 s0, exec_lo
	s_wait_loadcnt 0x0
	ds_store_b64 v1, v[78:79]
	s_wait_storecnt_dscnt 0x0
	s_barrier_signal -1
	s_barrier_wait -1
	s_wait_xcnt 0x0
	v_cmpx_gt_u32_e32 6, v0
	s_cbranch_execz .LBB100_420
; %bb.411:
	v_cmp_ne_u32_e32 vcc_lo, 1, v80
	s_cbranch_vccnz .LBB100_413
; %bb.412:
	scratch_load_b64 v[78:79], v59, off
	ds_load_b64 v[82:83], v1
	s_wait_loadcnt_dscnt 0x0
	v_pk_mul_f32 v[84:85], v[82:83], v[78:79] op_sel:[1,1] op_sel_hi:[0,1]
	s_delay_alu instid0(VALU_DEP_1) | instskip(SKIP_1) | instid1(VALU_DEP_2)
	v_pk_fma_f32 v[86:87], v[82:83], v[78:79], v[84:85] op_sel_hi:[1,0,1]
	v_pk_fma_f32 v[78:79], v[82:83], v[78:79], v[84:85] neg_lo:[0,0,1] neg_hi:[0,0,1]
	v_mov_b32_e32 v79, v87
	s_cbranch_execz .LBB100_414
	s_branch .LBB100_415
.LBB100_413:
                                        ; implicit-def: $vgpr78_vgpr79
.LBB100_414:
	ds_load_b64 v[78:79], v1
.LBB100_415:
	s_mov_b32 s4, exec_lo
	v_cmpx_ne_u32_e32 5, v0
	s_cbranch_execz .LBB100_419
; %bb.416:
	v_add_nc_u32_e32 v81, 0x138, v58
	v_add3_u32 v82, 0, v58, 8
	v_mov_b32_e32 v83, v0
	s_mov_b32 s5, 0
.LBB100_417:                            ; =>This Inner Loop Header: Depth=1
	scratch_load_b64 v[84:85], v82, off
	ds_load_b64 v[86:87], v81
	s_wait_xcnt 0x0
	v_dual_add_nc_u32 v81, 8, v81 :: v_dual_add_nc_u32 v82, 8, v82
	s_wait_loadcnt_dscnt 0x0
	v_pk_mul_f32 v[88:89], v[86:87], v[84:85] op_sel:[1,1] op_sel_hi:[0,1]
	s_delay_alu instid0(VALU_DEP_1) | instskip(SKIP_2) | instid1(VALU_DEP_3)
	v_pk_fma_f32 v[90:91], v[86:87], v[84:85], v[88:89] op_sel_hi:[1,0,1]
	v_add_nc_u32_e32 v83, 1, v83
	v_pk_fma_f32 v[84:85], v[86:87], v[84:85], v[88:89] neg_lo:[0,0,1] neg_hi:[0,0,1]
	v_mov_b32_e32 v85, v91
	s_delay_alu instid0(VALU_DEP_3) | instskip(NEXT) | instid1(VALU_DEP_2)
	v_cmp_lt_u32_e32 vcc_lo, 4, v83
	v_pk_add_f32 v[78:79], v[78:79], v[84:85]
	s_or_b32 s5, vcc_lo, s5
	s_delay_alu instid0(SALU_CYCLE_1)
	s_and_not1_b32 exec_lo, exec_lo, s5
	s_cbranch_execnz .LBB100_417
; %bb.418:
	s_or_b32 exec_lo, exec_lo, s5
.LBB100_419:
	s_delay_alu instid0(SALU_CYCLE_1) | instskip(SKIP_4) | instid1(VALU_DEP_1)
	s_or_b32 exec_lo, exec_lo, s4
	v_mov_b32_e32 v81, 0
	ds_load_b64 v[82:83], v81 offset:48
	s_wait_dscnt 0x0
	v_pk_mul_f32 v[84:85], v[78:79], v[82:83] op_sel:[1,1] op_sel_hi:[0,1]
	v_pk_fma_f32 v[86:87], v[78:79], v[82:83], v[84:85] op_sel_hi:[1,0,1]
	v_pk_fma_f32 v[78:79], v[78:79], v[82:83], v[84:85] neg_lo:[0,0,1] neg_hi:[0,0,1]
	s_delay_alu instid0(VALU_DEP_2)
	v_mov_b32_e32 v79, v87
	scratch_store_b64 off, v[78:79], off offset:48
.LBB100_420:
	s_wait_xcnt 0x0
	s_or_b32 exec_lo, exec_lo, s0
	scratch_load_b64 v[78:79], off, off offset:56
	s_mov_b32 s0, exec_lo
	s_wait_loadcnt 0x0
	ds_store_b64 v1, v[78:79]
	s_wait_storecnt_dscnt 0x0
	s_barrier_signal -1
	s_barrier_wait -1
	s_wait_xcnt 0x0
	v_cmpx_gt_u32_e32 7, v0
	s_cbranch_execz .LBB100_430
; %bb.421:
	v_cmp_ne_u32_e32 vcc_lo, 1, v80
	s_cbranch_vccnz .LBB100_423
; %bb.422:
	scratch_load_b64 v[78:79], v59, off
	ds_load_b64 v[82:83], v1
	s_wait_loadcnt_dscnt 0x0
	v_pk_mul_f32 v[84:85], v[82:83], v[78:79] op_sel:[1,1] op_sel_hi:[0,1]
	s_delay_alu instid0(VALU_DEP_1) | instskip(SKIP_1) | instid1(VALU_DEP_2)
	v_pk_fma_f32 v[86:87], v[82:83], v[78:79], v[84:85] op_sel_hi:[1,0,1]
	v_pk_fma_f32 v[78:79], v[82:83], v[78:79], v[84:85] neg_lo:[0,0,1] neg_hi:[0,0,1]
	v_mov_b32_e32 v79, v87
	s_cbranch_execz .LBB100_424
	s_branch .LBB100_425
.LBB100_423:
                                        ; implicit-def: $vgpr78_vgpr79
.LBB100_424:
	ds_load_b64 v[78:79], v1
.LBB100_425:
	s_mov_b32 s4, exec_lo
	v_cmpx_ne_u32_e32 6, v0
	s_cbranch_execz .LBB100_429
; %bb.426:
	v_add_nc_u32_e32 v81, 0x138, v58
	v_add3_u32 v82, 0, v58, 8
	v_mov_b32_e32 v83, v0
	s_mov_b32 s5, 0
.LBB100_427:                            ; =>This Inner Loop Header: Depth=1
	scratch_load_b64 v[84:85], v82, off
	ds_load_b64 v[86:87], v81
	s_wait_xcnt 0x0
	v_dual_add_nc_u32 v81, 8, v81 :: v_dual_add_nc_u32 v82, 8, v82
	s_wait_loadcnt_dscnt 0x0
	v_pk_mul_f32 v[88:89], v[86:87], v[84:85] op_sel:[1,1] op_sel_hi:[0,1]
	s_delay_alu instid0(VALU_DEP_1) | instskip(SKIP_2) | instid1(VALU_DEP_3)
	v_pk_fma_f32 v[90:91], v[86:87], v[84:85], v[88:89] op_sel_hi:[1,0,1]
	v_add_nc_u32_e32 v83, 1, v83
	v_pk_fma_f32 v[84:85], v[86:87], v[84:85], v[88:89] neg_lo:[0,0,1] neg_hi:[0,0,1]
	v_mov_b32_e32 v85, v91
	s_delay_alu instid0(VALU_DEP_3) | instskip(NEXT) | instid1(VALU_DEP_2)
	v_cmp_lt_u32_e32 vcc_lo, 5, v83
	v_pk_add_f32 v[78:79], v[78:79], v[84:85]
	s_or_b32 s5, vcc_lo, s5
	s_delay_alu instid0(SALU_CYCLE_1)
	s_and_not1_b32 exec_lo, exec_lo, s5
	s_cbranch_execnz .LBB100_427
; %bb.428:
	s_or_b32 exec_lo, exec_lo, s5
.LBB100_429:
	s_delay_alu instid0(SALU_CYCLE_1) | instskip(SKIP_4) | instid1(VALU_DEP_1)
	s_or_b32 exec_lo, exec_lo, s4
	v_mov_b32_e32 v81, 0
	ds_load_b64 v[82:83], v81 offset:56
	s_wait_dscnt 0x0
	v_pk_mul_f32 v[84:85], v[78:79], v[82:83] op_sel:[1,1] op_sel_hi:[0,1]
	v_pk_fma_f32 v[86:87], v[78:79], v[82:83], v[84:85] op_sel_hi:[1,0,1]
	v_pk_fma_f32 v[78:79], v[78:79], v[82:83], v[84:85] neg_lo:[0,0,1] neg_hi:[0,0,1]
	s_delay_alu instid0(VALU_DEP_2)
	v_mov_b32_e32 v79, v87
	scratch_store_b64 off, v[78:79], off offset:56
.LBB100_430:
	s_wait_xcnt 0x0
	s_or_b32 exec_lo, exec_lo, s0
	scratch_load_b64 v[78:79], off, off offset:64
	s_mov_b32 s0, exec_lo
	s_wait_loadcnt 0x0
	ds_store_b64 v1, v[78:79]
	s_wait_storecnt_dscnt 0x0
	s_barrier_signal -1
	s_barrier_wait -1
	s_wait_xcnt 0x0
	v_cmpx_gt_u32_e32 8, v0
	s_cbranch_execz .LBB100_440
; %bb.431:
	v_cmp_ne_u32_e32 vcc_lo, 1, v80
	s_cbranch_vccnz .LBB100_433
; %bb.432:
	scratch_load_b64 v[78:79], v59, off
	ds_load_b64 v[82:83], v1
	s_wait_loadcnt_dscnt 0x0
	v_pk_mul_f32 v[84:85], v[82:83], v[78:79] op_sel:[1,1] op_sel_hi:[0,1]
	s_delay_alu instid0(VALU_DEP_1) | instskip(SKIP_1) | instid1(VALU_DEP_2)
	v_pk_fma_f32 v[86:87], v[82:83], v[78:79], v[84:85] op_sel_hi:[1,0,1]
	v_pk_fma_f32 v[78:79], v[82:83], v[78:79], v[84:85] neg_lo:[0,0,1] neg_hi:[0,0,1]
	v_mov_b32_e32 v79, v87
	s_cbranch_execz .LBB100_434
	s_branch .LBB100_435
.LBB100_433:
                                        ; implicit-def: $vgpr78_vgpr79
.LBB100_434:
	ds_load_b64 v[78:79], v1
.LBB100_435:
	s_mov_b32 s4, exec_lo
	v_cmpx_ne_u32_e32 7, v0
	s_cbranch_execz .LBB100_439
; %bb.436:
	v_add_nc_u32_e32 v81, 0x138, v58
	v_add3_u32 v82, 0, v58, 8
	v_mov_b32_e32 v83, v0
	s_mov_b32 s5, 0
.LBB100_437:                            ; =>This Inner Loop Header: Depth=1
	scratch_load_b64 v[84:85], v82, off
	ds_load_b64 v[86:87], v81
	s_wait_xcnt 0x0
	v_dual_add_nc_u32 v81, 8, v81 :: v_dual_add_nc_u32 v82, 8, v82
	s_wait_loadcnt_dscnt 0x0
	v_pk_mul_f32 v[88:89], v[86:87], v[84:85] op_sel:[1,1] op_sel_hi:[0,1]
	s_delay_alu instid0(VALU_DEP_1) | instskip(SKIP_2) | instid1(VALU_DEP_3)
	v_pk_fma_f32 v[90:91], v[86:87], v[84:85], v[88:89] op_sel_hi:[1,0,1]
	v_add_nc_u32_e32 v83, 1, v83
	v_pk_fma_f32 v[84:85], v[86:87], v[84:85], v[88:89] neg_lo:[0,0,1] neg_hi:[0,0,1]
	v_mov_b32_e32 v85, v91
	s_delay_alu instid0(VALU_DEP_3) | instskip(NEXT) | instid1(VALU_DEP_2)
	v_cmp_lt_u32_e32 vcc_lo, 6, v83
	v_pk_add_f32 v[78:79], v[78:79], v[84:85]
	s_or_b32 s5, vcc_lo, s5
	s_delay_alu instid0(SALU_CYCLE_1)
	s_and_not1_b32 exec_lo, exec_lo, s5
	s_cbranch_execnz .LBB100_437
; %bb.438:
	s_or_b32 exec_lo, exec_lo, s5
.LBB100_439:
	s_delay_alu instid0(SALU_CYCLE_1) | instskip(SKIP_4) | instid1(VALU_DEP_1)
	s_or_b32 exec_lo, exec_lo, s4
	v_mov_b32_e32 v81, 0
	ds_load_b64 v[82:83], v81 offset:64
	s_wait_dscnt 0x0
	v_pk_mul_f32 v[84:85], v[78:79], v[82:83] op_sel:[1,1] op_sel_hi:[0,1]
	v_pk_fma_f32 v[86:87], v[78:79], v[82:83], v[84:85] op_sel_hi:[1,0,1]
	v_pk_fma_f32 v[78:79], v[78:79], v[82:83], v[84:85] neg_lo:[0,0,1] neg_hi:[0,0,1]
	s_delay_alu instid0(VALU_DEP_2)
	v_mov_b32_e32 v79, v87
	scratch_store_b64 off, v[78:79], off offset:64
.LBB100_440:
	s_wait_xcnt 0x0
	s_or_b32 exec_lo, exec_lo, s0
	scratch_load_b64 v[78:79], off, off offset:72
	s_mov_b32 s0, exec_lo
	s_wait_loadcnt 0x0
	ds_store_b64 v1, v[78:79]
	s_wait_storecnt_dscnt 0x0
	s_barrier_signal -1
	s_barrier_wait -1
	s_wait_xcnt 0x0
	v_cmpx_gt_u32_e32 9, v0
	s_cbranch_execz .LBB100_450
; %bb.441:
	v_cmp_ne_u32_e32 vcc_lo, 1, v80
	s_cbranch_vccnz .LBB100_443
; %bb.442:
	scratch_load_b64 v[78:79], v59, off
	ds_load_b64 v[82:83], v1
	s_wait_loadcnt_dscnt 0x0
	v_pk_mul_f32 v[84:85], v[82:83], v[78:79] op_sel:[1,1] op_sel_hi:[0,1]
	s_delay_alu instid0(VALU_DEP_1) | instskip(SKIP_1) | instid1(VALU_DEP_2)
	v_pk_fma_f32 v[86:87], v[82:83], v[78:79], v[84:85] op_sel_hi:[1,0,1]
	v_pk_fma_f32 v[78:79], v[82:83], v[78:79], v[84:85] neg_lo:[0,0,1] neg_hi:[0,0,1]
	v_mov_b32_e32 v79, v87
	s_cbranch_execz .LBB100_444
	s_branch .LBB100_445
.LBB100_443:
                                        ; implicit-def: $vgpr78_vgpr79
.LBB100_444:
	ds_load_b64 v[78:79], v1
.LBB100_445:
	s_mov_b32 s4, exec_lo
	v_cmpx_ne_u32_e32 8, v0
	s_cbranch_execz .LBB100_449
; %bb.446:
	v_add_nc_u32_e32 v81, 0x138, v58
	v_add3_u32 v82, 0, v58, 8
	v_mov_b32_e32 v83, v0
	s_mov_b32 s5, 0
.LBB100_447:                            ; =>This Inner Loop Header: Depth=1
	scratch_load_b64 v[84:85], v82, off
	ds_load_b64 v[86:87], v81
	s_wait_xcnt 0x0
	v_dual_add_nc_u32 v81, 8, v81 :: v_dual_add_nc_u32 v82, 8, v82
	s_wait_loadcnt_dscnt 0x0
	v_pk_mul_f32 v[88:89], v[86:87], v[84:85] op_sel:[1,1] op_sel_hi:[0,1]
	s_delay_alu instid0(VALU_DEP_1) | instskip(SKIP_2) | instid1(VALU_DEP_3)
	v_pk_fma_f32 v[90:91], v[86:87], v[84:85], v[88:89] op_sel_hi:[1,0,1]
	v_add_nc_u32_e32 v83, 1, v83
	v_pk_fma_f32 v[84:85], v[86:87], v[84:85], v[88:89] neg_lo:[0,0,1] neg_hi:[0,0,1]
	v_mov_b32_e32 v85, v91
	s_delay_alu instid0(VALU_DEP_3) | instskip(NEXT) | instid1(VALU_DEP_2)
	v_cmp_lt_u32_e32 vcc_lo, 7, v83
	v_pk_add_f32 v[78:79], v[78:79], v[84:85]
	s_or_b32 s5, vcc_lo, s5
	s_delay_alu instid0(SALU_CYCLE_1)
	s_and_not1_b32 exec_lo, exec_lo, s5
	s_cbranch_execnz .LBB100_447
; %bb.448:
	s_or_b32 exec_lo, exec_lo, s5
.LBB100_449:
	s_delay_alu instid0(SALU_CYCLE_1) | instskip(SKIP_4) | instid1(VALU_DEP_1)
	s_or_b32 exec_lo, exec_lo, s4
	v_mov_b32_e32 v81, 0
	ds_load_b64 v[82:83], v81 offset:72
	s_wait_dscnt 0x0
	v_pk_mul_f32 v[84:85], v[78:79], v[82:83] op_sel:[1,1] op_sel_hi:[0,1]
	v_pk_fma_f32 v[86:87], v[78:79], v[82:83], v[84:85] op_sel_hi:[1,0,1]
	v_pk_fma_f32 v[78:79], v[78:79], v[82:83], v[84:85] neg_lo:[0,0,1] neg_hi:[0,0,1]
	s_delay_alu instid0(VALU_DEP_2)
	v_mov_b32_e32 v79, v87
	scratch_store_b64 off, v[78:79], off offset:72
.LBB100_450:
	s_wait_xcnt 0x0
	s_or_b32 exec_lo, exec_lo, s0
	scratch_load_b64 v[78:79], off, off offset:80
	s_mov_b32 s0, exec_lo
	s_wait_loadcnt 0x0
	ds_store_b64 v1, v[78:79]
	s_wait_storecnt_dscnt 0x0
	s_barrier_signal -1
	s_barrier_wait -1
	s_wait_xcnt 0x0
	v_cmpx_gt_u32_e32 10, v0
	s_cbranch_execz .LBB100_460
; %bb.451:
	v_cmp_ne_u32_e32 vcc_lo, 1, v80
	s_cbranch_vccnz .LBB100_453
; %bb.452:
	scratch_load_b64 v[78:79], v59, off
	ds_load_b64 v[82:83], v1
	s_wait_loadcnt_dscnt 0x0
	v_pk_mul_f32 v[84:85], v[82:83], v[78:79] op_sel:[1,1] op_sel_hi:[0,1]
	s_delay_alu instid0(VALU_DEP_1) | instskip(SKIP_1) | instid1(VALU_DEP_2)
	v_pk_fma_f32 v[86:87], v[82:83], v[78:79], v[84:85] op_sel_hi:[1,0,1]
	v_pk_fma_f32 v[78:79], v[82:83], v[78:79], v[84:85] neg_lo:[0,0,1] neg_hi:[0,0,1]
	v_mov_b32_e32 v79, v87
	s_cbranch_execz .LBB100_454
	s_branch .LBB100_455
.LBB100_453:
                                        ; implicit-def: $vgpr78_vgpr79
.LBB100_454:
	ds_load_b64 v[78:79], v1
.LBB100_455:
	s_mov_b32 s4, exec_lo
	v_cmpx_ne_u32_e32 9, v0
	s_cbranch_execz .LBB100_459
; %bb.456:
	v_add_nc_u32_e32 v81, 0x138, v58
	v_add3_u32 v82, 0, v58, 8
	v_mov_b32_e32 v83, v0
	s_mov_b32 s5, 0
.LBB100_457:                            ; =>This Inner Loop Header: Depth=1
	scratch_load_b64 v[84:85], v82, off
	ds_load_b64 v[86:87], v81
	s_wait_xcnt 0x0
	v_dual_add_nc_u32 v81, 8, v81 :: v_dual_add_nc_u32 v82, 8, v82
	s_wait_loadcnt_dscnt 0x0
	v_pk_mul_f32 v[88:89], v[86:87], v[84:85] op_sel:[1,1] op_sel_hi:[0,1]
	s_delay_alu instid0(VALU_DEP_1) | instskip(SKIP_2) | instid1(VALU_DEP_3)
	v_pk_fma_f32 v[90:91], v[86:87], v[84:85], v[88:89] op_sel_hi:[1,0,1]
	v_add_nc_u32_e32 v83, 1, v83
	v_pk_fma_f32 v[84:85], v[86:87], v[84:85], v[88:89] neg_lo:[0,0,1] neg_hi:[0,0,1]
	v_mov_b32_e32 v85, v91
	s_delay_alu instid0(VALU_DEP_3) | instskip(NEXT) | instid1(VALU_DEP_2)
	v_cmp_lt_u32_e32 vcc_lo, 8, v83
	v_pk_add_f32 v[78:79], v[78:79], v[84:85]
	s_or_b32 s5, vcc_lo, s5
	s_delay_alu instid0(SALU_CYCLE_1)
	s_and_not1_b32 exec_lo, exec_lo, s5
	s_cbranch_execnz .LBB100_457
; %bb.458:
	s_or_b32 exec_lo, exec_lo, s5
.LBB100_459:
	s_delay_alu instid0(SALU_CYCLE_1) | instskip(SKIP_4) | instid1(VALU_DEP_1)
	s_or_b32 exec_lo, exec_lo, s4
	v_mov_b32_e32 v81, 0
	ds_load_b64 v[82:83], v81 offset:80
	s_wait_dscnt 0x0
	v_pk_mul_f32 v[84:85], v[78:79], v[82:83] op_sel:[1,1] op_sel_hi:[0,1]
	v_pk_fma_f32 v[86:87], v[78:79], v[82:83], v[84:85] op_sel_hi:[1,0,1]
	v_pk_fma_f32 v[78:79], v[78:79], v[82:83], v[84:85] neg_lo:[0,0,1] neg_hi:[0,0,1]
	s_delay_alu instid0(VALU_DEP_2)
	v_mov_b32_e32 v79, v87
	scratch_store_b64 off, v[78:79], off offset:80
.LBB100_460:
	s_wait_xcnt 0x0
	s_or_b32 exec_lo, exec_lo, s0
	scratch_load_b64 v[78:79], off, off offset:88
	s_mov_b32 s0, exec_lo
	s_wait_loadcnt 0x0
	ds_store_b64 v1, v[78:79]
	s_wait_storecnt_dscnt 0x0
	s_barrier_signal -1
	s_barrier_wait -1
	s_wait_xcnt 0x0
	v_cmpx_gt_u32_e32 11, v0
	s_cbranch_execz .LBB100_470
; %bb.461:
	v_cmp_ne_u32_e32 vcc_lo, 1, v80
	s_cbranch_vccnz .LBB100_463
; %bb.462:
	scratch_load_b64 v[78:79], v59, off
	ds_load_b64 v[82:83], v1
	s_wait_loadcnt_dscnt 0x0
	v_pk_mul_f32 v[84:85], v[82:83], v[78:79] op_sel:[1,1] op_sel_hi:[0,1]
	s_delay_alu instid0(VALU_DEP_1) | instskip(SKIP_1) | instid1(VALU_DEP_2)
	v_pk_fma_f32 v[86:87], v[82:83], v[78:79], v[84:85] op_sel_hi:[1,0,1]
	v_pk_fma_f32 v[78:79], v[82:83], v[78:79], v[84:85] neg_lo:[0,0,1] neg_hi:[0,0,1]
	v_mov_b32_e32 v79, v87
	s_cbranch_execz .LBB100_464
	s_branch .LBB100_465
.LBB100_463:
                                        ; implicit-def: $vgpr78_vgpr79
.LBB100_464:
	ds_load_b64 v[78:79], v1
.LBB100_465:
	s_mov_b32 s4, exec_lo
	v_cmpx_ne_u32_e32 10, v0
	s_cbranch_execz .LBB100_469
; %bb.466:
	v_add_nc_u32_e32 v81, 0x138, v58
	v_add3_u32 v82, 0, v58, 8
	v_mov_b32_e32 v83, v0
	s_mov_b32 s5, 0
.LBB100_467:                            ; =>This Inner Loop Header: Depth=1
	scratch_load_b64 v[84:85], v82, off
	ds_load_b64 v[86:87], v81
	s_wait_xcnt 0x0
	v_dual_add_nc_u32 v81, 8, v81 :: v_dual_add_nc_u32 v82, 8, v82
	s_wait_loadcnt_dscnt 0x0
	v_pk_mul_f32 v[88:89], v[86:87], v[84:85] op_sel:[1,1] op_sel_hi:[0,1]
	s_delay_alu instid0(VALU_DEP_1) | instskip(SKIP_2) | instid1(VALU_DEP_3)
	v_pk_fma_f32 v[90:91], v[86:87], v[84:85], v[88:89] op_sel_hi:[1,0,1]
	v_add_nc_u32_e32 v83, 1, v83
	v_pk_fma_f32 v[84:85], v[86:87], v[84:85], v[88:89] neg_lo:[0,0,1] neg_hi:[0,0,1]
	v_mov_b32_e32 v85, v91
	s_delay_alu instid0(VALU_DEP_3) | instskip(NEXT) | instid1(VALU_DEP_2)
	v_cmp_lt_u32_e32 vcc_lo, 9, v83
	v_pk_add_f32 v[78:79], v[78:79], v[84:85]
	s_or_b32 s5, vcc_lo, s5
	s_delay_alu instid0(SALU_CYCLE_1)
	s_and_not1_b32 exec_lo, exec_lo, s5
	s_cbranch_execnz .LBB100_467
; %bb.468:
	s_or_b32 exec_lo, exec_lo, s5
.LBB100_469:
	s_delay_alu instid0(SALU_CYCLE_1) | instskip(SKIP_4) | instid1(VALU_DEP_1)
	s_or_b32 exec_lo, exec_lo, s4
	v_mov_b32_e32 v81, 0
	ds_load_b64 v[82:83], v81 offset:88
	s_wait_dscnt 0x0
	v_pk_mul_f32 v[84:85], v[78:79], v[82:83] op_sel:[1,1] op_sel_hi:[0,1]
	v_pk_fma_f32 v[86:87], v[78:79], v[82:83], v[84:85] op_sel_hi:[1,0,1]
	v_pk_fma_f32 v[78:79], v[78:79], v[82:83], v[84:85] neg_lo:[0,0,1] neg_hi:[0,0,1]
	s_delay_alu instid0(VALU_DEP_2)
	v_mov_b32_e32 v79, v87
	scratch_store_b64 off, v[78:79], off offset:88
.LBB100_470:
	s_wait_xcnt 0x0
	s_or_b32 exec_lo, exec_lo, s0
	scratch_load_b64 v[78:79], off, off offset:96
	s_mov_b32 s0, exec_lo
	s_wait_loadcnt 0x0
	ds_store_b64 v1, v[78:79]
	s_wait_storecnt_dscnt 0x0
	s_barrier_signal -1
	s_barrier_wait -1
	s_wait_xcnt 0x0
	v_cmpx_gt_u32_e32 12, v0
	s_cbranch_execz .LBB100_480
; %bb.471:
	v_cmp_ne_u32_e32 vcc_lo, 1, v80
	s_cbranch_vccnz .LBB100_473
; %bb.472:
	scratch_load_b64 v[78:79], v59, off
	ds_load_b64 v[82:83], v1
	s_wait_loadcnt_dscnt 0x0
	v_pk_mul_f32 v[84:85], v[82:83], v[78:79] op_sel:[1,1] op_sel_hi:[0,1]
	s_delay_alu instid0(VALU_DEP_1) | instskip(SKIP_1) | instid1(VALU_DEP_2)
	v_pk_fma_f32 v[86:87], v[82:83], v[78:79], v[84:85] op_sel_hi:[1,0,1]
	v_pk_fma_f32 v[78:79], v[82:83], v[78:79], v[84:85] neg_lo:[0,0,1] neg_hi:[0,0,1]
	v_mov_b32_e32 v79, v87
	s_cbranch_execz .LBB100_474
	s_branch .LBB100_475
.LBB100_473:
                                        ; implicit-def: $vgpr78_vgpr79
.LBB100_474:
	ds_load_b64 v[78:79], v1
.LBB100_475:
	s_mov_b32 s4, exec_lo
	v_cmpx_ne_u32_e32 11, v0
	s_cbranch_execz .LBB100_479
; %bb.476:
	v_add_nc_u32_e32 v81, 0x138, v58
	v_add3_u32 v82, 0, v58, 8
	v_mov_b32_e32 v83, v0
	s_mov_b32 s5, 0
.LBB100_477:                            ; =>This Inner Loop Header: Depth=1
	scratch_load_b64 v[84:85], v82, off
	ds_load_b64 v[86:87], v81
	s_wait_xcnt 0x0
	v_dual_add_nc_u32 v81, 8, v81 :: v_dual_add_nc_u32 v82, 8, v82
	s_wait_loadcnt_dscnt 0x0
	v_pk_mul_f32 v[88:89], v[86:87], v[84:85] op_sel:[1,1] op_sel_hi:[0,1]
	s_delay_alu instid0(VALU_DEP_1) | instskip(SKIP_2) | instid1(VALU_DEP_3)
	v_pk_fma_f32 v[90:91], v[86:87], v[84:85], v[88:89] op_sel_hi:[1,0,1]
	v_add_nc_u32_e32 v83, 1, v83
	v_pk_fma_f32 v[84:85], v[86:87], v[84:85], v[88:89] neg_lo:[0,0,1] neg_hi:[0,0,1]
	v_mov_b32_e32 v85, v91
	s_delay_alu instid0(VALU_DEP_3) | instskip(NEXT) | instid1(VALU_DEP_2)
	v_cmp_lt_u32_e32 vcc_lo, 10, v83
	v_pk_add_f32 v[78:79], v[78:79], v[84:85]
	s_or_b32 s5, vcc_lo, s5
	s_delay_alu instid0(SALU_CYCLE_1)
	s_and_not1_b32 exec_lo, exec_lo, s5
	s_cbranch_execnz .LBB100_477
; %bb.478:
	s_or_b32 exec_lo, exec_lo, s5
.LBB100_479:
	s_delay_alu instid0(SALU_CYCLE_1) | instskip(SKIP_4) | instid1(VALU_DEP_1)
	s_or_b32 exec_lo, exec_lo, s4
	v_mov_b32_e32 v81, 0
	ds_load_b64 v[82:83], v81 offset:96
	s_wait_dscnt 0x0
	v_pk_mul_f32 v[84:85], v[78:79], v[82:83] op_sel:[1,1] op_sel_hi:[0,1]
	v_pk_fma_f32 v[86:87], v[78:79], v[82:83], v[84:85] op_sel_hi:[1,0,1]
	v_pk_fma_f32 v[78:79], v[78:79], v[82:83], v[84:85] neg_lo:[0,0,1] neg_hi:[0,0,1]
	s_delay_alu instid0(VALU_DEP_2)
	v_mov_b32_e32 v79, v87
	scratch_store_b64 off, v[78:79], off offset:96
.LBB100_480:
	s_wait_xcnt 0x0
	s_or_b32 exec_lo, exec_lo, s0
	scratch_load_b64 v[78:79], off, off offset:104
	s_mov_b32 s0, exec_lo
	s_wait_loadcnt 0x0
	ds_store_b64 v1, v[78:79]
	s_wait_storecnt_dscnt 0x0
	s_barrier_signal -1
	s_barrier_wait -1
	s_wait_xcnt 0x0
	v_cmpx_gt_u32_e32 13, v0
	s_cbranch_execz .LBB100_490
; %bb.481:
	v_cmp_ne_u32_e32 vcc_lo, 1, v80
	s_cbranch_vccnz .LBB100_483
; %bb.482:
	scratch_load_b64 v[78:79], v59, off
	ds_load_b64 v[82:83], v1
	s_wait_loadcnt_dscnt 0x0
	v_pk_mul_f32 v[84:85], v[82:83], v[78:79] op_sel:[1,1] op_sel_hi:[0,1]
	s_delay_alu instid0(VALU_DEP_1) | instskip(SKIP_1) | instid1(VALU_DEP_2)
	v_pk_fma_f32 v[86:87], v[82:83], v[78:79], v[84:85] op_sel_hi:[1,0,1]
	v_pk_fma_f32 v[78:79], v[82:83], v[78:79], v[84:85] neg_lo:[0,0,1] neg_hi:[0,0,1]
	v_mov_b32_e32 v79, v87
	s_cbranch_execz .LBB100_484
	s_branch .LBB100_485
.LBB100_483:
                                        ; implicit-def: $vgpr78_vgpr79
.LBB100_484:
	ds_load_b64 v[78:79], v1
.LBB100_485:
	s_mov_b32 s4, exec_lo
	v_cmpx_ne_u32_e32 12, v0
	s_cbranch_execz .LBB100_489
; %bb.486:
	v_add_nc_u32_e32 v81, 0x138, v58
	v_add3_u32 v82, 0, v58, 8
	v_mov_b32_e32 v83, v0
	s_mov_b32 s5, 0
.LBB100_487:                            ; =>This Inner Loop Header: Depth=1
	scratch_load_b64 v[84:85], v82, off
	ds_load_b64 v[86:87], v81
	s_wait_xcnt 0x0
	v_dual_add_nc_u32 v81, 8, v81 :: v_dual_add_nc_u32 v82, 8, v82
	s_wait_loadcnt_dscnt 0x0
	v_pk_mul_f32 v[88:89], v[86:87], v[84:85] op_sel:[1,1] op_sel_hi:[0,1]
	s_delay_alu instid0(VALU_DEP_1) | instskip(SKIP_2) | instid1(VALU_DEP_3)
	v_pk_fma_f32 v[90:91], v[86:87], v[84:85], v[88:89] op_sel_hi:[1,0,1]
	v_add_nc_u32_e32 v83, 1, v83
	v_pk_fma_f32 v[84:85], v[86:87], v[84:85], v[88:89] neg_lo:[0,0,1] neg_hi:[0,0,1]
	v_mov_b32_e32 v85, v91
	s_delay_alu instid0(VALU_DEP_3) | instskip(NEXT) | instid1(VALU_DEP_2)
	v_cmp_lt_u32_e32 vcc_lo, 11, v83
	v_pk_add_f32 v[78:79], v[78:79], v[84:85]
	s_or_b32 s5, vcc_lo, s5
	s_delay_alu instid0(SALU_CYCLE_1)
	s_and_not1_b32 exec_lo, exec_lo, s5
	s_cbranch_execnz .LBB100_487
; %bb.488:
	s_or_b32 exec_lo, exec_lo, s5
.LBB100_489:
	s_delay_alu instid0(SALU_CYCLE_1) | instskip(SKIP_4) | instid1(VALU_DEP_1)
	s_or_b32 exec_lo, exec_lo, s4
	v_mov_b32_e32 v81, 0
	ds_load_b64 v[82:83], v81 offset:104
	s_wait_dscnt 0x0
	v_pk_mul_f32 v[84:85], v[78:79], v[82:83] op_sel:[1,1] op_sel_hi:[0,1]
	v_pk_fma_f32 v[86:87], v[78:79], v[82:83], v[84:85] op_sel_hi:[1,0,1]
	v_pk_fma_f32 v[78:79], v[78:79], v[82:83], v[84:85] neg_lo:[0,0,1] neg_hi:[0,0,1]
	s_delay_alu instid0(VALU_DEP_2)
	v_mov_b32_e32 v79, v87
	scratch_store_b64 off, v[78:79], off offset:104
.LBB100_490:
	s_wait_xcnt 0x0
	s_or_b32 exec_lo, exec_lo, s0
	scratch_load_b64 v[78:79], off, off offset:112
	s_mov_b32 s0, exec_lo
	s_wait_loadcnt 0x0
	ds_store_b64 v1, v[78:79]
	s_wait_storecnt_dscnt 0x0
	s_barrier_signal -1
	s_barrier_wait -1
	s_wait_xcnt 0x0
	v_cmpx_gt_u32_e32 14, v0
	s_cbranch_execz .LBB100_500
; %bb.491:
	v_cmp_ne_u32_e32 vcc_lo, 1, v80
	s_cbranch_vccnz .LBB100_493
; %bb.492:
	scratch_load_b64 v[78:79], v59, off
	ds_load_b64 v[82:83], v1
	s_wait_loadcnt_dscnt 0x0
	v_pk_mul_f32 v[84:85], v[82:83], v[78:79] op_sel:[1,1] op_sel_hi:[0,1]
	s_delay_alu instid0(VALU_DEP_1) | instskip(SKIP_1) | instid1(VALU_DEP_2)
	v_pk_fma_f32 v[86:87], v[82:83], v[78:79], v[84:85] op_sel_hi:[1,0,1]
	v_pk_fma_f32 v[78:79], v[82:83], v[78:79], v[84:85] neg_lo:[0,0,1] neg_hi:[0,0,1]
	v_mov_b32_e32 v79, v87
	s_cbranch_execz .LBB100_494
	s_branch .LBB100_495
.LBB100_493:
                                        ; implicit-def: $vgpr78_vgpr79
.LBB100_494:
	ds_load_b64 v[78:79], v1
.LBB100_495:
	s_mov_b32 s4, exec_lo
	v_cmpx_ne_u32_e32 13, v0
	s_cbranch_execz .LBB100_499
; %bb.496:
	v_add_nc_u32_e32 v81, 0x138, v58
	v_add3_u32 v82, 0, v58, 8
	v_mov_b32_e32 v83, v0
	s_mov_b32 s5, 0
.LBB100_497:                            ; =>This Inner Loop Header: Depth=1
	scratch_load_b64 v[84:85], v82, off
	ds_load_b64 v[86:87], v81
	s_wait_xcnt 0x0
	v_dual_add_nc_u32 v81, 8, v81 :: v_dual_add_nc_u32 v82, 8, v82
	s_wait_loadcnt_dscnt 0x0
	v_pk_mul_f32 v[88:89], v[86:87], v[84:85] op_sel:[1,1] op_sel_hi:[0,1]
	s_delay_alu instid0(VALU_DEP_1) | instskip(SKIP_2) | instid1(VALU_DEP_3)
	v_pk_fma_f32 v[90:91], v[86:87], v[84:85], v[88:89] op_sel_hi:[1,0,1]
	v_add_nc_u32_e32 v83, 1, v83
	v_pk_fma_f32 v[84:85], v[86:87], v[84:85], v[88:89] neg_lo:[0,0,1] neg_hi:[0,0,1]
	v_mov_b32_e32 v85, v91
	s_delay_alu instid0(VALU_DEP_3) | instskip(NEXT) | instid1(VALU_DEP_2)
	v_cmp_lt_u32_e32 vcc_lo, 12, v83
	v_pk_add_f32 v[78:79], v[78:79], v[84:85]
	s_or_b32 s5, vcc_lo, s5
	s_delay_alu instid0(SALU_CYCLE_1)
	s_and_not1_b32 exec_lo, exec_lo, s5
	s_cbranch_execnz .LBB100_497
; %bb.498:
	s_or_b32 exec_lo, exec_lo, s5
.LBB100_499:
	s_delay_alu instid0(SALU_CYCLE_1) | instskip(SKIP_4) | instid1(VALU_DEP_1)
	s_or_b32 exec_lo, exec_lo, s4
	v_mov_b32_e32 v81, 0
	ds_load_b64 v[82:83], v81 offset:112
	s_wait_dscnt 0x0
	v_pk_mul_f32 v[84:85], v[78:79], v[82:83] op_sel:[1,1] op_sel_hi:[0,1]
	v_pk_fma_f32 v[86:87], v[78:79], v[82:83], v[84:85] op_sel_hi:[1,0,1]
	v_pk_fma_f32 v[78:79], v[78:79], v[82:83], v[84:85] neg_lo:[0,0,1] neg_hi:[0,0,1]
	s_delay_alu instid0(VALU_DEP_2)
	v_mov_b32_e32 v79, v87
	scratch_store_b64 off, v[78:79], off offset:112
.LBB100_500:
	s_wait_xcnt 0x0
	s_or_b32 exec_lo, exec_lo, s0
	scratch_load_b64 v[78:79], off, off offset:120
	s_mov_b32 s0, exec_lo
	s_wait_loadcnt 0x0
	ds_store_b64 v1, v[78:79]
	s_wait_storecnt_dscnt 0x0
	s_barrier_signal -1
	s_barrier_wait -1
	s_wait_xcnt 0x0
	v_cmpx_gt_u32_e32 15, v0
	s_cbranch_execz .LBB100_510
; %bb.501:
	v_cmp_ne_u32_e32 vcc_lo, 1, v80
	s_cbranch_vccnz .LBB100_503
; %bb.502:
	scratch_load_b64 v[78:79], v59, off
	ds_load_b64 v[82:83], v1
	s_wait_loadcnt_dscnt 0x0
	v_pk_mul_f32 v[84:85], v[82:83], v[78:79] op_sel:[1,1] op_sel_hi:[0,1]
	s_delay_alu instid0(VALU_DEP_1) | instskip(SKIP_1) | instid1(VALU_DEP_2)
	v_pk_fma_f32 v[86:87], v[82:83], v[78:79], v[84:85] op_sel_hi:[1,0,1]
	v_pk_fma_f32 v[78:79], v[82:83], v[78:79], v[84:85] neg_lo:[0,0,1] neg_hi:[0,0,1]
	v_mov_b32_e32 v79, v87
	s_cbranch_execz .LBB100_504
	s_branch .LBB100_505
.LBB100_503:
                                        ; implicit-def: $vgpr78_vgpr79
.LBB100_504:
	ds_load_b64 v[78:79], v1
.LBB100_505:
	s_mov_b32 s4, exec_lo
	v_cmpx_ne_u32_e32 14, v0
	s_cbranch_execz .LBB100_509
; %bb.506:
	v_add_nc_u32_e32 v81, 0x138, v58
	v_add3_u32 v82, 0, v58, 8
	v_mov_b32_e32 v83, v0
	s_mov_b32 s5, 0
.LBB100_507:                            ; =>This Inner Loop Header: Depth=1
	scratch_load_b64 v[84:85], v82, off
	ds_load_b64 v[86:87], v81
	s_wait_xcnt 0x0
	v_dual_add_nc_u32 v81, 8, v81 :: v_dual_add_nc_u32 v82, 8, v82
	s_wait_loadcnt_dscnt 0x0
	v_pk_mul_f32 v[88:89], v[86:87], v[84:85] op_sel:[1,1] op_sel_hi:[0,1]
	s_delay_alu instid0(VALU_DEP_1) | instskip(SKIP_2) | instid1(VALU_DEP_3)
	v_pk_fma_f32 v[90:91], v[86:87], v[84:85], v[88:89] op_sel_hi:[1,0,1]
	v_add_nc_u32_e32 v83, 1, v83
	v_pk_fma_f32 v[84:85], v[86:87], v[84:85], v[88:89] neg_lo:[0,0,1] neg_hi:[0,0,1]
	v_mov_b32_e32 v85, v91
	s_delay_alu instid0(VALU_DEP_3) | instskip(NEXT) | instid1(VALU_DEP_2)
	v_cmp_lt_u32_e32 vcc_lo, 13, v83
	v_pk_add_f32 v[78:79], v[78:79], v[84:85]
	s_or_b32 s5, vcc_lo, s5
	s_delay_alu instid0(SALU_CYCLE_1)
	s_and_not1_b32 exec_lo, exec_lo, s5
	s_cbranch_execnz .LBB100_507
; %bb.508:
	s_or_b32 exec_lo, exec_lo, s5
.LBB100_509:
	s_delay_alu instid0(SALU_CYCLE_1) | instskip(SKIP_4) | instid1(VALU_DEP_1)
	s_or_b32 exec_lo, exec_lo, s4
	v_mov_b32_e32 v81, 0
	ds_load_b64 v[82:83], v81 offset:120
	s_wait_dscnt 0x0
	v_pk_mul_f32 v[84:85], v[78:79], v[82:83] op_sel:[1,1] op_sel_hi:[0,1]
	v_pk_fma_f32 v[86:87], v[78:79], v[82:83], v[84:85] op_sel_hi:[1,0,1]
	v_pk_fma_f32 v[78:79], v[78:79], v[82:83], v[84:85] neg_lo:[0,0,1] neg_hi:[0,0,1]
	s_delay_alu instid0(VALU_DEP_2)
	v_mov_b32_e32 v79, v87
	scratch_store_b64 off, v[78:79], off offset:120
.LBB100_510:
	s_wait_xcnt 0x0
	s_or_b32 exec_lo, exec_lo, s0
	scratch_load_b64 v[78:79], off, off offset:128
	s_mov_b32 s0, exec_lo
	s_wait_loadcnt 0x0
	ds_store_b64 v1, v[78:79]
	s_wait_storecnt_dscnt 0x0
	s_barrier_signal -1
	s_barrier_wait -1
	s_wait_xcnt 0x0
	v_cmpx_gt_u32_e32 16, v0
	s_cbranch_execz .LBB100_520
; %bb.511:
	v_cmp_ne_u32_e32 vcc_lo, 1, v80
	s_cbranch_vccnz .LBB100_513
; %bb.512:
	scratch_load_b64 v[78:79], v59, off
	ds_load_b64 v[82:83], v1
	s_wait_loadcnt_dscnt 0x0
	v_pk_mul_f32 v[84:85], v[82:83], v[78:79] op_sel:[1,1] op_sel_hi:[0,1]
	s_delay_alu instid0(VALU_DEP_1) | instskip(SKIP_1) | instid1(VALU_DEP_2)
	v_pk_fma_f32 v[86:87], v[82:83], v[78:79], v[84:85] op_sel_hi:[1,0,1]
	v_pk_fma_f32 v[78:79], v[82:83], v[78:79], v[84:85] neg_lo:[0,0,1] neg_hi:[0,0,1]
	v_mov_b32_e32 v79, v87
	s_cbranch_execz .LBB100_514
	s_branch .LBB100_515
.LBB100_513:
                                        ; implicit-def: $vgpr78_vgpr79
.LBB100_514:
	ds_load_b64 v[78:79], v1
.LBB100_515:
	s_mov_b32 s4, exec_lo
	v_cmpx_ne_u32_e32 15, v0
	s_cbranch_execz .LBB100_519
; %bb.516:
	v_add_nc_u32_e32 v81, 0x138, v58
	v_add3_u32 v82, 0, v58, 8
	v_mov_b32_e32 v83, v0
	s_mov_b32 s5, 0
.LBB100_517:                            ; =>This Inner Loop Header: Depth=1
	scratch_load_b64 v[84:85], v82, off
	ds_load_b64 v[86:87], v81
	s_wait_xcnt 0x0
	v_dual_add_nc_u32 v81, 8, v81 :: v_dual_add_nc_u32 v82, 8, v82
	s_wait_loadcnt_dscnt 0x0
	v_pk_mul_f32 v[88:89], v[86:87], v[84:85] op_sel:[1,1] op_sel_hi:[0,1]
	s_delay_alu instid0(VALU_DEP_1) | instskip(SKIP_2) | instid1(VALU_DEP_3)
	v_pk_fma_f32 v[90:91], v[86:87], v[84:85], v[88:89] op_sel_hi:[1,0,1]
	v_add_nc_u32_e32 v83, 1, v83
	v_pk_fma_f32 v[84:85], v[86:87], v[84:85], v[88:89] neg_lo:[0,0,1] neg_hi:[0,0,1]
	v_mov_b32_e32 v85, v91
	s_delay_alu instid0(VALU_DEP_3) | instskip(NEXT) | instid1(VALU_DEP_2)
	v_cmp_lt_u32_e32 vcc_lo, 14, v83
	v_pk_add_f32 v[78:79], v[78:79], v[84:85]
	s_or_b32 s5, vcc_lo, s5
	s_delay_alu instid0(SALU_CYCLE_1)
	s_and_not1_b32 exec_lo, exec_lo, s5
	s_cbranch_execnz .LBB100_517
; %bb.518:
	s_or_b32 exec_lo, exec_lo, s5
.LBB100_519:
	s_delay_alu instid0(SALU_CYCLE_1) | instskip(SKIP_4) | instid1(VALU_DEP_1)
	s_or_b32 exec_lo, exec_lo, s4
	v_mov_b32_e32 v81, 0
	ds_load_b64 v[82:83], v81 offset:128
	s_wait_dscnt 0x0
	v_pk_mul_f32 v[84:85], v[78:79], v[82:83] op_sel:[1,1] op_sel_hi:[0,1]
	v_pk_fma_f32 v[86:87], v[78:79], v[82:83], v[84:85] op_sel_hi:[1,0,1]
	v_pk_fma_f32 v[78:79], v[78:79], v[82:83], v[84:85] neg_lo:[0,0,1] neg_hi:[0,0,1]
	s_delay_alu instid0(VALU_DEP_2)
	v_mov_b32_e32 v79, v87
	scratch_store_b64 off, v[78:79], off offset:128
.LBB100_520:
	s_wait_xcnt 0x0
	s_or_b32 exec_lo, exec_lo, s0
	scratch_load_b64 v[78:79], off, off offset:136
	s_mov_b32 s0, exec_lo
	s_wait_loadcnt 0x0
	ds_store_b64 v1, v[78:79]
	s_wait_storecnt_dscnt 0x0
	s_barrier_signal -1
	s_barrier_wait -1
	s_wait_xcnt 0x0
	v_cmpx_gt_u32_e32 17, v0
	s_cbranch_execz .LBB100_530
; %bb.521:
	v_cmp_ne_u32_e32 vcc_lo, 1, v80
	s_cbranch_vccnz .LBB100_523
; %bb.522:
	scratch_load_b64 v[78:79], v59, off
	ds_load_b64 v[82:83], v1
	s_wait_loadcnt_dscnt 0x0
	v_pk_mul_f32 v[84:85], v[82:83], v[78:79] op_sel:[1,1] op_sel_hi:[0,1]
	s_delay_alu instid0(VALU_DEP_1) | instskip(SKIP_1) | instid1(VALU_DEP_2)
	v_pk_fma_f32 v[86:87], v[82:83], v[78:79], v[84:85] op_sel_hi:[1,0,1]
	v_pk_fma_f32 v[78:79], v[82:83], v[78:79], v[84:85] neg_lo:[0,0,1] neg_hi:[0,0,1]
	v_mov_b32_e32 v79, v87
	s_cbranch_execz .LBB100_524
	s_branch .LBB100_525
.LBB100_523:
                                        ; implicit-def: $vgpr78_vgpr79
.LBB100_524:
	ds_load_b64 v[78:79], v1
.LBB100_525:
	s_mov_b32 s4, exec_lo
	v_cmpx_ne_u32_e32 16, v0
	s_cbranch_execz .LBB100_529
; %bb.526:
	v_add_nc_u32_e32 v81, 0x138, v58
	v_add3_u32 v82, 0, v58, 8
	v_mov_b32_e32 v83, v0
	s_mov_b32 s5, 0
.LBB100_527:                            ; =>This Inner Loop Header: Depth=1
	scratch_load_b64 v[84:85], v82, off
	ds_load_b64 v[86:87], v81
	s_wait_xcnt 0x0
	v_dual_add_nc_u32 v81, 8, v81 :: v_dual_add_nc_u32 v82, 8, v82
	s_wait_loadcnt_dscnt 0x0
	v_pk_mul_f32 v[88:89], v[86:87], v[84:85] op_sel:[1,1] op_sel_hi:[0,1]
	s_delay_alu instid0(VALU_DEP_1) | instskip(SKIP_2) | instid1(VALU_DEP_3)
	v_pk_fma_f32 v[90:91], v[86:87], v[84:85], v[88:89] op_sel_hi:[1,0,1]
	v_add_nc_u32_e32 v83, 1, v83
	v_pk_fma_f32 v[84:85], v[86:87], v[84:85], v[88:89] neg_lo:[0,0,1] neg_hi:[0,0,1]
	v_mov_b32_e32 v85, v91
	s_delay_alu instid0(VALU_DEP_3) | instskip(NEXT) | instid1(VALU_DEP_2)
	v_cmp_lt_u32_e32 vcc_lo, 15, v83
	v_pk_add_f32 v[78:79], v[78:79], v[84:85]
	s_or_b32 s5, vcc_lo, s5
	s_delay_alu instid0(SALU_CYCLE_1)
	s_and_not1_b32 exec_lo, exec_lo, s5
	s_cbranch_execnz .LBB100_527
; %bb.528:
	s_or_b32 exec_lo, exec_lo, s5
.LBB100_529:
	s_delay_alu instid0(SALU_CYCLE_1) | instskip(SKIP_4) | instid1(VALU_DEP_1)
	s_or_b32 exec_lo, exec_lo, s4
	v_mov_b32_e32 v81, 0
	ds_load_b64 v[82:83], v81 offset:136
	s_wait_dscnt 0x0
	v_pk_mul_f32 v[84:85], v[78:79], v[82:83] op_sel:[1,1] op_sel_hi:[0,1]
	v_pk_fma_f32 v[86:87], v[78:79], v[82:83], v[84:85] op_sel_hi:[1,0,1]
	v_pk_fma_f32 v[78:79], v[78:79], v[82:83], v[84:85] neg_lo:[0,0,1] neg_hi:[0,0,1]
	s_delay_alu instid0(VALU_DEP_2)
	v_mov_b32_e32 v79, v87
	scratch_store_b64 off, v[78:79], off offset:136
.LBB100_530:
	s_wait_xcnt 0x0
	s_or_b32 exec_lo, exec_lo, s0
	scratch_load_b64 v[78:79], off, off offset:144
	s_mov_b32 s0, exec_lo
	s_wait_loadcnt 0x0
	ds_store_b64 v1, v[78:79]
	s_wait_storecnt_dscnt 0x0
	s_barrier_signal -1
	s_barrier_wait -1
	s_wait_xcnt 0x0
	v_cmpx_gt_u32_e32 18, v0
	s_cbranch_execz .LBB100_540
; %bb.531:
	v_cmp_ne_u32_e32 vcc_lo, 1, v80
	s_cbranch_vccnz .LBB100_533
; %bb.532:
	scratch_load_b64 v[78:79], v59, off
	ds_load_b64 v[82:83], v1
	s_wait_loadcnt_dscnt 0x0
	v_pk_mul_f32 v[84:85], v[82:83], v[78:79] op_sel:[1,1] op_sel_hi:[0,1]
	s_delay_alu instid0(VALU_DEP_1) | instskip(SKIP_1) | instid1(VALU_DEP_2)
	v_pk_fma_f32 v[86:87], v[82:83], v[78:79], v[84:85] op_sel_hi:[1,0,1]
	v_pk_fma_f32 v[78:79], v[82:83], v[78:79], v[84:85] neg_lo:[0,0,1] neg_hi:[0,0,1]
	v_mov_b32_e32 v79, v87
	s_cbranch_execz .LBB100_534
	s_branch .LBB100_535
.LBB100_533:
                                        ; implicit-def: $vgpr78_vgpr79
.LBB100_534:
	ds_load_b64 v[78:79], v1
.LBB100_535:
	s_mov_b32 s4, exec_lo
	v_cmpx_ne_u32_e32 17, v0
	s_cbranch_execz .LBB100_539
; %bb.536:
	v_add_nc_u32_e32 v81, 0x138, v58
	v_add3_u32 v82, 0, v58, 8
	v_mov_b32_e32 v83, v0
	s_mov_b32 s5, 0
.LBB100_537:                            ; =>This Inner Loop Header: Depth=1
	scratch_load_b64 v[84:85], v82, off
	ds_load_b64 v[86:87], v81
	s_wait_xcnt 0x0
	v_dual_add_nc_u32 v81, 8, v81 :: v_dual_add_nc_u32 v82, 8, v82
	s_wait_loadcnt_dscnt 0x0
	v_pk_mul_f32 v[88:89], v[86:87], v[84:85] op_sel:[1,1] op_sel_hi:[0,1]
	s_delay_alu instid0(VALU_DEP_1) | instskip(SKIP_2) | instid1(VALU_DEP_3)
	v_pk_fma_f32 v[90:91], v[86:87], v[84:85], v[88:89] op_sel_hi:[1,0,1]
	v_add_nc_u32_e32 v83, 1, v83
	v_pk_fma_f32 v[84:85], v[86:87], v[84:85], v[88:89] neg_lo:[0,0,1] neg_hi:[0,0,1]
	v_mov_b32_e32 v85, v91
	s_delay_alu instid0(VALU_DEP_3) | instskip(NEXT) | instid1(VALU_DEP_2)
	v_cmp_lt_u32_e32 vcc_lo, 16, v83
	v_pk_add_f32 v[78:79], v[78:79], v[84:85]
	s_or_b32 s5, vcc_lo, s5
	s_delay_alu instid0(SALU_CYCLE_1)
	s_and_not1_b32 exec_lo, exec_lo, s5
	s_cbranch_execnz .LBB100_537
; %bb.538:
	s_or_b32 exec_lo, exec_lo, s5
.LBB100_539:
	s_delay_alu instid0(SALU_CYCLE_1) | instskip(SKIP_4) | instid1(VALU_DEP_1)
	s_or_b32 exec_lo, exec_lo, s4
	v_mov_b32_e32 v81, 0
	ds_load_b64 v[82:83], v81 offset:144
	s_wait_dscnt 0x0
	v_pk_mul_f32 v[84:85], v[78:79], v[82:83] op_sel:[1,1] op_sel_hi:[0,1]
	v_pk_fma_f32 v[86:87], v[78:79], v[82:83], v[84:85] op_sel_hi:[1,0,1]
	v_pk_fma_f32 v[78:79], v[78:79], v[82:83], v[84:85] neg_lo:[0,0,1] neg_hi:[0,0,1]
	s_delay_alu instid0(VALU_DEP_2)
	v_mov_b32_e32 v79, v87
	scratch_store_b64 off, v[78:79], off offset:144
.LBB100_540:
	s_wait_xcnt 0x0
	s_or_b32 exec_lo, exec_lo, s0
	scratch_load_b64 v[78:79], off, off offset:152
	s_mov_b32 s0, exec_lo
	s_wait_loadcnt 0x0
	ds_store_b64 v1, v[78:79]
	s_wait_storecnt_dscnt 0x0
	s_barrier_signal -1
	s_barrier_wait -1
	s_wait_xcnt 0x0
	v_cmpx_gt_u32_e32 19, v0
	s_cbranch_execz .LBB100_550
; %bb.541:
	v_cmp_ne_u32_e32 vcc_lo, 1, v80
	s_cbranch_vccnz .LBB100_543
; %bb.542:
	scratch_load_b64 v[78:79], v59, off
	ds_load_b64 v[82:83], v1
	s_wait_loadcnt_dscnt 0x0
	v_pk_mul_f32 v[84:85], v[82:83], v[78:79] op_sel:[1,1] op_sel_hi:[0,1]
	s_delay_alu instid0(VALU_DEP_1) | instskip(SKIP_1) | instid1(VALU_DEP_2)
	v_pk_fma_f32 v[86:87], v[82:83], v[78:79], v[84:85] op_sel_hi:[1,0,1]
	v_pk_fma_f32 v[78:79], v[82:83], v[78:79], v[84:85] neg_lo:[0,0,1] neg_hi:[0,0,1]
	v_mov_b32_e32 v79, v87
	s_cbranch_execz .LBB100_544
	s_branch .LBB100_545
.LBB100_543:
                                        ; implicit-def: $vgpr78_vgpr79
.LBB100_544:
	ds_load_b64 v[78:79], v1
.LBB100_545:
	s_mov_b32 s4, exec_lo
	v_cmpx_ne_u32_e32 18, v0
	s_cbranch_execz .LBB100_549
; %bb.546:
	v_add_nc_u32_e32 v81, 0x138, v58
	v_add3_u32 v82, 0, v58, 8
	v_mov_b32_e32 v83, v0
	s_mov_b32 s5, 0
.LBB100_547:                            ; =>This Inner Loop Header: Depth=1
	scratch_load_b64 v[84:85], v82, off
	ds_load_b64 v[86:87], v81
	s_wait_xcnt 0x0
	v_dual_add_nc_u32 v81, 8, v81 :: v_dual_add_nc_u32 v82, 8, v82
	s_wait_loadcnt_dscnt 0x0
	v_pk_mul_f32 v[88:89], v[86:87], v[84:85] op_sel:[1,1] op_sel_hi:[0,1]
	s_delay_alu instid0(VALU_DEP_1) | instskip(SKIP_2) | instid1(VALU_DEP_3)
	v_pk_fma_f32 v[90:91], v[86:87], v[84:85], v[88:89] op_sel_hi:[1,0,1]
	v_add_nc_u32_e32 v83, 1, v83
	v_pk_fma_f32 v[84:85], v[86:87], v[84:85], v[88:89] neg_lo:[0,0,1] neg_hi:[0,0,1]
	v_mov_b32_e32 v85, v91
	s_delay_alu instid0(VALU_DEP_3) | instskip(NEXT) | instid1(VALU_DEP_2)
	v_cmp_lt_u32_e32 vcc_lo, 17, v83
	v_pk_add_f32 v[78:79], v[78:79], v[84:85]
	s_or_b32 s5, vcc_lo, s5
	s_delay_alu instid0(SALU_CYCLE_1)
	s_and_not1_b32 exec_lo, exec_lo, s5
	s_cbranch_execnz .LBB100_547
; %bb.548:
	s_or_b32 exec_lo, exec_lo, s5
.LBB100_549:
	s_delay_alu instid0(SALU_CYCLE_1) | instskip(SKIP_4) | instid1(VALU_DEP_1)
	s_or_b32 exec_lo, exec_lo, s4
	v_mov_b32_e32 v81, 0
	ds_load_b64 v[82:83], v81 offset:152
	s_wait_dscnt 0x0
	v_pk_mul_f32 v[84:85], v[78:79], v[82:83] op_sel:[1,1] op_sel_hi:[0,1]
	v_pk_fma_f32 v[86:87], v[78:79], v[82:83], v[84:85] op_sel_hi:[1,0,1]
	v_pk_fma_f32 v[78:79], v[78:79], v[82:83], v[84:85] neg_lo:[0,0,1] neg_hi:[0,0,1]
	s_delay_alu instid0(VALU_DEP_2)
	v_mov_b32_e32 v79, v87
	scratch_store_b64 off, v[78:79], off offset:152
.LBB100_550:
	s_wait_xcnt 0x0
	s_or_b32 exec_lo, exec_lo, s0
	scratch_load_b64 v[78:79], off, off offset:160
	s_mov_b32 s0, exec_lo
	s_wait_loadcnt 0x0
	ds_store_b64 v1, v[78:79]
	s_wait_storecnt_dscnt 0x0
	s_barrier_signal -1
	s_barrier_wait -1
	s_wait_xcnt 0x0
	v_cmpx_gt_u32_e32 20, v0
	s_cbranch_execz .LBB100_560
; %bb.551:
	v_cmp_ne_u32_e32 vcc_lo, 1, v80
	s_cbranch_vccnz .LBB100_553
; %bb.552:
	scratch_load_b64 v[78:79], v59, off
	ds_load_b64 v[82:83], v1
	s_wait_loadcnt_dscnt 0x0
	v_pk_mul_f32 v[84:85], v[82:83], v[78:79] op_sel:[1,1] op_sel_hi:[0,1]
	s_delay_alu instid0(VALU_DEP_1) | instskip(SKIP_1) | instid1(VALU_DEP_2)
	v_pk_fma_f32 v[86:87], v[82:83], v[78:79], v[84:85] op_sel_hi:[1,0,1]
	v_pk_fma_f32 v[78:79], v[82:83], v[78:79], v[84:85] neg_lo:[0,0,1] neg_hi:[0,0,1]
	v_mov_b32_e32 v79, v87
	s_cbranch_execz .LBB100_554
	s_branch .LBB100_555
.LBB100_553:
                                        ; implicit-def: $vgpr78_vgpr79
.LBB100_554:
	ds_load_b64 v[78:79], v1
.LBB100_555:
	s_mov_b32 s4, exec_lo
	v_cmpx_ne_u32_e32 19, v0
	s_cbranch_execz .LBB100_559
; %bb.556:
	v_add_nc_u32_e32 v81, 0x138, v58
	v_add3_u32 v82, 0, v58, 8
	v_mov_b32_e32 v83, v0
	s_mov_b32 s5, 0
.LBB100_557:                            ; =>This Inner Loop Header: Depth=1
	scratch_load_b64 v[84:85], v82, off
	ds_load_b64 v[86:87], v81
	s_wait_xcnt 0x0
	v_dual_add_nc_u32 v81, 8, v81 :: v_dual_add_nc_u32 v82, 8, v82
	s_wait_loadcnt_dscnt 0x0
	v_pk_mul_f32 v[88:89], v[86:87], v[84:85] op_sel:[1,1] op_sel_hi:[0,1]
	s_delay_alu instid0(VALU_DEP_1) | instskip(SKIP_2) | instid1(VALU_DEP_3)
	v_pk_fma_f32 v[90:91], v[86:87], v[84:85], v[88:89] op_sel_hi:[1,0,1]
	v_add_nc_u32_e32 v83, 1, v83
	v_pk_fma_f32 v[84:85], v[86:87], v[84:85], v[88:89] neg_lo:[0,0,1] neg_hi:[0,0,1]
	v_mov_b32_e32 v85, v91
	s_delay_alu instid0(VALU_DEP_3) | instskip(NEXT) | instid1(VALU_DEP_2)
	v_cmp_lt_u32_e32 vcc_lo, 18, v83
	v_pk_add_f32 v[78:79], v[78:79], v[84:85]
	s_or_b32 s5, vcc_lo, s5
	s_delay_alu instid0(SALU_CYCLE_1)
	s_and_not1_b32 exec_lo, exec_lo, s5
	s_cbranch_execnz .LBB100_557
; %bb.558:
	s_or_b32 exec_lo, exec_lo, s5
.LBB100_559:
	s_delay_alu instid0(SALU_CYCLE_1) | instskip(SKIP_4) | instid1(VALU_DEP_1)
	s_or_b32 exec_lo, exec_lo, s4
	v_mov_b32_e32 v81, 0
	ds_load_b64 v[82:83], v81 offset:160
	s_wait_dscnt 0x0
	v_pk_mul_f32 v[84:85], v[78:79], v[82:83] op_sel:[1,1] op_sel_hi:[0,1]
	v_pk_fma_f32 v[86:87], v[78:79], v[82:83], v[84:85] op_sel_hi:[1,0,1]
	v_pk_fma_f32 v[78:79], v[78:79], v[82:83], v[84:85] neg_lo:[0,0,1] neg_hi:[0,0,1]
	s_delay_alu instid0(VALU_DEP_2)
	v_mov_b32_e32 v79, v87
	scratch_store_b64 off, v[78:79], off offset:160
.LBB100_560:
	s_wait_xcnt 0x0
	s_or_b32 exec_lo, exec_lo, s0
	scratch_load_b64 v[78:79], off, off offset:168
	s_mov_b32 s0, exec_lo
	s_wait_loadcnt 0x0
	ds_store_b64 v1, v[78:79]
	s_wait_storecnt_dscnt 0x0
	s_barrier_signal -1
	s_barrier_wait -1
	s_wait_xcnt 0x0
	v_cmpx_gt_u32_e32 21, v0
	s_cbranch_execz .LBB100_570
; %bb.561:
	v_cmp_ne_u32_e32 vcc_lo, 1, v80
	s_cbranch_vccnz .LBB100_563
; %bb.562:
	scratch_load_b64 v[78:79], v59, off
	ds_load_b64 v[82:83], v1
	s_wait_loadcnt_dscnt 0x0
	v_pk_mul_f32 v[84:85], v[82:83], v[78:79] op_sel:[1,1] op_sel_hi:[0,1]
	s_delay_alu instid0(VALU_DEP_1) | instskip(SKIP_1) | instid1(VALU_DEP_2)
	v_pk_fma_f32 v[86:87], v[82:83], v[78:79], v[84:85] op_sel_hi:[1,0,1]
	v_pk_fma_f32 v[78:79], v[82:83], v[78:79], v[84:85] neg_lo:[0,0,1] neg_hi:[0,0,1]
	v_mov_b32_e32 v79, v87
	s_cbranch_execz .LBB100_564
	s_branch .LBB100_565
.LBB100_563:
                                        ; implicit-def: $vgpr78_vgpr79
.LBB100_564:
	ds_load_b64 v[78:79], v1
.LBB100_565:
	s_mov_b32 s4, exec_lo
	v_cmpx_ne_u32_e32 20, v0
	s_cbranch_execz .LBB100_569
; %bb.566:
	v_add_nc_u32_e32 v81, 0x138, v58
	v_add3_u32 v82, 0, v58, 8
	v_mov_b32_e32 v83, v0
	s_mov_b32 s5, 0
.LBB100_567:                            ; =>This Inner Loop Header: Depth=1
	scratch_load_b64 v[84:85], v82, off
	ds_load_b64 v[86:87], v81
	s_wait_xcnt 0x0
	v_dual_add_nc_u32 v81, 8, v81 :: v_dual_add_nc_u32 v82, 8, v82
	s_wait_loadcnt_dscnt 0x0
	v_pk_mul_f32 v[88:89], v[86:87], v[84:85] op_sel:[1,1] op_sel_hi:[0,1]
	s_delay_alu instid0(VALU_DEP_1) | instskip(SKIP_2) | instid1(VALU_DEP_3)
	v_pk_fma_f32 v[90:91], v[86:87], v[84:85], v[88:89] op_sel_hi:[1,0,1]
	v_add_nc_u32_e32 v83, 1, v83
	v_pk_fma_f32 v[84:85], v[86:87], v[84:85], v[88:89] neg_lo:[0,0,1] neg_hi:[0,0,1]
	v_mov_b32_e32 v85, v91
	s_delay_alu instid0(VALU_DEP_3) | instskip(NEXT) | instid1(VALU_DEP_2)
	v_cmp_lt_u32_e32 vcc_lo, 19, v83
	v_pk_add_f32 v[78:79], v[78:79], v[84:85]
	s_or_b32 s5, vcc_lo, s5
	s_delay_alu instid0(SALU_CYCLE_1)
	s_and_not1_b32 exec_lo, exec_lo, s5
	s_cbranch_execnz .LBB100_567
; %bb.568:
	s_or_b32 exec_lo, exec_lo, s5
.LBB100_569:
	s_delay_alu instid0(SALU_CYCLE_1) | instskip(SKIP_4) | instid1(VALU_DEP_1)
	s_or_b32 exec_lo, exec_lo, s4
	v_mov_b32_e32 v81, 0
	ds_load_b64 v[82:83], v81 offset:168
	s_wait_dscnt 0x0
	v_pk_mul_f32 v[84:85], v[78:79], v[82:83] op_sel:[1,1] op_sel_hi:[0,1]
	v_pk_fma_f32 v[86:87], v[78:79], v[82:83], v[84:85] op_sel_hi:[1,0,1]
	v_pk_fma_f32 v[78:79], v[78:79], v[82:83], v[84:85] neg_lo:[0,0,1] neg_hi:[0,0,1]
	s_delay_alu instid0(VALU_DEP_2)
	v_mov_b32_e32 v79, v87
	scratch_store_b64 off, v[78:79], off offset:168
.LBB100_570:
	s_wait_xcnt 0x0
	s_or_b32 exec_lo, exec_lo, s0
	scratch_load_b64 v[78:79], off, off offset:176
	s_mov_b32 s0, exec_lo
	s_wait_loadcnt 0x0
	ds_store_b64 v1, v[78:79]
	s_wait_storecnt_dscnt 0x0
	s_barrier_signal -1
	s_barrier_wait -1
	s_wait_xcnt 0x0
	v_cmpx_gt_u32_e32 22, v0
	s_cbranch_execz .LBB100_580
; %bb.571:
	v_cmp_ne_u32_e32 vcc_lo, 1, v80
	s_cbranch_vccnz .LBB100_573
; %bb.572:
	scratch_load_b64 v[78:79], v59, off
	ds_load_b64 v[82:83], v1
	s_wait_loadcnt_dscnt 0x0
	v_pk_mul_f32 v[84:85], v[82:83], v[78:79] op_sel:[1,1] op_sel_hi:[0,1]
	s_delay_alu instid0(VALU_DEP_1) | instskip(SKIP_1) | instid1(VALU_DEP_2)
	v_pk_fma_f32 v[86:87], v[82:83], v[78:79], v[84:85] op_sel_hi:[1,0,1]
	v_pk_fma_f32 v[78:79], v[82:83], v[78:79], v[84:85] neg_lo:[0,0,1] neg_hi:[0,0,1]
	v_mov_b32_e32 v79, v87
	s_cbranch_execz .LBB100_574
	s_branch .LBB100_575
.LBB100_573:
                                        ; implicit-def: $vgpr78_vgpr79
.LBB100_574:
	ds_load_b64 v[78:79], v1
.LBB100_575:
	s_mov_b32 s4, exec_lo
	v_cmpx_ne_u32_e32 21, v0
	s_cbranch_execz .LBB100_579
; %bb.576:
	v_add_nc_u32_e32 v81, 0x138, v58
	v_add3_u32 v82, 0, v58, 8
	v_mov_b32_e32 v83, v0
	s_mov_b32 s5, 0
.LBB100_577:                            ; =>This Inner Loop Header: Depth=1
	scratch_load_b64 v[84:85], v82, off
	ds_load_b64 v[86:87], v81
	s_wait_xcnt 0x0
	v_dual_add_nc_u32 v81, 8, v81 :: v_dual_add_nc_u32 v82, 8, v82
	s_wait_loadcnt_dscnt 0x0
	v_pk_mul_f32 v[88:89], v[86:87], v[84:85] op_sel:[1,1] op_sel_hi:[0,1]
	s_delay_alu instid0(VALU_DEP_1) | instskip(SKIP_2) | instid1(VALU_DEP_3)
	v_pk_fma_f32 v[90:91], v[86:87], v[84:85], v[88:89] op_sel_hi:[1,0,1]
	v_add_nc_u32_e32 v83, 1, v83
	v_pk_fma_f32 v[84:85], v[86:87], v[84:85], v[88:89] neg_lo:[0,0,1] neg_hi:[0,0,1]
	v_mov_b32_e32 v85, v91
	s_delay_alu instid0(VALU_DEP_3) | instskip(NEXT) | instid1(VALU_DEP_2)
	v_cmp_lt_u32_e32 vcc_lo, 20, v83
	v_pk_add_f32 v[78:79], v[78:79], v[84:85]
	s_or_b32 s5, vcc_lo, s5
	s_delay_alu instid0(SALU_CYCLE_1)
	s_and_not1_b32 exec_lo, exec_lo, s5
	s_cbranch_execnz .LBB100_577
; %bb.578:
	s_or_b32 exec_lo, exec_lo, s5
.LBB100_579:
	s_delay_alu instid0(SALU_CYCLE_1) | instskip(SKIP_4) | instid1(VALU_DEP_1)
	s_or_b32 exec_lo, exec_lo, s4
	v_mov_b32_e32 v81, 0
	ds_load_b64 v[82:83], v81 offset:176
	s_wait_dscnt 0x0
	v_pk_mul_f32 v[84:85], v[78:79], v[82:83] op_sel:[1,1] op_sel_hi:[0,1]
	v_pk_fma_f32 v[86:87], v[78:79], v[82:83], v[84:85] op_sel_hi:[1,0,1]
	v_pk_fma_f32 v[78:79], v[78:79], v[82:83], v[84:85] neg_lo:[0,0,1] neg_hi:[0,0,1]
	s_delay_alu instid0(VALU_DEP_2)
	v_mov_b32_e32 v79, v87
	scratch_store_b64 off, v[78:79], off offset:176
.LBB100_580:
	s_wait_xcnt 0x0
	s_or_b32 exec_lo, exec_lo, s0
	scratch_load_b64 v[78:79], off, off offset:184
	s_mov_b32 s0, exec_lo
	s_wait_loadcnt 0x0
	ds_store_b64 v1, v[78:79]
	s_wait_storecnt_dscnt 0x0
	s_barrier_signal -1
	s_barrier_wait -1
	s_wait_xcnt 0x0
	v_cmpx_gt_u32_e32 23, v0
	s_cbranch_execz .LBB100_590
; %bb.581:
	v_cmp_ne_u32_e32 vcc_lo, 1, v80
	s_cbranch_vccnz .LBB100_583
; %bb.582:
	scratch_load_b64 v[78:79], v59, off
	ds_load_b64 v[82:83], v1
	s_wait_loadcnt_dscnt 0x0
	v_pk_mul_f32 v[84:85], v[82:83], v[78:79] op_sel:[1,1] op_sel_hi:[0,1]
	s_delay_alu instid0(VALU_DEP_1) | instskip(SKIP_1) | instid1(VALU_DEP_2)
	v_pk_fma_f32 v[86:87], v[82:83], v[78:79], v[84:85] op_sel_hi:[1,0,1]
	v_pk_fma_f32 v[78:79], v[82:83], v[78:79], v[84:85] neg_lo:[0,0,1] neg_hi:[0,0,1]
	v_mov_b32_e32 v79, v87
	s_cbranch_execz .LBB100_584
	s_branch .LBB100_585
.LBB100_583:
                                        ; implicit-def: $vgpr78_vgpr79
.LBB100_584:
	ds_load_b64 v[78:79], v1
.LBB100_585:
	s_mov_b32 s4, exec_lo
	v_cmpx_ne_u32_e32 22, v0
	s_cbranch_execz .LBB100_589
; %bb.586:
	v_add_nc_u32_e32 v81, 0x138, v58
	v_add3_u32 v82, 0, v58, 8
	v_mov_b32_e32 v83, v0
	s_mov_b32 s5, 0
.LBB100_587:                            ; =>This Inner Loop Header: Depth=1
	scratch_load_b64 v[84:85], v82, off
	ds_load_b64 v[86:87], v81
	s_wait_xcnt 0x0
	v_dual_add_nc_u32 v81, 8, v81 :: v_dual_add_nc_u32 v82, 8, v82
	s_wait_loadcnt_dscnt 0x0
	v_pk_mul_f32 v[88:89], v[86:87], v[84:85] op_sel:[1,1] op_sel_hi:[0,1]
	s_delay_alu instid0(VALU_DEP_1) | instskip(SKIP_2) | instid1(VALU_DEP_3)
	v_pk_fma_f32 v[90:91], v[86:87], v[84:85], v[88:89] op_sel_hi:[1,0,1]
	v_add_nc_u32_e32 v83, 1, v83
	v_pk_fma_f32 v[84:85], v[86:87], v[84:85], v[88:89] neg_lo:[0,0,1] neg_hi:[0,0,1]
	v_mov_b32_e32 v85, v91
	s_delay_alu instid0(VALU_DEP_3) | instskip(NEXT) | instid1(VALU_DEP_2)
	v_cmp_lt_u32_e32 vcc_lo, 21, v83
	v_pk_add_f32 v[78:79], v[78:79], v[84:85]
	s_or_b32 s5, vcc_lo, s5
	s_delay_alu instid0(SALU_CYCLE_1)
	s_and_not1_b32 exec_lo, exec_lo, s5
	s_cbranch_execnz .LBB100_587
; %bb.588:
	s_or_b32 exec_lo, exec_lo, s5
.LBB100_589:
	s_delay_alu instid0(SALU_CYCLE_1) | instskip(SKIP_4) | instid1(VALU_DEP_1)
	s_or_b32 exec_lo, exec_lo, s4
	v_mov_b32_e32 v81, 0
	ds_load_b64 v[82:83], v81 offset:184
	s_wait_dscnt 0x0
	v_pk_mul_f32 v[84:85], v[78:79], v[82:83] op_sel:[1,1] op_sel_hi:[0,1]
	v_pk_fma_f32 v[86:87], v[78:79], v[82:83], v[84:85] op_sel_hi:[1,0,1]
	v_pk_fma_f32 v[78:79], v[78:79], v[82:83], v[84:85] neg_lo:[0,0,1] neg_hi:[0,0,1]
	s_delay_alu instid0(VALU_DEP_2)
	v_mov_b32_e32 v79, v87
	scratch_store_b64 off, v[78:79], off offset:184
.LBB100_590:
	s_wait_xcnt 0x0
	s_or_b32 exec_lo, exec_lo, s0
	scratch_load_b64 v[78:79], off, off offset:192
	s_mov_b32 s0, exec_lo
	s_wait_loadcnt 0x0
	ds_store_b64 v1, v[78:79]
	s_wait_storecnt_dscnt 0x0
	s_barrier_signal -1
	s_barrier_wait -1
	s_wait_xcnt 0x0
	v_cmpx_gt_u32_e32 24, v0
	s_cbranch_execz .LBB100_600
; %bb.591:
	v_cmp_ne_u32_e32 vcc_lo, 1, v80
	s_cbranch_vccnz .LBB100_593
; %bb.592:
	scratch_load_b64 v[78:79], v59, off
	ds_load_b64 v[82:83], v1
	s_wait_loadcnt_dscnt 0x0
	v_pk_mul_f32 v[84:85], v[82:83], v[78:79] op_sel:[1,1] op_sel_hi:[0,1]
	s_delay_alu instid0(VALU_DEP_1) | instskip(SKIP_1) | instid1(VALU_DEP_2)
	v_pk_fma_f32 v[86:87], v[82:83], v[78:79], v[84:85] op_sel_hi:[1,0,1]
	v_pk_fma_f32 v[78:79], v[82:83], v[78:79], v[84:85] neg_lo:[0,0,1] neg_hi:[0,0,1]
	v_mov_b32_e32 v79, v87
	s_cbranch_execz .LBB100_594
	s_branch .LBB100_595
.LBB100_593:
                                        ; implicit-def: $vgpr78_vgpr79
.LBB100_594:
	ds_load_b64 v[78:79], v1
.LBB100_595:
	s_mov_b32 s4, exec_lo
	v_cmpx_ne_u32_e32 23, v0
	s_cbranch_execz .LBB100_599
; %bb.596:
	v_add_nc_u32_e32 v81, 0x138, v58
	v_add3_u32 v82, 0, v58, 8
	v_mov_b32_e32 v83, v0
	s_mov_b32 s5, 0
.LBB100_597:                            ; =>This Inner Loop Header: Depth=1
	scratch_load_b64 v[84:85], v82, off
	ds_load_b64 v[86:87], v81
	s_wait_xcnt 0x0
	v_dual_add_nc_u32 v81, 8, v81 :: v_dual_add_nc_u32 v82, 8, v82
	s_wait_loadcnt_dscnt 0x0
	v_pk_mul_f32 v[88:89], v[86:87], v[84:85] op_sel:[1,1] op_sel_hi:[0,1]
	s_delay_alu instid0(VALU_DEP_1) | instskip(SKIP_2) | instid1(VALU_DEP_3)
	v_pk_fma_f32 v[90:91], v[86:87], v[84:85], v[88:89] op_sel_hi:[1,0,1]
	v_add_nc_u32_e32 v83, 1, v83
	v_pk_fma_f32 v[84:85], v[86:87], v[84:85], v[88:89] neg_lo:[0,0,1] neg_hi:[0,0,1]
	v_mov_b32_e32 v85, v91
	s_delay_alu instid0(VALU_DEP_3) | instskip(NEXT) | instid1(VALU_DEP_2)
	v_cmp_lt_u32_e32 vcc_lo, 22, v83
	v_pk_add_f32 v[78:79], v[78:79], v[84:85]
	s_or_b32 s5, vcc_lo, s5
	s_delay_alu instid0(SALU_CYCLE_1)
	s_and_not1_b32 exec_lo, exec_lo, s5
	s_cbranch_execnz .LBB100_597
; %bb.598:
	s_or_b32 exec_lo, exec_lo, s5
.LBB100_599:
	s_delay_alu instid0(SALU_CYCLE_1) | instskip(SKIP_4) | instid1(VALU_DEP_1)
	s_or_b32 exec_lo, exec_lo, s4
	v_mov_b32_e32 v81, 0
	ds_load_b64 v[82:83], v81 offset:192
	s_wait_dscnt 0x0
	v_pk_mul_f32 v[84:85], v[78:79], v[82:83] op_sel:[1,1] op_sel_hi:[0,1]
	v_pk_fma_f32 v[86:87], v[78:79], v[82:83], v[84:85] op_sel_hi:[1,0,1]
	v_pk_fma_f32 v[78:79], v[78:79], v[82:83], v[84:85] neg_lo:[0,0,1] neg_hi:[0,0,1]
	s_delay_alu instid0(VALU_DEP_2)
	v_mov_b32_e32 v79, v87
	scratch_store_b64 off, v[78:79], off offset:192
.LBB100_600:
	s_wait_xcnt 0x0
	s_or_b32 exec_lo, exec_lo, s0
	scratch_load_b64 v[78:79], off, off offset:200
	s_mov_b32 s0, exec_lo
	s_wait_loadcnt 0x0
	ds_store_b64 v1, v[78:79]
	s_wait_storecnt_dscnt 0x0
	s_barrier_signal -1
	s_barrier_wait -1
	s_wait_xcnt 0x0
	v_cmpx_gt_u32_e32 25, v0
	s_cbranch_execz .LBB100_610
; %bb.601:
	v_cmp_ne_u32_e32 vcc_lo, 1, v80
	s_cbranch_vccnz .LBB100_603
; %bb.602:
	scratch_load_b64 v[78:79], v59, off
	ds_load_b64 v[82:83], v1
	s_wait_loadcnt_dscnt 0x0
	v_pk_mul_f32 v[84:85], v[82:83], v[78:79] op_sel:[1,1] op_sel_hi:[0,1]
	s_delay_alu instid0(VALU_DEP_1) | instskip(SKIP_1) | instid1(VALU_DEP_2)
	v_pk_fma_f32 v[86:87], v[82:83], v[78:79], v[84:85] op_sel_hi:[1,0,1]
	v_pk_fma_f32 v[78:79], v[82:83], v[78:79], v[84:85] neg_lo:[0,0,1] neg_hi:[0,0,1]
	v_mov_b32_e32 v79, v87
	s_cbranch_execz .LBB100_604
	s_branch .LBB100_605
.LBB100_603:
                                        ; implicit-def: $vgpr78_vgpr79
.LBB100_604:
	ds_load_b64 v[78:79], v1
.LBB100_605:
	s_mov_b32 s4, exec_lo
	v_cmpx_ne_u32_e32 24, v0
	s_cbranch_execz .LBB100_609
; %bb.606:
	v_add_nc_u32_e32 v81, 0x138, v58
	v_add3_u32 v82, 0, v58, 8
	v_mov_b32_e32 v83, v0
	s_mov_b32 s5, 0
.LBB100_607:                            ; =>This Inner Loop Header: Depth=1
	scratch_load_b64 v[84:85], v82, off
	ds_load_b64 v[86:87], v81
	s_wait_xcnt 0x0
	v_dual_add_nc_u32 v81, 8, v81 :: v_dual_add_nc_u32 v82, 8, v82
	s_wait_loadcnt_dscnt 0x0
	v_pk_mul_f32 v[88:89], v[86:87], v[84:85] op_sel:[1,1] op_sel_hi:[0,1]
	s_delay_alu instid0(VALU_DEP_1) | instskip(SKIP_2) | instid1(VALU_DEP_3)
	v_pk_fma_f32 v[90:91], v[86:87], v[84:85], v[88:89] op_sel_hi:[1,0,1]
	v_add_nc_u32_e32 v83, 1, v83
	v_pk_fma_f32 v[84:85], v[86:87], v[84:85], v[88:89] neg_lo:[0,0,1] neg_hi:[0,0,1]
	v_mov_b32_e32 v85, v91
	s_delay_alu instid0(VALU_DEP_3) | instskip(NEXT) | instid1(VALU_DEP_2)
	v_cmp_lt_u32_e32 vcc_lo, 23, v83
	v_pk_add_f32 v[78:79], v[78:79], v[84:85]
	s_or_b32 s5, vcc_lo, s5
	s_delay_alu instid0(SALU_CYCLE_1)
	s_and_not1_b32 exec_lo, exec_lo, s5
	s_cbranch_execnz .LBB100_607
; %bb.608:
	s_or_b32 exec_lo, exec_lo, s5
.LBB100_609:
	s_delay_alu instid0(SALU_CYCLE_1) | instskip(SKIP_4) | instid1(VALU_DEP_1)
	s_or_b32 exec_lo, exec_lo, s4
	v_mov_b32_e32 v81, 0
	ds_load_b64 v[82:83], v81 offset:200
	s_wait_dscnt 0x0
	v_pk_mul_f32 v[84:85], v[78:79], v[82:83] op_sel:[1,1] op_sel_hi:[0,1]
	v_pk_fma_f32 v[86:87], v[78:79], v[82:83], v[84:85] op_sel_hi:[1,0,1]
	v_pk_fma_f32 v[78:79], v[78:79], v[82:83], v[84:85] neg_lo:[0,0,1] neg_hi:[0,0,1]
	s_delay_alu instid0(VALU_DEP_2)
	v_mov_b32_e32 v79, v87
	scratch_store_b64 off, v[78:79], off offset:200
.LBB100_610:
	s_wait_xcnt 0x0
	s_or_b32 exec_lo, exec_lo, s0
	scratch_load_b64 v[78:79], off, off offset:208
	s_mov_b32 s0, exec_lo
	s_wait_loadcnt 0x0
	ds_store_b64 v1, v[78:79]
	s_wait_storecnt_dscnt 0x0
	s_barrier_signal -1
	s_barrier_wait -1
	s_wait_xcnt 0x0
	v_cmpx_gt_u32_e32 26, v0
	s_cbranch_execz .LBB100_620
; %bb.611:
	v_cmp_ne_u32_e32 vcc_lo, 1, v80
	s_cbranch_vccnz .LBB100_613
; %bb.612:
	scratch_load_b64 v[78:79], v59, off
	ds_load_b64 v[82:83], v1
	s_wait_loadcnt_dscnt 0x0
	v_pk_mul_f32 v[84:85], v[82:83], v[78:79] op_sel:[1,1] op_sel_hi:[0,1]
	s_delay_alu instid0(VALU_DEP_1) | instskip(SKIP_1) | instid1(VALU_DEP_2)
	v_pk_fma_f32 v[86:87], v[82:83], v[78:79], v[84:85] op_sel_hi:[1,0,1]
	v_pk_fma_f32 v[78:79], v[82:83], v[78:79], v[84:85] neg_lo:[0,0,1] neg_hi:[0,0,1]
	v_mov_b32_e32 v79, v87
	s_cbranch_execz .LBB100_614
	s_branch .LBB100_615
.LBB100_613:
                                        ; implicit-def: $vgpr78_vgpr79
.LBB100_614:
	ds_load_b64 v[78:79], v1
.LBB100_615:
	s_mov_b32 s4, exec_lo
	v_cmpx_ne_u32_e32 25, v0
	s_cbranch_execz .LBB100_619
; %bb.616:
	v_add_nc_u32_e32 v81, 0x138, v58
	v_add3_u32 v82, 0, v58, 8
	v_mov_b32_e32 v83, v0
	s_mov_b32 s5, 0
.LBB100_617:                            ; =>This Inner Loop Header: Depth=1
	scratch_load_b64 v[84:85], v82, off
	ds_load_b64 v[86:87], v81
	s_wait_xcnt 0x0
	v_dual_add_nc_u32 v81, 8, v81 :: v_dual_add_nc_u32 v82, 8, v82
	s_wait_loadcnt_dscnt 0x0
	v_pk_mul_f32 v[88:89], v[86:87], v[84:85] op_sel:[1,1] op_sel_hi:[0,1]
	s_delay_alu instid0(VALU_DEP_1) | instskip(SKIP_2) | instid1(VALU_DEP_3)
	v_pk_fma_f32 v[90:91], v[86:87], v[84:85], v[88:89] op_sel_hi:[1,0,1]
	v_add_nc_u32_e32 v83, 1, v83
	v_pk_fma_f32 v[84:85], v[86:87], v[84:85], v[88:89] neg_lo:[0,0,1] neg_hi:[0,0,1]
	v_mov_b32_e32 v85, v91
	s_delay_alu instid0(VALU_DEP_3) | instskip(NEXT) | instid1(VALU_DEP_2)
	v_cmp_lt_u32_e32 vcc_lo, 24, v83
	v_pk_add_f32 v[78:79], v[78:79], v[84:85]
	s_or_b32 s5, vcc_lo, s5
	s_delay_alu instid0(SALU_CYCLE_1)
	s_and_not1_b32 exec_lo, exec_lo, s5
	s_cbranch_execnz .LBB100_617
; %bb.618:
	s_or_b32 exec_lo, exec_lo, s5
.LBB100_619:
	s_delay_alu instid0(SALU_CYCLE_1) | instskip(SKIP_4) | instid1(VALU_DEP_1)
	s_or_b32 exec_lo, exec_lo, s4
	v_mov_b32_e32 v81, 0
	ds_load_b64 v[82:83], v81 offset:208
	s_wait_dscnt 0x0
	v_pk_mul_f32 v[84:85], v[78:79], v[82:83] op_sel:[1,1] op_sel_hi:[0,1]
	v_pk_fma_f32 v[86:87], v[78:79], v[82:83], v[84:85] op_sel_hi:[1,0,1]
	v_pk_fma_f32 v[78:79], v[78:79], v[82:83], v[84:85] neg_lo:[0,0,1] neg_hi:[0,0,1]
	s_delay_alu instid0(VALU_DEP_2)
	v_mov_b32_e32 v79, v87
	scratch_store_b64 off, v[78:79], off offset:208
.LBB100_620:
	s_wait_xcnt 0x0
	s_or_b32 exec_lo, exec_lo, s0
	scratch_load_b64 v[78:79], off, off offset:216
	s_mov_b32 s0, exec_lo
	s_wait_loadcnt 0x0
	ds_store_b64 v1, v[78:79]
	s_wait_storecnt_dscnt 0x0
	s_barrier_signal -1
	s_barrier_wait -1
	s_wait_xcnt 0x0
	v_cmpx_gt_u32_e32 27, v0
	s_cbranch_execz .LBB100_630
; %bb.621:
	v_cmp_ne_u32_e32 vcc_lo, 1, v80
	s_cbranch_vccnz .LBB100_623
; %bb.622:
	scratch_load_b64 v[78:79], v59, off
	ds_load_b64 v[82:83], v1
	s_wait_loadcnt_dscnt 0x0
	v_pk_mul_f32 v[84:85], v[82:83], v[78:79] op_sel:[1,1] op_sel_hi:[0,1]
	s_delay_alu instid0(VALU_DEP_1) | instskip(SKIP_1) | instid1(VALU_DEP_2)
	v_pk_fma_f32 v[86:87], v[82:83], v[78:79], v[84:85] op_sel_hi:[1,0,1]
	v_pk_fma_f32 v[78:79], v[82:83], v[78:79], v[84:85] neg_lo:[0,0,1] neg_hi:[0,0,1]
	v_mov_b32_e32 v79, v87
	s_cbranch_execz .LBB100_624
	s_branch .LBB100_625
.LBB100_623:
                                        ; implicit-def: $vgpr78_vgpr79
.LBB100_624:
	ds_load_b64 v[78:79], v1
.LBB100_625:
	s_mov_b32 s4, exec_lo
	v_cmpx_ne_u32_e32 26, v0
	s_cbranch_execz .LBB100_629
; %bb.626:
	v_add_nc_u32_e32 v81, 0x138, v58
	v_add3_u32 v82, 0, v58, 8
	v_mov_b32_e32 v83, v0
	s_mov_b32 s5, 0
.LBB100_627:                            ; =>This Inner Loop Header: Depth=1
	scratch_load_b64 v[84:85], v82, off
	ds_load_b64 v[86:87], v81
	s_wait_xcnt 0x0
	v_dual_add_nc_u32 v81, 8, v81 :: v_dual_add_nc_u32 v82, 8, v82
	s_wait_loadcnt_dscnt 0x0
	v_pk_mul_f32 v[88:89], v[86:87], v[84:85] op_sel:[1,1] op_sel_hi:[0,1]
	s_delay_alu instid0(VALU_DEP_1) | instskip(SKIP_2) | instid1(VALU_DEP_3)
	v_pk_fma_f32 v[90:91], v[86:87], v[84:85], v[88:89] op_sel_hi:[1,0,1]
	v_add_nc_u32_e32 v83, 1, v83
	v_pk_fma_f32 v[84:85], v[86:87], v[84:85], v[88:89] neg_lo:[0,0,1] neg_hi:[0,0,1]
	v_mov_b32_e32 v85, v91
	s_delay_alu instid0(VALU_DEP_3) | instskip(NEXT) | instid1(VALU_DEP_2)
	v_cmp_lt_u32_e32 vcc_lo, 25, v83
	v_pk_add_f32 v[78:79], v[78:79], v[84:85]
	s_or_b32 s5, vcc_lo, s5
	s_delay_alu instid0(SALU_CYCLE_1)
	s_and_not1_b32 exec_lo, exec_lo, s5
	s_cbranch_execnz .LBB100_627
; %bb.628:
	s_or_b32 exec_lo, exec_lo, s5
.LBB100_629:
	s_delay_alu instid0(SALU_CYCLE_1) | instskip(SKIP_4) | instid1(VALU_DEP_1)
	s_or_b32 exec_lo, exec_lo, s4
	v_mov_b32_e32 v81, 0
	ds_load_b64 v[82:83], v81 offset:216
	s_wait_dscnt 0x0
	v_pk_mul_f32 v[84:85], v[78:79], v[82:83] op_sel:[1,1] op_sel_hi:[0,1]
	v_pk_fma_f32 v[86:87], v[78:79], v[82:83], v[84:85] op_sel_hi:[1,0,1]
	v_pk_fma_f32 v[78:79], v[78:79], v[82:83], v[84:85] neg_lo:[0,0,1] neg_hi:[0,0,1]
	s_delay_alu instid0(VALU_DEP_2)
	v_mov_b32_e32 v79, v87
	scratch_store_b64 off, v[78:79], off offset:216
.LBB100_630:
	s_wait_xcnt 0x0
	s_or_b32 exec_lo, exec_lo, s0
	scratch_load_b64 v[78:79], off, off offset:224
	s_mov_b32 s0, exec_lo
	s_wait_loadcnt 0x0
	ds_store_b64 v1, v[78:79]
	s_wait_storecnt_dscnt 0x0
	s_barrier_signal -1
	s_barrier_wait -1
	s_wait_xcnt 0x0
	v_cmpx_gt_u32_e32 28, v0
	s_cbranch_execz .LBB100_640
; %bb.631:
	v_cmp_ne_u32_e32 vcc_lo, 1, v80
	s_cbranch_vccnz .LBB100_633
; %bb.632:
	scratch_load_b64 v[78:79], v59, off
	ds_load_b64 v[82:83], v1
	s_wait_loadcnt_dscnt 0x0
	v_pk_mul_f32 v[84:85], v[82:83], v[78:79] op_sel:[1,1] op_sel_hi:[0,1]
	s_delay_alu instid0(VALU_DEP_1) | instskip(SKIP_1) | instid1(VALU_DEP_2)
	v_pk_fma_f32 v[86:87], v[82:83], v[78:79], v[84:85] op_sel_hi:[1,0,1]
	v_pk_fma_f32 v[78:79], v[82:83], v[78:79], v[84:85] neg_lo:[0,0,1] neg_hi:[0,0,1]
	v_mov_b32_e32 v79, v87
	s_cbranch_execz .LBB100_634
	s_branch .LBB100_635
.LBB100_633:
                                        ; implicit-def: $vgpr78_vgpr79
.LBB100_634:
	ds_load_b64 v[78:79], v1
.LBB100_635:
	s_mov_b32 s4, exec_lo
	v_cmpx_ne_u32_e32 27, v0
	s_cbranch_execz .LBB100_639
; %bb.636:
	v_add_nc_u32_e32 v81, 0x138, v58
	v_add3_u32 v82, 0, v58, 8
	v_mov_b32_e32 v83, v0
	s_mov_b32 s5, 0
.LBB100_637:                            ; =>This Inner Loop Header: Depth=1
	scratch_load_b64 v[84:85], v82, off
	ds_load_b64 v[86:87], v81
	s_wait_xcnt 0x0
	v_dual_add_nc_u32 v81, 8, v81 :: v_dual_add_nc_u32 v82, 8, v82
	s_wait_loadcnt_dscnt 0x0
	v_pk_mul_f32 v[88:89], v[86:87], v[84:85] op_sel:[1,1] op_sel_hi:[0,1]
	s_delay_alu instid0(VALU_DEP_1) | instskip(SKIP_2) | instid1(VALU_DEP_3)
	v_pk_fma_f32 v[90:91], v[86:87], v[84:85], v[88:89] op_sel_hi:[1,0,1]
	v_add_nc_u32_e32 v83, 1, v83
	v_pk_fma_f32 v[84:85], v[86:87], v[84:85], v[88:89] neg_lo:[0,0,1] neg_hi:[0,0,1]
	v_mov_b32_e32 v85, v91
	s_delay_alu instid0(VALU_DEP_3) | instskip(NEXT) | instid1(VALU_DEP_2)
	v_cmp_lt_u32_e32 vcc_lo, 26, v83
	v_pk_add_f32 v[78:79], v[78:79], v[84:85]
	s_or_b32 s5, vcc_lo, s5
	s_delay_alu instid0(SALU_CYCLE_1)
	s_and_not1_b32 exec_lo, exec_lo, s5
	s_cbranch_execnz .LBB100_637
; %bb.638:
	s_or_b32 exec_lo, exec_lo, s5
.LBB100_639:
	s_delay_alu instid0(SALU_CYCLE_1) | instskip(SKIP_4) | instid1(VALU_DEP_1)
	s_or_b32 exec_lo, exec_lo, s4
	v_mov_b32_e32 v81, 0
	ds_load_b64 v[82:83], v81 offset:224
	s_wait_dscnt 0x0
	v_pk_mul_f32 v[84:85], v[78:79], v[82:83] op_sel:[1,1] op_sel_hi:[0,1]
	v_pk_fma_f32 v[86:87], v[78:79], v[82:83], v[84:85] op_sel_hi:[1,0,1]
	v_pk_fma_f32 v[78:79], v[78:79], v[82:83], v[84:85] neg_lo:[0,0,1] neg_hi:[0,0,1]
	s_delay_alu instid0(VALU_DEP_2)
	v_mov_b32_e32 v79, v87
	scratch_store_b64 off, v[78:79], off offset:224
.LBB100_640:
	s_wait_xcnt 0x0
	s_or_b32 exec_lo, exec_lo, s0
	scratch_load_b64 v[78:79], off, off offset:232
	s_mov_b32 s0, exec_lo
	s_wait_loadcnt 0x0
	ds_store_b64 v1, v[78:79]
	s_wait_storecnt_dscnt 0x0
	s_barrier_signal -1
	s_barrier_wait -1
	s_wait_xcnt 0x0
	v_cmpx_gt_u32_e32 29, v0
	s_cbranch_execz .LBB100_650
; %bb.641:
	v_cmp_ne_u32_e32 vcc_lo, 1, v80
	s_cbranch_vccnz .LBB100_643
; %bb.642:
	scratch_load_b64 v[78:79], v59, off
	ds_load_b64 v[82:83], v1
	s_wait_loadcnt_dscnt 0x0
	v_pk_mul_f32 v[84:85], v[82:83], v[78:79] op_sel:[1,1] op_sel_hi:[0,1]
	s_delay_alu instid0(VALU_DEP_1) | instskip(SKIP_1) | instid1(VALU_DEP_2)
	v_pk_fma_f32 v[86:87], v[82:83], v[78:79], v[84:85] op_sel_hi:[1,0,1]
	v_pk_fma_f32 v[78:79], v[82:83], v[78:79], v[84:85] neg_lo:[0,0,1] neg_hi:[0,0,1]
	v_mov_b32_e32 v79, v87
	s_cbranch_execz .LBB100_644
	s_branch .LBB100_645
.LBB100_643:
                                        ; implicit-def: $vgpr78_vgpr79
.LBB100_644:
	ds_load_b64 v[78:79], v1
.LBB100_645:
	s_mov_b32 s4, exec_lo
	v_cmpx_ne_u32_e32 28, v0
	s_cbranch_execz .LBB100_649
; %bb.646:
	v_add_nc_u32_e32 v81, 0x138, v58
	v_add3_u32 v82, 0, v58, 8
	v_mov_b32_e32 v83, v0
	s_mov_b32 s5, 0
.LBB100_647:                            ; =>This Inner Loop Header: Depth=1
	scratch_load_b64 v[84:85], v82, off
	ds_load_b64 v[86:87], v81
	s_wait_xcnt 0x0
	v_dual_add_nc_u32 v81, 8, v81 :: v_dual_add_nc_u32 v82, 8, v82
	s_wait_loadcnt_dscnt 0x0
	v_pk_mul_f32 v[88:89], v[86:87], v[84:85] op_sel:[1,1] op_sel_hi:[0,1]
	s_delay_alu instid0(VALU_DEP_1) | instskip(SKIP_2) | instid1(VALU_DEP_3)
	v_pk_fma_f32 v[90:91], v[86:87], v[84:85], v[88:89] op_sel_hi:[1,0,1]
	v_add_nc_u32_e32 v83, 1, v83
	v_pk_fma_f32 v[84:85], v[86:87], v[84:85], v[88:89] neg_lo:[0,0,1] neg_hi:[0,0,1]
	v_mov_b32_e32 v85, v91
	s_delay_alu instid0(VALU_DEP_3) | instskip(NEXT) | instid1(VALU_DEP_2)
	v_cmp_lt_u32_e32 vcc_lo, 27, v83
	v_pk_add_f32 v[78:79], v[78:79], v[84:85]
	s_or_b32 s5, vcc_lo, s5
	s_delay_alu instid0(SALU_CYCLE_1)
	s_and_not1_b32 exec_lo, exec_lo, s5
	s_cbranch_execnz .LBB100_647
; %bb.648:
	s_or_b32 exec_lo, exec_lo, s5
.LBB100_649:
	s_delay_alu instid0(SALU_CYCLE_1) | instskip(SKIP_4) | instid1(VALU_DEP_1)
	s_or_b32 exec_lo, exec_lo, s4
	v_mov_b32_e32 v81, 0
	ds_load_b64 v[82:83], v81 offset:232
	s_wait_dscnt 0x0
	v_pk_mul_f32 v[84:85], v[78:79], v[82:83] op_sel:[1,1] op_sel_hi:[0,1]
	v_pk_fma_f32 v[86:87], v[78:79], v[82:83], v[84:85] op_sel_hi:[1,0,1]
	v_pk_fma_f32 v[78:79], v[78:79], v[82:83], v[84:85] neg_lo:[0,0,1] neg_hi:[0,0,1]
	s_delay_alu instid0(VALU_DEP_2)
	v_mov_b32_e32 v79, v87
	scratch_store_b64 off, v[78:79], off offset:232
.LBB100_650:
	s_wait_xcnt 0x0
	s_or_b32 exec_lo, exec_lo, s0
	scratch_load_b64 v[78:79], off, off offset:240
	s_mov_b32 s0, exec_lo
	s_wait_loadcnt 0x0
	ds_store_b64 v1, v[78:79]
	s_wait_storecnt_dscnt 0x0
	s_barrier_signal -1
	s_barrier_wait -1
	s_wait_xcnt 0x0
	v_cmpx_gt_u32_e32 30, v0
	s_cbranch_execz .LBB100_660
; %bb.651:
	v_cmp_ne_u32_e32 vcc_lo, 1, v80
	s_cbranch_vccnz .LBB100_653
; %bb.652:
	scratch_load_b64 v[78:79], v59, off
	ds_load_b64 v[82:83], v1
	s_wait_loadcnt_dscnt 0x0
	v_pk_mul_f32 v[84:85], v[82:83], v[78:79] op_sel:[1,1] op_sel_hi:[0,1]
	s_delay_alu instid0(VALU_DEP_1) | instskip(SKIP_1) | instid1(VALU_DEP_2)
	v_pk_fma_f32 v[86:87], v[82:83], v[78:79], v[84:85] op_sel_hi:[1,0,1]
	v_pk_fma_f32 v[78:79], v[82:83], v[78:79], v[84:85] neg_lo:[0,0,1] neg_hi:[0,0,1]
	v_mov_b32_e32 v79, v87
	s_cbranch_execz .LBB100_654
	s_branch .LBB100_655
.LBB100_653:
                                        ; implicit-def: $vgpr78_vgpr79
.LBB100_654:
	ds_load_b64 v[78:79], v1
.LBB100_655:
	s_mov_b32 s4, exec_lo
	v_cmpx_ne_u32_e32 29, v0
	s_cbranch_execz .LBB100_659
; %bb.656:
	v_add_nc_u32_e32 v81, 0x138, v58
	v_add3_u32 v82, 0, v58, 8
	v_mov_b32_e32 v83, v0
	s_mov_b32 s5, 0
.LBB100_657:                            ; =>This Inner Loop Header: Depth=1
	scratch_load_b64 v[84:85], v82, off
	ds_load_b64 v[86:87], v81
	s_wait_xcnt 0x0
	v_dual_add_nc_u32 v81, 8, v81 :: v_dual_add_nc_u32 v82, 8, v82
	s_wait_loadcnt_dscnt 0x0
	v_pk_mul_f32 v[88:89], v[86:87], v[84:85] op_sel:[1,1] op_sel_hi:[0,1]
	s_delay_alu instid0(VALU_DEP_1) | instskip(SKIP_2) | instid1(VALU_DEP_3)
	v_pk_fma_f32 v[90:91], v[86:87], v[84:85], v[88:89] op_sel_hi:[1,0,1]
	v_add_nc_u32_e32 v83, 1, v83
	v_pk_fma_f32 v[84:85], v[86:87], v[84:85], v[88:89] neg_lo:[0,0,1] neg_hi:[0,0,1]
	v_mov_b32_e32 v85, v91
	s_delay_alu instid0(VALU_DEP_3) | instskip(NEXT) | instid1(VALU_DEP_2)
	v_cmp_lt_u32_e32 vcc_lo, 28, v83
	v_pk_add_f32 v[78:79], v[78:79], v[84:85]
	s_or_b32 s5, vcc_lo, s5
	s_delay_alu instid0(SALU_CYCLE_1)
	s_and_not1_b32 exec_lo, exec_lo, s5
	s_cbranch_execnz .LBB100_657
; %bb.658:
	s_or_b32 exec_lo, exec_lo, s5
.LBB100_659:
	s_delay_alu instid0(SALU_CYCLE_1) | instskip(SKIP_4) | instid1(VALU_DEP_1)
	s_or_b32 exec_lo, exec_lo, s4
	v_mov_b32_e32 v81, 0
	ds_load_b64 v[82:83], v81 offset:240
	s_wait_dscnt 0x0
	v_pk_mul_f32 v[84:85], v[78:79], v[82:83] op_sel:[1,1] op_sel_hi:[0,1]
	v_pk_fma_f32 v[86:87], v[78:79], v[82:83], v[84:85] op_sel_hi:[1,0,1]
	v_pk_fma_f32 v[78:79], v[78:79], v[82:83], v[84:85] neg_lo:[0,0,1] neg_hi:[0,0,1]
	s_delay_alu instid0(VALU_DEP_2)
	v_mov_b32_e32 v79, v87
	scratch_store_b64 off, v[78:79], off offset:240
.LBB100_660:
	s_wait_xcnt 0x0
	s_or_b32 exec_lo, exec_lo, s0
	scratch_load_b64 v[78:79], off, off offset:248
	s_mov_b32 s0, exec_lo
	s_wait_loadcnt 0x0
	ds_store_b64 v1, v[78:79]
	s_wait_storecnt_dscnt 0x0
	s_barrier_signal -1
	s_barrier_wait -1
	s_wait_xcnt 0x0
	v_cmpx_gt_u32_e32 31, v0
	s_cbranch_execz .LBB100_670
; %bb.661:
	v_cmp_ne_u32_e32 vcc_lo, 1, v80
	s_cbranch_vccnz .LBB100_663
; %bb.662:
	scratch_load_b64 v[78:79], v59, off
	ds_load_b64 v[82:83], v1
	s_wait_loadcnt_dscnt 0x0
	v_pk_mul_f32 v[84:85], v[82:83], v[78:79] op_sel:[1,1] op_sel_hi:[0,1]
	s_delay_alu instid0(VALU_DEP_1) | instskip(SKIP_1) | instid1(VALU_DEP_2)
	v_pk_fma_f32 v[86:87], v[82:83], v[78:79], v[84:85] op_sel_hi:[1,0,1]
	v_pk_fma_f32 v[78:79], v[82:83], v[78:79], v[84:85] neg_lo:[0,0,1] neg_hi:[0,0,1]
	v_mov_b32_e32 v79, v87
	s_cbranch_execz .LBB100_664
	s_branch .LBB100_665
.LBB100_663:
                                        ; implicit-def: $vgpr78_vgpr79
.LBB100_664:
	ds_load_b64 v[78:79], v1
.LBB100_665:
	s_mov_b32 s4, exec_lo
	v_cmpx_ne_u32_e32 30, v0
	s_cbranch_execz .LBB100_669
; %bb.666:
	v_add_nc_u32_e32 v81, 0x138, v58
	v_add3_u32 v82, 0, v58, 8
	v_mov_b32_e32 v83, v0
	s_mov_b32 s5, 0
.LBB100_667:                            ; =>This Inner Loop Header: Depth=1
	scratch_load_b64 v[84:85], v82, off
	ds_load_b64 v[86:87], v81
	s_wait_xcnt 0x0
	v_dual_add_nc_u32 v81, 8, v81 :: v_dual_add_nc_u32 v82, 8, v82
	s_wait_loadcnt_dscnt 0x0
	v_pk_mul_f32 v[88:89], v[86:87], v[84:85] op_sel:[1,1] op_sel_hi:[0,1]
	s_delay_alu instid0(VALU_DEP_1) | instskip(SKIP_2) | instid1(VALU_DEP_3)
	v_pk_fma_f32 v[90:91], v[86:87], v[84:85], v[88:89] op_sel_hi:[1,0,1]
	v_add_nc_u32_e32 v83, 1, v83
	v_pk_fma_f32 v[84:85], v[86:87], v[84:85], v[88:89] neg_lo:[0,0,1] neg_hi:[0,0,1]
	v_mov_b32_e32 v85, v91
	s_delay_alu instid0(VALU_DEP_3) | instskip(NEXT) | instid1(VALU_DEP_2)
	v_cmp_lt_u32_e32 vcc_lo, 29, v83
	v_pk_add_f32 v[78:79], v[78:79], v[84:85]
	s_or_b32 s5, vcc_lo, s5
	s_delay_alu instid0(SALU_CYCLE_1)
	s_and_not1_b32 exec_lo, exec_lo, s5
	s_cbranch_execnz .LBB100_667
; %bb.668:
	s_or_b32 exec_lo, exec_lo, s5
.LBB100_669:
	s_delay_alu instid0(SALU_CYCLE_1) | instskip(SKIP_4) | instid1(VALU_DEP_1)
	s_or_b32 exec_lo, exec_lo, s4
	v_mov_b32_e32 v81, 0
	ds_load_b64 v[82:83], v81 offset:248
	s_wait_dscnt 0x0
	v_pk_mul_f32 v[84:85], v[78:79], v[82:83] op_sel:[1,1] op_sel_hi:[0,1]
	v_pk_fma_f32 v[86:87], v[78:79], v[82:83], v[84:85] op_sel_hi:[1,0,1]
	v_pk_fma_f32 v[78:79], v[78:79], v[82:83], v[84:85] neg_lo:[0,0,1] neg_hi:[0,0,1]
	s_delay_alu instid0(VALU_DEP_2)
	v_mov_b32_e32 v79, v87
	scratch_store_b64 off, v[78:79], off offset:248
.LBB100_670:
	s_wait_xcnt 0x0
	s_or_b32 exec_lo, exec_lo, s0
	scratch_load_b64 v[78:79], off, off offset:256
	s_mov_b32 s0, exec_lo
	s_wait_loadcnt 0x0
	ds_store_b64 v1, v[78:79]
	s_wait_storecnt_dscnt 0x0
	s_barrier_signal -1
	s_barrier_wait -1
	s_wait_xcnt 0x0
	v_cmpx_gt_u32_e32 32, v0
	s_cbranch_execz .LBB100_680
; %bb.671:
	v_cmp_ne_u32_e32 vcc_lo, 1, v80
	s_cbranch_vccnz .LBB100_673
; %bb.672:
	scratch_load_b64 v[78:79], v59, off
	ds_load_b64 v[82:83], v1
	s_wait_loadcnt_dscnt 0x0
	v_pk_mul_f32 v[84:85], v[82:83], v[78:79] op_sel:[1,1] op_sel_hi:[0,1]
	s_delay_alu instid0(VALU_DEP_1) | instskip(SKIP_1) | instid1(VALU_DEP_2)
	v_pk_fma_f32 v[86:87], v[82:83], v[78:79], v[84:85] op_sel_hi:[1,0,1]
	v_pk_fma_f32 v[78:79], v[82:83], v[78:79], v[84:85] neg_lo:[0,0,1] neg_hi:[0,0,1]
	v_mov_b32_e32 v79, v87
	s_cbranch_execz .LBB100_674
	s_branch .LBB100_675
.LBB100_673:
                                        ; implicit-def: $vgpr78_vgpr79
.LBB100_674:
	ds_load_b64 v[78:79], v1
.LBB100_675:
	s_mov_b32 s4, exec_lo
	v_cmpx_ne_u32_e32 31, v0
	s_cbranch_execz .LBB100_679
; %bb.676:
	v_add_nc_u32_e32 v81, 0x138, v58
	v_add3_u32 v82, 0, v58, 8
	v_mov_b32_e32 v83, v0
	s_mov_b32 s5, 0
.LBB100_677:                            ; =>This Inner Loop Header: Depth=1
	scratch_load_b64 v[84:85], v82, off
	ds_load_b64 v[86:87], v81
	s_wait_xcnt 0x0
	v_dual_add_nc_u32 v81, 8, v81 :: v_dual_add_nc_u32 v82, 8, v82
	s_wait_loadcnt_dscnt 0x0
	v_pk_mul_f32 v[88:89], v[86:87], v[84:85] op_sel:[1,1] op_sel_hi:[0,1]
	s_delay_alu instid0(VALU_DEP_1) | instskip(SKIP_2) | instid1(VALU_DEP_3)
	v_pk_fma_f32 v[90:91], v[86:87], v[84:85], v[88:89] op_sel_hi:[1,0,1]
	v_add_nc_u32_e32 v83, 1, v83
	v_pk_fma_f32 v[84:85], v[86:87], v[84:85], v[88:89] neg_lo:[0,0,1] neg_hi:[0,0,1]
	v_mov_b32_e32 v85, v91
	s_delay_alu instid0(VALU_DEP_3) | instskip(NEXT) | instid1(VALU_DEP_2)
	v_cmp_lt_u32_e32 vcc_lo, 30, v83
	v_pk_add_f32 v[78:79], v[78:79], v[84:85]
	s_or_b32 s5, vcc_lo, s5
	s_delay_alu instid0(SALU_CYCLE_1)
	s_and_not1_b32 exec_lo, exec_lo, s5
	s_cbranch_execnz .LBB100_677
; %bb.678:
	s_or_b32 exec_lo, exec_lo, s5
.LBB100_679:
	s_delay_alu instid0(SALU_CYCLE_1) | instskip(SKIP_4) | instid1(VALU_DEP_1)
	s_or_b32 exec_lo, exec_lo, s4
	v_mov_b32_e32 v81, 0
	ds_load_b64 v[82:83], v81 offset:256
	s_wait_dscnt 0x0
	v_pk_mul_f32 v[84:85], v[78:79], v[82:83] op_sel:[1,1] op_sel_hi:[0,1]
	v_pk_fma_f32 v[86:87], v[78:79], v[82:83], v[84:85] op_sel_hi:[1,0,1]
	v_pk_fma_f32 v[78:79], v[78:79], v[82:83], v[84:85] neg_lo:[0,0,1] neg_hi:[0,0,1]
	s_delay_alu instid0(VALU_DEP_2)
	v_mov_b32_e32 v79, v87
	scratch_store_b64 off, v[78:79], off offset:256
.LBB100_680:
	s_wait_xcnt 0x0
	s_or_b32 exec_lo, exec_lo, s0
	scratch_load_b64 v[78:79], off, off offset:264
	s_mov_b32 s0, exec_lo
	s_wait_loadcnt 0x0
	ds_store_b64 v1, v[78:79]
	s_wait_storecnt_dscnt 0x0
	s_barrier_signal -1
	s_barrier_wait -1
	s_wait_xcnt 0x0
	v_cmpx_gt_u32_e32 33, v0
	s_cbranch_execz .LBB100_690
; %bb.681:
	v_cmp_ne_u32_e32 vcc_lo, 1, v80
	s_cbranch_vccnz .LBB100_683
; %bb.682:
	scratch_load_b64 v[78:79], v59, off
	ds_load_b64 v[82:83], v1
	s_wait_loadcnt_dscnt 0x0
	v_pk_mul_f32 v[84:85], v[82:83], v[78:79] op_sel:[1,1] op_sel_hi:[0,1]
	s_delay_alu instid0(VALU_DEP_1) | instskip(SKIP_1) | instid1(VALU_DEP_2)
	v_pk_fma_f32 v[86:87], v[82:83], v[78:79], v[84:85] op_sel_hi:[1,0,1]
	v_pk_fma_f32 v[78:79], v[82:83], v[78:79], v[84:85] neg_lo:[0,0,1] neg_hi:[0,0,1]
	v_mov_b32_e32 v79, v87
	s_cbranch_execz .LBB100_684
	s_branch .LBB100_685
.LBB100_683:
                                        ; implicit-def: $vgpr78_vgpr79
.LBB100_684:
	ds_load_b64 v[78:79], v1
.LBB100_685:
	s_mov_b32 s4, exec_lo
	v_cmpx_ne_u32_e32 32, v0
	s_cbranch_execz .LBB100_689
; %bb.686:
	v_add_nc_u32_e32 v81, 0x138, v58
	v_add3_u32 v82, 0, v58, 8
	v_mov_b32_e32 v83, v0
	s_mov_b32 s5, 0
.LBB100_687:                            ; =>This Inner Loop Header: Depth=1
	scratch_load_b64 v[84:85], v82, off
	ds_load_b64 v[86:87], v81
	s_wait_xcnt 0x0
	v_dual_add_nc_u32 v81, 8, v81 :: v_dual_add_nc_u32 v82, 8, v82
	s_wait_loadcnt_dscnt 0x0
	v_pk_mul_f32 v[88:89], v[86:87], v[84:85] op_sel:[1,1] op_sel_hi:[0,1]
	s_delay_alu instid0(VALU_DEP_1) | instskip(SKIP_2) | instid1(VALU_DEP_3)
	v_pk_fma_f32 v[90:91], v[86:87], v[84:85], v[88:89] op_sel_hi:[1,0,1]
	v_add_nc_u32_e32 v83, 1, v83
	v_pk_fma_f32 v[84:85], v[86:87], v[84:85], v[88:89] neg_lo:[0,0,1] neg_hi:[0,0,1]
	v_mov_b32_e32 v85, v91
	s_delay_alu instid0(VALU_DEP_3) | instskip(NEXT) | instid1(VALU_DEP_2)
	v_cmp_lt_u32_e32 vcc_lo, 31, v83
	v_pk_add_f32 v[78:79], v[78:79], v[84:85]
	s_or_b32 s5, vcc_lo, s5
	s_delay_alu instid0(SALU_CYCLE_1)
	s_and_not1_b32 exec_lo, exec_lo, s5
	s_cbranch_execnz .LBB100_687
; %bb.688:
	s_or_b32 exec_lo, exec_lo, s5
.LBB100_689:
	s_delay_alu instid0(SALU_CYCLE_1) | instskip(SKIP_4) | instid1(VALU_DEP_1)
	s_or_b32 exec_lo, exec_lo, s4
	v_mov_b32_e32 v81, 0
	ds_load_b64 v[82:83], v81 offset:264
	s_wait_dscnt 0x0
	v_pk_mul_f32 v[84:85], v[78:79], v[82:83] op_sel:[1,1] op_sel_hi:[0,1]
	v_pk_fma_f32 v[86:87], v[78:79], v[82:83], v[84:85] op_sel_hi:[1,0,1]
	v_pk_fma_f32 v[78:79], v[78:79], v[82:83], v[84:85] neg_lo:[0,0,1] neg_hi:[0,0,1]
	s_delay_alu instid0(VALU_DEP_2)
	v_mov_b32_e32 v79, v87
	scratch_store_b64 off, v[78:79], off offset:264
.LBB100_690:
	s_wait_xcnt 0x0
	s_or_b32 exec_lo, exec_lo, s0
	scratch_load_b64 v[78:79], off, off offset:272
	s_mov_b32 s0, exec_lo
	s_wait_loadcnt 0x0
	ds_store_b64 v1, v[78:79]
	s_wait_storecnt_dscnt 0x0
	s_barrier_signal -1
	s_barrier_wait -1
	s_wait_xcnt 0x0
	v_cmpx_gt_u32_e32 34, v0
	s_cbranch_execz .LBB100_700
; %bb.691:
	v_cmp_ne_u32_e32 vcc_lo, 1, v80
	s_cbranch_vccnz .LBB100_693
; %bb.692:
	scratch_load_b64 v[78:79], v59, off
	ds_load_b64 v[82:83], v1
	s_wait_loadcnt_dscnt 0x0
	v_pk_mul_f32 v[84:85], v[82:83], v[78:79] op_sel:[1,1] op_sel_hi:[0,1]
	s_delay_alu instid0(VALU_DEP_1) | instskip(SKIP_1) | instid1(VALU_DEP_2)
	v_pk_fma_f32 v[86:87], v[82:83], v[78:79], v[84:85] op_sel_hi:[1,0,1]
	v_pk_fma_f32 v[78:79], v[82:83], v[78:79], v[84:85] neg_lo:[0,0,1] neg_hi:[0,0,1]
	v_mov_b32_e32 v79, v87
	s_cbranch_execz .LBB100_694
	s_branch .LBB100_695
.LBB100_693:
                                        ; implicit-def: $vgpr78_vgpr79
.LBB100_694:
	ds_load_b64 v[78:79], v1
.LBB100_695:
	s_mov_b32 s4, exec_lo
	v_cmpx_ne_u32_e32 33, v0
	s_cbranch_execz .LBB100_699
; %bb.696:
	v_add_nc_u32_e32 v81, 0x138, v58
	v_add3_u32 v82, 0, v58, 8
	v_mov_b32_e32 v83, v0
	s_mov_b32 s5, 0
.LBB100_697:                            ; =>This Inner Loop Header: Depth=1
	scratch_load_b64 v[84:85], v82, off
	ds_load_b64 v[86:87], v81
	s_wait_xcnt 0x0
	v_dual_add_nc_u32 v81, 8, v81 :: v_dual_add_nc_u32 v82, 8, v82
	s_wait_loadcnt_dscnt 0x0
	v_pk_mul_f32 v[88:89], v[86:87], v[84:85] op_sel:[1,1] op_sel_hi:[0,1]
	s_delay_alu instid0(VALU_DEP_1) | instskip(SKIP_2) | instid1(VALU_DEP_3)
	v_pk_fma_f32 v[90:91], v[86:87], v[84:85], v[88:89] op_sel_hi:[1,0,1]
	v_add_nc_u32_e32 v83, 1, v83
	v_pk_fma_f32 v[84:85], v[86:87], v[84:85], v[88:89] neg_lo:[0,0,1] neg_hi:[0,0,1]
	v_mov_b32_e32 v85, v91
	s_delay_alu instid0(VALU_DEP_3) | instskip(NEXT) | instid1(VALU_DEP_2)
	v_cmp_lt_u32_e32 vcc_lo, 32, v83
	v_pk_add_f32 v[78:79], v[78:79], v[84:85]
	s_or_b32 s5, vcc_lo, s5
	s_delay_alu instid0(SALU_CYCLE_1)
	s_and_not1_b32 exec_lo, exec_lo, s5
	s_cbranch_execnz .LBB100_697
; %bb.698:
	s_or_b32 exec_lo, exec_lo, s5
.LBB100_699:
	s_delay_alu instid0(SALU_CYCLE_1) | instskip(SKIP_4) | instid1(VALU_DEP_1)
	s_or_b32 exec_lo, exec_lo, s4
	v_mov_b32_e32 v81, 0
	ds_load_b64 v[82:83], v81 offset:272
	s_wait_dscnt 0x0
	v_pk_mul_f32 v[84:85], v[78:79], v[82:83] op_sel:[1,1] op_sel_hi:[0,1]
	v_pk_fma_f32 v[86:87], v[78:79], v[82:83], v[84:85] op_sel_hi:[1,0,1]
	v_pk_fma_f32 v[78:79], v[78:79], v[82:83], v[84:85] neg_lo:[0,0,1] neg_hi:[0,0,1]
	s_delay_alu instid0(VALU_DEP_2)
	v_mov_b32_e32 v79, v87
	scratch_store_b64 off, v[78:79], off offset:272
.LBB100_700:
	s_wait_xcnt 0x0
	s_or_b32 exec_lo, exec_lo, s0
	scratch_load_b64 v[78:79], off, off offset:280
	v_cmp_gt_u32_e64 s0, 35, v0
	s_wait_loadcnt 0x0
	ds_store_b64 v1, v[78:79]
	s_wait_storecnt_dscnt 0x0
	s_barrier_signal -1
	s_barrier_wait -1
	s_wait_xcnt 0x0
	s_and_saveexec_b32 s4, s0
	s_cbranch_execz .LBB100_710
; %bb.701:
	v_cmp_ne_u32_e32 vcc_lo, 1, v80
	s_cbranch_vccnz .LBB100_703
; %bb.702:
	scratch_load_b64 v[78:79], v59, off
	ds_load_b64 v[82:83], v1
	s_wait_loadcnt_dscnt 0x0
	v_pk_mul_f32 v[84:85], v[82:83], v[78:79] op_sel:[1,1] op_sel_hi:[0,1]
	s_delay_alu instid0(VALU_DEP_1) | instskip(SKIP_1) | instid1(VALU_DEP_2)
	v_pk_fma_f32 v[86:87], v[82:83], v[78:79], v[84:85] op_sel_hi:[1,0,1]
	v_pk_fma_f32 v[78:79], v[82:83], v[78:79], v[84:85] neg_lo:[0,0,1] neg_hi:[0,0,1]
	v_mov_b32_e32 v79, v87
	s_cbranch_execz .LBB100_704
	s_branch .LBB100_705
.LBB100_703:
                                        ; implicit-def: $vgpr78_vgpr79
.LBB100_704:
	ds_load_b64 v[78:79], v1
.LBB100_705:
	s_mov_b32 s5, exec_lo
	v_cmpx_ne_u32_e32 34, v0
	s_cbranch_execz .LBB100_709
; %bb.706:
	v_add_nc_u32_e32 v81, 0x138, v58
	v_add3_u32 v82, 0, v58, 8
	v_mov_b32_e32 v83, v0
	s_mov_b32 s6, 0
.LBB100_707:                            ; =>This Inner Loop Header: Depth=1
	scratch_load_b64 v[84:85], v82, off
	ds_load_b64 v[86:87], v81
	s_wait_xcnt 0x0
	v_dual_add_nc_u32 v81, 8, v81 :: v_dual_add_nc_u32 v82, 8, v82
	s_wait_loadcnt_dscnt 0x0
	v_pk_mul_f32 v[88:89], v[86:87], v[84:85] op_sel:[1,1] op_sel_hi:[0,1]
	s_delay_alu instid0(VALU_DEP_1) | instskip(SKIP_2) | instid1(VALU_DEP_3)
	v_pk_fma_f32 v[90:91], v[86:87], v[84:85], v[88:89] op_sel_hi:[1,0,1]
	v_add_nc_u32_e32 v83, 1, v83
	v_pk_fma_f32 v[84:85], v[86:87], v[84:85], v[88:89] neg_lo:[0,0,1] neg_hi:[0,0,1]
	v_mov_b32_e32 v85, v91
	s_delay_alu instid0(VALU_DEP_3) | instskip(NEXT) | instid1(VALU_DEP_2)
	v_cmp_lt_u32_e32 vcc_lo, 33, v83
	v_pk_add_f32 v[78:79], v[78:79], v[84:85]
	s_or_b32 s6, vcc_lo, s6
	s_delay_alu instid0(SALU_CYCLE_1)
	s_and_not1_b32 exec_lo, exec_lo, s6
	s_cbranch_execnz .LBB100_707
; %bb.708:
	s_or_b32 exec_lo, exec_lo, s6
.LBB100_709:
	s_delay_alu instid0(SALU_CYCLE_1) | instskip(SKIP_4) | instid1(VALU_DEP_1)
	s_or_b32 exec_lo, exec_lo, s5
	v_mov_b32_e32 v81, 0
	ds_load_b64 v[82:83], v81 offset:280
	s_wait_dscnt 0x0
	v_pk_mul_f32 v[84:85], v[78:79], v[82:83] op_sel:[1,1] op_sel_hi:[0,1]
	v_pk_fma_f32 v[86:87], v[78:79], v[82:83], v[84:85] op_sel_hi:[1,0,1]
	v_pk_fma_f32 v[78:79], v[78:79], v[82:83], v[84:85] neg_lo:[0,0,1] neg_hi:[0,0,1]
	s_delay_alu instid0(VALU_DEP_2)
	v_mov_b32_e32 v79, v87
	scratch_store_b64 off, v[78:79], off offset:280
.LBB100_710:
	s_wait_xcnt 0x0
	s_or_b32 exec_lo, exec_lo, s4
	scratch_load_b64 v[78:79], off, off offset:288
	s_mov_b32 s4, exec_lo
                                        ; implicit-def: $vgpr110
                                        ; implicit-def: $sgpr7
	s_wait_loadcnt 0x0
	ds_store_b64 v1, v[78:79]
	s_wait_storecnt_dscnt 0x0
	s_barrier_signal -1
	s_barrier_wait -1
	s_wait_xcnt 0x0
	v_cmpx_ne_u32_e32 36, v0
	s_cbranch_execz .LBB100_720
; %bb.711:
	v_cmp_ne_u32_e32 vcc_lo, 1, v80
	s_cbranch_vccnz .LBB100_713
; %bb.712:
	scratch_load_b64 v[80:81], v59, off
	ds_load_b64 v[82:83], v1
	s_wait_loadcnt_dscnt 0x0
	v_dual_mul_f32 v59, v83, v81 :: v_dual_mul_f32 v79, v82, v81
	s_delay_alu instid0(VALU_DEP_1) | instskip(NEXT) | instid1(VALU_DEP_2)
	v_fma_f32 v78, v82, v80, -v59
	v_fmac_f32_e32 v79, v83, v80
	s_cbranch_execz .LBB100_714
	s_branch .LBB100_715
.LBB100_713:
                                        ; implicit-def: $vgpr79
.LBB100_714:
	ds_load_b64 v[78:79], v1
.LBB100_715:
	s_and_saveexec_b32 s5, s0
	s_cbranch_execz .LBB100_719
; %bb.716:
	v_add_nc_u32_e32 v1, 0x138, v58
	v_add3_u32 v58, 0, v58, 8
	s_mov_b32 s0, 0
.LBB100_717:                            ; =>This Inner Loop Header: Depth=1
	scratch_load_b64 v[80:81], v58, off
	ds_load_b64 v[82:83], v1
	v_dual_add_nc_u32 v0, 1, v0 :: v_dual_add_nc_u32 v1, 8, v1
	s_delay_alu instid0(VALU_DEP_1) | instskip(SKIP_3) | instid1(VALU_DEP_1)
	v_cmp_lt_u32_e32 vcc_lo, 34, v0
	s_or_b32 s0, vcc_lo, s0
	s_wait_loadcnt_dscnt 0x0
	v_dual_mul_f32 v59, v83, v81 :: v_dual_mul_f32 v81, v82, v81
	v_dual_fma_f32 v59, v82, v80, -v59 :: v_dual_fmac_f32 v81, v83, v80
	s_delay_alu instid0(VALU_DEP_1) | instskip(NEXT) | instid1(VALU_DEP_2)
	v_dual_add_nc_u32 v58, 8, v58 :: v_dual_add_f32 v78, v78, v59
	v_add_f32_e32 v79, v79, v81
	s_and_not1_b32 exec_lo, exec_lo, s0
	s_cbranch_execnz .LBB100_717
; %bb.718:
	s_or_b32 exec_lo, exec_lo, s0
.LBB100_719:
	s_delay_alu instid0(SALU_CYCLE_1)
	s_or_b32 exec_lo, exec_lo, s5
	v_mov_b32_e32 v0, 0
	s_movk_i32 s7, 0x124
	s_or_b32 s1, s1, exec_lo
	ds_load_b64 v[0:1], v0 offset:288
	s_wait_dscnt 0x0
	v_dual_mul_f32 v58, v79, v1 :: v_dual_mul_f32 v110, v78, v1
	s_delay_alu instid0(VALU_DEP_1) | instskip(NEXT) | instid1(VALU_DEP_2)
	v_fma_f32 v1, v78, v0, -v58
	v_fmac_f32_e32 v110, v79, v0
	scratch_store_b32 off, v1, off offset:288
.LBB100_720:
	s_wait_xcnt 0x0
	s_or_b32 exec_lo, exec_lo, s4
.LBB100_721:
	v_lshl_add_u64 v[108:109], v[6:7], 3, s[2:3]
	v_lshl_add_u64 v[106:107], v[8:9], 3, s[2:3]
	;; [unrolled: 1-line block ×35, first 2 shown]
	s_and_saveexec_b32 s0, s1
	s_cbranch_execz .LBB100_723
; %bb.722:
	scratch_store_b32 off, v110, s7
.LBB100_723:
	s_wait_xcnt 0x0
	s_or_b32 exec_lo, exec_lo, s0
	scratch_load_b64 v[40:41], off, off
	s_wait_loadcnt 0x0
	flat_store_b64 v[2:3], v[40:41]
	scratch_load_b64 v[2:3], off, off offset:8
	s_wait_loadcnt 0x0
	flat_store_b64 v[4:5], v[2:3]
	scratch_load_b64 v[2:3], off, off offset:16
	;; [unrolled: 3-line block ×36, first 2 shown]
	s_wait_loadcnt 0x0
	flat_store_b64 v[0:1], v[2:3]
.LBB100_724:
	s_sendmsg sendmsg(MSG_DEALLOC_VGPRS)
	s_endpgm
	.section	.rodata,"a",@progbits
	.p2align	6, 0x0
	.amdhsa_kernel _ZN9rocsolver6v33100L18trti2_kernel_smallILi37E19rocblas_complex_numIfEPKPS3_EEv13rocblas_fill_17rocblas_diagonal_T1_iil
		.amdhsa_group_segment_fixed_size 600
		.amdhsa_private_segment_fixed_size 304
		.amdhsa_kernarg_size 32
		.amdhsa_user_sgpr_count 2
		.amdhsa_user_sgpr_dispatch_ptr 0
		.amdhsa_user_sgpr_queue_ptr 0
		.amdhsa_user_sgpr_kernarg_segment_ptr 1
		.amdhsa_user_sgpr_dispatch_id 0
		.amdhsa_user_sgpr_kernarg_preload_length 0
		.amdhsa_user_sgpr_kernarg_preload_offset 0
		.amdhsa_user_sgpr_private_segment_size 0
		.amdhsa_wavefront_size32 1
		.amdhsa_uses_dynamic_stack 0
		.amdhsa_enable_private_segment 1
		.amdhsa_system_sgpr_workgroup_id_x 1
		.amdhsa_system_sgpr_workgroup_id_y 0
		.amdhsa_system_sgpr_workgroup_id_z 0
		.amdhsa_system_sgpr_workgroup_info 0
		.amdhsa_system_vgpr_workitem_id 0
		.amdhsa_next_free_vgpr 111
		.amdhsa_next_free_sgpr 43
		.amdhsa_named_barrier_count 0
		.amdhsa_reserve_vcc 1
		.amdhsa_float_round_mode_32 0
		.amdhsa_float_round_mode_16_64 0
		.amdhsa_float_denorm_mode_32 3
		.amdhsa_float_denorm_mode_16_64 3
		.amdhsa_fp16_overflow 0
		.amdhsa_memory_ordered 1
		.amdhsa_forward_progress 1
		.amdhsa_inst_pref_size 223
		.amdhsa_round_robin_scheduling 0
		.amdhsa_exception_fp_ieee_invalid_op 0
		.amdhsa_exception_fp_denorm_src 0
		.amdhsa_exception_fp_ieee_div_zero 0
		.amdhsa_exception_fp_ieee_overflow 0
		.amdhsa_exception_fp_ieee_underflow 0
		.amdhsa_exception_fp_ieee_inexact 0
		.amdhsa_exception_int_div_zero 0
	.end_amdhsa_kernel
	.section	.text._ZN9rocsolver6v33100L18trti2_kernel_smallILi37E19rocblas_complex_numIfEPKPS3_EEv13rocblas_fill_17rocblas_diagonal_T1_iil,"axG",@progbits,_ZN9rocsolver6v33100L18trti2_kernel_smallILi37E19rocblas_complex_numIfEPKPS3_EEv13rocblas_fill_17rocblas_diagonal_T1_iil,comdat
.Lfunc_end100:
	.size	_ZN9rocsolver6v33100L18trti2_kernel_smallILi37E19rocblas_complex_numIfEPKPS3_EEv13rocblas_fill_17rocblas_diagonal_T1_iil, .Lfunc_end100-_ZN9rocsolver6v33100L18trti2_kernel_smallILi37E19rocblas_complex_numIfEPKPS3_EEv13rocblas_fill_17rocblas_diagonal_T1_iil
                                        ; -- End function
	.set _ZN9rocsolver6v33100L18trti2_kernel_smallILi37E19rocblas_complex_numIfEPKPS3_EEv13rocblas_fill_17rocblas_diagonal_T1_iil.num_vgpr, 111
	.set _ZN9rocsolver6v33100L18trti2_kernel_smallILi37E19rocblas_complex_numIfEPKPS3_EEv13rocblas_fill_17rocblas_diagonal_T1_iil.num_agpr, 0
	.set _ZN9rocsolver6v33100L18trti2_kernel_smallILi37E19rocblas_complex_numIfEPKPS3_EEv13rocblas_fill_17rocblas_diagonal_T1_iil.numbered_sgpr, 43
	.set _ZN9rocsolver6v33100L18trti2_kernel_smallILi37E19rocblas_complex_numIfEPKPS3_EEv13rocblas_fill_17rocblas_diagonal_T1_iil.num_named_barrier, 0
	.set _ZN9rocsolver6v33100L18trti2_kernel_smallILi37E19rocblas_complex_numIfEPKPS3_EEv13rocblas_fill_17rocblas_diagonal_T1_iil.private_seg_size, 304
	.set _ZN9rocsolver6v33100L18trti2_kernel_smallILi37E19rocblas_complex_numIfEPKPS3_EEv13rocblas_fill_17rocblas_diagonal_T1_iil.uses_vcc, 1
	.set _ZN9rocsolver6v33100L18trti2_kernel_smallILi37E19rocblas_complex_numIfEPKPS3_EEv13rocblas_fill_17rocblas_diagonal_T1_iil.uses_flat_scratch, 0
	.set _ZN9rocsolver6v33100L18trti2_kernel_smallILi37E19rocblas_complex_numIfEPKPS3_EEv13rocblas_fill_17rocblas_diagonal_T1_iil.has_dyn_sized_stack, 0
	.set _ZN9rocsolver6v33100L18trti2_kernel_smallILi37E19rocblas_complex_numIfEPKPS3_EEv13rocblas_fill_17rocblas_diagonal_T1_iil.has_recursion, 0
	.set _ZN9rocsolver6v33100L18trti2_kernel_smallILi37E19rocblas_complex_numIfEPKPS3_EEv13rocblas_fill_17rocblas_diagonal_T1_iil.has_indirect_call, 0
	.section	.AMDGPU.csdata,"",@progbits
; Kernel info:
; codeLenInByte = 28500
; TotalNumSgprs: 45
; NumVgprs: 111
; ScratchSize: 304
; MemoryBound: 0
; FloatMode: 240
; IeeeMode: 1
; LDSByteSize: 600 bytes/workgroup (compile time only)
; SGPRBlocks: 0
; VGPRBlocks: 6
; NumSGPRsForWavesPerEU: 45
; NumVGPRsForWavesPerEU: 111
; NamedBarCnt: 0
; Occupancy: 9
; WaveLimiterHint : 1
; COMPUTE_PGM_RSRC2:SCRATCH_EN: 1
; COMPUTE_PGM_RSRC2:USER_SGPR: 2
; COMPUTE_PGM_RSRC2:TRAP_HANDLER: 0
; COMPUTE_PGM_RSRC2:TGID_X_EN: 1
; COMPUTE_PGM_RSRC2:TGID_Y_EN: 0
; COMPUTE_PGM_RSRC2:TGID_Z_EN: 0
; COMPUTE_PGM_RSRC2:TIDIG_COMP_CNT: 0
	.section	.text._ZN9rocsolver6v33100L18trti2_kernel_smallILi38E19rocblas_complex_numIfEPKPS3_EEv13rocblas_fill_17rocblas_diagonal_T1_iil,"axG",@progbits,_ZN9rocsolver6v33100L18trti2_kernel_smallILi38E19rocblas_complex_numIfEPKPS3_EEv13rocblas_fill_17rocblas_diagonal_T1_iil,comdat
	.globl	_ZN9rocsolver6v33100L18trti2_kernel_smallILi38E19rocblas_complex_numIfEPKPS3_EEv13rocblas_fill_17rocblas_diagonal_T1_iil ; -- Begin function _ZN9rocsolver6v33100L18trti2_kernel_smallILi38E19rocblas_complex_numIfEPKPS3_EEv13rocblas_fill_17rocblas_diagonal_T1_iil
	.p2align	8
	.type	_ZN9rocsolver6v33100L18trti2_kernel_smallILi38E19rocblas_complex_numIfEPKPS3_EEv13rocblas_fill_17rocblas_diagonal_T1_iil,@function
_ZN9rocsolver6v33100L18trti2_kernel_smallILi38E19rocblas_complex_numIfEPKPS3_EEv13rocblas_fill_17rocblas_diagonal_T1_iil: ; @_ZN9rocsolver6v33100L18trti2_kernel_smallILi38E19rocblas_complex_numIfEPKPS3_EEv13rocblas_fill_17rocblas_diagonal_T1_iil
; %bb.0:
	s_mov_b32 s2, exec_lo
	v_cmpx_gt_u32_e32 38, v0
	s_cbranch_execz .LBB101_744
; %bb.1:
	s_clause 0x1
	s_load_b64 s[2:3], s[0:1], 0x10
	s_load_b128 s[4:7], s[0:1], 0x0
	s_wait_xcnt 0x0
	s_bfe_u32 s0, ttmp6, 0x4000c
	s_and_b32 s1, ttmp6, 15
	s_add_co_i32 s0, s0, 1
	s_getreg_b32 s8, hwreg(HW_REG_IB_STS2, 6, 4)
	s_mul_i32 s0, ttmp9, s0
	v_dual_mov_b32 v59, 0 :: v_dual_lshlrev_b32 v58, 3, v0
	s_add_co_i32 s0, s1, s0
	s_wait_kmcnt 0x0
	s_ashr_i32 s1, s2, 31
	s_cmp_eq_u32 s8, 0
	s_cselect_b32 s8, ttmp9, s0
	s_mov_b32 s0, s2
	s_ashr_i32 s9, s8, 31
	s_lshl_b64 s[0:1], s[0:1], 3
	s_lshl_b64 s[8:9], s[8:9], 3
	s_delay_alu instid0(SALU_CYCLE_1)
	s_add_nc_u64 s[6:7], s[6:7], s[8:9]
	s_load_b64 s[6:7], s[6:7], 0x0
	s_wait_kmcnt 0x0
	s_add_nc_u64 s[6:7], s[6:7], s[0:1]
	s_mov_b32 s0, s3
	flat_load_b64 v[6:7], v0, s[6:7] scale_offset
	v_add_nc_u64_e32 v[2:3], s[6:7], v[58:59]
	s_ashr_i32 s1, s3, 31
	s_cmp_lg_u32 s5, 0x84
	s_delay_alu instid0(VALU_DEP_1)
	v_lshl_add_u64 v[4:5], s[0:1], 3, v[2:3]
	s_mov_b32 s0, -1
	s_wait_loadcnt_dscnt 0x0
	scratch_store_b64 off, v[6:7], off
	flat_load_b64 v[8:9], v[4:5]
	s_wait_xcnt 0x1
	v_add3_u32 v6, s3, s3, v0
	s_wait_loadcnt_dscnt 0x0
	scratch_store_b64 off, v[8:9], off offset:8
	flat_load_b64 v[10:11], v6, s[6:7] scale_offset
	s_wait_xcnt 0x1
	v_add_nc_u32_e32 v8, s3, v6
	s_wait_loadcnt_dscnt 0x0
	scratch_store_b64 off, v[10:11], off offset:16
	flat_load_b64 v[12:13], v8, s[6:7] scale_offset
	s_wait_xcnt 0x1
	v_add_nc_u32_e32 v10, s3, v8
	;; [unrolled: 5-line block ×35, first 2 shown]
	s_cselect_b32 s3, -1, 0
	s_delay_alu instid0(SALU_CYCLE_1)
	s_and_b32 vcc_lo, exec_lo, s3
	s_wait_loadcnt_dscnt 0x0
	scratch_store_b64 off, v[80:81], off offset:288
	flat_load_b64 v[80:81], v78, s[6:7] scale_offset
	s_wait_loadcnt_dscnt 0x0
	scratch_store_b64 off, v[80:81], off offset:296
	s_cbranch_vccz .LBB101_7
; %bb.2:
	scratch_load_b64 v[80:81], v0, off scale_offset
                                        ; implicit-def: $vgpr85
                                        ; implicit-def: $vgpr82
	s_wait_loadcnt 0x0
	v_cmp_ngt_f32_e64 s0, |v80|, |v81|
	s_wait_xcnt 0x0
	s_and_saveexec_b32 s1, s0
	s_delay_alu instid0(SALU_CYCLE_1)
	s_xor_b32 s0, exec_lo, s1
	s_cbranch_execz .LBB101_4
; %bb.3:
	v_div_scale_f32 v1, null, v81, v81, v80
	v_div_scale_f32 v11, vcc_lo, v80, v81, v80
	s_delay_alu instid0(VALU_DEP_2) | instskip(SKIP_1) | instid1(TRANS32_DEP_1)
	v_rcp_f32_e32 v7, v1
	v_nop
	v_fma_f32 v9, -v1, v7, 1.0
	s_delay_alu instid0(VALU_DEP_1) | instskip(NEXT) | instid1(VALU_DEP_1)
	v_fmac_f32_e32 v7, v9, v7
	v_mul_f32_e32 v9, v11, v7
	s_delay_alu instid0(VALU_DEP_1) | instskip(NEXT) | instid1(VALU_DEP_1)
	v_fma_f32 v13, -v1, v9, v11
	v_fmac_f32_e32 v9, v13, v7
	s_delay_alu instid0(VALU_DEP_1) | instskip(NEXT) | instid1(VALU_DEP_1)
	v_fma_f32 v1, -v1, v9, v11
	v_div_fmas_f32 v1, v1, v7, v9
	s_delay_alu instid0(VALU_DEP_1) | instskip(NEXT) | instid1(VALU_DEP_1)
	v_div_fixup_f32 v1, v1, v81, v80
	v_fmac_f32_e32 v81, v80, v1
	s_delay_alu instid0(VALU_DEP_1) | instskip(NEXT) | instid1(VALU_DEP_1)
	v_div_scale_f32 v7, null, v81, v81, -1.0
	v_rcp_f32_e32 v9, v7
	v_nop
	s_delay_alu instid0(TRANS32_DEP_1) | instskip(NEXT) | instid1(VALU_DEP_1)
	v_fma_f32 v11, -v7, v9, 1.0
	v_fmac_f32_e32 v9, v11, v9
	v_div_scale_f32 v11, vcc_lo, -1.0, v81, -1.0
	s_delay_alu instid0(VALU_DEP_1) | instskip(NEXT) | instid1(VALU_DEP_1)
	v_mul_f32_e32 v13, v11, v9
	v_fma_f32 v15, -v7, v13, v11
	s_delay_alu instid0(VALU_DEP_1) | instskip(NEXT) | instid1(VALU_DEP_1)
	v_fmac_f32_e32 v13, v15, v9
	v_fma_f32 v7, -v7, v13, v11
	s_delay_alu instid0(VALU_DEP_1) | instskip(NEXT) | instid1(VALU_DEP_1)
	v_div_fmas_f32 v7, v7, v9, v13
	v_div_fixup_f32 v85, v7, v81, -1.0
                                        ; implicit-def: $vgpr80_vgpr81
	s_delay_alu instid0(VALU_DEP_1) | instskip(NEXT) | instid1(VALU_DEP_1)
	v_mul_f32_e32 v82, v1, v85
	v_xor_b32_e32 v84, 0x80000000, v82
.LBB101_4:
	s_or_saveexec_b32 s0, s0
	v_lshl_add_u32 v1, v0, 3, 0
	s_xor_b32 exec_lo, exec_lo, s0
	s_cbranch_execz .LBB101_6
; %bb.5:
	v_div_scale_f32 v7, null, v80, v80, v81
	v_div_scale_f32 v13, vcc_lo, v81, v80, v81
	s_delay_alu instid0(VALU_DEP_2) | instskip(SKIP_1) | instid1(TRANS32_DEP_1)
	v_rcp_f32_e32 v9, v7
	v_nop
	v_fma_f32 v11, -v7, v9, 1.0
	s_delay_alu instid0(VALU_DEP_1) | instskip(NEXT) | instid1(VALU_DEP_1)
	v_fmac_f32_e32 v9, v11, v9
	v_mul_f32_e32 v11, v13, v9
	s_delay_alu instid0(VALU_DEP_1) | instskip(NEXT) | instid1(VALU_DEP_1)
	v_fma_f32 v15, -v7, v11, v13
	v_fmac_f32_e32 v11, v15, v9
	s_delay_alu instid0(VALU_DEP_1) | instskip(NEXT) | instid1(VALU_DEP_1)
	v_fma_f32 v7, -v7, v11, v13
	v_div_fmas_f32 v7, v7, v9, v11
	s_delay_alu instid0(VALU_DEP_1) | instskip(NEXT) | instid1(VALU_DEP_1)
	v_div_fixup_f32 v7, v7, v80, v81
	v_fmac_f32_e32 v80, v81, v7
	s_delay_alu instid0(VALU_DEP_1) | instskip(SKIP_1) | instid1(VALU_DEP_2)
	v_div_scale_f32 v9, null, v80, v80, 1.0
	v_div_scale_f32 v15, vcc_lo, 1.0, v80, 1.0
	v_rcp_f32_e32 v11, v9
	v_nop
	s_delay_alu instid0(TRANS32_DEP_1) | instskip(NEXT) | instid1(VALU_DEP_1)
	v_fma_f32 v13, -v9, v11, 1.0
	v_fmac_f32_e32 v11, v13, v11
	s_delay_alu instid0(VALU_DEP_1) | instskip(NEXT) | instid1(VALU_DEP_1)
	v_mul_f32_e32 v13, v15, v11
	v_fma_f32 v17, -v9, v13, v15
	s_delay_alu instid0(VALU_DEP_1) | instskip(NEXT) | instid1(VALU_DEP_1)
	v_fmac_f32_e32 v13, v17, v11
	v_fma_f32 v9, -v9, v13, v15
	s_delay_alu instid0(VALU_DEP_1) | instskip(NEXT) | instid1(VALU_DEP_1)
	v_div_fmas_f32 v9, v9, v11, v13
	v_div_fixup_f32 v84, v9, v80, 1.0
	s_delay_alu instid0(VALU_DEP_1)
	v_xor_b32_e32 v82, 0x80000000, v84
	v_mul_f32_e64 v85, v7, -v84
.LBB101_6:
	s_or_b32 exec_lo, exec_lo, s0
	s_delay_alu instid0(VALU_DEP_1)
	v_xor_b32_e32 v83, 0x80000000, v85
	s_mov_b32 s0, 0
	scratch_store_b64 v1, v[84:85], off
	ds_store_b64 v58, v[82:83]
.LBB101_7:
	s_and_b32 vcc_lo, exec_lo, s0
	s_cbranch_vccz .LBB101_9
; %bb.8:
	s_mov_b64 s[0:1], 0xbf800000
	s_wait_xcnt 0x0
	v_mov_b64_e32 v[80:81], s[0:1]
	ds_store_b64 v58, v[80:81]
.LBB101_9:
	v_dual_ashrrev_i32 v7, 31, v6 :: v_dual_ashrrev_i32 v9, 31, v8
	v_dual_ashrrev_i32 v11, 31, v10 :: v_dual_ashrrev_i32 v13, 31, v12
	;; [unrolled: 1-line block ×18, first 2 shown]
	s_wait_xcnt 0x0
	v_add_nc_u32_e32 v1, 0x130, v58
	v_mov_b32_e32 v59, v58
	s_cmp_eq_u32 s4, 0x79
	s_cbranch_scc1 .LBB101_13
; %bb.10:
	scratch_load_b64 v[80:81], off, off offset:288
	v_cmp_eq_u32_e64 s0, 37, v0
	s_movk_i32 s1, 0x48
	s_movk_i32 s14, 0x50
	s_movk_i32 s15, 0x58
	s_movk_i32 s16, 0x60
	s_movk_i32 s17, 0x68
	s_movk_i32 s18, 0x70
	s_movk_i32 s19, 0x78
	s_movk_i32 s20, 0x80
	s_movk_i32 s21, 0x88
	s_movk_i32 s22, 0x90
	s_movk_i32 s23, 0x98
	s_movk_i32 s24, 0xa0
	s_movk_i32 s25, 0xa8
	s_movk_i32 s26, 0xb0
	s_movk_i32 s27, 0xb8
	s_movk_i32 s28, 0xc0
	s_movk_i32 s29, 0xc8
	s_movk_i32 s30, 0xd0
	s_movk_i32 s31, 0xd8
	s_movk_i32 s33, 0xe0
	s_movk_i32 s34, 0xe8
	s_movk_i32 s35, 0xf0
	s_movk_i32 s36, 0xf8
	s_movk_i32 s37, 0x100
	s_movk_i32 s38, 0x108
	s_movk_i32 s39, 0x110
	s_movk_i32 s40, 0x118
	s_wait_loadcnt 0x0
	ds_store_b64 v1, v[80:81]
	s_wait_storecnt_dscnt 0x0
	s_barrier_signal -1
	s_barrier_wait -1
	s_wait_xcnt 0x0
	s_and_saveexec_b32 s2, s0
	s_cbranch_execz .LBB101_17
; %bb.11:
	s_and_b32 vcc_lo, exec_lo, s3
	s_cbranch_vccz .LBB101_14
; %bb.12:
	scratch_load_b64 v[80:81], v59, off
	ds_load_b64 v[82:83], v1
	s_wait_loadcnt_dscnt 0x0
	v_pk_mul_f32 v[84:85], v[82:83], v[80:81] op_sel:[1,1] op_sel_hi:[0,1]
	v_pk_mul_f32 v[86:87], v[82:83], v[80:81] op_sel_hi:[1,0]
	s_delay_alu instid0(VALU_DEP_2) | instskip(NEXT) | instid1(VALU_DEP_2)
	v_pk_fma_f32 v[80:81], v[82:83], v[80:81], v[84:85] op_sel_hi:[1,0,1]
	v_sub_f32_e32 v80, v86, v84
	s_cbranch_execz .LBB101_15
	s_branch .LBB101_16
.LBB101_13:
	s_mov_b32 s1, 0
                                        ; implicit-def: $vgpr112
                                        ; implicit-def: $sgpr5
	s_cbranch_execnz .LBB101_376
	s_branch .LBB101_741
.LBB101_14:
                                        ; implicit-def: $vgpr81
.LBB101_15:
	ds_load_b64 v[80:81], v1
.LBB101_16:
	s_wait_dscnt 0x0
	v_dual_mov_b32 v82, 0 :: v_dual_mov_b32 v84, v81
	v_mov_b32_e32 v85, v80
	ds_load_b64 v[82:83], v82 offset:288
	s_wait_dscnt 0x0
	v_pk_mul_f32 v[84:85], v[84:85], v[82:83] op_sel:[0,1]
	s_delay_alu instid0(VALU_DEP_1) | instskip(SKIP_1) | instid1(VALU_DEP_2)
	v_pk_fma_f32 v[86:87], v[80:81], v[82:83], v[84:85] op_sel_hi:[1,0,1]
	v_pk_fma_f32 v[80:81], v[80:81], v[82:83], v[84:85] neg_lo:[0,0,1] neg_hi:[0,0,1]
	v_mov_b32_e32 v81, v87
	scratch_store_b64 off, v[80:81], off offset:288
.LBB101_17:
	s_wait_xcnt 0x0
	s_or_b32 exec_lo, exec_lo, s2
	scratch_load_b64 v[80:81], off, off offset:280
	s_mov_b32 s13, s1
	v_cmp_lt_u32_e64 s1, 35, v0
	s_or_b32 s4, 0, 8
	s_mov_b32 s5, 16
	s_mov_b32 s8, 24
	;; [unrolled: 1-line block ×7, first 2 shown]
	s_wait_loadcnt 0x0
	ds_store_b64 v1, v[80:81]
	s_wait_storecnt_dscnt 0x0
	s_barrier_signal -1
	s_barrier_wait -1
	s_wait_xcnt 0x0
	s_and_saveexec_b32 s41, s1
	s_cbranch_execz .LBB101_25
; %bb.18:
	s_and_not1_b32 vcc_lo, exec_lo, s3
	s_cbranch_vccnz .LBB101_20
; %bb.19:
	scratch_load_b64 v[80:81], v59, off
	ds_load_b64 v[82:83], v1
	s_wait_loadcnt_dscnt 0x0
	v_pk_mul_f32 v[84:85], v[82:83], v[80:81] op_sel:[1,1] op_sel_hi:[0,1]
	s_delay_alu instid0(VALU_DEP_1) | instskip(SKIP_1) | instid1(VALU_DEP_2)
	v_pk_fma_f32 v[86:87], v[82:83], v[80:81], v[84:85] op_sel_hi:[1,0,1]
	v_pk_fma_f32 v[80:81], v[82:83], v[80:81], v[84:85] neg_lo:[0,0,1] neg_hi:[0,0,1]
	v_mov_b32_e32 v81, v87
	s_cbranch_execz .LBB101_21
	s_branch .LBB101_22
.LBB101_20:
                                        ; implicit-def: $vgpr80_vgpr81
.LBB101_21:
	ds_load_b64 v[80:81], v1
.LBB101_22:
	s_and_saveexec_b32 s42, s0
	s_cbranch_execz .LBB101_24
; %bb.23:
	scratch_load_b64 v[82:83], off, off offset:288
	v_mov_b32_e32 v84, 0
	ds_load_b64 v[84:85], v84 offset:592
	s_wait_loadcnt_dscnt 0x0
	v_pk_mul_f32 v[86:87], v[84:85], v[82:83] op_sel:[1,1] op_sel_hi:[0,1]
	s_delay_alu instid0(VALU_DEP_1) | instskip(SKIP_1) | instid1(VALU_DEP_2)
	v_pk_fma_f32 v[88:89], v[84:85], v[82:83], v[86:87] op_sel_hi:[1,0,1]
	v_pk_fma_f32 v[82:83], v[84:85], v[82:83], v[86:87] neg_lo:[0,0,1] neg_hi:[0,0,1]
	v_mov_b32_e32 v83, v89
	s_delay_alu instid0(VALU_DEP_1)
	v_pk_add_f32 v[80:81], v[80:81], v[82:83]
.LBB101_24:
	s_or_b32 exec_lo, exec_lo, s42
	v_mov_b32_e32 v82, 0
	ds_load_b64 v[82:83], v82 offset:280
	s_wait_dscnt 0x0
	v_pk_mul_f32 v[84:85], v[80:81], v[82:83] op_sel:[1,1] op_sel_hi:[0,1]
	s_delay_alu instid0(VALU_DEP_1) | instskip(SKIP_1) | instid1(VALU_DEP_2)
	v_pk_fma_f32 v[86:87], v[80:81], v[82:83], v[84:85] op_sel_hi:[1,0,1]
	v_pk_fma_f32 v[80:81], v[80:81], v[82:83], v[84:85] neg_lo:[0,0,1] neg_hi:[0,0,1]
	v_mov_b32_e32 v81, v87
	scratch_store_b64 off, v[80:81], off offset:280
.LBB101_25:
	s_wait_xcnt 0x0
	s_or_b32 exec_lo, exec_lo, s41
	scratch_load_b64 v[80:81], off, off offset:272
	v_cmp_lt_u32_e64 s0, 34, v0
	s_wait_loadcnt 0x0
	ds_store_b64 v1, v[80:81]
	s_wait_storecnt_dscnt 0x0
	s_barrier_signal -1
	s_barrier_wait -1
	s_wait_xcnt 0x0
	s_and_saveexec_b32 s41, s0
	s_cbranch_execz .LBB101_35
; %bb.26:
	s_and_not1_b32 vcc_lo, exec_lo, s3
	s_cbranch_vccnz .LBB101_28
; %bb.27:
	scratch_load_b64 v[80:81], v59, off
	ds_load_b64 v[82:83], v1
	s_wait_loadcnt_dscnt 0x0
	v_pk_mul_f32 v[84:85], v[82:83], v[80:81] op_sel:[1,1] op_sel_hi:[0,1]
	s_delay_alu instid0(VALU_DEP_1) | instskip(SKIP_1) | instid1(VALU_DEP_2)
	v_pk_fma_f32 v[86:87], v[82:83], v[80:81], v[84:85] op_sel_hi:[1,0,1]
	v_pk_fma_f32 v[80:81], v[82:83], v[80:81], v[84:85] neg_lo:[0,0,1] neg_hi:[0,0,1]
	v_mov_b32_e32 v81, v87
	s_cbranch_execz .LBB101_29
	s_branch .LBB101_30
.LBB101_28:
                                        ; implicit-def: $vgpr80_vgpr81
.LBB101_29:
	ds_load_b64 v[80:81], v1
.LBB101_30:
	s_and_saveexec_b32 s42, s1
	s_cbranch_execz .LBB101_34
; %bb.31:
	v_subrev_nc_u32_e32 v82, 35, v0
	s_movk_i32 s43, 0x248
	s_mov_b32 s1, 0
.LBB101_32:                             ; =>This Inner Loop Header: Depth=1
	scratch_load_b64 v[84:85], off, s40
	v_dual_mov_b32 v83, s43 :: v_dual_add_nc_u32 v82, -1, v82
	s_add_co_i32 s43, s43, 8
	s_wait_xcnt 0x0
	s_add_co_i32 s40, s40, 8
	ds_load_b64 v[86:87], v83
	v_cmp_eq_u32_e32 vcc_lo, 0, v82
	s_or_b32 s1, vcc_lo, s1
	s_wait_loadcnt_dscnt 0x0
	v_pk_mul_f32 v[88:89], v[86:87], v[84:85] op_sel:[1,1] op_sel_hi:[0,1]
	s_delay_alu instid0(VALU_DEP_1) | instskip(SKIP_1) | instid1(VALU_DEP_2)
	v_pk_fma_f32 v[90:91], v[86:87], v[84:85], v[88:89] op_sel_hi:[1,0,1]
	v_pk_fma_f32 v[84:85], v[86:87], v[84:85], v[88:89] neg_lo:[0,0,1] neg_hi:[0,0,1]
	v_mov_b32_e32 v85, v91
	s_delay_alu instid0(VALU_DEP_1)
	v_pk_add_f32 v[80:81], v[80:81], v[84:85]
	s_and_not1_b32 exec_lo, exec_lo, s1
	s_cbranch_execnz .LBB101_32
; %bb.33:
	s_or_b32 exec_lo, exec_lo, s1
.LBB101_34:
	s_delay_alu instid0(SALU_CYCLE_1) | instskip(SKIP_4) | instid1(VALU_DEP_1)
	s_or_b32 exec_lo, exec_lo, s42
	v_mov_b32_e32 v82, 0
	ds_load_b64 v[82:83], v82 offset:272
	s_wait_dscnt 0x0
	v_pk_mul_f32 v[84:85], v[80:81], v[82:83] op_sel:[1,1] op_sel_hi:[0,1]
	v_pk_fma_f32 v[86:87], v[80:81], v[82:83], v[84:85] op_sel_hi:[1,0,1]
	v_pk_fma_f32 v[80:81], v[80:81], v[82:83], v[84:85] neg_lo:[0,0,1] neg_hi:[0,0,1]
	s_delay_alu instid0(VALU_DEP_2)
	v_mov_b32_e32 v81, v87
	scratch_store_b64 off, v[80:81], off offset:272
.LBB101_35:
	s_wait_xcnt 0x0
	s_or_b32 exec_lo, exec_lo, s41
	scratch_load_b64 v[80:81], off, off offset:264
	v_cmp_lt_u32_e64 s1, 33, v0
	s_wait_loadcnt 0x0
	ds_store_b64 v1, v[80:81]
	s_wait_storecnt_dscnt 0x0
	s_barrier_signal -1
	s_barrier_wait -1
	s_wait_xcnt 0x0
	s_and_saveexec_b32 s40, s1
	s_cbranch_execz .LBB101_45
; %bb.36:
	s_and_not1_b32 vcc_lo, exec_lo, s3
	s_cbranch_vccnz .LBB101_38
; %bb.37:
	scratch_load_b64 v[80:81], v59, off
	ds_load_b64 v[82:83], v1
	s_wait_loadcnt_dscnt 0x0
	v_pk_mul_f32 v[84:85], v[82:83], v[80:81] op_sel:[1,1] op_sel_hi:[0,1]
	s_delay_alu instid0(VALU_DEP_1) | instskip(SKIP_1) | instid1(VALU_DEP_2)
	v_pk_fma_f32 v[86:87], v[82:83], v[80:81], v[84:85] op_sel_hi:[1,0,1]
	v_pk_fma_f32 v[80:81], v[82:83], v[80:81], v[84:85] neg_lo:[0,0,1] neg_hi:[0,0,1]
	v_mov_b32_e32 v81, v87
	s_cbranch_execz .LBB101_39
	s_branch .LBB101_40
.LBB101_38:
                                        ; implicit-def: $vgpr80_vgpr81
.LBB101_39:
	ds_load_b64 v[80:81], v1
.LBB101_40:
	s_and_saveexec_b32 s41, s0
	s_cbranch_execz .LBB101_44
; %bb.41:
	v_subrev_nc_u32_e32 v82, 34, v0
	s_movk_i32 s42, 0x240
	s_mov_b32 s0, 0
.LBB101_42:                             ; =>This Inner Loop Header: Depth=1
	scratch_load_b64 v[84:85], off, s39
	v_dual_mov_b32 v83, s42 :: v_dual_add_nc_u32 v82, -1, v82
	s_add_co_i32 s42, s42, 8
	s_wait_xcnt 0x0
	s_add_co_i32 s39, s39, 8
	ds_load_b64 v[86:87], v83
	v_cmp_eq_u32_e32 vcc_lo, 0, v82
	s_or_b32 s0, vcc_lo, s0
	s_wait_loadcnt_dscnt 0x0
	v_pk_mul_f32 v[88:89], v[86:87], v[84:85] op_sel:[1,1] op_sel_hi:[0,1]
	s_delay_alu instid0(VALU_DEP_1) | instskip(SKIP_1) | instid1(VALU_DEP_2)
	v_pk_fma_f32 v[90:91], v[86:87], v[84:85], v[88:89] op_sel_hi:[1,0,1]
	v_pk_fma_f32 v[84:85], v[86:87], v[84:85], v[88:89] neg_lo:[0,0,1] neg_hi:[0,0,1]
	v_mov_b32_e32 v85, v91
	s_delay_alu instid0(VALU_DEP_1)
	v_pk_add_f32 v[80:81], v[80:81], v[84:85]
	s_and_not1_b32 exec_lo, exec_lo, s0
	s_cbranch_execnz .LBB101_42
; %bb.43:
	s_or_b32 exec_lo, exec_lo, s0
.LBB101_44:
	s_delay_alu instid0(SALU_CYCLE_1) | instskip(SKIP_4) | instid1(VALU_DEP_1)
	s_or_b32 exec_lo, exec_lo, s41
	v_mov_b32_e32 v82, 0
	ds_load_b64 v[82:83], v82 offset:264
	s_wait_dscnt 0x0
	v_pk_mul_f32 v[84:85], v[80:81], v[82:83] op_sel:[1,1] op_sel_hi:[0,1]
	v_pk_fma_f32 v[86:87], v[80:81], v[82:83], v[84:85] op_sel_hi:[1,0,1]
	v_pk_fma_f32 v[80:81], v[80:81], v[82:83], v[84:85] neg_lo:[0,0,1] neg_hi:[0,0,1]
	s_delay_alu instid0(VALU_DEP_2)
	v_mov_b32_e32 v81, v87
	scratch_store_b64 off, v[80:81], off offset:264
.LBB101_45:
	s_wait_xcnt 0x0
	s_or_b32 exec_lo, exec_lo, s40
	scratch_load_b64 v[80:81], off, off offset:256
	v_cmp_lt_u32_e64 s0, 32, v0
	s_wait_loadcnt 0x0
	ds_store_b64 v1, v[80:81]
	s_wait_storecnt_dscnt 0x0
	s_barrier_signal -1
	s_barrier_wait -1
	s_wait_xcnt 0x0
	s_and_saveexec_b32 s39, s0
	s_cbranch_execz .LBB101_55
; %bb.46:
	s_and_not1_b32 vcc_lo, exec_lo, s3
	s_cbranch_vccnz .LBB101_48
; %bb.47:
	scratch_load_b64 v[80:81], v59, off
	ds_load_b64 v[82:83], v1
	s_wait_loadcnt_dscnt 0x0
	v_pk_mul_f32 v[84:85], v[82:83], v[80:81] op_sel:[1,1] op_sel_hi:[0,1]
	s_delay_alu instid0(VALU_DEP_1) | instskip(SKIP_1) | instid1(VALU_DEP_2)
	v_pk_fma_f32 v[86:87], v[82:83], v[80:81], v[84:85] op_sel_hi:[1,0,1]
	v_pk_fma_f32 v[80:81], v[82:83], v[80:81], v[84:85] neg_lo:[0,0,1] neg_hi:[0,0,1]
	v_mov_b32_e32 v81, v87
	s_cbranch_execz .LBB101_49
	s_branch .LBB101_50
.LBB101_48:
                                        ; implicit-def: $vgpr80_vgpr81
.LBB101_49:
	ds_load_b64 v[80:81], v1
.LBB101_50:
	s_and_saveexec_b32 s40, s1
	s_cbranch_execz .LBB101_54
; %bb.51:
	v_subrev_nc_u32_e32 v82, 33, v0
	s_movk_i32 s41, 0x238
	s_mov_b32 s1, 0
.LBB101_52:                             ; =>This Inner Loop Header: Depth=1
	scratch_load_b64 v[84:85], off, s38
	v_dual_mov_b32 v83, s41 :: v_dual_add_nc_u32 v82, -1, v82
	s_add_co_i32 s41, s41, 8
	s_wait_xcnt 0x0
	s_add_co_i32 s38, s38, 8
	ds_load_b64 v[86:87], v83
	v_cmp_eq_u32_e32 vcc_lo, 0, v82
	s_or_b32 s1, vcc_lo, s1
	s_wait_loadcnt_dscnt 0x0
	v_pk_mul_f32 v[88:89], v[86:87], v[84:85] op_sel:[1,1] op_sel_hi:[0,1]
	s_delay_alu instid0(VALU_DEP_1) | instskip(SKIP_1) | instid1(VALU_DEP_2)
	v_pk_fma_f32 v[90:91], v[86:87], v[84:85], v[88:89] op_sel_hi:[1,0,1]
	v_pk_fma_f32 v[84:85], v[86:87], v[84:85], v[88:89] neg_lo:[0,0,1] neg_hi:[0,0,1]
	v_mov_b32_e32 v85, v91
	s_delay_alu instid0(VALU_DEP_1)
	v_pk_add_f32 v[80:81], v[80:81], v[84:85]
	s_and_not1_b32 exec_lo, exec_lo, s1
	s_cbranch_execnz .LBB101_52
; %bb.53:
	s_or_b32 exec_lo, exec_lo, s1
.LBB101_54:
	s_delay_alu instid0(SALU_CYCLE_1) | instskip(SKIP_4) | instid1(VALU_DEP_1)
	s_or_b32 exec_lo, exec_lo, s40
	v_mov_b32_e32 v82, 0
	ds_load_b64 v[82:83], v82 offset:256
	s_wait_dscnt 0x0
	v_pk_mul_f32 v[84:85], v[80:81], v[82:83] op_sel:[1,1] op_sel_hi:[0,1]
	v_pk_fma_f32 v[86:87], v[80:81], v[82:83], v[84:85] op_sel_hi:[1,0,1]
	v_pk_fma_f32 v[80:81], v[80:81], v[82:83], v[84:85] neg_lo:[0,0,1] neg_hi:[0,0,1]
	s_delay_alu instid0(VALU_DEP_2)
	v_mov_b32_e32 v81, v87
	scratch_store_b64 off, v[80:81], off offset:256
.LBB101_55:
	s_wait_xcnt 0x0
	s_or_b32 exec_lo, exec_lo, s39
	scratch_load_b64 v[80:81], off, off offset:248
	v_cmp_lt_u32_e64 s1, 31, v0
	s_wait_loadcnt 0x0
	ds_store_b64 v1, v[80:81]
	s_wait_storecnt_dscnt 0x0
	s_barrier_signal -1
	s_barrier_wait -1
	s_wait_xcnt 0x0
	s_and_saveexec_b32 s38, s1
	s_cbranch_execz .LBB101_65
; %bb.56:
	s_and_not1_b32 vcc_lo, exec_lo, s3
	s_cbranch_vccnz .LBB101_58
; %bb.57:
	scratch_load_b64 v[80:81], v59, off
	ds_load_b64 v[82:83], v1
	s_wait_loadcnt_dscnt 0x0
	v_pk_mul_f32 v[84:85], v[82:83], v[80:81] op_sel:[1,1] op_sel_hi:[0,1]
	s_delay_alu instid0(VALU_DEP_1) | instskip(SKIP_1) | instid1(VALU_DEP_2)
	v_pk_fma_f32 v[86:87], v[82:83], v[80:81], v[84:85] op_sel_hi:[1,0,1]
	v_pk_fma_f32 v[80:81], v[82:83], v[80:81], v[84:85] neg_lo:[0,0,1] neg_hi:[0,0,1]
	v_mov_b32_e32 v81, v87
	s_cbranch_execz .LBB101_59
	s_branch .LBB101_60
.LBB101_58:
                                        ; implicit-def: $vgpr80_vgpr81
.LBB101_59:
	ds_load_b64 v[80:81], v1
.LBB101_60:
	s_and_saveexec_b32 s39, s0
	s_cbranch_execz .LBB101_64
; %bb.61:
	v_subrev_nc_u32_e32 v82, 32, v0
	s_movk_i32 s40, 0x230
	s_mov_b32 s0, 0
.LBB101_62:                             ; =>This Inner Loop Header: Depth=1
	scratch_load_b64 v[84:85], off, s37
	v_dual_mov_b32 v83, s40 :: v_dual_add_nc_u32 v82, -1, v82
	s_add_co_i32 s40, s40, 8
	s_wait_xcnt 0x0
	s_add_co_i32 s37, s37, 8
	ds_load_b64 v[86:87], v83
	v_cmp_eq_u32_e32 vcc_lo, 0, v82
	s_or_b32 s0, vcc_lo, s0
	s_wait_loadcnt_dscnt 0x0
	v_pk_mul_f32 v[88:89], v[86:87], v[84:85] op_sel:[1,1] op_sel_hi:[0,1]
	s_delay_alu instid0(VALU_DEP_1) | instskip(SKIP_1) | instid1(VALU_DEP_2)
	v_pk_fma_f32 v[90:91], v[86:87], v[84:85], v[88:89] op_sel_hi:[1,0,1]
	v_pk_fma_f32 v[84:85], v[86:87], v[84:85], v[88:89] neg_lo:[0,0,1] neg_hi:[0,0,1]
	v_mov_b32_e32 v85, v91
	s_delay_alu instid0(VALU_DEP_1)
	v_pk_add_f32 v[80:81], v[80:81], v[84:85]
	s_and_not1_b32 exec_lo, exec_lo, s0
	s_cbranch_execnz .LBB101_62
; %bb.63:
	s_or_b32 exec_lo, exec_lo, s0
.LBB101_64:
	s_delay_alu instid0(SALU_CYCLE_1) | instskip(SKIP_4) | instid1(VALU_DEP_1)
	s_or_b32 exec_lo, exec_lo, s39
	v_mov_b32_e32 v82, 0
	ds_load_b64 v[82:83], v82 offset:248
	s_wait_dscnt 0x0
	v_pk_mul_f32 v[84:85], v[80:81], v[82:83] op_sel:[1,1] op_sel_hi:[0,1]
	v_pk_fma_f32 v[86:87], v[80:81], v[82:83], v[84:85] op_sel_hi:[1,0,1]
	v_pk_fma_f32 v[80:81], v[80:81], v[82:83], v[84:85] neg_lo:[0,0,1] neg_hi:[0,0,1]
	s_delay_alu instid0(VALU_DEP_2)
	v_mov_b32_e32 v81, v87
	scratch_store_b64 off, v[80:81], off offset:248
.LBB101_65:
	s_wait_xcnt 0x0
	s_or_b32 exec_lo, exec_lo, s38
	scratch_load_b64 v[80:81], off, off offset:240
	v_cmp_lt_u32_e64 s0, 30, v0
	s_wait_loadcnt 0x0
	ds_store_b64 v1, v[80:81]
	s_wait_storecnt_dscnt 0x0
	s_barrier_signal -1
	s_barrier_wait -1
	s_wait_xcnt 0x0
	s_and_saveexec_b32 s37, s0
	s_cbranch_execz .LBB101_75
; %bb.66:
	s_and_not1_b32 vcc_lo, exec_lo, s3
	s_cbranch_vccnz .LBB101_68
; %bb.67:
	scratch_load_b64 v[80:81], v59, off
	ds_load_b64 v[82:83], v1
	s_wait_loadcnt_dscnt 0x0
	v_pk_mul_f32 v[84:85], v[82:83], v[80:81] op_sel:[1,1] op_sel_hi:[0,1]
	s_delay_alu instid0(VALU_DEP_1) | instskip(SKIP_1) | instid1(VALU_DEP_2)
	v_pk_fma_f32 v[86:87], v[82:83], v[80:81], v[84:85] op_sel_hi:[1,0,1]
	v_pk_fma_f32 v[80:81], v[82:83], v[80:81], v[84:85] neg_lo:[0,0,1] neg_hi:[0,0,1]
	v_mov_b32_e32 v81, v87
	s_cbranch_execz .LBB101_69
	s_branch .LBB101_70
.LBB101_68:
                                        ; implicit-def: $vgpr80_vgpr81
.LBB101_69:
	ds_load_b64 v[80:81], v1
.LBB101_70:
	s_and_saveexec_b32 s38, s1
	s_cbranch_execz .LBB101_74
; %bb.71:
	v_subrev_nc_u32_e32 v82, 31, v0
	s_movk_i32 s39, 0x228
	s_mov_b32 s1, 0
.LBB101_72:                             ; =>This Inner Loop Header: Depth=1
	scratch_load_b64 v[84:85], off, s36
	v_dual_mov_b32 v83, s39 :: v_dual_add_nc_u32 v82, -1, v82
	s_add_co_i32 s39, s39, 8
	s_wait_xcnt 0x0
	s_add_co_i32 s36, s36, 8
	ds_load_b64 v[86:87], v83
	v_cmp_eq_u32_e32 vcc_lo, 0, v82
	s_or_b32 s1, vcc_lo, s1
	s_wait_loadcnt_dscnt 0x0
	v_pk_mul_f32 v[88:89], v[86:87], v[84:85] op_sel:[1,1] op_sel_hi:[0,1]
	s_delay_alu instid0(VALU_DEP_1) | instskip(SKIP_1) | instid1(VALU_DEP_2)
	v_pk_fma_f32 v[90:91], v[86:87], v[84:85], v[88:89] op_sel_hi:[1,0,1]
	v_pk_fma_f32 v[84:85], v[86:87], v[84:85], v[88:89] neg_lo:[0,0,1] neg_hi:[0,0,1]
	v_mov_b32_e32 v85, v91
	s_delay_alu instid0(VALU_DEP_1)
	v_pk_add_f32 v[80:81], v[80:81], v[84:85]
	s_and_not1_b32 exec_lo, exec_lo, s1
	s_cbranch_execnz .LBB101_72
; %bb.73:
	s_or_b32 exec_lo, exec_lo, s1
.LBB101_74:
	s_delay_alu instid0(SALU_CYCLE_1) | instskip(SKIP_4) | instid1(VALU_DEP_1)
	s_or_b32 exec_lo, exec_lo, s38
	v_mov_b32_e32 v82, 0
	ds_load_b64 v[82:83], v82 offset:240
	s_wait_dscnt 0x0
	v_pk_mul_f32 v[84:85], v[80:81], v[82:83] op_sel:[1,1] op_sel_hi:[0,1]
	v_pk_fma_f32 v[86:87], v[80:81], v[82:83], v[84:85] op_sel_hi:[1,0,1]
	v_pk_fma_f32 v[80:81], v[80:81], v[82:83], v[84:85] neg_lo:[0,0,1] neg_hi:[0,0,1]
	s_delay_alu instid0(VALU_DEP_2)
	v_mov_b32_e32 v81, v87
	scratch_store_b64 off, v[80:81], off offset:240
.LBB101_75:
	s_wait_xcnt 0x0
	s_or_b32 exec_lo, exec_lo, s37
	scratch_load_b64 v[80:81], off, off offset:232
	v_cmp_lt_u32_e64 s1, 29, v0
	s_wait_loadcnt 0x0
	ds_store_b64 v1, v[80:81]
	s_wait_storecnt_dscnt 0x0
	s_barrier_signal -1
	s_barrier_wait -1
	s_wait_xcnt 0x0
	s_and_saveexec_b32 s36, s1
	s_cbranch_execz .LBB101_85
; %bb.76:
	s_and_not1_b32 vcc_lo, exec_lo, s3
	s_cbranch_vccnz .LBB101_78
; %bb.77:
	scratch_load_b64 v[80:81], v59, off
	ds_load_b64 v[82:83], v1
	s_wait_loadcnt_dscnt 0x0
	v_pk_mul_f32 v[84:85], v[82:83], v[80:81] op_sel:[1,1] op_sel_hi:[0,1]
	s_delay_alu instid0(VALU_DEP_1) | instskip(SKIP_1) | instid1(VALU_DEP_2)
	v_pk_fma_f32 v[86:87], v[82:83], v[80:81], v[84:85] op_sel_hi:[1,0,1]
	v_pk_fma_f32 v[80:81], v[82:83], v[80:81], v[84:85] neg_lo:[0,0,1] neg_hi:[0,0,1]
	v_mov_b32_e32 v81, v87
	s_cbranch_execz .LBB101_79
	s_branch .LBB101_80
.LBB101_78:
                                        ; implicit-def: $vgpr80_vgpr81
.LBB101_79:
	ds_load_b64 v[80:81], v1
.LBB101_80:
	s_and_saveexec_b32 s37, s0
	s_cbranch_execz .LBB101_84
; %bb.81:
	v_subrev_nc_u32_e32 v82, 30, v0
	s_movk_i32 s38, 0x220
	s_mov_b32 s0, 0
.LBB101_82:                             ; =>This Inner Loop Header: Depth=1
	scratch_load_b64 v[84:85], off, s35
	v_dual_mov_b32 v83, s38 :: v_dual_add_nc_u32 v82, -1, v82
	s_add_co_i32 s38, s38, 8
	s_wait_xcnt 0x0
	s_add_co_i32 s35, s35, 8
	ds_load_b64 v[86:87], v83
	v_cmp_eq_u32_e32 vcc_lo, 0, v82
	s_or_b32 s0, vcc_lo, s0
	s_wait_loadcnt_dscnt 0x0
	v_pk_mul_f32 v[88:89], v[86:87], v[84:85] op_sel:[1,1] op_sel_hi:[0,1]
	s_delay_alu instid0(VALU_DEP_1) | instskip(SKIP_1) | instid1(VALU_DEP_2)
	v_pk_fma_f32 v[90:91], v[86:87], v[84:85], v[88:89] op_sel_hi:[1,0,1]
	v_pk_fma_f32 v[84:85], v[86:87], v[84:85], v[88:89] neg_lo:[0,0,1] neg_hi:[0,0,1]
	v_mov_b32_e32 v85, v91
	s_delay_alu instid0(VALU_DEP_1)
	v_pk_add_f32 v[80:81], v[80:81], v[84:85]
	s_and_not1_b32 exec_lo, exec_lo, s0
	s_cbranch_execnz .LBB101_82
; %bb.83:
	s_or_b32 exec_lo, exec_lo, s0
.LBB101_84:
	s_delay_alu instid0(SALU_CYCLE_1) | instskip(SKIP_4) | instid1(VALU_DEP_1)
	s_or_b32 exec_lo, exec_lo, s37
	v_mov_b32_e32 v82, 0
	ds_load_b64 v[82:83], v82 offset:232
	s_wait_dscnt 0x0
	v_pk_mul_f32 v[84:85], v[80:81], v[82:83] op_sel:[1,1] op_sel_hi:[0,1]
	v_pk_fma_f32 v[86:87], v[80:81], v[82:83], v[84:85] op_sel_hi:[1,0,1]
	v_pk_fma_f32 v[80:81], v[80:81], v[82:83], v[84:85] neg_lo:[0,0,1] neg_hi:[0,0,1]
	s_delay_alu instid0(VALU_DEP_2)
	v_mov_b32_e32 v81, v87
	scratch_store_b64 off, v[80:81], off offset:232
.LBB101_85:
	s_wait_xcnt 0x0
	s_or_b32 exec_lo, exec_lo, s36
	scratch_load_b64 v[80:81], off, off offset:224
	v_cmp_lt_u32_e64 s0, 28, v0
	s_wait_loadcnt 0x0
	ds_store_b64 v1, v[80:81]
	s_wait_storecnt_dscnt 0x0
	s_barrier_signal -1
	s_barrier_wait -1
	s_wait_xcnt 0x0
	s_and_saveexec_b32 s35, s0
	s_cbranch_execz .LBB101_95
; %bb.86:
	s_and_not1_b32 vcc_lo, exec_lo, s3
	s_cbranch_vccnz .LBB101_88
; %bb.87:
	scratch_load_b64 v[80:81], v59, off
	ds_load_b64 v[82:83], v1
	s_wait_loadcnt_dscnt 0x0
	v_pk_mul_f32 v[84:85], v[82:83], v[80:81] op_sel:[1,1] op_sel_hi:[0,1]
	s_delay_alu instid0(VALU_DEP_1) | instskip(SKIP_1) | instid1(VALU_DEP_2)
	v_pk_fma_f32 v[86:87], v[82:83], v[80:81], v[84:85] op_sel_hi:[1,0,1]
	v_pk_fma_f32 v[80:81], v[82:83], v[80:81], v[84:85] neg_lo:[0,0,1] neg_hi:[0,0,1]
	v_mov_b32_e32 v81, v87
	s_cbranch_execz .LBB101_89
	s_branch .LBB101_90
.LBB101_88:
                                        ; implicit-def: $vgpr80_vgpr81
.LBB101_89:
	ds_load_b64 v[80:81], v1
.LBB101_90:
	s_and_saveexec_b32 s36, s1
	s_cbranch_execz .LBB101_94
; %bb.91:
	v_subrev_nc_u32_e32 v82, 29, v0
	s_movk_i32 s37, 0x218
	s_mov_b32 s1, 0
.LBB101_92:                             ; =>This Inner Loop Header: Depth=1
	scratch_load_b64 v[84:85], off, s34
	v_dual_mov_b32 v83, s37 :: v_dual_add_nc_u32 v82, -1, v82
	s_add_co_i32 s37, s37, 8
	s_wait_xcnt 0x0
	s_add_co_i32 s34, s34, 8
	ds_load_b64 v[86:87], v83
	v_cmp_eq_u32_e32 vcc_lo, 0, v82
	s_or_b32 s1, vcc_lo, s1
	s_wait_loadcnt_dscnt 0x0
	v_pk_mul_f32 v[88:89], v[86:87], v[84:85] op_sel:[1,1] op_sel_hi:[0,1]
	s_delay_alu instid0(VALU_DEP_1) | instskip(SKIP_1) | instid1(VALU_DEP_2)
	v_pk_fma_f32 v[90:91], v[86:87], v[84:85], v[88:89] op_sel_hi:[1,0,1]
	v_pk_fma_f32 v[84:85], v[86:87], v[84:85], v[88:89] neg_lo:[0,0,1] neg_hi:[0,0,1]
	v_mov_b32_e32 v85, v91
	s_delay_alu instid0(VALU_DEP_1)
	v_pk_add_f32 v[80:81], v[80:81], v[84:85]
	s_and_not1_b32 exec_lo, exec_lo, s1
	s_cbranch_execnz .LBB101_92
; %bb.93:
	s_or_b32 exec_lo, exec_lo, s1
.LBB101_94:
	s_delay_alu instid0(SALU_CYCLE_1) | instskip(SKIP_4) | instid1(VALU_DEP_1)
	s_or_b32 exec_lo, exec_lo, s36
	v_mov_b32_e32 v82, 0
	ds_load_b64 v[82:83], v82 offset:224
	s_wait_dscnt 0x0
	v_pk_mul_f32 v[84:85], v[80:81], v[82:83] op_sel:[1,1] op_sel_hi:[0,1]
	v_pk_fma_f32 v[86:87], v[80:81], v[82:83], v[84:85] op_sel_hi:[1,0,1]
	v_pk_fma_f32 v[80:81], v[80:81], v[82:83], v[84:85] neg_lo:[0,0,1] neg_hi:[0,0,1]
	s_delay_alu instid0(VALU_DEP_2)
	v_mov_b32_e32 v81, v87
	scratch_store_b64 off, v[80:81], off offset:224
.LBB101_95:
	s_wait_xcnt 0x0
	s_or_b32 exec_lo, exec_lo, s35
	scratch_load_b64 v[80:81], off, off offset:216
	v_cmp_lt_u32_e64 s1, 27, v0
	s_wait_loadcnt 0x0
	ds_store_b64 v1, v[80:81]
	s_wait_storecnt_dscnt 0x0
	s_barrier_signal -1
	s_barrier_wait -1
	s_wait_xcnt 0x0
	s_and_saveexec_b32 s34, s1
	s_cbranch_execz .LBB101_105
; %bb.96:
	s_and_not1_b32 vcc_lo, exec_lo, s3
	s_cbranch_vccnz .LBB101_98
; %bb.97:
	scratch_load_b64 v[80:81], v59, off
	ds_load_b64 v[82:83], v1
	s_wait_loadcnt_dscnt 0x0
	v_pk_mul_f32 v[84:85], v[82:83], v[80:81] op_sel:[1,1] op_sel_hi:[0,1]
	s_delay_alu instid0(VALU_DEP_1) | instskip(SKIP_1) | instid1(VALU_DEP_2)
	v_pk_fma_f32 v[86:87], v[82:83], v[80:81], v[84:85] op_sel_hi:[1,0,1]
	v_pk_fma_f32 v[80:81], v[82:83], v[80:81], v[84:85] neg_lo:[0,0,1] neg_hi:[0,0,1]
	v_mov_b32_e32 v81, v87
	s_cbranch_execz .LBB101_99
	s_branch .LBB101_100
.LBB101_98:
                                        ; implicit-def: $vgpr80_vgpr81
.LBB101_99:
	ds_load_b64 v[80:81], v1
.LBB101_100:
	s_and_saveexec_b32 s35, s0
	s_cbranch_execz .LBB101_104
; %bb.101:
	v_subrev_nc_u32_e32 v82, 28, v0
	s_movk_i32 s36, 0x210
	s_mov_b32 s0, 0
.LBB101_102:                            ; =>This Inner Loop Header: Depth=1
	scratch_load_b64 v[84:85], off, s33
	v_dual_mov_b32 v83, s36 :: v_dual_add_nc_u32 v82, -1, v82
	s_add_co_i32 s36, s36, 8
	s_wait_xcnt 0x0
	s_add_co_i32 s33, s33, 8
	ds_load_b64 v[86:87], v83
	v_cmp_eq_u32_e32 vcc_lo, 0, v82
	s_or_b32 s0, vcc_lo, s0
	s_wait_loadcnt_dscnt 0x0
	v_pk_mul_f32 v[88:89], v[86:87], v[84:85] op_sel:[1,1] op_sel_hi:[0,1]
	s_delay_alu instid0(VALU_DEP_1) | instskip(SKIP_1) | instid1(VALU_DEP_2)
	v_pk_fma_f32 v[90:91], v[86:87], v[84:85], v[88:89] op_sel_hi:[1,0,1]
	v_pk_fma_f32 v[84:85], v[86:87], v[84:85], v[88:89] neg_lo:[0,0,1] neg_hi:[0,0,1]
	v_mov_b32_e32 v85, v91
	s_delay_alu instid0(VALU_DEP_1)
	v_pk_add_f32 v[80:81], v[80:81], v[84:85]
	s_and_not1_b32 exec_lo, exec_lo, s0
	s_cbranch_execnz .LBB101_102
; %bb.103:
	s_or_b32 exec_lo, exec_lo, s0
.LBB101_104:
	s_delay_alu instid0(SALU_CYCLE_1) | instskip(SKIP_4) | instid1(VALU_DEP_1)
	s_or_b32 exec_lo, exec_lo, s35
	v_mov_b32_e32 v82, 0
	ds_load_b64 v[82:83], v82 offset:216
	s_wait_dscnt 0x0
	v_pk_mul_f32 v[84:85], v[80:81], v[82:83] op_sel:[1,1] op_sel_hi:[0,1]
	v_pk_fma_f32 v[86:87], v[80:81], v[82:83], v[84:85] op_sel_hi:[1,0,1]
	v_pk_fma_f32 v[80:81], v[80:81], v[82:83], v[84:85] neg_lo:[0,0,1] neg_hi:[0,0,1]
	s_delay_alu instid0(VALU_DEP_2)
	v_mov_b32_e32 v81, v87
	scratch_store_b64 off, v[80:81], off offset:216
.LBB101_105:
	s_wait_xcnt 0x0
	s_or_b32 exec_lo, exec_lo, s34
	scratch_load_b64 v[80:81], off, off offset:208
	v_cmp_lt_u32_e64 s0, 26, v0
	s_wait_loadcnt 0x0
	ds_store_b64 v1, v[80:81]
	s_wait_storecnt_dscnt 0x0
	s_barrier_signal -1
	s_barrier_wait -1
	s_wait_xcnt 0x0
	s_and_saveexec_b32 s33, s0
	s_cbranch_execz .LBB101_115
; %bb.106:
	s_and_not1_b32 vcc_lo, exec_lo, s3
	s_cbranch_vccnz .LBB101_108
; %bb.107:
	scratch_load_b64 v[80:81], v59, off
	ds_load_b64 v[82:83], v1
	s_wait_loadcnt_dscnt 0x0
	v_pk_mul_f32 v[84:85], v[82:83], v[80:81] op_sel:[1,1] op_sel_hi:[0,1]
	s_delay_alu instid0(VALU_DEP_1) | instskip(SKIP_1) | instid1(VALU_DEP_2)
	v_pk_fma_f32 v[86:87], v[82:83], v[80:81], v[84:85] op_sel_hi:[1,0,1]
	v_pk_fma_f32 v[80:81], v[82:83], v[80:81], v[84:85] neg_lo:[0,0,1] neg_hi:[0,0,1]
	v_mov_b32_e32 v81, v87
	s_cbranch_execz .LBB101_109
	s_branch .LBB101_110
.LBB101_108:
                                        ; implicit-def: $vgpr80_vgpr81
.LBB101_109:
	ds_load_b64 v[80:81], v1
.LBB101_110:
	s_and_saveexec_b32 s34, s1
	s_cbranch_execz .LBB101_114
; %bb.111:
	v_subrev_nc_u32_e32 v82, 27, v0
	s_movk_i32 s35, 0x208
	s_mov_b32 s1, 0
.LBB101_112:                            ; =>This Inner Loop Header: Depth=1
	scratch_load_b64 v[84:85], off, s31
	v_dual_mov_b32 v83, s35 :: v_dual_add_nc_u32 v82, -1, v82
	s_add_co_i32 s35, s35, 8
	s_wait_xcnt 0x0
	s_add_co_i32 s31, s31, 8
	ds_load_b64 v[86:87], v83
	v_cmp_eq_u32_e32 vcc_lo, 0, v82
	s_or_b32 s1, vcc_lo, s1
	s_wait_loadcnt_dscnt 0x0
	v_pk_mul_f32 v[88:89], v[86:87], v[84:85] op_sel:[1,1] op_sel_hi:[0,1]
	s_delay_alu instid0(VALU_DEP_1) | instskip(SKIP_1) | instid1(VALU_DEP_2)
	v_pk_fma_f32 v[90:91], v[86:87], v[84:85], v[88:89] op_sel_hi:[1,0,1]
	v_pk_fma_f32 v[84:85], v[86:87], v[84:85], v[88:89] neg_lo:[0,0,1] neg_hi:[0,0,1]
	v_mov_b32_e32 v85, v91
	s_delay_alu instid0(VALU_DEP_1)
	v_pk_add_f32 v[80:81], v[80:81], v[84:85]
	s_and_not1_b32 exec_lo, exec_lo, s1
	s_cbranch_execnz .LBB101_112
; %bb.113:
	s_or_b32 exec_lo, exec_lo, s1
.LBB101_114:
	s_delay_alu instid0(SALU_CYCLE_1) | instskip(SKIP_4) | instid1(VALU_DEP_1)
	s_or_b32 exec_lo, exec_lo, s34
	v_mov_b32_e32 v82, 0
	ds_load_b64 v[82:83], v82 offset:208
	s_wait_dscnt 0x0
	v_pk_mul_f32 v[84:85], v[80:81], v[82:83] op_sel:[1,1] op_sel_hi:[0,1]
	v_pk_fma_f32 v[86:87], v[80:81], v[82:83], v[84:85] op_sel_hi:[1,0,1]
	v_pk_fma_f32 v[80:81], v[80:81], v[82:83], v[84:85] neg_lo:[0,0,1] neg_hi:[0,0,1]
	s_delay_alu instid0(VALU_DEP_2)
	v_mov_b32_e32 v81, v87
	scratch_store_b64 off, v[80:81], off offset:208
.LBB101_115:
	s_wait_xcnt 0x0
	s_or_b32 exec_lo, exec_lo, s33
	scratch_load_b64 v[80:81], off, off offset:200
	v_cmp_lt_u32_e64 s1, 25, v0
	s_wait_loadcnt 0x0
	ds_store_b64 v1, v[80:81]
	s_wait_storecnt_dscnt 0x0
	s_barrier_signal -1
	s_barrier_wait -1
	s_wait_xcnt 0x0
	s_and_saveexec_b32 s31, s1
	s_cbranch_execz .LBB101_125
; %bb.116:
	s_and_not1_b32 vcc_lo, exec_lo, s3
	s_cbranch_vccnz .LBB101_118
; %bb.117:
	scratch_load_b64 v[80:81], v59, off
	ds_load_b64 v[82:83], v1
	s_wait_loadcnt_dscnt 0x0
	v_pk_mul_f32 v[84:85], v[82:83], v[80:81] op_sel:[1,1] op_sel_hi:[0,1]
	s_delay_alu instid0(VALU_DEP_1) | instskip(SKIP_1) | instid1(VALU_DEP_2)
	v_pk_fma_f32 v[86:87], v[82:83], v[80:81], v[84:85] op_sel_hi:[1,0,1]
	v_pk_fma_f32 v[80:81], v[82:83], v[80:81], v[84:85] neg_lo:[0,0,1] neg_hi:[0,0,1]
	v_mov_b32_e32 v81, v87
	s_cbranch_execz .LBB101_119
	s_branch .LBB101_120
.LBB101_118:
                                        ; implicit-def: $vgpr80_vgpr81
.LBB101_119:
	ds_load_b64 v[80:81], v1
.LBB101_120:
	s_and_saveexec_b32 s33, s0
	s_cbranch_execz .LBB101_124
; %bb.121:
	v_subrev_nc_u32_e32 v82, 26, v0
	s_movk_i32 s34, 0x200
	s_mov_b32 s0, 0
.LBB101_122:                            ; =>This Inner Loop Header: Depth=1
	scratch_load_b64 v[84:85], off, s30
	v_dual_mov_b32 v83, s34 :: v_dual_add_nc_u32 v82, -1, v82
	s_add_co_i32 s34, s34, 8
	s_wait_xcnt 0x0
	s_add_co_i32 s30, s30, 8
	ds_load_b64 v[86:87], v83
	v_cmp_eq_u32_e32 vcc_lo, 0, v82
	s_or_b32 s0, vcc_lo, s0
	s_wait_loadcnt_dscnt 0x0
	v_pk_mul_f32 v[88:89], v[86:87], v[84:85] op_sel:[1,1] op_sel_hi:[0,1]
	s_delay_alu instid0(VALU_DEP_1) | instskip(SKIP_1) | instid1(VALU_DEP_2)
	v_pk_fma_f32 v[90:91], v[86:87], v[84:85], v[88:89] op_sel_hi:[1,0,1]
	v_pk_fma_f32 v[84:85], v[86:87], v[84:85], v[88:89] neg_lo:[0,0,1] neg_hi:[0,0,1]
	v_mov_b32_e32 v85, v91
	s_delay_alu instid0(VALU_DEP_1)
	v_pk_add_f32 v[80:81], v[80:81], v[84:85]
	s_and_not1_b32 exec_lo, exec_lo, s0
	s_cbranch_execnz .LBB101_122
; %bb.123:
	s_or_b32 exec_lo, exec_lo, s0
.LBB101_124:
	s_delay_alu instid0(SALU_CYCLE_1) | instskip(SKIP_4) | instid1(VALU_DEP_1)
	s_or_b32 exec_lo, exec_lo, s33
	v_mov_b32_e32 v82, 0
	ds_load_b64 v[82:83], v82 offset:200
	s_wait_dscnt 0x0
	v_pk_mul_f32 v[84:85], v[80:81], v[82:83] op_sel:[1,1] op_sel_hi:[0,1]
	v_pk_fma_f32 v[86:87], v[80:81], v[82:83], v[84:85] op_sel_hi:[1,0,1]
	v_pk_fma_f32 v[80:81], v[80:81], v[82:83], v[84:85] neg_lo:[0,0,1] neg_hi:[0,0,1]
	s_delay_alu instid0(VALU_DEP_2)
	v_mov_b32_e32 v81, v87
	scratch_store_b64 off, v[80:81], off offset:200
.LBB101_125:
	s_wait_xcnt 0x0
	s_or_b32 exec_lo, exec_lo, s31
	scratch_load_b64 v[80:81], off, off offset:192
	v_cmp_lt_u32_e64 s0, 24, v0
	s_wait_loadcnt 0x0
	ds_store_b64 v1, v[80:81]
	s_wait_storecnt_dscnt 0x0
	s_barrier_signal -1
	s_barrier_wait -1
	s_wait_xcnt 0x0
	s_and_saveexec_b32 s30, s0
	s_cbranch_execz .LBB101_135
; %bb.126:
	s_and_not1_b32 vcc_lo, exec_lo, s3
	s_cbranch_vccnz .LBB101_128
; %bb.127:
	scratch_load_b64 v[80:81], v59, off
	ds_load_b64 v[82:83], v1
	s_wait_loadcnt_dscnt 0x0
	v_pk_mul_f32 v[84:85], v[82:83], v[80:81] op_sel:[1,1] op_sel_hi:[0,1]
	s_delay_alu instid0(VALU_DEP_1) | instskip(SKIP_1) | instid1(VALU_DEP_2)
	v_pk_fma_f32 v[86:87], v[82:83], v[80:81], v[84:85] op_sel_hi:[1,0,1]
	v_pk_fma_f32 v[80:81], v[82:83], v[80:81], v[84:85] neg_lo:[0,0,1] neg_hi:[0,0,1]
	v_mov_b32_e32 v81, v87
	s_cbranch_execz .LBB101_129
	s_branch .LBB101_130
.LBB101_128:
                                        ; implicit-def: $vgpr80_vgpr81
.LBB101_129:
	ds_load_b64 v[80:81], v1
.LBB101_130:
	s_and_saveexec_b32 s31, s1
	s_cbranch_execz .LBB101_134
; %bb.131:
	v_subrev_nc_u32_e32 v82, 25, v0
	s_movk_i32 s33, 0x1f8
	s_mov_b32 s1, 0
.LBB101_132:                            ; =>This Inner Loop Header: Depth=1
	scratch_load_b64 v[84:85], off, s29
	v_dual_mov_b32 v83, s33 :: v_dual_add_nc_u32 v82, -1, v82
	s_add_co_i32 s33, s33, 8
	s_wait_xcnt 0x0
	s_add_co_i32 s29, s29, 8
	ds_load_b64 v[86:87], v83
	v_cmp_eq_u32_e32 vcc_lo, 0, v82
	s_or_b32 s1, vcc_lo, s1
	s_wait_loadcnt_dscnt 0x0
	v_pk_mul_f32 v[88:89], v[86:87], v[84:85] op_sel:[1,1] op_sel_hi:[0,1]
	s_delay_alu instid0(VALU_DEP_1) | instskip(SKIP_1) | instid1(VALU_DEP_2)
	v_pk_fma_f32 v[90:91], v[86:87], v[84:85], v[88:89] op_sel_hi:[1,0,1]
	v_pk_fma_f32 v[84:85], v[86:87], v[84:85], v[88:89] neg_lo:[0,0,1] neg_hi:[0,0,1]
	v_mov_b32_e32 v85, v91
	s_delay_alu instid0(VALU_DEP_1)
	v_pk_add_f32 v[80:81], v[80:81], v[84:85]
	s_and_not1_b32 exec_lo, exec_lo, s1
	s_cbranch_execnz .LBB101_132
; %bb.133:
	s_or_b32 exec_lo, exec_lo, s1
.LBB101_134:
	s_delay_alu instid0(SALU_CYCLE_1) | instskip(SKIP_4) | instid1(VALU_DEP_1)
	s_or_b32 exec_lo, exec_lo, s31
	v_mov_b32_e32 v82, 0
	ds_load_b64 v[82:83], v82 offset:192
	s_wait_dscnt 0x0
	v_pk_mul_f32 v[84:85], v[80:81], v[82:83] op_sel:[1,1] op_sel_hi:[0,1]
	v_pk_fma_f32 v[86:87], v[80:81], v[82:83], v[84:85] op_sel_hi:[1,0,1]
	v_pk_fma_f32 v[80:81], v[80:81], v[82:83], v[84:85] neg_lo:[0,0,1] neg_hi:[0,0,1]
	s_delay_alu instid0(VALU_DEP_2)
	v_mov_b32_e32 v81, v87
	scratch_store_b64 off, v[80:81], off offset:192
.LBB101_135:
	s_wait_xcnt 0x0
	s_or_b32 exec_lo, exec_lo, s30
	scratch_load_b64 v[80:81], off, off offset:184
	v_cmp_lt_u32_e64 s1, 23, v0
	s_wait_loadcnt 0x0
	ds_store_b64 v1, v[80:81]
	s_wait_storecnt_dscnt 0x0
	s_barrier_signal -1
	s_barrier_wait -1
	s_wait_xcnt 0x0
	s_and_saveexec_b32 s29, s1
	s_cbranch_execz .LBB101_145
; %bb.136:
	s_and_not1_b32 vcc_lo, exec_lo, s3
	s_cbranch_vccnz .LBB101_138
; %bb.137:
	scratch_load_b64 v[80:81], v59, off
	ds_load_b64 v[82:83], v1
	s_wait_loadcnt_dscnt 0x0
	v_pk_mul_f32 v[84:85], v[82:83], v[80:81] op_sel:[1,1] op_sel_hi:[0,1]
	s_delay_alu instid0(VALU_DEP_1) | instskip(SKIP_1) | instid1(VALU_DEP_2)
	v_pk_fma_f32 v[86:87], v[82:83], v[80:81], v[84:85] op_sel_hi:[1,0,1]
	v_pk_fma_f32 v[80:81], v[82:83], v[80:81], v[84:85] neg_lo:[0,0,1] neg_hi:[0,0,1]
	v_mov_b32_e32 v81, v87
	s_cbranch_execz .LBB101_139
	s_branch .LBB101_140
.LBB101_138:
                                        ; implicit-def: $vgpr80_vgpr81
.LBB101_139:
	ds_load_b64 v[80:81], v1
.LBB101_140:
	s_and_saveexec_b32 s30, s0
	s_cbranch_execz .LBB101_144
; %bb.141:
	v_subrev_nc_u32_e32 v82, 24, v0
	s_movk_i32 s31, 0x1f0
	s_mov_b32 s0, 0
.LBB101_142:                            ; =>This Inner Loop Header: Depth=1
	scratch_load_b64 v[84:85], off, s28
	v_dual_mov_b32 v83, s31 :: v_dual_add_nc_u32 v82, -1, v82
	s_add_co_i32 s31, s31, 8
	s_wait_xcnt 0x0
	s_add_co_i32 s28, s28, 8
	ds_load_b64 v[86:87], v83
	v_cmp_eq_u32_e32 vcc_lo, 0, v82
	s_or_b32 s0, vcc_lo, s0
	s_wait_loadcnt_dscnt 0x0
	v_pk_mul_f32 v[88:89], v[86:87], v[84:85] op_sel:[1,1] op_sel_hi:[0,1]
	s_delay_alu instid0(VALU_DEP_1) | instskip(SKIP_1) | instid1(VALU_DEP_2)
	v_pk_fma_f32 v[90:91], v[86:87], v[84:85], v[88:89] op_sel_hi:[1,0,1]
	v_pk_fma_f32 v[84:85], v[86:87], v[84:85], v[88:89] neg_lo:[0,0,1] neg_hi:[0,0,1]
	v_mov_b32_e32 v85, v91
	s_delay_alu instid0(VALU_DEP_1)
	v_pk_add_f32 v[80:81], v[80:81], v[84:85]
	s_and_not1_b32 exec_lo, exec_lo, s0
	s_cbranch_execnz .LBB101_142
; %bb.143:
	s_or_b32 exec_lo, exec_lo, s0
.LBB101_144:
	s_delay_alu instid0(SALU_CYCLE_1) | instskip(SKIP_4) | instid1(VALU_DEP_1)
	s_or_b32 exec_lo, exec_lo, s30
	v_mov_b32_e32 v82, 0
	ds_load_b64 v[82:83], v82 offset:184
	s_wait_dscnt 0x0
	v_pk_mul_f32 v[84:85], v[80:81], v[82:83] op_sel:[1,1] op_sel_hi:[0,1]
	v_pk_fma_f32 v[86:87], v[80:81], v[82:83], v[84:85] op_sel_hi:[1,0,1]
	v_pk_fma_f32 v[80:81], v[80:81], v[82:83], v[84:85] neg_lo:[0,0,1] neg_hi:[0,0,1]
	s_delay_alu instid0(VALU_DEP_2)
	v_mov_b32_e32 v81, v87
	scratch_store_b64 off, v[80:81], off offset:184
.LBB101_145:
	s_wait_xcnt 0x0
	s_or_b32 exec_lo, exec_lo, s29
	scratch_load_b64 v[80:81], off, off offset:176
	v_cmp_lt_u32_e64 s0, 22, v0
	s_wait_loadcnt 0x0
	ds_store_b64 v1, v[80:81]
	s_wait_storecnt_dscnt 0x0
	s_barrier_signal -1
	s_barrier_wait -1
	s_wait_xcnt 0x0
	s_and_saveexec_b32 s28, s0
	s_cbranch_execz .LBB101_155
; %bb.146:
	s_and_not1_b32 vcc_lo, exec_lo, s3
	s_cbranch_vccnz .LBB101_148
; %bb.147:
	scratch_load_b64 v[80:81], v59, off
	ds_load_b64 v[82:83], v1
	s_wait_loadcnt_dscnt 0x0
	v_pk_mul_f32 v[84:85], v[82:83], v[80:81] op_sel:[1,1] op_sel_hi:[0,1]
	s_delay_alu instid0(VALU_DEP_1) | instskip(SKIP_1) | instid1(VALU_DEP_2)
	v_pk_fma_f32 v[86:87], v[82:83], v[80:81], v[84:85] op_sel_hi:[1,0,1]
	v_pk_fma_f32 v[80:81], v[82:83], v[80:81], v[84:85] neg_lo:[0,0,1] neg_hi:[0,0,1]
	v_mov_b32_e32 v81, v87
	s_cbranch_execz .LBB101_149
	s_branch .LBB101_150
.LBB101_148:
                                        ; implicit-def: $vgpr80_vgpr81
.LBB101_149:
	ds_load_b64 v[80:81], v1
.LBB101_150:
	s_and_saveexec_b32 s29, s1
	s_cbranch_execz .LBB101_154
; %bb.151:
	v_subrev_nc_u32_e32 v82, 23, v0
	s_movk_i32 s30, 0x1e8
	s_mov_b32 s1, 0
.LBB101_152:                            ; =>This Inner Loop Header: Depth=1
	scratch_load_b64 v[84:85], off, s27
	v_dual_mov_b32 v83, s30 :: v_dual_add_nc_u32 v82, -1, v82
	s_add_co_i32 s30, s30, 8
	s_wait_xcnt 0x0
	s_add_co_i32 s27, s27, 8
	ds_load_b64 v[86:87], v83
	v_cmp_eq_u32_e32 vcc_lo, 0, v82
	s_or_b32 s1, vcc_lo, s1
	s_wait_loadcnt_dscnt 0x0
	v_pk_mul_f32 v[88:89], v[86:87], v[84:85] op_sel:[1,1] op_sel_hi:[0,1]
	s_delay_alu instid0(VALU_DEP_1) | instskip(SKIP_1) | instid1(VALU_DEP_2)
	v_pk_fma_f32 v[90:91], v[86:87], v[84:85], v[88:89] op_sel_hi:[1,0,1]
	v_pk_fma_f32 v[84:85], v[86:87], v[84:85], v[88:89] neg_lo:[0,0,1] neg_hi:[0,0,1]
	v_mov_b32_e32 v85, v91
	s_delay_alu instid0(VALU_DEP_1)
	v_pk_add_f32 v[80:81], v[80:81], v[84:85]
	s_and_not1_b32 exec_lo, exec_lo, s1
	s_cbranch_execnz .LBB101_152
; %bb.153:
	s_or_b32 exec_lo, exec_lo, s1
.LBB101_154:
	s_delay_alu instid0(SALU_CYCLE_1) | instskip(SKIP_4) | instid1(VALU_DEP_1)
	s_or_b32 exec_lo, exec_lo, s29
	v_mov_b32_e32 v82, 0
	ds_load_b64 v[82:83], v82 offset:176
	s_wait_dscnt 0x0
	v_pk_mul_f32 v[84:85], v[80:81], v[82:83] op_sel:[1,1] op_sel_hi:[0,1]
	v_pk_fma_f32 v[86:87], v[80:81], v[82:83], v[84:85] op_sel_hi:[1,0,1]
	v_pk_fma_f32 v[80:81], v[80:81], v[82:83], v[84:85] neg_lo:[0,0,1] neg_hi:[0,0,1]
	s_delay_alu instid0(VALU_DEP_2)
	v_mov_b32_e32 v81, v87
	scratch_store_b64 off, v[80:81], off offset:176
.LBB101_155:
	s_wait_xcnt 0x0
	s_or_b32 exec_lo, exec_lo, s28
	scratch_load_b64 v[80:81], off, off offset:168
	v_cmp_lt_u32_e64 s1, 21, v0
	s_wait_loadcnt 0x0
	ds_store_b64 v1, v[80:81]
	s_wait_storecnt_dscnt 0x0
	s_barrier_signal -1
	s_barrier_wait -1
	s_wait_xcnt 0x0
	s_and_saveexec_b32 s27, s1
	s_cbranch_execz .LBB101_165
; %bb.156:
	s_and_not1_b32 vcc_lo, exec_lo, s3
	s_cbranch_vccnz .LBB101_158
; %bb.157:
	scratch_load_b64 v[80:81], v59, off
	ds_load_b64 v[82:83], v1
	s_wait_loadcnt_dscnt 0x0
	v_pk_mul_f32 v[84:85], v[82:83], v[80:81] op_sel:[1,1] op_sel_hi:[0,1]
	s_delay_alu instid0(VALU_DEP_1) | instskip(SKIP_1) | instid1(VALU_DEP_2)
	v_pk_fma_f32 v[86:87], v[82:83], v[80:81], v[84:85] op_sel_hi:[1,0,1]
	v_pk_fma_f32 v[80:81], v[82:83], v[80:81], v[84:85] neg_lo:[0,0,1] neg_hi:[0,0,1]
	v_mov_b32_e32 v81, v87
	s_cbranch_execz .LBB101_159
	s_branch .LBB101_160
.LBB101_158:
                                        ; implicit-def: $vgpr80_vgpr81
.LBB101_159:
	ds_load_b64 v[80:81], v1
.LBB101_160:
	s_and_saveexec_b32 s28, s0
	s_cbranch_execz .LBB101_164
; %bb.161:
	v_subrev_nc_u32_e32 v82, 22, v0
	s_movk_i32 s29, 0x1e0
	s_mov_b32 s0, 0
.LBB101_162:                            ; =>This Inner Loop Header: Depth=1
	scratch_load_b64 v[84:85], off, s26
	v_dual_mov_b32 v83, s29 :: v_dual_add_nc_u32 v82, -1, v82
	s_add_co_i32 s29, s29, 8
	s_wait_xcnt 0x0
	s_add_co_i32 s26, s26, 8
	ds_load_b64 v[86:87], v83
	v_cmp_eq_u32_e32 vcc_lo, 0, v82
	s_or_b32 s0, vcc_lo, s0
	s_wait_loadcnt_dscnt 0x0
	v_pk_mul_f32 v[88:89], v[86:87], v[84:85] op_sel:[1,1] op_sel_hi:[0,1]
	s_delay_alu instid0(VALU_DEP_1) | instskip(SKIP_1) | instid1(VALU_DEP_2)
	v_pk_fma_f32 v[90:91], v[86:87], v[84:85], v[88:89] op_sel_hi:[1,0,1]
	v_pk_fma_f32 v[84:85], v[86:87], v[84:85], v[88:89] neg_lo:[0,0,1] neg_hi:[0,0,1]
	v_mov_b32_e32 v85, v91
	s_delay_alu instid0(VALU_DEP_1)
	v_pk_add_f32 v[80:81], v[80:81], v[84:85]
	s_and_not1_b32 exec_lo, exec_lo, s0
	s_cbranch_execnz .LBB101_162
; %bb.163:
	s_or_b32 exec_lo, exec_lo, s0
.LBB101_164:
	s_delay_alu instid0(SALU_CYCLE_1) | instskip(SKIP_4) | instid1(VALU_DEP_1)
	s_or_b32 exec_lo, exec_lo, s28
	v_mov_b32_e32 v82, 0
	ds_load_b64 v[82:83], v82 offset:168
	s_wait_dscnt 0x0
	v_pk_mul_f32 v[84:85], v[80:81], v[82:83] op_sel:[1,1] op_sel_hi:[0,1]
	v_pk_fma_f32 v[86:87], v[80:81], v[82:83], v[84:85] op_sel_hi:[1,0,1]
	v_pk_fma_f32 v[80:81], v[80:81], v[82:83], v[84:85] neg_lo:[0,0,1] neg_hi:[0,0,1]
	s_delay_alu instid0(VALU_DEP_2)
	v_mov_b32_e32 v81, v87
	scratch_store_b64 off, v[80:81], off offset:168
.LBB101_165:
	s_wait_xcnt 0x0
	s_or_b32 exec_lo, exec_lo, s27
	scratch_load_b64 v[80:81], off, off offset:160
	v_cmp_lt_u32_e64 s0, 20, v0
	s_wait_loadcnt 0x0
	ds_store_b64 v1, v[80:81]
	s_wait_storecnt_dscnt 0x0
	s_barrier_signal -1
	s_barrier_wait -1
	s_wait_xcnt 0x0
	s_and_saveexec_b32 s26, s0
	s_cbranch_execz .LBB101_175
; %bb.166:
	s_and_not1_b32 vcc_lo, exec_lo, s3
	s_cbranch_vccnz .LBB101_168
; %bb.167:
	scratch_load_b64 v[80:81], v59, off
	ds_load_b64 v[82:83], v1
	s_wait_loadcnt_dscnt 0x0
	v_pk_mul_f32 v[84:85], v[82:83], v[80:81] op_sel:[1,1] op_sel_hi:[0,1]
	s_delay_alu instid0(VALU_DEP_1) | instskip(SKIP_1) | instid1(VALU_DEP_2)
	v_pk_fma_f32 v[86:87], v[82:83], v[80:81], v[84:85] op_sel_hi:[1,0,1]
	v_pk_fma_f32 v[80:81], v[82:83], v[80:81], v[84:85] neg_lo:[0,0,1] neg_hi:[0,0,1]
	v_mov_b32_e32 v81, v87
	s_cbranch_execz .LBB101_169
	s_branch .LBB101_170
.LBB101_168:
                                        ; implicit-def: $vgpr80_vgpr81
.LBB101_169:
	ds_load_b64 v[80:81], v1
.LBB101_170:
	s_and_saveexec_b32 s27, s1
	s_cbranch_execz .LBB101_174
; %bb.171:
	v_subrev_nc_u32_e32 v82, 21, v0
	s_movk_i32 s28, 0x1d8
	s_mov_b32 s1, 0
.LBB101_172:                            ; =>This Inner Loop Header: Depth=1
	scratch_load_b64 v[84:85], off, s25
	v_dual_mov_b32 v83, s28 :: v_dual_add_nc_u32 v82, -1, v82
	s_add_co_i32 s28, s28, 8
	s_wait_xcnt 0x0
	s_add_co_i32 s25, s25, 8
	ds_load_b64 v[86:87], v83
	v_cmp_eq_u32_e32 vcc_lo, 0, v82
	s_or_b32 s1, vcc_lo, s1
	s_wait_loadcnt_dscnt 0x0
	v_pk_mul_f32 v[88:89], v[86:87], v[84:85] op_sel:[1,1] op_sel_hi:[0,1]
	s_delay_alu instid0(VALU_DEP_1) | instskip(SKIP_1) | instid1(VALU_DEP_2)
	v_pk_fma_f32 v[90:91], v[86:87], v[84:85], v[88:89] op_sel_hi:[1,0,1]
	v_pk_fma_f32 v[84:85], v[86:87], v[84:85], v[88:89] neg_lo:[0,0,1] neg_hi:[0,0,1]
	v_mov_b32_e32 v85, v91
	s_delay_alu instid0(VALU_DEP_1)
	v_pk_add_f32 v[80:81], v[80:81], v[84:85]
	s_and_not1_b32 exec_lo, exec_lo, s1
	s_cbranch_execnz .LBB101_172
; %bb.173:
	s_or_b32 exec_lo, exec_lo, s1
.LBB101_174:
	s_delay_alu instid0(SALU_CYCLE_1) | instskip(SKIP_4) | instid1(VALU_DEP_1)
	s_or_b32 exec_lo, exec_lo, s27
	v_mov_b32_e32 v82, 0
	ds_load_b64 v[82:83], v82 offset:160
	s_wait_dscnt 0x0
	v_pk_mul_f32 v[84:85], v[80:81], v[82:83] op_sel:[1,1] op_sel_hi:[0,1]
	v_pk_fma_f32 v[86:87], v[80:81], v[82:83], v[84:85] op_sel_hi:[1,0,1]
	v_pk_fma_f32 v[80:81], v[80:81], v[82:83], v[84:85] neg_lo:[0,0,1] neg_hi:[0,0,1]
	s_delay_alu instid0(VALU_DEP_2)
	v_mov_b32_e32 v81, v87
	scratch_store_b64 off, v[80:81], off offset:160
.LBB101_175:
	s_wait_xcnt 0x0
	s_or_b32 exec_lo, exec_lo, s26
	scratch_load_b64 v[80:81], off, off offset:152
	v_cmp_lt_u32_e64 s1, 19, v0
	s_wait_loadcnt 0x0
	ds_store_b64 v1, v[80:81]
	s_wait_storecnt_dscnt 0x0
	s_barrier_signal -1
	s_barrier_wait -1
	s_wait_xcnt 0x0
	s_and_saveexec_b32 s25, s1
	s_cbranch_execz .LBB101_185
; %bb.176:
	s_and_not1_b32 vcc_lo, exec_lo, s3
	s_cbranch_vccnz .LBB101_178
; %bb.177:
	scratch_load_b64 v[80:81], v59, off
	ds_load_b64 v[82:83], v1
	s_wait_loadcnt_dscnt 0x0
	v_pk_mul_f32 v[84:85], v[82:83], v[80:81] op_sel:[1,1] op_sel_hi:[0,1]
	s_delay_alu instid0(VALU_DEP_1) | instskip(SKIP_1) | instid1(VALU_DEP_2)
	v_pk_fma_f32 v[86:87], v[82:83], v[80:81], v[84:85] op_sel_hi:[1,0,1]
	v_pk_fma_f32 v[80:81], v[82:83], v[80:81], v[84:85] neg_lo:[0,0,1] neg_hi:[0,0,1]
	v_mov_b32_e32 v81, v87
	s_cbranch_execz .LBB101_179
	s_branch .LBB101_180
.LBB101_178:
                                        ; implicit-def: $vgpr80_vgpr81
.LBB101_179:
	ds_load_b64 v[80:81], v1
.LBB101_180:
	s_and_saveexec_b32 s26, s0
	s_cbranch_execz .LBB101_184
; %bb.181:
	v_subrev_nc_u32_e32 v82, 20, v0
	s_movk_i32 s27, 0x1d0
	s_mov_b32 s0, 0
.LBB101_182:                            ; =>This Inner Loop Header: Depth=1
	scratch_load_b64 v[84:85], off, s24
	v_dual_mov_b32 v83, s27 :: v_dual_add_nc_u32 v82, -1, v82
	s_add_co_i32 s27, s27, 8
	s_wait_xcnt 0x0
	s_add_co_i32 s24, s24, 8
	ds_load_b64 v[86:87], v83
	v_cmp_eq_u32_e32 vcc_lo, 0, v82
	s_or_b32 s0, vcc_lo, s0
	s_wait_loadcnt_dscnt 0x0
	v_pk_mul_f32 v[88:89], v[86:87], v[84:85] op_sel:[1,1] op_sel_hi:[0,1]
	s_delay_alu instid0(VALU_DEP_1) | instskip(SKIP_1) | instid1(VALU_DEP_2)
	v_pk_fma_f32 v[90:91], v[86:87], v[84:85], v[88:89] op_sel_hi:[1,0,1]
	v_pk_fma_f32 v[84:85], v[86:87], v[84:85], v[88:89] neg_lo:[0,0,1] neg_hi:[0,0,1]
	v_mov_b32_e32 v85, v91
	s_delay_alu instid0(VALU_DEP_1)
	v_pk_add_f32 v[80:81], v[80:81], v[84:85]
	s_and_not1_b32 exec_lo, exec_lo, s0
	s_cbranch_execnz .LBB101_182
; %bb.183:
	s_or_b32 exec_lo, exec_lo, s0
.LBB101_184:
	s_delay_alu instid0(SALU_CYCLE_1) | instskip(SKIP_4) | instid1(VALU_DEP_1)
	s_or_b32 exec_lo, exec_lo, s26
	v_mov_b32_e32 v82, 0
	ds_load_b64 v[82:83], v82 offset:152
	s_wait_dscnt 0x0
	v_pk_mul_f32 v[84:85], v[80:81], v[82:83] op_sel:[1,1] op_sel_hi:[0,1]
	v_pk_fma_f32 v[86:87], v[80:81], v[82:83], v[84:85] op_sel_hi:[1,0,1]
	v_pk_fma_f32 v[80:81], v[80:81], v[82:83], v[84:85] neg_lo:[0,0,1] neg_hi:[0,0,1]
	s_delay_alu instid0(VALU_DEP_2)
	v_mov_b32_e32 v81, v87
	scratch_store_b64 off, v[80:81], off offset:152
.LBB101_185:
	s_wait_xcnt 0x0
	s_or_b32 exec_lo, exec_lo, s25
	scratch_load_b64 v[80:81], off, off offset:144
	v_cmp_lt_u32_e64 s0, 18, v0
	s_wait_loadcnt 0x0
	ds_store_b64 v1, v[80:81]
	s_wait_storecnt_dscnt 0x0
	s_barrier_signal -1
	s_barrier_wait -1
	s_wait_xcnt 0x0
	s_and_saveexec_b32 s24, s0
	s_cbranch_execz .LBB101_195
; %bb.186:
	s_and_not1_b32 vcc_lo, exec_lo, s3
	s_cbranch_vccnz .LBB101_188
; %bb.187:
	scratch_load_b64 v[80:81], v59, off
	ds_load_b64 v[82:83], v1
	s_wait_loadcnt_dscnt 0x0
	v_pk_mul_f32 v[84:85], v[82:83], v[80:81] op_sel:[1,1] op_sel_hi:[0,1]
	s_delay_alu instid0(VALU_DEP_1) | instskip(SKIP_1) | instid1(VALU_DEP_2)
	v_pk_fma_f32 v[86:87], v[82:83], v[80:81], v[84:85] op_sel_hi:[1,0,1]
	v_pk_fma_f32 v[80:81], v[82:83], v[80:81], v[84:85] neg_lo:[0,0,1] neg_hi:[0,0,1]
	v_mov_b32_e32 v81, v87
	s_cbranch_execz .LBB101_189
	s_branch .LBB101_190
.LBB101_188:
                                        ; implicit-def: $vgpr80_vgpr81
.LBB101_189:
	ds_load_b64 v[80:81], v1
.LBB101_190:
	s_and_saveexec_b32 s25, s1
	s_cbranch_execz .LBB101_194
; %bb.191:
	v_subrev_nc_u32_e32 v82, 19, v0
	s_movk_i32 s26, 0x1c8
	s_mov_b32 s1, 0
.LBB101_192:                            ; =>This Inner Loop Header: Depth=1
	scratch_load_b64 v[84:85], off, s23
	v_dual_mov_b32 v83, s26 :: v_dual_add_nc_u32 v82, -1, v82
	s_add_co_i32 s26, s26, 8
	s_wait_xcnt 0x0
	s_add_co_i32 s23, s23, 8
	ds_load_b64 v[86:87], v83
	v_cmp_eq_u32_e32 vcc_lo, 0, v82
	s_or_b32 s1, vcc_lo, s1
	s_wait_loadcnt_dscnt 0x0
	v_pk_mul_f32 v[88:89], v[86:87], v[84:85] op_sel:[1,1] op_sel_hi:[0,1]
	s_delay_alu instid0(VALU_DEP_1) | instskip(SKIP_1) | instid1(VALU_DEP_2)
	v_pk_fma_f32 v[90:91], v[86:87], v[84:85], v[88:89] op_sel_hi:[1,0,1]
	v_pk_fma_f32 v[84:85], v[86:87], v[84:85], v[88:89] neg_lo:[0,0,1] neg_hi:[0,0,1]
	v_mov_b32_e32 v85, v91
	s_delay_alu instid0(VALU_DEP_1)
	v_pk_add_f32 v[80:81], v[80:81], v[84:85]
	s_and_not1_b32 exec_lo, exec_lo, s1
	s_cbranch_execnz .LBB101_192
; %bb.193:
	s_or_b32 exec_lo, exec_lo, s1
.LBB101_194:
	s_delay_alu instid0(SALU_CYCLE_1) | instskip(SKIP_4) | instid1(VALU_DEP_1)
	s_or_b32 exec_lo, exec_lo, s25
	v_mov_b32_e32 v82, 0
	ds_load_b64 v[82:83], v82 offset:144
	s_wait_dscnt 0x0
	v_pk_mul_f32 v[84:85], v[80:81], v[82:83] op_sel:[1,1] op_sel_hi:[0,1]
	v_pk_fma_f32 v[86:87], v[80:81], v[82:83], v[84:85] op_sel_hi:[1,0,1]
	v_pk_fma_f32 v[80:81], v[80:81], v[82:83], v[84:85] neg_lo:[0,0,1] neg_hi:[0,0,1]
	s_delay_alu instid0(VALU_DEP_2)
	v_mov_b32_e32 v81, v87
	scratch_store_b64 off, v[80:81], off offset:144
.LBB101_195:
	s_wait_xcnt 0x0
	s_or_b32 exec_lo, exec_lo, s24
	scratch_load_b64 v[80:81], off, off offset:136
	v_cmp_lt_u32_e64 s1, 17, v0
	s_wait_loadcnt 0x0
	ds_store_b64 v1, v[80:81]
	s_wait_storecnt_dscnt 0x0
	s_barrier_signal -1
	s_barrier_wait -1
	s_wait_xcnt 0x0
	s_and_saveexec_b32 s23, s1
	s_cbranch_execz .LBB101_205
; %bb.196:
	s_and_not1_b32 vcc_lo, exec_lo, s3
	s_cbranch_vccnz .LBB101_198
; %bb.197:
	scratch_load_b64 v[80:81], v59, off
	ds_load_b64 v[82:83], v1
	s_wait_loadcnt_dscnt 0x0
	v_pk_mul_f32 v[84:85], v[82:83], v[80:81] op_sel:[1,1] op_sel_hi:[0,1]
	s_delay_alu instid0(VALU_DEP_1) | instskip(SKIP_1) | instid1(VALU_DEP_2)
	v_pk_fma_f32 v[86:87], v[82:83], v[80:81], v[84:85] op_sel_hi:[1,0,1]
	v_pk_fma_f32 v[80:81], v[82:83], v[80:81], v[84:85] neg_lo:[0,0,1] neg_hi:[0,0,1]
	v_mov_b32_e32 v81, v87
	s_cbranch_execz .LBB101_199
	s_branch .LBB101_200
.LBB101_198:
                                        ; implicit-def: $vgpr80_vgpr81
.LBB101_199:
	ds_load_b64 v[80:81], v1
.LBB101_200:
	s_and_saveexec_b32 s24, s0
	s_cbranch_execz .LBB101_204
; %bb.201:
	v_subrev_nc_u32_e32 v82, 18, v0
	s_movk_i32 s25, 0x1c0
	s_mov_b32 s0, 0
.LBB101_202:                            ; =>This Inner Loop Header: Depth=1
	scratch_load_b64 v[84:85], off, s22
	v_dual_mov_b32 v83, s25 :: v_dual_add_nc_u32 v82, -1, v82
	s_add_co_i32 s25, s25, 8
	s_wait_xcnt 0x0
	s_add_co_i32 s22, s22, 8
	ds_load_b64 v[86:87], v83
	v_cmp_eq_u32_e32 vcc_lo, 0, v82
	s_or_b32 s0, vcc_lo, s0
	s_wait_loadcnt_dscnt 0x0
	v_pk_mul_f32 v[88:89], v[86:87], v[84:85] op_sel:[1,1] op_sel_hi:[0,1]
	s_delay_alu instid0(VALU_DEP_1) | instskip(SKIP_1) | instid1(VALU_DEP_2)
	v_pk_fma_f32 v[90:91], v[86:87], v[84:85], v[88:89] op_sel_hi:[1,0,1]
	v_pk_fma_f32 v[84:85], v[86:87], v[84:85], v[88:89] neg_lo:[0,0,1] neg_hi:[0,0,1]
	v_mov_b32_e32 v85, v91
	s_delay_alu instid0(VALU_DEP_1)
	v_pk_add_f32 v[80:81], v[80:81], v[84:85]
	s_and_not1_b32 exec_lo, exec_lo, s0
	s_cbranch_execnz .LBB101_202
; %bb.203:
	s_or_b32 exec_lo, exec_lo, s0
.LBB101_204:
	s_delay_alu instid0(SALU_CYCLE_1) | instskip(SKIP_4) | instid1(VALU_DEP_1)
	s_or_b32 exec_lo, exec_lo, s24
	v_mov_b32_e32 v82, 0
	ds_load_b64 v[82:83], v82 offset:136
	s_wait_dscnt 0x0
	v_pk_mul_f32 v[84:85], v[80:81], v[82:83] op_sel:[1,1] op_sel_hi:[0,1]
	v_pk_fma_f32 v[86:87], v[80:81], v[82:83], v[84:85] op_sel_hi:[1,0,1]
	v_pk_fma_f32 v[80:81], v[80:81], v[82:83], v[84:85] neg_lo:[0,0,1] neg_hi:[0,0,1]
	s_delay_alu instid0(VALU_DEP_2)
	v_mov_b32_e32 v81, v87
	scratch_store_b64 off, v[80:81], off offset:136
.LBB101_205:
	s_wait_xcnt 0x0
	s_or_b32 exec_lo, exec_lo, s23
	scratch_load_b64 v[80:81], off, off offset:128
	v_cmp_lt_u32_e64 s0, 16, v0
	s_wait_loadcnt 0x0
	ds_store_b64 v1, v[80:81]
	s_wait_storecnt_dscnt 0x0
	s_barrier_signal -1
	s_barrier_wait -1
	s_wait_xcnt 0x0
	s_and_saveexec_b32 s22, s0
	s_cbranch_execz .LBB101_215
; %bb.206:
	s_and_not1_b32 vcc_lo, exec_lo, s3
	s_cbranch_vccnz .LBB101_208
; %bb.207:
	scratch_load_b64 v[80:81], v59, off
	ds_load_b64 v[82:83], v1
	s_wait_loadcnt_dscnt 0x0
	v_pk_mul_f32 v[84:85], v[82:83], v[80:81] op_sel:[1,1] op_sel_hi:[0,1]
	s_delay_alu instid0(VALU_DEP_1) | instskip(SKIP_1) | instid1(VALU_DEP_2)
	v_pk_fma_f32 v[86:87], v[82:83], v[80:81], v[84:85] op_sel_hi:[1,0,1]
	v_pk_fma_f32 v[80:81], v[82:83], v[80:81], v[84:85] neg_lo:[0,0,1] neg_hi:[0,0,1]
	v_mov_b32_e32 v81, v87
	s_cbranch_execz .LBB101_209
	s_branch .LBB101_210
.LBB101_208:
                                        ; implicit-def: $vgpr80_vgpr81
.LBB101_209:
	ds_load_b64 v[80:81], v1
.LBB101_210:
	s_and_saveexec_b32 s23, s1
	s_cbranch_execz .LBB101_214
; %bb.211:
	v_subrev_nc_u32_e32 v82, 17, v0
	s_movk_i32 s24, 0x1b8
	s_mov_b32 s1, 0
.LBB101_212:                            ; =>This Inner Loop Header: Depth=1
	scratch_load_b64 v[84:85], off, s21
	v_dual_mov_b32 v83, s24 :: v_dual_add_nc_u32 v82, -1, v82
	s_add_co_i32 s24, s24, 8
	s_wait_xcnt 0x0
	s_add_co_i32 s21, s21, 8
	ds_load_b64 v[86:87], v83
	v_cmp_eq_u32_e32 vcc_lo, 0, v82
	s_or_b32 s1, vcc_lo, s1
	s_wait_loadcnt_dscnt 0x0
	v_pk_mul_f32 v[88:89], v[86:87], v[84:85] op_sel:[1,1] op_sel_hi:[0,1]
	s_delay_alu instid0(VALU_DEP_1) | instskip(SKIP_1) | instid1(VALU_DEP_2)
	v_pk_fma_f32 v[90:91], v[86:87], v[84:85], v[88:89] op_sel_hi:[1,0,1]
	v_pk_fma_f32 v[84:85], v[86:87], v[84:85], v[88:89] neg_lo:[0,0,1] neg_hi:[0,0,1]
	v_mov_b32_e32 v85, v91
	s_delay_alu instid0(VALU_DEP_1)
	v_pk_add_f32 v[80:81], v[80:81], v[84:85]
	s_and_not1_b32 exec_lo, exec_lo, s1
	s_cbranch_execnz .LBB101_212
; %bb.213:
	s_or_b32 exec_lo, exec_lo, s1
.LBB101_214:
	s_delay_alu instid0(SALU_CYCLE_1) | instskip(SKIP_4) | instid1(VALU_DEP_1)
	s_or_b32 exec_lo, exec_lo, s23
	v_mov_b32_e32 v82, 0
	ds_load_b64 v[82:83], v82 offset:128
	s_wait_dscnt 0x0
	v_pk_mul_f32 v[84:85], v[80:81], v[82:83] op_sel:[1,1] op_sel_hi:[0,1]
	v_pk_fma_f32 v[86:87], v[80:81], v[82:83], v[84:85] op_sel_hi:[1,0,1]
	v_pk_fma_f32 v[80:81], v[80:81], v[82:83], v[84:85] neg_lo:[0,0,1] neg_hi:[0,0,1]
	s_delay_alu instid0(VALU_DEP_2)
	v_mov_b32_e32 v81, v87
	scratch_store_b64 off, v[80:81], off offset:128
.LBB101_215:
	s_wait_xcnt 0x0
	s_or_b32 exec_lo, exec_lo, s22
	scratch_load_b64 v[80:81], off, off offset:120
	v_cmp_lt_u32_e64 s1, 15, v0
	s_wait_loadcnt 0x0
	ds_store_b64 v1, v[80:81]
	s_wait_storecnt_dscnt 0x0
	s_barrier_signal -1
	s_barrier_wait -1
	s_wait_xcnt 0x0
	s_and_saveexec_b32 s21, s1
	s_cbranch_execz .LBB101_225
; %bb.216:
	s_and_not1_b32 vcc_lo, exec_lo, s3
	s_cbranch_vccnz .LBB101_218
; %bb.217:
	scratch_load_b64 v[80:81], v59, off
	ds_load_b64 v[82:83], v1
	s_wait_loadcnt_dscnt 0x0
	v_pk_mul_f32 v[84:85], v[82:83], v[80:81] op_sel:[1,1] op_sel_hi:[0,1]
	s_delay_alu instid0(VALU_DEP_1) | instskip(SKIP_1) | instid1(VALU_DEP_2)
	v_pk_fma_f32 v[86:87], v[82:83], v[80:81], v[84:85] op_sel_hi:[1,0,1]
	v_pk_fma_f32 v[80:81], v[82:83], v[80:81], v[84:85] neg_lo:[0,0,1] neg_hi:[0,0,1]
	v_mov_b32_e32 v81, v87
	s_cbranch_execz .LBB101_219
	s_branch .LBB101_220
.LBB101_218:
                                        ; implicit-def: $vgpr80_vgpr81
.LBB101_219:
	ds_load_b64 v[80:81], v1
.LBB101_220:
	s_and_saveexec_b32 s22, s0
	s_cbranch_execz .LBB101_224
; %bb.221:
	v_add_nc_u32_e32 v82, -16, v0
	s_movk_i32 s23, 0x1b0
	s_mov_b32 s0, 0
.LBB101_222:                            ; =>This Inner Loop Header: Depth=1
	scratch_load_b64 v[84:85], off, s20
	v_dual_mov_b32 v83, s23 :: v_dual_add_nc_u32 v82, -1, v82
	s_add_co_i32 s23, s23, 8
	s_wait_xcnt 0x0
	s_add_co_i32 s20, s20, 8
	ds_load_b64 v[86:87], v83
	v_cmp_eq_u32_e32 vcc_lo, 0, v82
	s_or_b32 s0, vcc_lo, s0
	s_wait_loadcnt_dscnt 0x0
	v_pk_mul_f32 v[88:89], v[86:87], v[84:85] op_sel:[1,1] op_sel_hi:[0,1]
	s_delay_alu instid0(VALU_DEP_1) | instskip(SKIP_1) | instid1(VALU_DEP_2)
	v_pk_fma_f32 v[90:91], v[86:87], v[84:85], v[88:89] op_sel_hi:[1,0,1]
	v_pk_fma_f32 v[84:85], v[86:87], v[84:85], v[88:89] neg_lo:[0,0,1] neg_hi:[0,0,1]
	v_mov_b32_e32 v85, v91
	s_delay_alu instid0(VALU_DEP_1)
	v_pk_add_f32 v[80:81], v[80:81], v[84:85]
	s_and_not1_b32 exec_lo, exec_lo, s0
	s_cbranch_execnz .LBB101_222
; %bb.223:
	s_or_b32 exec_lo, exec_lo, s0
.LBB101_224:
	s_delay_alu instid0(SALU_CYCLE_1) | instskip(SKIP_4) | instid1(VALU_DEP_1)
	s_or_b32 exec_lo, exec_lo, s22
	v_mov_b32_e32 v82, 0
	ds_load_b64 v[82:83], v82 offset:120
	s_wait_dscnt 0x0
	v_pk_mul_f32 v[84:85], v[80:81], v[82:83] op_sel:[1,1] op_sel_hi:[0,1]
	v_pk_fma_f32 v[86:87], v[80:81], v[82:83], v[84:85] op_sel_hi:[1,0,1]
	v_pk_fma_f32 v[80:81], v[80:81], v[82:83], v[84:85] neg_lo:[0,0,1] neg_hi:[0,0,1]
	s_delay_alu instid0(VALU_DEP_2)
	v_mov_b32_e32 v81, v87
	scratch_store_b64 off, v[80:81], off offset:120
.LBB101_225:
	s_wait_xcnt 0x0
	s_or_b32 exec_lo, exec_lo, s21
	scratch_load_b64 v[80:81], off, off offset:112
	v_cmp_lt_u32_e64 s0, 14, v0
	s_wait_loadcnt 0x0
	ds_store_b64 v1, v[80:81]
	s_wait_storecnt_dscnt 0x0
	s_barrier_signal -1
	s_barrier_wait -1
	s_wait_xcnt 0x0
	s_and_saveexec_b32 s20, s0
	s_cbranch_execz .LBB101_235
; %bb.226:
	s_and_not1_b32 vcc_lo, exec_lo, s3
	s_cbranch_vccnz .LBB101_228
; %bb.227:
	scratch_load_b64 v[80:81], v59, off
	ds_load_b64 v[82:83], v1
	s_wait_loadcnt_dscnt 0x0
	v_pk_mul_f32 v[84:85], v[82:83], v[80:81] op_sel:[1,1] op_sel_hi:[0,1]
	s_delay_alu instid0(VALU_DEP_1) | instskip(SKIP_1) | instid1(VALU_DEP_2)
	v_pk_fma_f32 v[86:87], v[82:83], v[80:81], v[84:85] op_sel_hi:[1,0,1]
	v_pk_fma_f32 v[80:81], v[82:83], v[80:81], v[84:85] neg_lo:[0,0,1] neg_hi:[0,0,1]
	v_mov_b32_e32 v81, v87
	s_cbranch_execz .LBB101_229
	s_branch .LBB101_230
.LBB101_228:
                                        ; implicit-def: $vgpr80_vgpr81
.LBB101_229:
	ds_load_b64 v[80:81], v1
.LBB101_230:
	s_and_saveexec_b32 s21, s1
	s_cbranch_execz .LBB101_234
; %bb.231:
	v_add_nc_u32_e32 v82, -15, v0
	s_movk_i32 s22, 0x1a8
	s_mov_b32 s1, 0
.LBB101_232:                            ; =>This Inner Loop Header: Depth=1
	scratch_load_b64 v[84:85], off, s19
	v_dual_mov_b32 v83, s22 :: v_dual_add_nc_u32 v82, -1, v82
	s_add_co_i32 s22, s22, 8
	s_wait_xcnt 0x0
	s_add_co_i32 s19, s19, 8
	ds_load_b64 v[86:87], v83
	v_cmp_eq_u32_e32 vcc_lo, 0, v82
	s_or_b32 s1, vcc_lo, s1
	s_wait_loadcnt_dscnt 0x0
	v_pk_mul_f32 v[88:89], v[86:87], v[84:85] op_sel:[1,1] op_sel_hi:[0,1]
	s_delay_alu instid0(VALU_DEP_1) | instskip(SKIP_1) | instid1(VALU_DEP_2)
	v_pk_fma_f32 v[90:91], v[86:87], v[84:85], v[88:89] op_sel_hi:[1,0,1]
	v_pk_fma_f32 v[84:85], v[86:87], v[84:85], v[88:89] neg_lo:[0,0,1] neg_hi:[0,0,1]
	v_mov_b32_e32 v85, v91
	s_delay_alu instid0(VALU_DEP_1)
	v_pk_add_f32 v[80:81], v[80:81], v[84:85]
	s_and_not1_b32 exec_lo, exec_lo, s1
	s_cbranch_execnz .LBB101_232
; %bb.233:
	s_or_b32 exec_lo, exec_lo, s1
.LBB101_234:
	s_delay_alu instid0(SALU_CYCLE_1) | instskip(SKIP_4) | instid1(VALU_DEP_1)
	s_or_b32 exec_lo, exec_lo, s21
	v_mov_b32_e32 v82, 0
	ds_load_b64 v[82:83], v82 offset:112
	s_wait_dscnt 0x0
	v_pk_mul_f32 v[84:85], v[80:81], v[82:83] op_sel:[1,1] op_sel_hi:[0,1]
	v_pk_fma_f32 v[86:87], v[80:81], v[82:83], v[84:85] op_sel_hi:[1,0,1]
	v_pk_fma_f32 v[80:81], v[80:81], v[82:83], v[84:85] neg_lo:[0,0,1] neg_hi:[0,0,1]
	s_delay_alu instid0(VALU_DEP_2)
	v_mov_b32_e32 v81, v87
	scratch_store_b64 off, v[80:81], off offset:112
.LBB101_235:
	s_wait_xcnt 0x0
	s_or_b32 exec_lo, exec_lo, s20
	scratch_load_b64 v[80:81], off, off offset:104
	v_cmp_lt_u32_e64 s1, 13, v0
	s_wait_loadcnt 0x0
	ds_store_b64 v1, v[80:81]
	s_wait_storecnt_dscnt 0x0
	s_barrier_signal -1
	s_barrier_wait -1
	s_wait_xcnt 0x0
	s_and_saveexec_b32 s19, s1
	s_cbranch_execz .LBB101_245
; %bb.236:
	s_and_not1_b32 vcc_lo, exec_lo, s3
	s_cbranch_vccnz .LBB101_238
; %bb.237:
	scratch_load_b64 v[80:81], v59, off
	ds_load_b64 v[82:83], v1
	s_wait_loadcnt_dscnt 0x0
	v_pk_mul_f32 v[84:85], v[82:83], v[80:81] op_sel:[1,1] op_sel_hi:[0,1]
	s_delay_alu instid0(VALU_DEP_1) | instskip(SKIP_1) | instid1(VALU_DEP_2)
	v_pk_fma_f32 v[86:87], v[82:83], v[80:81], v[84:85] op_sel_hi:[1,0,1]
	v_pk_fma_f32 v[80:81], v[82:83], v[80:81], v[84:85] neg_lo:[0,0,1] neg_hi:[0,0,1]
	v_mov_b32_e32 v81, v87
	s_cbranch_execz .LBB101_239
	s_branch .LBB101_240
.LBB101_238:
                                        ; implicit-def: $vgpr80_vgpr81
.LBB101_239:
	ds_load_b64 v[80:81], v1
.LBB101_240:
	s_and_saveexec_b32 s20, s0
	s_cbranch_execz .LBB101_244
; %bb.241:
	v_add_nc_u32_e32 v82, -14, v0
	s_movk_i32 s21, 0x1a0
	s_mov_b32 s0, 0
.LBB101_242:                            ; =>This Inner Loop Header: Depth=1
	scratch_load_b64 v[84:85], off, s18
	v_dual_mov_b32 v83, s21 :: v_dual_add_nc_u32 v82, -1, v82
	s_add_co_i32 s21, s21, 8
	s_wait_xcnt 0x0
	s_add_co_i32 s18, s18, 8
	ds_load_b64 v[86:87], v83
	v_cmp_eq_u32_e32 vcc_lo, 0, v82
	s_or_b32 s0, vcc_lo, s0
	s_wait_loadcnt_dscnt 0x0
	v_pk_mul_f32 v[88:89], v[86:87], v[84:85] op_sel:[1,1] op_sel_hi:[0,1]
	s_delay_alu instid0(VALU_DEP_1) | instskip(SKIP_1) | instid1(VALU_DEP_2)
	v_pk_fma_f32 v[90:91], v[86:87], v[84:85], v[88:89] op_sel_hi:[1,0,1]
	v_pk_fma_f32 v[84:85], v[86:87], v[84:85], v[88:89] neg_lo:[0,0,1] neg_hi:[0,0,1]
	v_mov_b32_e32 v85, v91
	s_delay_alu instid0(VALU_DEP_1)
	v_pk_add_f32 v[80:81], v[80:81], v[84:85]
	s_and_not1_b32 exec_lo, exec_lo, s0
	s_cbranch_execnz .LBB101_242
; %bb.243:
	s_or_b32 exec_lo, exec_lo, s0
.LBB101_244:
	s_delay_alu instid0(SALU_CYCLE_1) | instskip(SKIP_4) | instid1(VALU_DEP_1)
	s_or_b32 exec_lo, exec_lo, s20
	v_mov_b32_e32 v82, 0
	ds_load_b64 v[82:83], v82 offset:104
	s_wait_dscnt 0x0
	v_pk_mul_f32 v[84:85], v[80:81], v[82:83] op_sel:[1,1] op_sel_hi:[0,1]
	v_pk_fma_f32 v[86:87], v[80:81], v[82:83], v[84:85] op_sel_hi:[1,0,1]
	v_pk_fma_f32 v[80:81], v[80:81], v[82:83], v[84:85] neg_lo:[0,0,1] neg_hi:[0,0,1]
	s_delay_alu instid0(VALU_DEP_2)
	v_mov_b32_e32 v81, v87
	scratch_store_b64 off, v[80:81], off offset:104
.LBB101_245:
	s_wait_xcnt 0x0
	s_or_b32 exec_lo, exec_lo, s19
	scratch_load_b64 v[80:81], off, off offset:96
	v_cmp_lt_u32_e64 s0, 12, v0
	s_wait_loadcnt 0x0
	ds_store_b64 v1, v[80:81]
	s_wait_storecnt_dscnt 0x0
	s_barrier_signal -1
	s_barrier_wait -1
	s_wait_xcnt 0x0
	s_and_saveexec_b32 s18, s0
	s_cbranch_execz .LBB101_255
; %bb.246:
	s_and_not1_b32 vcc_lo, exec_lo, s3
	s_cbranch_vccnz .LBB101_248
; %bb.247:
	scratch_load_b64 v[80:81], v59, off
	ds_load_b64 v[82:83], v1
	s_wait_loadcnt_dscnt 0x0
	v_pk_mul_f32 v[84:85], v[82:83], v[80:81] op_sel:[1,1] op_sel_hi:[0,1]
	s_delay_alu instid0(VALU_DEP_1) | instskip(SKIP_1) | instid1(VALU_DEP_2)
	v_pk_fma_f32 v[86:87], v[82:83], v[80:81], v[84:85] op_sel_hi:[1,0,1]
	v_pk_fma_f32 v[80:81], v[82:83], v[80:81], v[84:85] neg_lo:[0,0,1] neg_hi:[0,0,1]
	v_mov_b32_e32 v81, v87
	s_cbranch_execz .LBB101_249
	s_branch .LBB101_250
.LBB101_248:
                                        ; implicit-def: $vgpr80_vgpr81
.LBB101_249:
	ds_load_b64 v[80:81], v1
.LBB101_250:
	s_and_saveexec_b32 s19, s1
	s_cbranch_execz .LBB101_254
; %bb.251:
	v_add_nc_u32_e32 v82, -13, v0
	s_movk_i32 s20, 0x198
	s_mov_b32 s1, 0
.LBB101_252:                            ; =>This Inner Loop Header: Depth=1
	scratch_load_b64 v[84:85], off, s17
	v_dual_mov_b32 v83, s20 :: v_dual_add_nc_u32 v82, -1, v82
	s_add_co_i32 s20, s20, 8
	s_wait_xcnt 0x0
	s_add_co_i32 s17, s17, 8
	ds_load_b64 v[86:87], v83
	v_cmp_eq_u32_e32 vcc_lo, 0, v82
	s_or_b32 s1, vcc_lo, s1
	s_wait_loadcnt_dscnt 0x0
	v_pk_mul_f32 v[88:89], v[86:87], v[84:85] op_sel:[1,1] op_sel_hi:[0,1]
	s_delay_alu instid0(VALU_DEP_1) | instskip(SKIP_1) | instid1(VALU_DEP_2)
	v_pk_fma_f32 v[90:91], v[86:87], v[84:85], v[88:89] op_sel_hi:[1,0,1]
	v_pk_fma_f32 v[84:85], v[86:87], v[84:85], v[88:89] neg_lo:[0,0,1] neg_hi:[0,0,1]
	v_mov_b32_e32 v85, v91
	s_delay_alu instid0(VALU_DEP_1)
	v_pk_add_f32 v[80:81], v[80:81], v[84:85]
	s_and_not1_b32 exec_lo, exec_lo, s1
	s_cbranch_execnz .LBB101_252
; %bb.253:
	s_or_b32 exec_lo, exec_lo, s1
.LBB101_254:
	s_delay_alu instid0(SALU_CYCLE_1) | instskip(SKIP_4) | instid1(VALU_DEP_1)
	s_or_b32 exec_lo, exec_lo, s19
	v_mov_b32_e32 v82, 0
	ds_load_b64 v[82:83], v82 offset:96
	s_wait_dscnt 0x0
	v_pk_mul_f32 v[84:85], v[80:81], v[82:83] op_sel:[1,1] op_sel_hi:[0,1]
	v_pk_fma_f32 v[86:87], v[80:81], v[82:83], v[84:85] op_sel_hi:[1,0,1]
	v_pk_fma_f32 v[80:81], v[80:81], v[82:83], v[84:85] neg_lo:[0,0,1] neg_hi:[0,0,1]
	s_delay_alu instid0(VALU_DEP_2)
	v_mov_b32_e32 v81, v87
	scratch_store_b64 off, v[80:81], off offset:96
.LBB101_255:
	s_wait_xcnt 0x0
	s_or_b32 exec_lo, exec_lo, s18
	scratch_load_b64 v[80:81], off, off offset:88
	v_cmp_lt_u32_e64 s1, 11, v0
	s_wait_loadcnt 0x0
	ds_store_b64 v1, v[80:81]
	s_wait_storecnt_dscnt 0x0
	s_barrier_signal -1
	s_barrier_wait -1
	s_wait_xcnt 0x0
	s_and_saveexec_b32 s17, s1
	s_cbranch_execz .LBB101_265
; %bb.256:
	s_and_not1_b32 vcc_lo, exec_lo, s3
	s_cbranch_vccnz .LBB101_258
; %bb.257:
	scratch_load_b64 v[80:81], v59, off
	ds_load_b64 v[82:83], v1
	s_wait_loadcnt_dscnt 0x0
	v_pk_mul_f32 v[84:85], v[82:83], v[80:81] op_sel:[1,1] op_sel_hi:[0,1]
	s_delay_alu instid0(VALU_DEP_1) | instskip(SKIP_1) | instid1(VALU_DEP_2)
	v_pk_fma_f32 v[86:87], v[82:83], v[80:81], v[84:85] op_sel_hi:[1,0,1]
	v_pk_fma_f32 v[80:81], v[82:83], v[80:81], v[84:85] neg_lo:[0,0,1] neg_hi:[0,0,1]
	v_mov_b32_e32 v81, v87
	s_cbranch_execz .LBB101_259
	s_branch .LBB101_260
.LBB101_258:
                                        ; implicit-def: $vgpr80_vgpr81
.LBB101_259:
	ds_load_b64 v[80:81], v1
.LBB101_260:
	s_and_saveexec_b32 s18, s0
	s_cbranch_execz .LBB101_264
; %bb.261:
	v_add_nc_u32_e32 v82, -12, v0
	s_movk_i32 s19, 0x190
	s_mov_b32 s0, 0
.LBB101_262:                            ; =>This Inner Loop Header: Depth=1
	scratch_load_b64 v[84:85], off, s16
	v_dual_mov_b32 v83, s19 :: v_dual_add_nc_u32 v82, -1, v82
	s_add_co_i32 s19, s19, 8
	s_wait_xcnt 0x0
	s_add_co_i32 s16, s16, 8
	ds_load_b64 v[86:87], v83
	v_cmp_eq_u32_e32 vcc_lo, 0, v82
	s_or_b32 s0, vcc_lo, s0
	s_wait_loadcnt_dscnt 0x0
	v_pk_mul_f32 v[88:89], v[86:87], v[84:85] op_sel:[1,1] op_sel_hi:[0,1]
	s_delay_alu instid0(VALU_DEP_1) | instskip(SKIP_1) | instid1(VALU_DEP_2)
	v_pk_fma_f32 v[90:91], v[86:87], v[84:85], v[88:89] op_sel_hi:[1,0,1]
	v_pk_fma_f32 v[84:85], v[86:87], v[84:85], v[88:89] neg_lo:[0,0,1] neg_hi:[0,0,1]
	v_mov_b32_e32 v85, v91
	s_delay_alu instid0(VALU_DEP_1)
	v_pk_add_f32 v[80:81], v[80:81], v[84:85]
	s_and_not1_b32 exec_lo, exec_lo, s0
	s_cbranch_execnz .LBB101_262
; %bb.263:
	s_or_b32 exec_lo, exec_lo, s0
.LBB101_264:
	s_delay_alu instid0(SALU_CYCLE_1) | instskip(SKIP_4) | instid1(VALU_DEP_1)
	s_or_b32 exec_lo, exec_lo, s18
	v_mov_b32_e32 v82, 0
	ds_load_b64 v[82:83], v82 offset:88
	s_wait_dscnt 0x0
	v_pk_mul_f32 v[84:85], v[80:81], v[82:83] op_sel:[1,1] op_sel_hi:[0,1]
	v_pk_fma_f32 v[86:87], v[80:81], v[82:83], v[84:85] op_sel_hi:[1,0,1]
	v_pk_fma_f32 v[80:81], v[80:81], v[82:83], v[84:85] neg_lo:[0,0,1] neg_hi:[0,0,1]
	s_delay_alu instid0(VALU_DEP_2)
	v_mov_b32_e32 v81, v87
	scratch_store_b64 off, v[80:81], off offset:88
.LBB101_265:
	s_wait_xcnt 0x0
	s_or_b32 exec_lo, exec_lo, s17
	scratch_load_b64 v[80:81], off, off offset:80
	v_cmp_lt_u32_e64 s0, 10, v0
	s_wait_loadcnt 0x0
	ds_store_b64 v1, v[80:81]
	s_wait_storecnt_dscnt 0x0
	s_barrier_signal -1
	s_barrier_wait -1
	s_wait_xcnt 0x0
	s_and_saveexec_b32 s16, s0
	s_cbranch_execz .LBB101_275
; %bb.266:
	s_and_not1_b32 vcc_lo, exec_lo, s3
	s_cbranch_vccnz .LBB101_268
; %bb.267:
	scratch_load_b64 v[80:81], v59, off
	ds_load_b64 v[82:83], v1
	s_wait_loadcnt_dscnt 0x0
	v_pk_mul_f32 v[84:85], v[82:83], v[80:81] op_sel:[1,1] op_sel_hi:[0,1]
	s_delay_alu instid0(VALU_DEP_1) | instskip(SKIP_1) | instid1(VALU_DEP_2)
	v_pk_fma_f32 v[86:87], v[82:83], v[80:81], v[84:85] op_sel_hi:[1,0,1]
	v_pk_fma_f32 v[80:81], v[82:83], v[80:81], v[84:85] neg_lo:[0,0,1] neg_hi:[0,0,1]
	v_mov_b32_e32 v81, v87
	s_cbranch_execz .LBB101_269
	s_branch .LBB101_270
.LBB101_268:
                                        ; implicit-def: $vgpr80_vgpr81
.LBB101_269:
	ds_load_b64 v[80:81], v1
.LBB101_270:
	s_and_saveexec_b32 s17, s1
	s_cbranch_execz .LBB101_274
; %bb.271:
	v_add_nc_u32_e32 v82, -11, v0
	s_movk_i32 s18, 0x188
	s_mov_b32 s1, 0
.LBB101_272:                            ; =>This Inner Loop Header: Depth=1
	scratch_load_b64 v[84:85], off, s15
	v_dual_mov_b32 v83, s18 :: v_dual_add_nc_u32 v82, -1, v82
	s_add_co_i32 s18, s18, 8
	s_wait_xcnt 0x0
	s_add_co_i32 s15, s15, 8
	ds_load_b64 v[86:87], v83
	v_cmp_eq_u32_e32 vcc_lo, 0, v82
	s_or_b32 s1, vcc_lo, s1
	s_wait_loadcnt_dscnt 0x0
	v_pk_mul_f32 v[88:89], v[86:87], v[84:85] op_sel:[1,1] op_sel_hi:[0,1]
	s_delay_alu instid0(VALU_DEP_1) | instskip(SKIP_1) | instid1(VALU_DEP_2)
	v_pk_fma_f32 v[90:91], v[86:87], v[84:85], v[88:89] op_sel_hi:[1,0,1]
	v_pk_fma_f32 v[84:85], v[86:87], v[84:85], v[88:89] neg_lo:[0,0,1] neg_hi:[0,0,1]
	v_mov_b32_e32 v85, v91
	s_delay_alu instid0(VALU_DEP_1)
	v_pk_add_f32 v[80:81], v[80:81], v[84:85]
	s_and_not1_b32 exec_lo, exec_lo, s1
	s_cbranch_execnz .LBB101_272
; %bb.273:
	s_or_b32 exec_lo, exec_lo, s1
.LBB101_274:
	s_delay_alu instid0(SALU_CYCLE_1) | instskip(SKIP_4) | instid1(VALU_DEP_1)
	s_or_b32 exec_lo, exec_lo, s17
	v_mov_b32_e32 v82, 0
	ds_load_b64 v[82:83], v82 offset:80
	s_wait_dscnt 0x0
	v_pk_mul_f32 v[84:85], v[80:81], v[82:83] op_sel:[1,1] op_sel_hi:[0,1]
	v_pk_fma_f32 v[86:87], v[80:81], v[82:83], v[84:85] op_sel_hi:[1,0,1]
	v_pk_fma_f32 v[80:81], v[80:81], v[82:83], v[84:85] neg_lo:[0,0,1] neg_hi:[0,0,1]
	s_delay_alu instid0(VALU_DEP_2)
	v_mov_b32_e32 v81, v87
	scratch_store_b64 off, v[80:81], off offset:80
.LBB101_275:
	s_wait_xcnt 0x0
	s_or_b32 exec_lo, exec_lo, s16
	scratch_load_b64 v[80:81], off, off offset:72
	v_cmp_lt_u32_e64 s1, 9, v0
	s_wait_loadcnt 0x0
	ds_store_b64 v1, v[80:81]
	s_wait_storecnt_dscnt 0x0
	s_barrier_signal -1
	s_barrier_wait -1
	s_wait_xcnt 0x0
	s_and_saveexec_b32 s15, s1
	s_cbranch_execz .LBB101_285
; %bb.276:
	s_and_not1_b32 vcc_lo, exec_lo, s3
	s_cbranch_vccnz .LBB101_278
; %bb.277:
	scratch_load_b64 v[80:81], v59, off
	ds_load_b64 v[82:83], v1
	s_wait_loadcnt_dscnt 0x0
	v_pk_mul_f32 v[84:85], v[82:83], v[80:81] op_sel:[1,1] op_sel_hi:[0,1]
	s_delay_alu instid0(VALU_DEP_1) | instskip(SKIP_1) | instid1(VALU_DEP_2)
	v_pk_fma_f32 v[86:87], v[82:83], v[80:81], v[84:85] op_sel_hi:[1,0,1]
	v_pk_fma_f32 v[80:81], v[82:83], v[80:81], v[84:85] neg_lo:[0,0,1] neg_hi:[0,0,1]
	v_mov_b32_e32 v81, v87
	s_cbranch_execz .LBB101_279
	s_branch .LBB101_280
.LBB101_278:
                                        ; implicit-def: $vgpr80_vgpr81
.LBB101_279:
	ds_load_b64 v[80:81], v1
.LBB101_280:
	s_and_saveexec_b32 s16, s0
	s_cbranch_execz .LBB101_284
; %bb.281:
	v_add_nc_u32_e32 v82, -10, v0
	s_movk_i32 s17, 0x180
	s_mov_b32 s0, 0
.LBB101_282:                            ; =>This Inner Loop Header: Depth=1
	scratch_load_b64 v[84:85], off, s14
	v_dual_mov_b32 v83, s17 :: v_dual_add_nc_u32 v82, -1, v82
	s_add_co_i32 s17, s17, 8
	s_wait_xcnt 0x0
	s_add_co_i32 s14, s14, 8
	ds_load_b64 v[86:87], v83
	v_cmp_eq_u32_e32 vcc_lo, 0, v82
	s_or_b32 s0, vcc_lo, s0
	s_wait_loadcnt_dscnt 0x0
	v_pk_mul_f32 v[88:89], v[86:87], v[84:85] op_sel:[1,1] op_sel_hi:[0,1]
	s_delay_alu instid0(VALU_DEP_1) | instskip(SKIP_1) | instid1(VALU_DEP_2)
	v_pk_fma_f32 v[90:91], v[86:87], v[84:85], v[88:89] op_sel_hi:[1,0,1]
	v_pk_fma_f32 v[84:85], v[86:87], v[84:85], v[88:89] neg_lo:[0,0,1] neg_hi:[0,0,1]
	v_mov_b32_e32 v85, v91
	s_delay_alu instid0(VALU_DEP_1)
	v_pk_add_f32 v[80:81], v[80:81], v[84:85]
	s_and_not1_b32 exec_lo, exec_lo, s0
	s_cbranch_execnz .LBB101_282
; %bb.283:
	s_or_b32 exec_lo, exec_lo, s0
.LBB101_284:
	s_delay_alu instid0(SALU_CYCLE_1) | instskip(SKIP_4) | instid1(VALU_DEP_1)
	s_or_b32 exec_lo, exec_lo, s16
	v_mov_b32_e32 v82, 0
	ds_load_b64 v[82:83], v82 offset:72
	s_wait_dscnt 0x0
	v_pk_mul_f32 v[84:85], v[80:81], v[82:83] op_sel:[1,1] op_sel_hi:[0,1]
	v_pk_fma_f32 v[86:87], v[80:81], v[82:83], v[84:85] op_sel_hi:[1,0,1]
	v_pk_fma_f32 v[80:81], v[80:81], v[82:83], v[84:85] neg_lo:[0,0,1] neg_hi:[0,0,1]
	s_delay_alu instid0(VALU_DEP_2)
	v_mov_b32_e32 v81, v87
	scratch_store_b64 off, v[80:81], off offset:72
.LBB101_285:
	s_wait_xcnt 0x0
	s_or_b32 exec_lo, exec_lo, s15
	scratch_load_b64 v[80:81], off, off offset:64
	v_cmp_lt_u32_e64 s0, 8, v0
	s_wait_loadcnt 0x0
	ds_store_b64 v1, v[80:81]
	s_wait_storecnt_dscnt 0x0
	s_barrier_signal -1
	s_barrier_wait -1
	s_wait_xcnt 0x0
	s_and_saveexec_b32 s14, s0
	s_cbranch_execz .LBB101_295
; %bb.286:
	s_and_not1_b32 vcc_lo, exec_lo, s3
	s_cbranch_vccnz .LBB101_288
; %bb.287:
	scratch_load_b64 v[80:81], v59, off
	ds_load_b64 v[82:83], v1
	s_wait_loadcnt_dscnt 0x0
	v_pk_mul_f32 v[84:85], v[82:83], v[80:81] op_sel:[1,1] op_sel_hi:[0,1]
	s_delay_alu instid0(VALU_DEP_1) | instskip(SKIP_1) | instid1(VALU_DEP_2)
	v_pk_fma_f32 v[86:87], v[82:83], v[80:81], v[84:85] op_sel_hi:[1,0,1]
	v_pk_fma_f32 v[80:81], v[82:83], v[80:81], v[84:85] neg_lo:[0,0,1] neg_hi:[0,0,1]
	v_mov_b32_e32 v81, v87
	s_cbranch_execz .LBB101_289
	s_branch .LBB101_290
.LBB101_288:
                                        ; implicit-def: $vgpr80_vgpr81
.LBB101_289:
	ds_load_b64 v[80:81], v1
.LBB101_290:
	s_and_saveexec_b32 s15, s1
	s_cbranch_execz .LBB101_294
; %bb.291:
	v_add_nc_u32_e32 v82, -9, v0
	s_movk_i32 s16, 0x178
	s_mov_b32 s1, 0
.LBB101_292:                            ; =>This Inner Loop Header: Depth=1
	scratch_load_b64 v[84:85], off, s13
	v_dual_mov_b32 v83, s16 :: v_dual_add_nc_u32 v82, -1, v82
	s_add_co_i32 s16, s16, 8
	s_wait_xcnt 0x0
	s_add_co_i32 s13, s13, 8
	ds_load_b64 v[86:87], v83
	v_cmp_eq_u32_e32 vcc_lo, 0, v82
	s_or_b32 s1, vcc_lo, s1
	s_wait_loadcnt_dscnt 0x0
	v_pk_mul_f32 v[88:89], v[86:87], v[84:85] op_sel:[1,1] op_sel_hi:[0,1]
	s_delay_alu instid0(VALU_DEP_1) | instskip(SKIP_1) | instid1(VALU_DEP_2)
	v_pk_fma_f32 v[90:91], v[86:87], v[84:85], v[88:89] op_sel_hi:[1,0,1]
	v_pk_fma_f32 v[84:85], v[86:87], v[84:85], v[88:89] neg_lo:[0,0,1] neg_hi:[0,0,1]
	v_mov_b32_e32 v85, v91
	s_delay_alu instid0(VALU_DEP_1)
	v_pk_add_f32 v[80:81], v[80:81], v[84:85]
	s_and_not1_b32 exec_lo, exec_lo, s1
	s_cbranch_execnz .LBB101_292
; %bb.293:
	s_or_b32 exec_lo, exec_lo, s1
.LBB101_294:
	s_delay_alu instid0(SALU_CYCLE_1) | instskip(SKIP_4) | instid1(VALU_DEP_1)
	s_or_b32 exec_lo, exec_lo, s15
	v_mov_b32_e32 v82, 0
	ds_load_b64 v[82:83], v82 offset:64
	s_wait_dscnt 0x0
	v_pk_mul_f32 v[84:85], v[80:81], v[82:83] op_sel:[1,1] op_sel_hi:[0,1]
	v_pk_fma_f32 v[86:87], v[80:81], v[82:83], v[84:85] op_sel_hi:[1,0,1]
	v_pk_fma_f32 v[80:81], v[80:81], v[82:83], v[84:85] neg_lo:[0,0,1] neg_hi:[0,0,1]
	s_delay_alu instid0(VALU_DEP_2)
	v_mov_b32_e32 v81, v87
	scratch_store_b64 off, v[80:81], off offset:64
.LBB101_295:
	s_wait_xcnt 0x0
	s_or_b32 exec_lo, exec_lo, s14
	scratch_load_b64 v[80:81], off, off offset:56
	v_cmp_lt_u32_e64 s1, 7, v0
	s_wait_loadcnt 0x0
	ds_store_b64 v1, v[80:81]
	s_wait_storecnt_dscnt 0x0
	s_barrier_signal -1
	s_barrier_wait -1
	s_wait_xcnt 0x0
	s_and_saveexec_b32 s13, s1
	s_cbranch_execz .LBB101_305
; %bb.296:
	s_and_not1_b32 vcc_lo, exec_lo, s3
	s_cbranch_vccnz .LBB101_298
; %bb.297:
	scratch_load_b64 v[80:81], v59, off
	ds_load_b64 v[82:83], v1
	s_wait_loadcnt_dscnt 0x0
	v_pk_mul_f32 v[84:85], v[82:83], v[80:81] op_sel:[1,1] op_sel_hi:[0,1]
	s_delay_alu instid0(VALU_DEP_1) | instskip(SKIP_1) | instid1(VALU_DEP_2)
	v_pk_fma_f32 v[86:87], v[82:83], v[80:81], v[84:85] op_sel_hi:[1,0,1]
	v_pk_fma_f32 v[80:81], v[82:83], v[80:81], v[84:85] neg_lo:[0,0,1] neg_hi:[0,0,1]
	v_mov_b32_e32 v81, v87
	s_cbranch_execz .LBB101_299
	s_branch .LBB101_300
.LBB101_298:
                                        ; implicit-def: $vgpr80_vgpr81
.LBB101_299:
	ds_load_b64 v[80:81], v1
.LBB101_300:
	s_and_saveexec_b32 s14, s0
	s_cbranch_execz .LBB101_304
; %bb.301:
	v_add_nc_u32_e32 v82, -8, v0
	s_movk_i32 s15, 0x170
	s_mov_b32 s0, 0
.LBB101_302:                            ; =>This Inner Loop Header: Depth=1
	scratch_load_b64 v[84:85], off, s12
	v_dual_mov_b32 v83, s15 :: v_dual_add_nc_u32 v82, -1, v82
	s_add_co_i32 s15, s15, 8
	s_wait_xcnt 0x0
	s_add_co_i32 s12, s12, 8
	ds_load_b64 v[86:87], v83
	v_cmp_eq_u32_e32 vcc_lo, 0, v82
	s_or_b32 s0, vcc_lo, s0
	s_wait_loadcnt_dscnt 0x0
	v_pk_mul_f32 v[88:89], v[86:87], v[84:85] op_sel:[1,1] op_sel_hi:[0,1]
	s_delay_alu instid0(VALU_DEP_1) | instskip(SKIP_1) | instid1(VALU_DEP_2)
	v_pk_fma_f32 v[90:91], v[86:87], v[84:85], v[88:89] op_sel_hi:[1,0,1]
	v_pk_fma_f32 v[84:85], v[86:87], v[84:85], v[88:89] neg_lo:[0,0,1] neg_hi:[0,0,1]
	v_mov_b32_e32 v85, v91
	s_delay_alu instid0(VALU_DEP_1)
	v_pk_add_f32 v[80:81], v[80:81], v[84:85]
	s_and_not1_b32 exec_lo, exec_lo, s0
	s_cbranch_execnz .LBB101_302
; %bb.303:
	s_or_b32 exec_lo, exec_lo, s0
.LBB101_304:
	s_delay_alu instid0(SALU_CYCLE_1) | instskip(SKIP_4) | instid1(VALU_DEP_1)
	s_or_b32 exec_lo, exec_lo, s14
	v_mov_b32_e32 v82, 0
	ds_load_b64 v[82:83], v82 offset:56
	s_wait_dscnt 0x0
	v_pk_mul_f32 v[84:85], v[80:81], v[82:83] op_sel:[1,1] op_sel_hi:[0,1]
	v_pk_fma_f32 v[86:87], v[80:81], v[82:83], v[84:85] op_sel_hi:[1,0,1]
	v_pk_fma_f32 v[80:81], v[80:81], v[82:83], v[84:85] neg_lo:[0,0,1] neg_hi:[0,0,1]
	s_delay_alu instid0(VALU_DEP_2)
	v_mov_b32_e32 v81, v87
	scratch_store_b64 off, v[80:81], off offset:56
.LBB101_305:
	s_wait_xcnt 0x0
	s_or_b32 exec_lo, exec_lo, s13
	scratch_load_b64 v[80:81], off, off offset:48
	v_cmp_lt_u32_e64 s0, 6, v0
	s_wait_loadcnt 0x0
	ds_store_b64 v1, v[80:81]
	s_wait_storecnt_dscnt 0x0
	s_barrier_signal -1
	s_barrier_wait -1
	s_wait_xcnt 0x0
	s_and_saveexec_b32 s12, s0
	s_cbranch_execz .LBB101_315
; %bb.306:
	s_and_not1_b32 vcc_lo, exec_lo, s3
	s_cbranch_vccnz .LBB101_308
; %bb.307:
	scratch_load_b64 v[80:81], v59, off
	ds_load_b64 v[82:83], v1
	s_wait_loadcnt_dscnt 0x0
	v_pk_mul_f32 v[84:85], v[82:83], v[80:81] op_sel:[1,1] op_sel_hi:[0,1]
	s_delay_alu instid0(VALU_DEP_1) | instskip(SKIP_1) | instid1(VALU_DEP_2)
	v_pk_fma_f32 v[86:87], v[82:83], v[80:81], v[84:85] op_sel_hi:[1,0,1]
	v_pk_fma_f32 v[80:81], v[82:83], v[80:81], v[84:85] neg_lo:[0,0,1] neg_hi:[0,0,1]
	v_mov_b32_e32 v81, v87
	s_cbranch_execz .LBB101_309
	s_branch .LBB101_310
.LBB101_308:
                                        ; implicit-def: $vgpr80_vgpr81
.LBB101_309:
	ds_load_b64 v[80:81], v1
.LBB101_310:
	s_and_saveexec_b32 s13, s1
	s_cbranch_execz .LBB101_314
; %bb.311:
	v_add_nc_u32_e32 v82, -7, v0
	s_movk_i32 s14, 0x168
	s_mov_b32 s1, 0
.LBB101_312:                            ; =>This Inner Loop Header: Depth=1
	scratch_load_b64 v[84:85], off, s11
	v_dual_mov_b32 v83, s14 :: v_dual_add_nc_u32 v82, -1, v82
	s_add_co_i32 s14, s14, 8
	s_wait_xcnt 0x0
	s_add_co_i32 s11, s11, 8
	ds_load_b64 v[86:87], v83
	v_cmp_eq_u32_e32 vcc_lo, 0, v82
	s_or_b32 s1, vcc_lo, s1
	s_wait_loadcnt_dscnt 0x0
	v_pk_mul_f32 v[88:89], v[86:87], v[84:85] op_sel:[1,1] op_sel_hi:[0,1]
	s_delay_alu instid0(VALU_DEP_1) | instskip(SKIP_1) | instid1(VALU_DEP_2)
	v_pk_fma_f32 v[90:91], v[86:87], v[84:85], v[88:89] op_sel_hi:[1,0,1]
	v_pk_fma_f32 v[84:85], v[86:87], v[84:85], v[88:89] neg_lo:[0,0,1] neg_hi:[0,0,1]
	v_mov_b32_e32 v85, v91
	s_delay_alu instid0(VALU_DEP_1)
	v_pk_add_f32 v[80:81], v[80:81], v[84:85]
	s_and_not1_b32 exec_lo, exec_lo, s1
	s_cbranch_execnz .LBB101_312
; %bb.313:
	s_or_b32 exec_lo, exec_lo, s1
.LBB101_314:
	s_delay_alu instid0(SALU_CYCLE_1) | instskip(SKIP_4) | instid1(VALU_DEP_1)
	s_or_b32 exec_lo, exec_lo, s13
	v_mov_b32_e32 v82, 0
	ds_load_b64 v[82:83], v82 offset:48
	s_wait_dscnt 0x0
	v_pk_mul_f32 v[84:85], v[80:81], v[82:83] op_sel:[1,1] op_sel_hi:[0,1]
	v_pk_fma_f32 v[86:87], v[80:81], v[82:83], v[84:85] op_sel_hi:[1,0,1]
	v_pk_fma_f32 v[80:81], v[80:81], v[82:83], v[84:85] neg_lo:[0,0,1] neg_hi:[0,0,1]
	s_delay_alu instid0(VALU_DEP_2)
	v_mov_b32_e32 v81, v87
	scratch_store_b64 off, v[80:81], off offset:48
.LBB101_315:
	s_wait_xcnt 0x0
	s_or_b32 exec_lo, exec_lo, s12
	scratch_load_b64 v[80:81], off, off offset:40
	v_cmp_lt_u32_e64 s1, 5, v0
	s_wait_loadcnt 0x0
	ds_store_b64 v1, v[80:81]
	s_wait_storecnt_dscnt 0x0
	s_barrier_signal -1
	s_barrier_wait -1
	s_wait_xcnt 0x0
	s_and_saveexec_b32 s11, s1
	s_cbranch_execz .LBB101_325
; %bb.316:
	s_and_not1_b32 vcc_lo, exec_lo, s3
	s_cbranch_vccnz .LBB101_318
; %bb.317:
	scratch_load_b64 v[80:81], v59, off
	ds_load_b64 v[82:83], v1
	s_wait_loadcnt_dscnt 0x0
	v_pk_mul_f32 v[84:85], v[82:83], v[80:81] op_sel:[1,1] op_sel_hi:[0,1]
	s_delay_alu instid0(VALU_DEP_1) | instskip(SKIP_1) | instid1(VALU_DEP_2)
	v_pk_fma_f32 v[86:87], v[82:83], v[80:81], v[84:85] op_sel_hi:[1,0,1]
	v_pk_fma_f32 v[80:81], v[82:83], v[80:81], v[84:85] neg_lo:[0,0,1] neg_hi:[0,0,1]
	v_mov_b32_e32 v81, v87
	s_cbranch_execz .LBB101_319
	s_branch .LBB101_320
.LBB101_318:
                                        ; implicit-def: $vgpr80_vgpr81
.LBB101_319:
	ds_load_b64 v[80:81], v1
.LBB101_320:
	s_and_saveexec_b32 s12, s0
	s_cbranch_execz .LBB101_324
; %bb.321:
	v_add_nc_u32_e32 v82, -6, v0
	s_movk_i32 s13, 0x160
	s_mov_b32 s0, 0
.LBB101_322:                            ; =>This Inner Loop Header: Depth=1
	scratch_load_b64 v[84:85], off, s10
	v_dual_mov_b32 v83, s13 :: v_dual_add_nc_u32 v82, -1, v82
	s_add_co_i32 s13, s13, 8
	s_wait_xcnt 0x0
	s_add_co_i32 s10, s10, 8
	ds_load_b64 v[86:87], v83
	v_cmp_eq_u32_e32 vcc_lo, 0, v82
	s_or_b32 s0, vcc_lo, s0
	s_wait_loadcnt_dscnt 0x0
	v_pk_mul_f32 v[88:89], v[86:87], v[84:85] op_sel:[1,1] op_sel_hi:[0,1]
	s_delay_alu instid0(VALU_DEP_1) | instskip(SKIP_1) | instid1(VALU_DEP_2)
	v_pk_fma_f32 v[90:91], v[86:87], v[84:85], v[88:89] op_sel_hi:[1,0,1]
	v_pk_fma_f32 v[84:85], v[86:87], v[84:85], v[88:89] neg_lo:[0,0,1] neg_hi:[0,0,1]
	v_mov_b32_e32 v85, v91
	s_delay_alu instid0(VALU_DEP_1)
	v_pk_add_f32 v[80:81], v[80:81], v[84:85]
	s_and_not1_b32 exec_lo, exec_lo, s0
	s_cbranch_execnz .LBB101_322
; %bb.323:
	s_or_b32 exec_lo, exec_lo, s0
.LBB101_324:
	s_delay_alu instid0(SALU_CYCLE_1) | instskip(SKIP_4) | instid1(VALU_DEP_1)
	s_or_b32 exec_lo, exec_lo, s12
	v_mov_b32_e32 v82, 0
	ds_load_b64 v[82:83], v82 offset:40
	s_wait_dscnt 0x0
	v_pk_mul_f32 v[84:85], v[80:81], v[82:83] op_sel:[1,1] op_sel_hi:[0,1]
	v_pk_fma_f32 v[86:87], v[80:81], v[82:83], v[84:85] op_sel_hi:[1,0,1]
	v_pk_fma_f32 v[80:81], v[80:81], v[82:83], v[84:85] neg_lo:[0,0,1] neg_hi:[0,0,1]
	s_delay_alu instid0(VALU_DEP_2)
	v_mov_b32_e32 v81, v87
	scratch_store_b64 off, v[80:81], off offset:40
.LBB101_325:
	s_wait_xcnt 0x0
	s_or_b32 exec_lo, exec_lo, s11
	scratch_load_b64 v[80:81], off, off offset:32
	v_cmp_lt_u32_e64 s0, 4, v0
	s_wait_loadcnt 0x0
	ds_store_b64 v1, v[80:81]
	s_wait_storecnt_dscnt 0x0
	s_barrier_signal -1
	s_barrier_wait -1
	s_wait_xcnt 0x0
	s_and_saveexec_b32 s10, s0
	s_cbranch_execz .LBB101_335
; %bb.326:
	s_and_not1_b32 vcc_lo, exec_lo, s3
	s_cbranch_vccnz .LBB101_328
; %bb.327:
	scratch_load_b64 v[80:81], v59, off
	ds_load_b64 v[82:83], v1
	s_wait_loadcnt_dscnt 0x0
	v_pk_mul_f32 v[84:85], v[82:83], v[80:81] op_sel:[1,1] op_sel_hi:[0,1]
	s_delay_alu instid0(VALU_DEP_1) | instskip(SKIP_1) | instid1(VALU_DEP_2)
	v_pk_fma_f32 v[86:87], v[82:83], v[80:81], v[84:85] op_sel_hi:[1,0,1]
	v_pk_fma_f32 v[80:81], v[82:83], v[80:81], v[84:85] neg_lo:[0,0,1] neg_hi:[0,0,1]
	v_mov_b32_e32 v81, v87
	s_cbranch_execz .LBB101_329
	s_branch .LBB101_330
.LBB101_328:
                                        ; implicit-def: $vgpr80_vgpr81
.LBB101_329:
	ds_load_b64 v[80:81], v1
.LBB101_330:
	s_and_saveexec_b32 s11, s1
	s_cbranch_execz .LBB101_334
; %bb.331:
	v_add_nc_u32_e32 v82, -5, v0
	s_movk_i32 s12, 0x158
	s_mov_b32 s1, 0
.LBB101_332:                            ; =>This Inner Loop Header: Depth=1
	scratch_load_b64 v[84:85], off, s9
	v_dual_mov_b32 v83, s12 :: v_dual_add_nc_u32 v82, -1, v82
	s_add_co_i32 s12, s12, 8
	s_wait_xcnt 0x0
	s_add_co_i32 s9, s9, 8
	ds_load_b64 v[86:87], v83
	v_cmp_eq_u32_e32 vcc_lo, 0, v82
	s_or_b32 s1, vcc_lo, s1
	s_wait_loadcnt_dscnt 0x0
	v_pk_mul_f32 v[88:89], v[86:87], v[84:85] op_sel:[1,1] op_sel_hi:[0,1]
	s_delay_alu instid0(VALU_DEP_1) | instskip(SKIP_1) | instid1(VALU_DEP_2)
	v_pk_fma_f32 v[90:91], v[86:87], v[84:85], v[88:89] op_sel_hi:[1,0,1]
	v_pk_fma_f32 v[84:85], v[86:87], v[84:85], v[88:89] neg_lo:[0,0,1] neg_hi:[0,0,1]
	v_mov_b32_e32 v85, v91
	s_delay_alu instid0(VALU_DEP_1)
	v_pk_add_f32 v[80:81], v[80:81], v[84:85]
	s_and_not1_b32 exec_lo, exec_lo, s1
	s_cbranch_execnz .LBB101_332
; %bb.333:
	s_or_b32 exec_lo, exec_lo, s1
.LBB101_334:
	s_delay_alu instid0(SALU_CYCLE_1) | instskip(SKIP_4) | instid1(VALU_DEP_1)
	s_or_b32 exec_lo, exec_lo, s11
	v_mov_b32_e32 v82, 0
	ds_load_b64 v[82:83], v82 offset:32
	s_wait_dscnt 0x0
	v_pk_mul_f32 v[84:85], v[80:81], v[82:83] op_sel:[1,1] op_sel_hi:[0,1]
	v_pk_fma_f32 v[86:87], v[80:81], v[82:83], v[84:85] op_sel_hi:[1,0,1]
	v_pk_fma_f32 v[80:81], v[80:81], v[82:83], v[84:85] neg_lo:[0,0,1] neg_hi:[0,0,1]
	s_delay_alu instid0(VALU_DEP_2)
	v_mov_b32_e32 v81, v87
	scratch_store_b64 off, v[80:81], off offset:32
.LBB101_335:
	s_wait_xcnt 0x0
	s_or_b32 exec_lo, exec_lo, s10
	scratch_load_b64 v[80:81], off, off offset:24
	v_cmp_lt_u32_e64 s1, 3, v0
	s_wait_loadcnt 0x0
	ds_store_b64 v1, v[80:81]
	s_wait_storecnt_dscnt 0x0
	s_barrier_signal -1
	s_barrier_wait -1
	s_wait_xcnt 0x0
	s_and_saveexec_b32 s9, s1
	s_cbranch_execz .LBB101_345
; %bb.336:
	s_and_not1_b32 vcc_lo, exec_lo, s3
	s_cbranch_vccnz .LBB101_338
; %bb.337:
	scratch_load_b64 v[80:81], v59, off
	ds_load_b64 v[82:83], v1
	s_wait_loadcnt_dscnt 0x0
	v_pk_mul_f32 v[84:85], v[82:83], v[80:81] op_sel:[1,1] op_sel_hi:[0,1]
	s_delay_alu instid0(VALU_DEP_1) | instskip(SKIP_1) | instid1(VALU_DEP_2)
	v_pk_fma_f32 v[86:87], v[82:83], v[80:81], v[84:85] op_sel_hi:[1,0,1]
	v_pk_fma_f32 v[80:81], v[82:83], v[80:81], v[84:85] neg_lo:[0,0,1] neg_hi:[0,0,1]
	v_mov_b32_e32 v81, v87
	s_cbranch_execz .LBB101_339
	s_branch .LBB101_340
.LBB101_338:
                                        ; implicit-def: $vgpr80_vgpr81
.LBB101_339:
	ds_load_b64 v[80:81], v1
.LBB101_340:
	s_and_saveexec_b32 s10, s0
	s_cbranch_execz .LBB101_344
; %bb.341:
	v_add_nc_u32_e32 v82, -4, v0
	s_movk_i32 s11, 0x150
	s_mov_b32 s0, 0
.LBB101_342:                            ; =>This Inner Loop Header: Depth=1
	scratch_load_b64 v[84:85], off, s2
	v_dual_mov_b32 v83, s11 :: v_dual_add_nc_u32 v82, -1, v82
	s_add_co_i32 s11, s11, 8
	s_wait_xcnt 0x0
	s_add_co_i32 s2, s2, 8
	ds_load_b64 v[86:87], v83
	v_cmp_eq_u32_e32 vcc_lo, 0, v82
	s_or_b32 s0, vcc_lo, s0
	s_wait_loadcnt_dscnt 0x0
	v_pk_mul_f32 v[88:89], v[86:87], v[84:85] op_sel:[1,1] op_sel_hi:[0,1]
	s_delay_alu instid0(VALU_DEP_1) | instskip(SKIP_1) | instid1(VALU_DEP_2)
	v_pk_fma_f32 v[90:91], v[86:87], v[84:85], v[88:89] op_sel_hi:[1,0,1]
	v_pk_fma_f32 v[84:85], v[86:87], v[84:85], v[88:89] neg_lo:[0,0,1] neg_hi:[0,0,1]
	v_mov_b32_e32 v85, v91
	s_delay_alu instid0(VALU_DEP_1)
	v_pk_add_f32 v[80:81], v[80:81], v[84:85]
	s_and_not1_b32 exec_lo, exec_lo, s0
	s_cbranch_execnz .LBB101_342
; %bb.343:
	s_or_b32 exec_lo, exec_lo, s0
.LBB101_344:
	s_delay_alu instid0(SALU_CYCLE_1) | instskip(SKIP_4) | instid1(VALU_DEP_1)
	s_or_b32 exec_lo, exec_lo, s10
	v_mov_b32_e32 v82, 0
	ds_load_b64 v[82:83], v82 offset:24
	s_wait_dscnt 0x0
	v_pk_mul_f32 v[84:85], v[80:81], v[82:83] op_sel:[1,1] op_sel_hi:[0,1]
	v_pk_fma_f32 v[86:87], v[80:81], v[82:83], v[84:85] op_sel_hi:[1,0,1]
	v_pk_fma_f32 v[80:81], v[80:81], v[82:83], v[84:85] neg_lo:[0,0,1] neg_hi:[0,0,1]
	s_delay_alu instid0(VALU_DEP_2)
	v_mov_b32_e32 v81, v87
	scratch_store_b64 off, v[80:81], off offset:24
.LBB101_345:
	s_wait_xcnt 0x0
	s_or_b32 exec_lo, exec_lo, s9
	scratch_load_b64 v[80:81], off, off offset:16
	v_cmp_lt_u32_e64 s2, 2, v0
	s_wait_loadcnt 0x0
	ds_store_b64 v1, v[80:81]
	s_wait_storecnt_dscnt 0x0
	s_barrier_signal -1
	s_barrier_wait -1
	s_wait_xcnt 0x0
	s_and_saveexec_b32 s0, s2
	s_cbranch_execz .LBB101_355
; %bb.346:
	s_and_not1_b32 vcc_lo, exec_lo, s3
	s_cbranch_vccnz .LBB101_348
; %bb.347:
	scratch_load_b64 v[80:81], v59, off
	ds_load_b64 v[82:83], v1
	s_wait_loadcnt_dscnt 0x0
	v_pk_mul_f32 v[84:85], v[82:83], v[80:81] op_sel:[1,1] op_sel_hi:[0,1]
	s_delay_alu instid0(VALU_DEP_1) | instskip(SKIP_1) | instid1(VALU_DEP_2)
	v_pk_fma_f32 v[86:87], v[82:83], v[80:81], v[84:85] op_sel_hi:[1,0,1]
	v_pk_fma_f32 v[80:81], v[82:83], v[80:81], v[84:85] neg_lo:[0,0,1] neg_hi:[0,0,1]
	v_mov_b32_e32 v81, v87
	s_cbranch_execz .LBB101_349
	s_branch .LBB101_350
.LBB101_348:
                                        ; implicit-def: $vgpr80_vgpr81
.LBB101_349:
	ds_load_b64 v[80:81], v1
.LBB101_350:
	s_and_saveexec_b32 s9, s1
	s_cbranch_execz .LBB101_354
; %bb.351:
	v_add_nc_u32_e32 v82, -3, v0
	s_movk_i32 s10, 0x148
	s_mov_b32 s1, 0
.LBB101_352:                            ; =>This Inner Loop Header: Depth=1
	scratch_load_b64 v[84:85], off, s8
	v_dual_mov_b32 v83, s10 :: v_dual_add_nc_u32 v82, -1, v82
	s_add_co_i32 s10, s10, 8
	s_wait_xcnt 0x0
	s_add_co_i32 s8, s8, 8
	ds_load_b64 v[86:87], v83
	v_cmp_eq_u32_e32 vcc_lo, 0, v82
	s_or_b32 s1, vcc_lo, s1
	s_wait_loadcnt_dscnt 0x0
	v_pk_mul_f32 v[88:89], v[86:87], v[84:85] op_sel:[1,1] op_sel_hi:[0,1]
	s_delay_alu instid0(VALU_DEP_1) | instskip(SKIP_1) | instid1(VALU_DEP_2)
	v_pk_fma_f32 v[90:91], v[86:87], v[84:85], v[88:89] op_sel_hi:[1,0,1]
	v_pk_fma_f32 v[84:85], v[86:87], v[84:85], v[88:89] neg_lo:[0,0,1] neg_hi:[0,0,1]
	v_mov_b32_e32 v85, v91
	s_delay_alu instid0(VALU_DEP_1)
	v_pk_add_f32 v[80:81], v[80:81], v[84:85]
	s_and_not1_b32 exec_lo, exec_lo, s1
	s_cbranch_execnz .LBB101_352
; %bb.353:
	s_or_b32 exec_lo, exec_lo, s1
.LBB101_354:
	s_delay_alu instid0(SALU_CYCLE_1) | instskip(SKIP_4) | instid1(VALU_DEP_1)
	s_or_b32 exec_lo, exec_lo, s9
	v_mov_b32_e32 v82, 0
	ds_load_b64 v[82:83], v82 offset:16
	s_wait_dscnt 0x0
	v_pk_mul_f32 v[84:85], v[80:81], v[82:83] op_sel:[1,1] op_sel_hi:[0,1]
	v_pk_fma_f32 v[86:87], v[80:81], v[82:83], v[84:85] op_sel_hi:[1,0,1]
	v_pk_fma_f32 v[80:81], v[80:81], v[82:83], v[84:85] neg_lo:[0,0,1] neg_hi:[0,0,1]
	s_delay_alu instid0(VALU_DEP_2)
	v_mov_b32_e32 v81, v87
	scratch_store_b64 off, v[80:81], off offset:16
.LBB101_355:
	s_wait_xcnt 0x0
	s_or_b32 exec_lo, exec_lo, s0
	scratch_load_b64 v[80:81], off, off offset:8
	v_cmp_lt_u32_e64 s0, 1, v0
	s_wait_loadcnt 0x0
	ds_store_b64 v1, v[80:81]
	s_wait_storecnt_dscnt 0x0
	s_barrier_signal -1
	s_barrier_wait -1
	s_wait_xcnt 0x0
	s_and_saveexec_b32 s1, s0
	s_cbranch_execz .LBB101_365
; %bb.356:
	s_and_not1_b32 vcc_lo, exec_lo, s3
	s_cbranch_vccnz .LBB101_358
; %bb.357:
	scratch_load_b64 v[80:81], v59, off
	ds_load_b64 v[82:83], v1
	s_wait_loadcnt_dscnt 0x0
	v_pk_mul_f32 v[84:85], v[82:83], v[80:81] op_sel:[1,1] op_sel_hi:[0,1]
	s_delay_alu instid0(VALU_DEP_1) | instskip(SKIP_1) | instid1(VALU_DEP_2)
	v_pk_fma_f32 v[86:87], v[82:83], v[80:81], v[84:85] op_sel_hi:[1,0,1]
	v_pk_fma_f32 v[80:81], v[82:83], v[80:81], v[84:85] neg_lo:[0,0,1] neg_hi:[0,0,1]
	v_mov_b32_e32 v81, v87
	s_cbranch_execz .LBB101_359
	s_branch .LBB101_360
.LBB101_358:
                                        ; implicit-def: $vgpr80_vgpr81
.LBB101_359:
	ds_load_b64 v[80:81], v1
.LBB101_360:
	s_and_saveexec_b32 s8, s2
	s_cbranch_execz .LBB101_364
; %bb.361:
	v_add_nc_u32_e32 v82, -2, v0
	s_movk_i32 s9, 0x140
	s_mov_b32 s2, 0
.LBB101_362:                            ; =>This Inner Loop Header: Depth=1
	scratch_load_b64 v[84:85], off, s5
	v_dual_mov_b32 v83, s9 :: v_dual_add_nc_u32 v82, -1, v82
	s_add_co_i32 s9, s9, 8
	s_wait_xcnt 0x0
	s_add_co_i32 s5, s5, 8
	ds_load_b64 v[86:87], v83
	v_cmp_eq_u32_e32 vcc_lo, 0, v82
	s_or_b32 s2, vcc_lo, s2
	s_wait_loadcnt_dscnt 0x0
	v_pk_mul_f32 v[88:89], v[86:87], v[84:85] op_sel:[1,1] op_sel_hi:[0,1]
	s_delay_alu instid0(VALU_DEP_1) | instskip(SKIP_1) | instid1(VALU_DEP_2)
	v_pk_fma_f32 v[90:91], v[86:87], v[84:85], v[88:89] op_sel_hi:[1,0,1]
	v_pk_fma_f32 v[84:85], v[86:87], v[84:85], v[88:89] neg_lo:[0,0,1] neg_hi:[0,0,1]
	v_mov_b32_e32 v85, v91
	s_delay_alu instid0(VALU_DEP_1)
	v_pk_add_f32 v[80:81], v[80:81], v[84:85]
	s_and_not1_b32 exec_lo, exec_lo, s2
	s_cbranch_execnz .LBB101_362
; %bb.363:
	s_or_b32 exec_lo, exec_lo, s2
.LBB101_364:
	s_delay_alu instid0(SALU_CYCLE_1) | instskip(SKIP_4) | instid1(VALU_DEP_1)
	s_or_b32 exec_lo, exec_lo, s8
	v_mov_b32_e32 v82, 0
	ds_load_b64 v[82:83], v82 offset:8
	s_wait_dscnt 0x0
	v_pk_mul_f32 v[84:85], v[80:81], v[82:83] op_sel:[1,1] op_sel_hi:[0,1]
	v_pk_fma_f32 v[86:87], v[80:81], v[82:83], v[84:85] op_sel_hi:[1,0,1]
	v_pk_fma_f32 v[80:81], v[80:81], v[82:83], v[84:85] neg_lo:[0,0,1] neg_hi:[0,0,1]
	s_delay_alu instid0(VALU_DEP_2)
	v_mov_b32_e32 v81, v87
	scratch_store_b64 off, v[80:81], off offset:8
.LBB101_365:
	s_wait_xcnt 0x0
	s_or_b32 exec_lo, exec_lo, s1
	scratch_load_b64 v[80:81], off, off
	s_mov_b32 s2, 0
	s_mov_b32 s1, 0
	s_mov_b32 s8, exec_lo
                                        ; implicit-def: $vgpr112
                                        ; implicit-def: $sgpr5
	s_wait_loadcnt 0x0
	ds_store_b64 v1, v[80:81]
	s_wait_storecnt_dscnt 0x0
	s_barrier_signal -1
	s_barrier_wait -1
	s_wait_xcnt 0x0
	v_cmpx_ne_u32_e32 0, v0
	s_cbranch_execz .LBB101_375
; %bb.366:
	s_and_not1_b32 vcc_lo, exec_lo, s3
	s_cbranch_vccnz .LBB101_368
; %bb.367:
	scratch_load_b64 v[82:83], v59, off
	ds_load_b64 v[84:85], v1
	s_wait_loadcnt_dscnt 0x0
	v_dual_mul_f32 v80, v85, v83 :: v_dual_mul_f32 v81, v84, v83
	s_delay_alu instid0(VALU_DEP_1)
	v_dual_fma_f32 v80, v84, v82, -v80 :: v_dual_fmac_f32 v81, v85, v82
	s_and_not1_b32 vcc_lo, exec_lo, s1
	s_cbranch_vccz .LBB101_369
	s_branch .LBB101_370
.LBB101_368:
                                        ; implicit-def: $vgpr80
.LBB101_369:
	ds_load_b64 v[80:81], v1
.LBB101_370:
	s_and_saveexec_b32 s1, s0
	s_cbranch_execz .LBB101_374
; %bb.371:
	v_add_nc_u32_e32 v82, -1, v0
	s_movk_i32 s5, 0x138
	s_mov_b32 s0, 0
.LBB101_372:                            ; =>This Inner Loop Header: Depth=1
	scratch_load_b64 v[84:85], off, s4
	v_mov_b32_e32 v83, s5
	s_add_co_i32 s5, s5, 8
	s_wait_xcnt 0x0
	s_add_co_i32 s4, s4, 8
	v_add_nc_u32_e32 v82, -1, v82
	ds_load_b64 v[86:87], v83
	v_cmp_eq_u32_e32 vcc_lo, 0, v82
	s_or_b32 s0, vcc_lo, s0
	s_wait_loadcnt_dscnt 0x0
	v_dual_mul_f32 v83, v87, v85 :: v_dual_mul_f32 v85, v86, v85
	s_delay_alu instid0(VALU_DEP_1) | instskip(NEXT) | instid1(VALU_DEP_1)
	v_dual_fma_f32 v83, v86, v84, -v83 :: v_dual_fmac_f32 v85, v87, v84
	v_dual_add_f32 v80, v80, v83 :: v_dual_add_f32 v81, v81, v85
	s_and_not1_b32 exec_lo, exec_lo, s0
	s_cbranch_execnz .LBB101_372
; %bb.373:
	s_or_b32 exec_lo, exec_lo, s0
.LBB101_374:
	s_delay_alu instid0(SALU_CYCLE_1)
	s_or_b32 exec_lo, exec_lo, s1
	v_mov_b32_e32 v82, 0
	s_mov_b32 s1, exec_lo
	s_or_b32 s5, 0, 4
	ds_load_b64 v[82:83], v82
	s_wait_dscnt 0x0
	v_dual_mul_f32 v84, v81, v83 :: v_dual_mul_f32 v112, v80, v83
	s_delay_alu instid0(VALU_DEP_1) | instskip(NEXT) | instid1(VALU_DEP_2)
	v_fma_f32 v80, v80, v82, -v84
	v_fmac_f32_e32 v112, v81, v82
	scratch_store_b32 off, v80, off
.LBB101_375:
	s_wait_xcnt 0x0
	s_or_b32 exec_lo, exec_lo, s8
	s_delay_alu instid0(SALU_CYCLE_1)
	s_and_b32 vcc_lo, exec_lo, s2
	s_cbranch_vccz .LBB101_741
.LBB101_376:
	scratch_load_b64 v[80:81], off, off offset:8
	v_cmp_eq_u32_e64 s0, 0, v0
	s_wait_loadcnt 0x0
	ds_store_b64 v1, v[80:81]
	s_wait_storecnt_dscnt 0x0
	s_barrier_signal -1
	s_barrier_wait -1
	s_wait_xcnt 0x0
	s_and_saveexec_b32 s2, s0
	s_cbranch_execz .LBB101_382
; %bb.377:
	s_and_b32 vcc_lo, exec_lo, s3
	s_cbranch_vccz .LBB101_379
; %bb.378:
	scratch_load_b64 v[80:81], v59, off
	ds_load_b64 v[82:83], v1
	s_wait_loadcnt_dscnt 0x0
	v_pk_mul_f32 v[84:85], v[82:83], v[80:81] op_sel:[1,1] op_sel_hi:[0,1]
	v_pk_mul_f32 v[86:87], v[82:83], v[80:81] op_sel_hi:[1,0]
	s_delay_alu instid0(VALU_DEP_2) | instskip(NEXT) | instid1(VALU_DEP_2)
	v_pk_fma_f32 v[80:81], v[82:83], v[80:81], v[84:85] op_sel_hi:[1,0,1]
	v_sub_f32_e32 v80, v86, v84
	s_cbranch_execz .LBB101_380
	s_branch .LBB101_381
.LBB101_379:
                                        ; implicit-def: $vgpr81
.LBB101_380:
	ds_load_b64 v[80:81], v1
.LBB101_381:
	s_wait_dscnt 0x0
	v_dual_mov_b32 v82, 0 :: v_dual_mov_b32 v84, v81
	v_mov_b32_e32 v85, v80
	ds_load_b64 v[82:83], v82 offset:8
	s_wait_dscnt 0x0
	v_pk_mul_f32 v[84:85], v[84:85], v[82:83] op_sel:[0,1]
	s_delay_alu instid0(VALU_DEP_1) | instskip(SKIP_1) | instid1(VALU_DEP_2)
	v_pk_fma_f32 v[86:87], v[80:81], v[82:83], v[84:85] op_sel_hi:[1,0,1]
	v_pk_fma_f32 v[80:81], v[80:81], v[82:83], v[84:85] neg_lo:[0,0,1] neg_hi:[0,0,1]
	v_mov_b32_e32 v81, v87
	scratch_store_b64 off, v[80:81], off offset:8
.LBB101_382:
	s_wait_xcnt 0x0
	s_or_b32 exec_lo, exec_lo, s2
	scratch_load_b64 v[80:81], off, off offset:16
	v_cndmask_b32_e64 v82, 0, 1, s3
	s_mov_b32 s2, exec_lo
	s_wait_loadcnt 0x0
	ds_store_b64 v1, v[80:81]
	s_wait_storecnt_dscnt 0x0
	s_barrier_signal -1
	s_barrier_wait -1
	s_wait_xcnt 0x0
	v_cmpx_gt_u32_e32 2, v0
	s_cbranch_execz .LBB101_390
; %bb.383:
	s_and_not1_b32 vcc_lo, exec_lo, s3
	s_cbranch_vccnz .LBB101_385
; %bb.384:
	scratch_load_b64 v[80:81], v59, off
	ds_load_b64 v[84:85], v1
	s_wait_loadcnt_dscnt 0x0
	v_pk_mul_f32 v[86:87], v[84:85], v[80:81] op_sel:[1,1] op_sel_hi:[0,1]
	s_delay_alu instid0(VALU_DEP_1) | instskip(SKIP_1) | instid1(VALU_DEP_2)
	v_pk_fma_f32 v[88:89], v[84:85], v[80:81], v[86:87] op_sel_hi:[1,0,1]
	v_pk_fma_f32 v[80:81], v[84:85], v[80:81], v[86:87] neg_lo:[0,0,1] neg_hi:[0,0,1]
	v_mov_b32_e32 v81, v89
	s_cbranch_execz .LBB101_386
	s_branch .LBB101_387
.LBB101_385:
                                        ; implicit-def: $vgpr80_vgpr81
.LBB101_386:
	ds_load_b64 v[80:81], v1
.LBB101_387:
	s_and_saveexec_b32 s3, s0
	s_cbranch_execz .LBB101_389
; %bb.388:
	scratch_load_b64 v[84:85], off, off offset:8
	v_mov_b32_e32 v83, 0
	ds_load_b64 v[86:87], v83 offset:312
	s_wait_loadcnt_dscnt 0x0
	v_pk_mul_f32 v[88:89], v[86:87], v[84:85] op_sel:[1,1] op_sel_hi:[0,1]
	s_delay_alu instid0(VALU_DEP_1) | instskip(SKIP_1) | instid1(VALU_DEP_2)
	v_pk_fma_f32 v[90:91], v[86:87], v[84:85], v[88:89] op_sel_hi:[1,0,1]
	v_pk_fma_f32 v[84:85], v[86:87], v[84:85], v[88:89] neg_lo:[0,0,1] neg_hi:[0,0,1]
	v_mov_b32_e32 v85, v91
	s_delay_alu instid0(VALU_DEP_1)
	v_pk_add_f32 v[80:81], v[80:81], v[84:85]
.LBB101_389:
	s_or_b32 exec_lo, exec_lo, s3
	v_mov_b32_e32 v83, 0
	ds_load_b64 v[84:85], v83 offset:16
	s_wait_dscnt 0x0
	v_pk_mul_f32 v[86:87], v[80:81], v[84:85] op_sel:[1,1] op_sel_hi:[0,1]
	s_delay_alu instid0(VALU_DEP_1) | instskip(SKIP_1) | instid1(VALU_DEP_2)
	v_pk_fma_f32 v[88:89], v[80:81], v[84:85], v[86:87] op_sel_hi:[1,0,1]
	v_pk_fma_f32 v[80:81], v[80:81], v[84:85], v[86:87] neg_lo:[0,0,1] neg_hi:[0,0,1]
	v_mov_b32_e32 v81, v89
	scratch_store_b64 off, v[80:81], off offset:16
.LBB101_390:
	s_wait_xcnt 0x0
	s_or_b32 exec_lo, exec_lo, s2
	scratch_load_b64 v[80:81], off, off offset:24
	s_mov_b32 s2, exec_lo
	s_wait_loadcnt 0x0
	ds_store_b64 v1, v[80:81]
	s_wait_storecnt_dscnt 0x0
	s_barrier_signal -1
	s_barrier_wait -1
	s_wait_xcnt 0x0
	v_cmpx_gt_u32_e32 3, v0
	s_cbranch_execz .LBB101_400
; %bb.391:
	v_cmp_ne_u32_e32 vcc_lo, 1, v82
	s_cbranch_vccnz .LBB101_393
; %bb.392:
	scratch_load_b64 v[80:81], v59, off
	ds_load_b64 v[84:85], v1
	s_wait_loadcnt_dscnt 0x0
	v_pk_mul_f32 v[86:87], v[84:85], v[80:81] op_sel:[1,1] op_sel_hi:[0,1]
	s_delay_alu instid0(VALU_DEP_1) | instskip(SKIP_1) | instid1(VALU_DEP_2)
	v_pk_fma_f32 v[88:89], v[84:85], v[80:81], v[86:87] op_sel_hi:[1,0,1]
	v_pk_fma_f32 v[80:81], v[84:85], v[80:81], v[86:87] neg_lo:[0,0,1] neg_hi:[0,0,1]
	v_mov_b32_e32 v81, v89
	s_cbranch_execz .LBB101_394
	s_branch .LBB101_395
.LBB101_393:
                                        ; implicit-def: $vgpr80_vgpr81
.LBB101_394:
	ds_load_b64 v[80:81], v1
.LBB101_395:
	s_mov_b32 s3, exec_lo
	v_cmpx_ne_u32_e32 2, v0
	s_cbranch_execz .LBB101_399
; %bb.396:
	scratch_load_b64 v[84:85], v59, off offset:8
	ds_load_b64 v[86:87], v1 offset:8
	s_wait_loadcnt_dscnt 0x0
	v_pk_mul_f32 v[88:89], v[86:87], v[84:85] op_sel:[1,1] op_sel_hi:[0,1]
	s_delay_alu instid0(VALU_DEP_1) | instskip(SKIP_1) | instid1(VALU_DEP_2)
	v_pk_fma_f32 v[90:91], v[86:87], v[84:85], v[88:89] op_sel_hi:[1,0,1]
	v_pk_fma_f32 v[84:85], v[86:87], v[84:85], v[88:89] neg_lo:[0,0,1] neg_hi:[0,0,1]
	v_mov_b32_e32 v85, v91
	s_delay_alu instid0(VALU_DEP_1)
	v_pk_add_f32 v[80:81], v[80:81], v[84:85]
	s_and_saveexec_b32 s4, s0
	s_cbranch_execz .LBB101_398
; %bb.397:
	scratch_load_b64 v[84:85], off, off offset:16
	v_mov_b32_e32 v83, 0
	ds_load_b64 v[86:87], v83 offset:320
	s_wait_loadcnt_dscnt 0x0
	v_pk_mul_f32 v[88:89], v[86:87], v[84:85] op_sel:[1,1] op_sel_hi:[0,1]
	s_delay_alu instid0(VALU_DEP_1) | instskip(SKIP_1) | instid1(VALU_DEP_2)
	v_pk_fma_f32 v[90:91], v[86:87], v[84:85], v[88:89] op_sel_hi:[1,0,1]
	v_pk_fma_f32 v[84:85], v[86:87], v[84:85], v[88:89] neg_lo:[0,0,1] neg_hi:[0,0,1]
	v_mov_b32_e32 v85, v91
	s_delay_alu instid0(VALU_DEP_1)
	v_pk_add_f32 v[80:81], v[80:81], v[84:85]
.LBB101_398:
	s_or_b32 exec_lo, exec_lo, s4
.LBB101_399:
	s_delay_alu instid0(SALU_CYCLE_1) | instskip(SKIP_4) | instid1(VALU_DEP_1)
	s_or_b32 exec_lo, exec_lo, s3
	v_mov_b32_e32 v83, 0
	ds_load_b64 v[84:85], v83 offset:24
	s_wait_dscnt 0x0
	v_pk_mul_f32 v[86:87], v[80:81], v[84:85] op_sel:[1,1] op_sel_hi:[0,1]
	v_pk_fma_f32 v[88:89], v[80:81], v[84:85], v[86:87] op_sel_hi:[1,0,1]
	v_pk_fma_f32 v[80:81], v[80:81], v[84:85], v[86:87] neg_lo:[0,0,1] neg_hi:[0,0,1]
	s_delay_alu instid0(VALU_DEP_2)
	v_mov_b32_e32 v81, v89
	scratch_store_b64 off, v[80:81], off offset:24
.LBB101_400:
	s_wait_xcnt 0x0
	s_or_b32 exec_lo, exec_lo, s2
	scratch_load_b64 v[80:81], off, off offset:32
	s_mov_b32 s0, exec_lo
	s_wait_loadcnt 0x0
	ds_store_b64 v1, v[80:81]
	s_wait_storecnt_dscnt 0x0
	s_barrier_signal -1
	s_barrier_wait -1
	s_wait_xcnt 0x0
	v_cmpx_gt_u32_e32 4, v0
	s_cbranch_execz .LBB101_410
; %bb.401:
	v_cmp_ne_u32_e32 vcc_lo, 1, v82
	s_cbranch_vccnz .LBB101_403
; %bb.402:
	scratch_load_b64 v[80:81], v59, off
	ds_load_b64 v[84:85], v1
	s_wait_loadcnt_dscnt 0x0
	v_pk_mul_f32 v[86:87], v[84:85], v[80:81] op_sel:[1,1] op_sel_hi:[0,1]
	s_delay_alu instid0(VALU_DEP_1) | instskip(SKIP_1) | instid1(VALU_DEP_2)
	v_pk_fma_f32 v[88:89], v[84:85], v[80:81], v[86:87] op_sel_hi:[1,0,1]
	v_pk_fma_f32 v[80:81], v[84:85], v[80:81], v[86:87] neg_lo:[0,0,1] neg_hi:[0,0,1]
	v_mov_b32_e32 v81, v89
	s_cbranch_execz .LBB101_404
	s_branch .LBB101_405
.LBB101_403:
                                        ; implicit-def: $vgpr80_vgpr81
.LBB101_404:
	ds_load_b64 v[80:81], v1
.LBB101_405:
	s_mov_b32 s2, exec_lo
	v_cmpx_ne_u32_e32 3, v0
	s_cbranch_execz .LBB101_409
; %bb.406:
	v_add_nc_u32_e32 v83, 0x138, v58
	v_add3_u32 v84, 0, v58, 8
	v_mov_b32_e32 v85, v0
	s_mov_b32 s3, 0
.LBB101_407:                            ; =>This Inner Loop Header: Depth=1
	scratch_load_b64 v[86:87], v84, off
	ds_load_b64 v[88:89], v83
	s_wait_xcnt 0x0
	v_dual_add_nc_u32 v83, 8, v83 :: v_dual_add_nc_u32 v84, 8, v84
	s_wait_loadcnt_dscnt 0x0
	v_pk_mul_f32 v[90:91], v[88:89], v[86:87] op_sel:[1,1] op_sel_hi:[0,1]
	s_delay_alu instid0(VALU_DEP_1) | instskip(SKIP_2) | instid1(VALU_DEP_3)
	v_pk_fma_f32 v[92:93], v[88:89], v[86:87], v[90:91] op_sel_hi:[1,0,1]
	v_add_nc_u32_e32 v85, 1, v85
	v_pk_fma_f32 v[86:87], v[88:89], v[86:87], v[90:91] neg_lo:[0,0,1] neg_hi:[0,0,1]
	v_mov_b32_e32 v87, v93
	s_delay_alu instid0(VALU_DEP_3) | instskip(NEXT) | instid1(VALU_DEP_2)
	v_cmp_lt_u32_e32 vcc_lo, 2, v85
	v_pk_add_f32 v[80:81], v[80:81], v[86:87]
	s_or_b32 s3, vcc_lo, s3
	s_delay_alu instid0(SALU_CYCLE_1)
	s_and_not1_b32 exec_lo, exec_lo, s3
	s_cbranch_execnz .LBB101_407
; %bb.408:
	s_or_b32 exec_lo, exec_lo, s3
.LBB101_409:
	s_delay_alu instid0(SALU_CYCLE_1) | instskip(SKIP_4) | instid1(VALU_DEP_1)
	s_or_b32 exec_lo, exec_lo, s2
	v_mov_b32_e32 v83, 0
	ds_load_b64 v[84:85], v83 offset:32
	s_wait_dscnt 0x0
	v_pk_mul_f32 v[86:87], v[80:81], v[84:85] op_sel:[1,1] op_sel_hi:[0,1]
	v_pk_fma_f32 v[88:89], v[80:81], v[84:85], v[86:87] op_sel_hi:[1,0,1]
	v_pk_fma_f32 v[80:81], v[80:81], v[84:85], v[86:87] neg_lo:[0,0,1] neg_hi:[0,0,1]
	s_delay_alu instid0(VALU_DEP_2)
	v_mov_b32_e32 v81, v89
	scratch_store_b64 off, v[80:81], off offset:32
.LBB101_410:
	s_wait_xcnt 0x0
	s_or_b32 exec_lo, exec_lo, s0
	scratch_load_b64 v[80:81], off, off offset:40
	s_mov_b32 s0, exec_lo
	s_wait_loadcnt 0x0
	ds_store_b64 v1, v[80:81]
	s_wait_storecnt_dscnt 0x0
	s_barrier_signal -1
	s_barrier_wait -1
	s_wait_xcnt 0x0
	v_cmpx_gt_u32_e32 5, v0
	s_cbranch_execz .LBB101_420
; %bb.411:
	v_cmp_ne_u32_e32 vcc_lo, 1, v82
	s_cbranch_vccnz .LBB101_413
; %bb.412:
	scratch_load_b64 v[80:81], v59, off
	ds_load_b64 v[84:85], v1
	s_wait_loadcnt_dscnt 0x0
	v_pk_mul_f32 v[86:87], v[84:85], v[80:81] op_sel:[1,1] op_sel_hi:[0,1]
	s_delay_alu instid0(VALU_DEP_1) | instskip(SKIP_1) | instid1(VALU_DEP_2)
	v_pk_fma_f32 v[88:89], v[84:85], v[80:81], v[86:87] op_sel_hi:[1,0,1]
	v_pk_fma_f32 v[80:81], v[84:85], v[80:81], v[86:87] neg_lo:[0,0,1] neg_hi:[0,0,1]
	v_mov_b32_e32 v81, v89
	s_cbranch_execz .LBB101_414
	s_branch .LBB101_415
.LBB101_413:
                                        ; implicit-def: $vgpr80_vgpr81
.LBB101_414:
	ds_load_b64 v[80:81], v1
.LBB101_415:
	s_mov_b32 s2, exec_lo
	v_cmpx_ne_u32_e32 4, v0
	s_cbranch_execz .LBB101_419
; %bb.416:
	v_add_nc_u32_e32 v83, 0x138, v58
	v_add3_u32 v84, 0, v58, 8
	v_mov_b32_e32 v85, v0
	s_mov_b32 s3, 0
.LBB101_417:                            ; =>This Inner Loop Header: Depth=1
	scratch_load_b64 v[86:87], v84, off
	ds_load_b64 v[88:89], v83
	s_wait_xcnt 0x0
	v_dual_add_nc_u32 v83, 8, v83 :: v_dual_add_nc_u32 v84, 8, v84
	s_wait_loadcnt_dscnt 0x0
	v_pk_mul_f32 v[90:91], v[88:89], v[86:87] op_sel:[1,1] op_sel_hi:[0,1]
	s_delay_alu instid0(VALU_DEP_1) | instskip(SKIP_2) | instid1(VALU_DEP_3)
	v_pk_fma_f32 v[92:93], v[88:89], v[86:87], v[90:91] op_sel_hi:[1,0,1]
	v_add_nc_u32_e32 v85, 1, v85
	v_pk_fma_f32 v[86:87], v[88:89], v[86:87], v[90:91] neg_lo:[0,0,1] neg_hi:[0,0,1]
	v_mov_b32_e32 v87, v93
	s_delay_alu instid0(VALU_DEP_3) | instskip(NEXT) | instid1(VALU_DEP_2)
	v_cmp_lt_u32_e32 vcc_lo, 3, v85
	v_pk_add_f32 v[80:81], v[80:81], v[86:87]
	s_or_b32 s3, vcc_lo, s3
	s_delay_alu instid0(SALU_CYCLE_1)
	s_and_not1_b32 exec_lo, exec_lo, s3
	s_cbranch_execnz .LBB101_417
; %bb.418:
	s_or_b32 exec_lo, exec_lo, s3
.LBB101_419:
	s_delay_alu instid0(SALU_CYCLE_1) | instskip(SKIP_4) | instid1(VALU_DEP_1)
	s_or_b32 exec_lo, exec_lo, s2
	v_mov_b32_e32 v83, 0
	ds_load_b64 v[84:85], v83 offset:40
	s_wait_dscnt 0x0
	v_pk_mul_f32 v[86:87], v[80:81], v[84:85] op_sel:[1,1] op_sel_hi:[0,1]
	v_pk_fma_f32 v[88:89], v[80:81], v[84:85], v[86:87] op_sel_hi:[1,0,1]
	v_pk_fma_f32 v[80:81], v[80:81], v[84:85], v[86:87] neg_lo:[0,0,1] neg_hi:[0,0,1]
	s_delay_alu instid0(VALU_DEP_2)
	v_mov_b32_e32 v81, v89
	scratch_store_b64 off, v[80:81], off offset:40
.LBB101_420:
	s_wait_xcnt 0x0
	s_or_b32 exec_lo, exec_lo, s0
	scratch_load_b64 v[80:81], off, off offset:48
	s_mov_b32 s0, exec_lo
	s_wait_loadcnt 0x0
	ds_store_b64 v1, v[80:81]
	s_wait_storecnt_dscnt 0x0
	s_barrier_signal -1
	s_barrier_wait -1
	s_wait_xcnt 0x0
	v_cmpx_gt_u32_e32 6, v0
	s_cbranch_execz .LBB101_430
; %bb.421:
	v_cmp_ne_u32_e32 vcc_lo, 1, v82
	s_cbranch_vccnz .LBB101_423
; %bb.422:
	scratch_load_b64 v[80:81], v59, off
	ds_load_b64 v[84:85], v1
	s_wait_loadcnt_dscnt 0x0
	v_pk_mul_f32 v[86:87], v[84:85], v[80:81] op_sel:[1,1] op_sel_hi:[0,1]
	s_delay_alu instid0(VALU_DEP_1) | instskip(SKIP_1) | instid1(VALU_DEP_2)
	v_pk_fma_f32 v[88:89], v[84:85], v[80:81], v[86:87] op_sel_hi:[1,0,1]
	v_pk_fma_f32 v[80:81], v[84:85], v[80:81], v[86:87] neg_lo:[0,0,1] neg_hi:[0,0,1]
	v_mov_b32_e32 v81, v89
	s_cbranch_execz .LBB101_424
	s_branch .LBB101_425
.LBB101_423:
                                        ; implicit-def: $vgpr80_vgpr81
.LBB101_424:
	ds_load_b64 v[80:81], v1
.LBB101_425:
	s_mov_b32 s2, exec_lo
	v_cmpx_ne_u32_e32 5, v0
	s_cbranch_execz .LBB101_429
; %bb.426:
	v_add_nc_u32_e32 v83, 0x138, v58
	v_add3_u32 v84, 0, v58, 8
	v_mov_b32_e32 v85, v0
	s_mov_b32 s3, 0
.LBB101_427:                            ; =>This Inner Loop Header: Depth=1
	scratch_load_b64 v[86:87], v84, off
	ds_load_b64 v[88:89], v83
	s_wait_xcnt 0x0
	v_dual_add_nc_u32 v83, 8, v83 :: v_dual_add_nc_u32 v84, 8, v84
	s_wait_loadcnt_dscnt 0x0
	v_pk_mul_f32 v[90:91], v[88:89], v[86:87] op_sel:[1,1] op_sel_hi:[0,1]
	s_delay_alu instid0(VALU_DEP_1) | instskip(SKIP_2) | instid1(VALU_DEP_3)
	v_pk_fma_f32 v[92:93], v[88:89], v[86:87], v[90:91] op_sel_hi:[1,0,1]
	v_add_nc_u32_e32 v85, 1, v85
	v_pk_fma_f32 v[86:87], v[88:89], v[86:87], v[90:91] neg_lo:[0,0,1] neg_hi:[0,0,1]
	v_mov_b32_e32 v87, v93
	s_delay_alu instid0(VALU_DEP_3) | instskip(NEXT) | instid1(VALU_DEP_2)
	v_cmp_lt_u32_e32 vcc_lo, 4, v85
	v_pk_add_f32 v[80:81], v[80:81], v[86:87]
	s_or_b32 s3, vcc_lo, s3
	s_delay_alu instid0(SALU_CYCLE_1)
	s_and_not1_b32 exec_lo, exec_lo, s3
	s_cbranch_execnz .LBB101_427
; %bb.428:
	s_or_b32 exec_lo, exec_lo, s3
.LBB101_429:
	s_delay_alu instid0(SALU_CYCLE_1) | instskip(SKIP_4) | instid1(VALU_DEP_1)
	s_or_b32 exec_lo, exec_lo, s2
	v_mov_b32_e32 v83, 0
	ds_load_b64 v[84:85], v83 offset:48
	s_wait_dscnt 0x0
	v_pk_mul_f32 v[86:87], v[80:81], v[84:85] op_sel:[1,1] op_sel_hi:[0,1]
	v_pk_fma_f32 v[88:89], v[80:81], v[84:85], v[86:87] op_sel_hi:[1,0,1]
	v_pk_fma_f32 v[80:81], v[80:81], v[84:85], v[86:87] neg_lo:[0,0,1] neg_hi:[0,0,1]
	s_delay_alu instid0(VALU_DEP_2)
	v_mov_b32_e32 v81, v89
	scratch_store_b64 off, v[80:81], off offset:48
.LBB101_430:
	s_wait_xcnt 0x0
	s_or_b32 exec_lo, exec_lo, s0
	scratch_load_b64 v[80:81], off, off offset:56
	s_mov_b32 s0, exec_lo
	s_wait_loadcnt 0x0
	ds_store_b64 v1, v[80:81]
	s_wait_storecnt_dscnt 0x0
	s_barrier_signal -1
	s_barrier_wait -1
	s_wait_xcnt 0x0
	v_cmpx_gt_u32_e32 7, v0
	s_cbranch_execz .LBB101_440
; %bb.431:
	v_cmp_ne_u32_e32 vcc_lo, 1, v82
	s_cbranch_vccnz .LBB101_433
; %bb.432:
	scratch_load_b64 v[80:81], v59, off
	ds_load_b64 v[84:85], v1
	s_wait_loadcnt_dscnt 0x0
	v_pk_mul_f32 v[86:87], v[84:85], v[80:81] op_sel:[1,1] op_sel_hi:[0,1]
	s_delay_alu instid0(VALU_DEP_1) | instskip(SKIP_1) | instid1(VALU_DEP_2)
	v_pk_fma_f32 v[88:89], v[84:85], v[80:81], v[86:87] op_sel_hi:[1,0,1]
	v_pk_fma_f32 v[80:81], v[84:85], v[80:81], v[86:87] neg_lo:[0,0,1] neg_hi:[0,0,1]
	v_mov_b32_e32 v81, v89
	s_cbranch_execz .LBB101_434
	s_branch .LBB101_435
.LBB101_433:
                                        ; implicit-def: $vgpr80_vgpr81
.LBB101_434:
	ds_load_b64 v[80:81], v1
.LBB101_435:
	s_mov_b32 s2, exec_lo
	v_cmpx_ne_u32_e32 6, v0
	s_cbranch_execz .LBB101_439
; %bb.436:
	v_add_nc_u32_e32 v83, 0x138, v58
	v_add3_u32 v84, 0, v58, 8
	v_mov_b32_e32 v85, v0
	s_mov_b32 s3, 0
.LBB101_437:                            ; =>This Inner Loop Header: Depth=1
	scratch_load_b64 v[86:87], v84, off
	ds_load_b64 v[88:89], v83
	s_wait_xcnt 0x0
	v_dual_add_nc_u32 v83, 8, v83 :: v_dual_add_nc_u32 v84, 8, v84
	s_wait_loadcnt_dscnt 0x0
	v_pk_mul_f32 v[90:91], v[88:89], v[86:87] op_sel:[1,1] op_sel_hi:[0,1]
	s_delay_alu instid0(VALU_DEP_1) | instskip(SKIP_2) | instid1(VALU_DEP_3)
	v_pk_fma_f32 v[92:93], v[88:89], v[86:87], v[90:91] op_sel_hi:[1,0,1]
	v_add_nc_u32_e32 v85, 1, v85
	v_pk_fma_f32 v[86:87], v[88:89], v[86:87], v[90:91] neg_lo:[0,0,1] neg_hi:[0,0,1]
	v_mov_b32_e32 v87, v93
	s_delay_alu instid0(VALU_DEP_3) | instskip(NEXT) | instid1(VALU_DEP_2)
	v_cmp_lt_u32_e32 vcc_lo, 5, v85
	v_pk_add_f32 v[80:81], v[80:81], v[86:87]
	s_or_b32 s3, vcc_lo, s3
	s_delay_alu instid0(SALU_CYCLE_1)
	s_and_not1_b32 exec_lo, exec_lo, s3
	s_cbranch_execnz .LBB101_437
; %bb.438:
	s_or_b32 exec_lo, exec_lo, s3
.LBB101_439:
	s_delay_alu instid0(SALU_CYCLE_1) | instskip(SKIP_4) | instid1(VALU_DEP_1)
	s_or_b32 exec_lo, exec_lo, s2
	v_mov_b32_e32 v83, 0
	ds_load_b64 v[84:85], v83 offset:56
	s_wait_dscnt 0x0
	v_pk_mul_f32 v[86:87], v[80:81], v[84:85] op_sel:[1,1] op_sel_hi:[0,1]
	v_pk_fma_f32 v[88:89], v[80:81], v[84:85], v[86:87] op_sel_hi:[1,0,1]
	v_pk_fma_f32 v[80:81], v[80:81], v[84:85], v[86:87] neg_lo:[0,0,1] neg_hi:[0,0,1]
	s_delay_alu instid0(VALU_DEP_2)
	v_mov_b32_e32 v81, v89
	scratch_store_b64 off, v[80:81], off offset:56
.LBB101_440:
	s_wait_xcnt 0x0
	s_or_b32 exec_lo, exec_lo, s0
	scratch_load_b64 v[80:81], off, off offset:64
	s_mov_b32 s0, exec_lo
	s_wait_loadcnt 0x0
	ds_store_b64 v1, v[80:81]
	s_wait_storecnt_dscnt 0x0
	s_barrier_signal -1
	s_barrier_wait -1
	s_wait_xcnt 0x0
	v_cmpx_gt_u32_e32 8, v0
	s_cbranch_execz .LBB101_450
; %bb.441:
	v_cmp_ne_u32_e32 vcc_lo, 1, v82
	s_cbranch_vccnz .LBB101_443
; %bb.442:
	scratch_load_b64 v[80:81], v59, off
	ds_load_b64 v[84:85], v1
	s_wait_loadcnt_dscnt 0x0
	v_pk_mul_f32 v[86:87], v[84:85], v[80:81] op_sel:[1,1] op_sel_hi:[0,1]
	s_delay_alu instid0(VALU_DEP_1) | instskip(SKIP_1) | instid1(VALU_DEP_2)
	v_pk_fma_f32 v[88:89], v[84:85], v[80:81], v[86:87] op_sel_hi:[1,0,1]
	v_pk_fma_f32 v[80:81], v[84:85], v[80:81], v[86:87] neg_lo:[0,0,1] neg_hi:[0,0,1]
	v_mov_b32_e32 v81, v89
	s_cbranch_execz .LBB101_444
	s_branch .LBB101_445
.LBB101_443:
                                        ; implicit-def: $vgpr80_vgpr81
.LBB101_444:
	ds_load_b64 v[80:81], v1
.LBB101_445:
	s_mov_b32 s2, exec_lo
	v_cmpx_ne_u32_e32 7, v0
	s_cbranch_execz .LBB101_449
; %bb.446:
	v_add_nc_u32_e32 v83, 0x138, v58
	v_add3_u32 v84, 0, v58, 8
	v_mov_b32_e32 v85, v0
	s_mov_b32 s3, 0
.LBB101_447:                            ; =>This Inner Loop Header: Depth=1
	scratch_load_b64 v[86:87], v84, off
	ds_load_b64 v[88:89], v83
	s_wait_xcnt 0x0
	v_dual_add_nc_u32 v83, 8, v83 :: v_dual_add_nc_u32 v84, 8, v84
	s_wait_loadcnt_dscnt 0x0
	v_pk_mul_f32 v[90:91], v[88:89], v[86:87] op_sel:[1,1] op_sel_hi:[0,1]
	s_delay_alu instid0(VALU_DEP_1) | instskip(SKIP_2) | instid1(VALU_DEP_3)
	v_pk_fma_f32 v[92:93], v[88:89], v[86:87], v[90:91] op_sel_hi:[1,0,1]
	v_add_nc_u32_e32 v85, 1, v85
	v_pk_fma_f32 v[86:87], v[88:89], v[86:87], v[90:91] neg_lo:[0,0,1] neg_hi:[0,0,1]
	v_mov_b32_e32 v87, v93
	s_delay_alu instid0(VALU_DEP_3) | instskip(NEXT) | instid1(VALU_DEP_2)
	v_cmp_lt_u32_e32 vcc_lo, 6, v85
	v_pk_add_f32 v[80:81], v[80:81], v[86:87]
	s_or_b32 s3, vcc_lo, s3
	s_delay_alu instid0(SALU_CYCLE_1)
	s_and_not1_b32 exec_lo, exec_lo, s3
	s_cbranch_execnz .LBB101_447
; %bb.448:
	s_or_b32 exec_lo, exec_lo, s3
.LBB101_449:
	s_delay_alu instid0(SALU_CYCLE_1) | instskip(SKIP_4) | instid1(VALU_DEP_1)
	s_or_b32 exec_lo, exec_lo, s2
	v_mov_b32_e32 v83, 0
	ds_load_b64 v[84:85], v83 offset:64
	s_wait_dscnt 0x0
	v_pk_mul_f32 v[86:87], v[80:81], v[84:85] op_sel:[1,1] op_sel_hi:[0,1]
	v_pk_fma_f32 v[88:89], v[80:81], v[84:85], v[86:87] op_sel_hi:[1,0,1]
	v_pk_fma_f32 v[80:81], v[80:81], v[84:85], v[86:87] neg_lo:[0,0,1] neg_hi:[0,0,1]
	s_delay_alu instid0(VALU_DEP_2)
	v_mov_b32_e32 v81, v89
	scratch_store_b64 off, v[80:81], off offset:64
.LBB101_450:
	s_wait_xcnt 0x0
	s_or_b32 exec_lo, exec_lo, s0
	scratch_load_b64 v[80:81], off, off offset:72
	s_mov_b32 s0, exec_lo
	s_wait_loadcnt 0x0
	ds_store_b64 v1, v[80:81]
	s_wait_storecnt_dscnt 0x0
	s_barrier_signal -1
	s_barrier_wait -1
	s_wait_xcnt 0x0
	v_cmpx_gt_u32_e32 9, v0
	s_cbranch_execz .LBB101_460
; %bb.451:
	v_cmp_ne_u32_e32 vcc_lo, 1, v82
	s_cbranch_vccnz .LBB101_453
; %bb.452:
	scratch_load_b64 v[80:81], v59, off
	ds_load_b64 v[84:85], v1
	s_wait_loadcnt_dscnt 0x0
	v_pk_mul_f32 v[86:87], v[84:85], v[80:81] op_sel:[1,1] op_sel_hi:[0,1]
	s_delay_alu instid0(VALU_DEP_1) | instskip(SKIP_1) | instid1(VALU_DEP_2)
	v_pk_fma_f32 v[88:89], v[84:85], v[80:81], v[86:87] op_sel_hi:[1,0,1]
	v_pk_fma_f32 v[80:81], v[84:85], v[80:81], v[86:87] neg_lo:[0,0,1] neg_hi:[0,0,1]
	v_mov_b32_e32 v81, v89
	s_cbranch_execz .LBB101_454
	s_branch .LBB101_455
.LBB101_453:
                                        ; implicit-def: $vgpr80_vgpr81
.LBB101_454:
	ds_load_b64 v[80:81], v1
.LBB101_455:
	s_mov_b32 s2, exec_lo
	v_cmpx_ne_u32_e32 8, v0
	s_cbranch_execz .LBB101_459
; %bb.456:
	v_add_nc_u32_e32 v83, 0x138, v58
	v_add3_u32 v84, 0, v58, 8
	v_mov_b32_e32 v85, v0
	s_mov_b32 s3, 0
.LBB101_457:                            ; =>This Inner Loop Header: Depth=1
	scratch_load_b64 v[86:87], v84, off
	ds_load_b64 v[88:89], v83
	s_wait_xcnt 0x0
	v_dual_add_nc_u32 v83, 8, v83 :: v_dual_add_nc_u32 v84, 8, v84
	s_wait_loadcnt_dscnt 0x0
	v_pk_mul_f32 v[90:91], v[88:89], v[86:87] op_sel:[1,1] op_sel_hi:[0,1]
	s_delay_alu instid0(VALU_DEP_1) | instskip(SKIP_2) | instid1(VALU_DEP_3)
	v_pk_fma_f32 v[92:93], v[88:89], v[86:87], v[90:91] op_sel_hi:[1,0,1]
	v_add_nc_u32_e32 v85, 1, v85
	v_pk_fma_f32 v[86:87], v[88:89], v[86:87], v[90:91] neg_lo:[0,0,1] neg_hi:[0,0,1]
	v_mov_b32_e32 v87, v93
	s_delay_alu instid0(VALU_DEP_3) | instskip(NEXT) | instid1(VALU_DEP_2)
	v_cmp_lt_u32_e32 vcc_lo, 7, v85
	v_pk_add_f32 v[80:81], v[80:81], v[86:87]
	s_or_b32 s3, vcc_lo, s3
	s_delay_alu instid0(SALU_CYCLE_1)
	s_and_not1_b32 exec_lo, exec_lo, s3
	s_cbranch_execnz .LBB101_457
; %bb.458:
	s_or_b32 exec_lo, exec_lo, s3
.LBB101_459:
	s_delay_alu instid0(SALU_CYCLE_1) | instskip(SKIP_4) | instid1(VALU_DEP_1)
	s_or_b32 exec_lo, exec_lo, s2
	v_mov_b32_e32 v83, 0
	ds_load_b64 v[84:85], v83 offset:72
	s_wait_dscnt 0x0
	v_pk_mul_f32 v[86:87], v[80:81], v[84:85] op_sel:[1,1] op_sel_hi:[0,1]
	v_pk_fma_f32 v[88:89], v[80:81], v[84:85], v[86:87] op_sel_hi:[1,0,1]
	v_pk_fma_f32 v[80:81], v[80:81], v[84:85], v[86:87] neg_lo:[0,0,1] neg_hi:[0,0,1]
	s_delay_alu instid0(VALU_DEP_2)
	v_mov_b32_e32 v81, v89
	scratch_store_b64 off, v[80:81], off offset:72
.LBB101_460:
	s_wait_xcnt 0x0
	s_or_b32 exec_lo, exec_lo, s0
	scratch_load_b64 v[80:81], off, off offset:80
	s_mov_b32 s0, exec_lo
	s_wait_loadcnt 0x0
	ds_store_b64 v1, v[80:81]
	s_wait_storecnt_dscnt 0x0
	s_barrier_signal -1
	s_barrier_wait -1
	s_wait_xcnt 0x0
	v_cmpx_gt_u32_e32 10, v0
	s_cbranch_execz .LBB101_470
; %bb.461:
	v_cmp_ne_u32_e32 vcc_lo, 1, v82
	s_cbranch_vccnz .LBB101_463
; %bb.462:
	scratch_load_b64 v[80:81], v59, off
	ds_load_b64 v[84:85], v1
	s_wait_loadcnt_dscnt 0x0
	v_pk_mul_f32 v[86:87], v[84:85], v[80:81] op_sel:[1,1] op_sel_hi:[0,1]
	s_delay_alu instid0(VALU_DEP_1) | instskip(SKIP_1) | instid1(VALU_DEP_2)
	v_pk_fma_f32 v[88:89], v[84:85], v[80:81], v[86:87] op_sel_hi:[1,0,1]
	v_pk_fma_f32 v[80:81], v[84:85], v[80:81], v[86:87] neg_lo:[0,0,1] neg_hi:[0,0,1]
	v_mov_b32_e32 v81, v89
	s_cbranch_execz .LBB101_464
	s_branch .LBB101_465
.LBB101_463:
                                        ; implicit-def: $vgpr80_vgpr81
.LBB101_464:
	ds_load_b64 v[80:81], v1
.LBB101_465:
	s_mov_b32 s2, exec_lo
	v_cmpx_ne_u32_e32 9, v0
	s_cbranch_execz .LBB101_469
; %bb.466:
	v_add_nc_u32_e32 v83, 0x138, v58
	v_add3_u32 v84, 0, v58, 8
	v_mov_b32_e32 v85, v0
	s_mov_b32 s3, 0
.LBB101_467:                            ; =>This Inner Loop Header: Depth=1
	scratch_load_b64 v[86:87], v84, off
	ds_load_b64 v[88:89], v83
	s_wait_xcnt 0x0
	v_dual_add_nc_u32 v83, 8, v83 :: v_dual_add_nc_u32 v84, 8, v84
	s_wait_loadcnt_dscnt 0x0
	v_pk_mul_f32 v[90:91], v[88:89], v[86:87] op_sel:[1,1] op_sel_hi:[0,1]
	s_delay_alu instid0(VALU_DEP_1) | instskip(SKIP_2) | instid1(VALU_DEP_3)
	v_pk_fma_f32 v[92:93], v[88:89], v[86:87], v[90:91] op_sel_hi:[1,0,1]
	v_add_nc_u32_e32 v85, 1, v85
	v_pk_fma_f32 v[86:87], v[88:89], v[86:87], v[90:91] neg_lo:[0,0,1] neg_hi:[0,0,1]
	v_mov_b32_e32 v87, v93
	s_delay_alu instid0(VALU_DEP_3) | instskip(NEXT) | instid1(VALU_DEP_2)
	v_cmp_lt_u32_e32 vcc_lo, 8, v85
	v_pk_add_f32 v[80:81], v[80:81], v[86:87]
	s_or_b32 s3, vcc_lo, s3
	s_delay_alu instid0(SALU_CYCLE_1)
	s_and_not1_b32 exec_lo, exec_lo, s3
	s_cbranch_execnz .LBB101_467
; %bb.468:
	s_or_b32 exec_lo, exec_lo, s3
.LBB101_469:
	s_delay_alu instid0(SALU_CYCLE_1) | instskip(SKIP_4) | instid1(VALU_DEP_1)
	s_or_b32 exec_lo, exec_lo, s2
	v_mov_b32_e32 v83, 0
	ds_load_b64 v[84:85], v83 offset:80
	s_wait_dscnt 0x0
	v_pk_mul_f32 v[86:87], v[80:81], v[84:85] op_sel:[1,1] op_sel_hi:[0,1]
	v_pk_fma_f32 v[88:89], v[80:81], v[84:85], v[86:87] op_sel_hi:[1,0,1]
	v_pk_fma_f32 v[80:81], v[80:81], v[84:85], v[86:87] neg_lo:[0,0,1] neg_hi:[0,0,1]
	s_delay_alu instid0(VALU_DEP_2)
	v_mov_b32_e32 v81, v89
	scratch_store_b64 off, v[80:81], off offset:80
.LBB101_470:
	s_wait_xcnt 0x0
	s_or_b32 exec_lo, exec_lo, s0
	scratch_load_b64 v[80:81], off, off offset:88
	s_mov_b32 s0, exec_lo
	s_wait_loadcnt 0x0
	ds_store_b64 v1, v[80:81]
	s_wait_storecnt_dscnt 0x0
	s_barrier_signal -1
	s_barrier_wait -1
	s_wait_xcnt 0x0
	v_cmpx_gt_u32_e32 11, v0
	s_cbranch_execz .LBB101_480
; %bb.471:
	v_cmp_ne_u32_e32 vcc_lo, 1, v82
	s_cbranch_vccnz .LBB101_473
; %bb.472:
	scratch_load_b64 v[80:81], v59, off
	ds_load_b64 v[84:85], v1
	s_wait_loadcnt_dscnt 0x0
	v_pk_mul_f32 v[86:87], v[84:85], v[80:81] op_sel:[1,1] op_sel_hi:[0,1]
	s_delay_alu instid0(VALU_DEP_1) | instskip(SKIP_1) | instid1(VALU_DEP_2)
	v_pk_fma_f32 v[88:89], v[84:85], v[80:81], v[86:87] op_sel_hi:[1,0,1]
	v_pk_fma_f32 v[80:81], v[84:85], v[80:81], v[86:87] neg_lo:[0,0,1] neg_hi:[0,0,1]
	v_mov_b32_e32 v81, v89
	s_cbranch_execz .LBB101_474
	s_branch .LBB101_475
.LBB101_473:
                                        ; implicit-def: $vgpr80_vgpr81
.LBB101_474:
	ds_load_b64 v[80:81], v1
.LBB101_475:
	s_mov_b32 s2, exec_lo
	v_cmpx_ne_u32_e32 10, v0
	s_cbranch_execz .LBB101_479
; %bb.476:
	v_add_nc_u32_e32 v83, 0x138, v58
	v_add3_u32 v84, 0, v58, 8
	v_mov_b32_e32 v85, v0
	s_mov_b32 s3, 0
.LBB101_477:                            ; =>This Inner Loop Header: Depth=1
	scratch_load_b64 v[86:87], v84, off
	ds_load_b64 v[88:89], v83
	s_wait_xcnt 0x0
	v_dual_add_nc_u32 v83, 8, v83 :: v_dual_add_nc_u32 v84, 8, v84
	s_wait_loadcnt_dscnt 0x0
	v_pk_mul_f32 v[90:91], v[88:89], v[86:87] op_sel:[1,1] op_sel_hi:[0,1]
	s_delay_alu instid0(VALU_DEP_1) | instskip(SKIP_2) | instid1(VALU_DEP_3)
	v_pk_fma_f32 v[92:93], v[88:89], v[86:87], v[90:91] op_sel_hi:[1,0,1]
	v_add_nc_u32_e32 v85, 1, v85
	v_pk_fma_f32 v[86:87], v[88:89], v[86:87], v[90:91] neg_lo:[0,0,1] neg_hi:[0,0,1]
	v_mov_b32_e32 v87, v93
	s_delay_alu instid0(VALU_DEP_3) | instskip(NEXT) | instid1(VALU_DEP_2)
	v_cmp_lt_u32_e32 vcc_lo, 9, v85
	v_pk_add_f32 v[80:81], v[80:81], v[86:87]
	s_or_b32 s3, vcc_lo, s3
	s_delay_alu instid0(SALU_CYCLE_1)
	s_and_not1_b32 exec_lo, exec_lo, s3
	s_cbranch_execnz .LBB101_477
; %bb.478:
	s_or_b32 exec_lo, exec_lo, s3
.LBB101_479:
	s_delay_alu instid0(SALU_CYCLE_1) | instskip(SKIP_4) | instid1(VALU_DEP_1)
	s_or_b32 exec_lo, exec_lo, s2
	v_mov_b32_e32 v83, 0
	ds_load_b64 v[84:85], v83 offset:88
	s_wait_dscnt 0x0
	v_pk_mul_f32 v[86:87], v[80:81], v[84:85] op_sel:[1,1] op_sel_hi:[0,1]
	v_pk_fma_f32 v[88:89], v[80:81], v[84:85], v[86:87] op_sel_hi:[1,0,1]
	v_pk_fma_f32 v[80:81], v[80:81], v[84:85], v[86:87] neg_lo:[0,0,1] neg_hi:[0,0,1]
	s_delay_alu instid0(VALU_DEP_2)
	v_mov_b32_e32 v81, v89
	scratch_store_b64 off, v[80:81], off offset:88
.LBB101_480:
	s_wait_xcnt 0x0
	s_or_b32 exec_lo, exec_lo, s0
	scratch_load_b64 v[80:81], off, off offset:96
	s_mov_b32 s0, exec_lo
	s_wait_loadcnt 0x0
	ds_store_b64 v1, v[80:81]
	s_wait_storecnt_dscnt 0x0
	s_barrier_signal -1
	s_barrier_wait -1
	s_wait_xcnt 0x0
	v_cmpx_gt_u32_e32 12, v0
	s_cbranch_execz .LBB101_490
; %bb.481:
	v_cmp_ne_u32_e32 vcc_lo, 1, v82
	s_cbranch_vccnz .LBB101_483
; %bb.482:
	scratch_load_b64 v[80:81], v59, off
	ds_load_b64 v[84:85], v1
	s_wait_loadcnt_dscnt 0x0
	v_pk_mul_f32 v[86:87], v[84:85], v[80:81] op_sel:[1,1] op_sel_hi:[0,1]
	s_delay_alu instid0(VALU_DEP_1) | instskip(SKIP_1) | instid1(VALU_DEP_2)
	v_pk_fma_f32 v[88:89], v[84:85], v[80:81], v[86:87] op_sel_hi:[1,0,1]
	v_pk_fma_f32 v[80:81], v[84:85], v[80:81], v[86:87] neg_lo:[0,0,1] neg_hi:[0,0,1]
	v_mov_b32_e32 v81, v89
	s_cbranch_execz .LBB101_484
	s_branch .LBB101_485
.LBB101_483:
                                        ; implicit-def: $vgpr80_vgpr81
.LBB101_484:
	ds_load_b64 v[80:81], v1
.LBB101_485:
	s_mov_b32 s2, exec_lo
	v_cmpx_ne_u32_e32 11, v0
	s_cbranch_execz .LBB101_489
; %bb.486:
	v_add_nc_u32_e32 v83, 0x138, v58
	v_add3_u32 v84, 0, v58, 8
	v_mov_b32_e32 v85, v0
	s_mov_b32 s3, 0
.LBB101_487:                            ; =>This Inner Loop Header: Depth=1
	scratch_load_b64 v[86:87], v84, off
	ds_load_b64 v[88:89], v83
	s_wait_xcnt 0x0
	v_dual_add_nc_u32 v83, 8, v83 :: v_dual_add_nc_u32 v84, 8, v84
	s_wait_loadcnt_dscnt 0x0
	v_pk_mul_f32 v[90:91], v[88:89], v[86:87] op_sel:[1,1] op_sel_hi:[0,1]
	s_delay_alu instid0(VALU_DEP_1) | instskip(SKIP_2) | instid1(VALU_DEP_3)
	v_pk_fma_f32 v[92:93], v[88:89], v[86:87], v[90:91] op_sel_hi:[1,0,1]
	v_add_nc_u32_e32 v85, 1, v85
	v_pk_fma_f32 v[86:87], v[88:89], v[86:87], v[90:91] neg_lo:[0,0,1] neg_hi:[0,0,1]
	v_mov_b32_e32 v87, v93
	s_delay_alu instid0(VALU_DEP_3) | instskip(NEXT) | instid1(VALU_DEP_2)
	v_cmp_lt_u32_e32 vcc_lo, 10, v85
	v_pk_add_f32 v[80:81], v[80:81], v[86:87]
	s_or_b32 s3, vcc_lo, s3
	s_delay_alu instid0(SALU_CYCLE_1)
	s_and_not1_b32 exec_lo, exec_lo, s3
	s_cbranch_execnz .LBB101_487
; %bb.488:
	s_or_b32 exec_lo, exec_lo, s3
.LBB101_489:
	s_delay_alu instid0(SALU_CYCLE_1) | instskip(SKIP_4) | instid1(VALU_DEP_1)
	s_or_b32 exec_lo, exec_lo, s2
	v_mov_b32_e32 v83, 0
	ds_load_b64 v[84:85], v83 offset:96
	s_wait_dscnt 0x0
	v_pk_mul_f32 v[86:87], v[80:81], v[84:85] op_sel:[1,1] op_sel_hi:[0,1]
	v_pk_fma_f32 v[88:89], v[80:81], v[84:85], v[86:87] op_sel_hi:[1,0,1]
	v_pk_fma_f32 v[80:81], v[80:81], v[84:85], v[86:87] neg_lo:[0,0,1] neg_hi:[0,0,1]
	s_delay_alu instid0(VALU_DEP_2)
	v_mov_b32_e32 v81, v89
	scratch_store_b64 off, v[80:81], off offset:96
.LBB101_490:
	s_wait_xcnt 0x0
	s_or_b32 exec_lo, exec_lo, s0
	scratch_load_b64 v[80:81], off, off offset:104
	s_mov_b32 s0, exec_lo
	s_wait_loadcnt 0x0
	ds_store_b64 v1, v[80:81]
	s_wait_storecnt_dscnt 0x0
	s_barrier_signal -1
	s_barrier_wait -1
	s_wait_xcnt 0x0
	v_cmpx_gt_u32_e32 13, v0
	s_cbranch_execz .LBB101_500
; %bb.491:
	v_cmp_ne_u32_e32 vcc_lo, 1, v82
	s_cbranch_vccnz .LBB101_493
; %bb.492:
	scratch_load_b64 v[80:81], v59, off
	ds_load_b64 v[84:85], v1
	s_wait_loadcnt_dscnt 0x0
	v_pk_mul_f32 v[86:87], v[84:85], v[80:81] op_sel:[1,1] op_sel_hi:[0,1]
	s_delay_alu instid0(VALU_DEP_1) | instskip(SKIP_1) | instid1(VALU_DEP_2)
	v_pk_fma_f32 v[88:89], v[84:85], v[80:81], v[86:87] op_sel_hi:[1,0,1]
	v_pk_fma_f32 v[80:81], v[84:85], v[80:81], v[86:87] neg_lo:[0,0,1] neg_hi:[0,0,1]
	v_mov_b32_e32 v81, v89
	s_cbranch_execz .LBB101_494
	s_branch .LBB101_495
.LBB101_493:
                                        ; implicit-def: $vgpr80_vgpr81
.LBB101_494:
	ds_load_b64 v[80:81], v1
.LBB101_495:
	s_mov_b32 s2, exec_lo
	v_cmpx_ne_u32_e32 12, v0
	s_cbranch_execz .LBB101_499
; %bb.496:
	v_add_nc_u32_e32 v83, 0x138, v58
	v_add3_u32 v84, 0, v58, 8
	v_mov_b32_e32 v85, v0
	s_mov_b32 s3, 0
.LBB101_497:                            ; =>This Inner Loop Header: Depth=1
	scratch_load_b64 v[86:87], v84, off
	ds_load_b64 v[88:89], v83
	s_wait_xcnt 0x0
	v_dual_add_nc_u32 v83, 8, v83 :: v_dual_add_nc_u32 v84, 8, v84
	s_wait_loadcnt_dscnt 0x0
	v_pk_mul_f32 v[90:91], v[88:89], v[86:87] op_sel:[1,1] op_sel_hi:[0,1]
	s_delay_alu instid0(VALU_DEP_1) | instskip(SKIP_2) | instid1(VALU_DEP_3)
	v_pk_fma_f32 v[92:93], v[88:89], v[86:87], v[90:91] op_sel_hi:[1,0,1]
	v_add_nc_u32_e32 v85, 1, v85
	v_pk_fma_f32 v[86:87], v[88:89], v[86:87], v[90:91] neg_lo:[0,0,1] neg_hi:[0,0,1]
	v_mov_b32_e32 v87, v93
	s_delay_alu instid0(VALU_DEP_3) | instskip(NEXT) | instid1(VALU_DEP_2)
	v_cmp_lt_u32_e32 vcc_lo, 11, v85
	v_pk_add_f32 v[80:81], v[80:81], v[86:87]
	s_or_b32 s3, vcc_lo, s3
	s_delay_alu instid0(SALU_CYCLE_1)
	s_and_not1_b32 exec_lo, exec_lo, s3
	s_cbranch_execnz .LBB101_497
; %bb.498:
	s_or_b32 exec_lo, exec_lo, s3
.LBB101_499:
	s_delay_alu instid0(SALU_CYCLE_1) | instskip(SKIP_4) | instid1(VALU_DEP_1)
	s_or_b32 exec_lo, exec_lo, s2
	v_mov_b32_e32 v83, 0
	ds_load_b64 v[84:85], v83 offset:104
	s_wait_dscnt 0x0
	v_pk_mul_f32 v[86:87], v[80:81], v[84:85] op_sel:[1,1] op_sel_hi:[0,1]
	v_pk_fma_f32 v[88:89], v[80:81], v[84:85], v[86:87] op_sel_hi:[1,0,1]
	v_pk_fma_f32 v[80:81], v[80:81], v[84:85], v[86:87] neg_lo:[0,0,1] neg_hi:[0,0,1]
	s_delay_alu instid0(VALU_DEP_2)
	v_mov_b32_e32 v81, v89
	scratch_store_b64 off, v[80:81], off offset:104
.LBB101_500:
	s_wait_xcnt 0x0
	s_or_b32 exec_lo, exec_lo, s0
	scratch_load_b64 v[80:81], off, off offset:112
	s_mov_b32 s0, exec_lo
	s_wait_loadcnt 0x0
	ds_store_b64 v1, v[80:81]
	s_wait_storecnt_dscnt 0x0
	s_barrier_signal -1
	s_barrier_wait -1
	s_wait_xcnt 0x0
	v_cmpx_gt_u32_e32 14, v0
	s_cbranch_execz .LBB101_510
; %bb.501:
	v_cmp_ne_u32_e32 vcc_lo, 1, v82
	s_cbranch_vccnz .LBB101_503
; %bb.502:
	scratch_load_b64 v[80:81], v59, off
	ds_load_b64 v[84:85], v1
	s_wait_loadcnt_dscnt 0x0
	v_pk_mul_f32 v[86:87], v[84:85], v[80:81] op_sel:[1,1] op_sel_hi:[0,1]
	s_delay_alu instid0(VALU_DEP_1) | instskip(SKIP_1) | instid1(VALU_DEP_2)
	v_pk_fma_f32 v[88:89], v[84:85], v[80:81], v[86:87] op_sel_hi:[1,0,1]
	v_pk_fma_f32 v[80:81], v[84:85], v[80:81], v[86:87] neg_lo:[0,0,1] neg_hi:[0,0,1]
	v_mov_b32_e32 v81, v89
	s_cbranch_execz .LBB101_504
	s_branch .LBB101_505
.LBB101_503:
                                        ; implicit-def: $vgpr80_vgpr81
.LBB101_504:
	ds_load_b64 v[80:81], v1
.LBB101_505:
	s_mov_b32 s2, exec_lo
	v_cmpx_ne_u32_e32 13, v0
	s_cbranch_execz .LBB101_509
; %bb.506:
	v_add_nc_u32_e32 v83, 0x138, v58
	v_add3_u32 v84, 0, v58, 8
	v_mov_b32_e32 v85, v0
	s_mov_b32 s3, 0
.LBB101_507:                            ; =>This Inner Loop Header: Depth=1
	scratch_load_b64 v[86:87], v84, off
	ds_load_b64 v[88:89], v83
	s_wait_xcnt 0x0
	v_dual_add_nc_u32 v83, 8, v83 :: v_dual_add_nc_u32 v84, 8, v84
	s_wait_loadcnt_dscnt 0x0
	v_pk_mul_f32 v[90:91], v[88:89], v[86:87] op_sel:[1,1] op_sel_hi:[0,1]
	s_delay_alu instid0(VALU_DEP_1) | instskip(SKIP_2) | instid1(VALU_DEP_3)
	v_pk_fma_f32 v[92:93], v[88:89], v[86:87], v[90:91] op_sel_hi:[1,0,1]
	v_add_nc_u32_e32 v85, 1, v85
	v_pk_fma_f32 v[86:87], v[88:89], v[86:87], v[90:91] neg_lo:[0,0,1] neg_hi:[0,0,1]
	v_mov_b32_e32 v87, v93
	s_delay_alu instid0(VALU_DEP_3) | instskip(NEXT) | instid1(VALU_DEP_2)
	v_cmp_lt_u32_e32 vcc_lo, 12, v85
	v_pk_add_f32 v[80:81], v[80:81], v[86:87]
	s_or_b32 s3, vcc_lo, s3
	s_delay_alu instid0(SALU_CYCLE_1)
	s_and_not1_b32 exec_lo, exec_lo, s3
	s_cbranch_execnz .LBB101_507
; %bb.508:
	s_or_b32 exec_lo, exec_lo, s3
.LBB101_509:
	s_delay_alu instid0(SALU_CYCLE_1) | instskip(SKIP_4) | instid1(VALU_DEP_1)
	s_or_b32 exec_lo, exec_lo, s2
	v_mov_b32_e32 v83, 0
	ds_load_b64 v[84:85], v83 offset:112
	s_wait_dscnt 0x0
	v_pk_mul_f32 v[86:87], v[80:81], v[84:85] op_sel:[1,1] op_sel_hi:[0,1]
	v_pk_fma_f32 v[88:89], v[80:81], v[84:85], v[86:87] op_sel_hi:[1,0,1]
	v_pk_fma_f32 v[80:81], v[80:81], v[84:85], v[86:87] neg_lo:[0,0,1] neg_hi:[0,0,1]
	s_delay_alu instid0(VALU_DEP_2)
	v_mov_b32_e32 v81, v89
	scratch_store_b64 off, v[80:81], off offset:112
.LBB101_510:
	s_wait_xcnt 0x0
	s_or_b32 exec_lo, exec_lo, s0
	scratch_load_b64 v[80:81], off, off offset:120
	s_mov_b32 s0, exec_lo
	s_wait_loadcnt 0x0
	ds_store_b64 v1, v[80:81]
	s_wait_storecnt_dscnt 0x0
	s_barrier_signal -1
	s_barrier_wait -1
	s_wait_xcnt 0x0
	v_cmpx_gt_u32_e32 15, v0
	s_cbranch_execz .LBB101_520
; %bb.511:
	v_cmp_ne_u32_e32 vcc_lo, 1, v82
	s_cbranch_vccnz .LBB101_513
; %bb.512:
	scratch_load_b64 v[80:81], v59, off
	ds_load_b64 v[84:85], v1
	s_wait_loadcnt_dscnt 0x0
	v_pk_mul_f32 v[86:87], v[84:85], v[80:81] op_sel:[1,1] op_sel_hi:[0,1]
	s_delay_alu instid0(VALU_DEP_1) | instskip(SKIP_1) | instid1(VALU_DEP_2)
	v_pk_fma_f32 v[88:89], v[84:85], v[80:81], v[86:87] op_sel_hi:[1,0,1]
	v_pk_fma_f32 v[80:81], v[84:85], v[80:81], v[86:87] neg_lo:[0,0,1] neg_hi:[0,0,1]
	v_mov_b32_e32 v81, v89
	s_cbranch_execz .LBB101_514
	s_branch .LBB101_515
.LBB101_513:
                                        ; implicit-def: $vgpr80_vgpr81
.LBB101_514:
	ds_load_b64 v[80:81], v1
.LBB101_515:
	s_mov_b32 s2, exec_lo
	v_cmpx_ne_u32_e32 14, v0
	s_cbranch_execz .LBB101_519
; %bb.516:
	v_add_nc_u32_e32 v83, 0x138, v58
	v_add3_u32 v84, 0, v58, 8
	v_mov_b32_e32 v85, v0
	s_mov_b32 s3, 0
.LBB101_517:                            ; =>This Inner Loop Header: Depth=1
	scratch_load_b64 v[86:87], v84, off
	ds_load_b64 v[88:89], v83
	s_wait_xcnt 0x0
	v_dual_add_nc_u32 v83, 8, v83 :: v_dual_add_nc_u32 v84, 8, v84
	s_wait_loadcnt_dscnt 0x0
	v_pk_mul_f32 v[90:91], v[88:89], v[86:87] op_sel:[1,1] op_sel_hi:[0,1]
	s_delay_alu instid0(VALU_DEP_1) | instskip(SKIP_2) | instid1(VALU_DEP_3)
	v_pk_fma_f32 v[92:93], v[88:89], v[86:87], v[90:91] op_sel_hi:[1,0,1]
	v_add_nc_u32_e32 v85, 1, v85
	v_pk_fma_f32 v[86:87], v[88:89], v[86:87], v[90:91] neg_lo:[0,0,1] neg_hi:[0,0,1]
	v_mov_b32_e32 v87, v93
	s_delay_alu instid0(VALU_DEP_3) | instskip(NEXT) | instid1(VALU_DEP_2)
	v_cmp_lt_u32_e32 vcc_lo, 13, v85
	v_pk_add_f32 v[80:81], v[80:81], v[86:87]
	s_or_b32 s3, vcc_lo, s3
	s_delay_alu instid0(SALU_CYCLE_1)
	s_and_not1_b32 exec_lo, exec_lo, s3
	s_cbranch_execnz .LBB101_517
; %bb.518:
	s_or_b32 exec_lo, exec_lo, s3
.LBB101_519:
	s_delay_alu instid0(SALU_CYCLE_1) | instskip(SKIP_4) | instid1(VALU_DEP_1)
	s_or_b32 exec_lo, exec_lo, s2
	v_mov_b32_e32 v83, 0
	ds_load_b64 v[84:85], v83 offset:120
	s_wait_dscnt 0x0
	v_pk_mul_f32 v[86:87], v[80:81], v[84:85] op_sel:[1,1] op_sel_hi:[0,1]
	v_pk_fma_f32 v[88:89], v[80:81], v[84:85], v[86:87] op_sel_hi:[1,0,1]
	v_pk_fma_f32 v[80:81], v[80:81], v[84:85], v[86:87] neg_lo:[0,0,1] neg_hi:[0,0,1]
	s_delay_alu instid0(VALU_DEP_2)
	v_mov_b32_e32 v81, v89
	scratch_store_b64 off, v[80:81], off offset:120
.LBB101_520:
	s_wait_xcnt 0x0
	s_or_b32 exec_lo, exec_lo, s0
	scratch_load_b64 v[80:81], off, off offset:128
	s_mov_b32 s0, exec_lo
	s_wait_loadcnt 0x0
	ds_store_b64 v1, v[80:81]
	s_wait_storecnt_dscnt 0x0
	s_barrier_signal -1
	s_barrier_wait -1
	s_wait_xcnt 0x0
	v_cmpx_gt_u32_e32 16, v0
	s_cbranch_execz .LBB101_530
; %bb.521:
	v_cmp_ne_u32_e32 vcc_lo, 1, v82
	s_cbranch_vccnz .LBB101_523
; %bb.522:
	scratch_load_b64 v[80:81], v59, off
	ds_load_b64 v[84:85], v1
	s_wait_loadcnt_dscnt 0x0
	v_pk_mul_f32 v[86:87], v[84:85], v[80:81] op_sel:[1,1] op_sel_hi:[0,1]
	s_delay_alu instid0(VALU_DEP_1) | instskip(SKIP_1) | instid1(VALU_DEP_2)
	v_pk_fma_f32 v[88:89], v[84:85], v[80:81], v[86:87] op_sel_hi:[1,0,1]
	v_pk_fma_f32 v[80:81], v[84:85], v[80:81], v[86:87] neg_lo:[0,0,1] neg_hi:[0,0,1]
	v_mov_b32_e32 v81, v89
	s_cbranch_execz .LBB101_524
	s_branch .LBB101_525
.LBB101_523:
                                        ; implicit-def: $vgpr80_vgpr81
.LBB101_524:
	ds_load_b64 v[80:81], v1
.LBB101_525:
	s_mov_b32 s2, exec_lo
	v_cmpx_ne_u32_e32 15, v0
	s_cbranch_execz .LBB101_529
; %bb.526:
	v_add_nc_u32_e32 v83, 0x138, v58
	v_add3_u32 v84, 0, v58, 8
	v_mov_b32_e32 v85, v0
	s_mov_b32 s3, 0
.LBB101_527:                            ; =>This Inner Loop Header: Depth=1
	scratch_load_b64 v[86:87], v84, off
	ds_load_b64 v[88:89], v83
	s_wait_xcnt 0x0
	v_dual_add_nc_u32 v83, 8, v83 :: v_dual_add_nc_u32 v84, 8, v84
	s_wait_loadcnt_dscnt 0x0
	v_pk_mul_f32 v[90:91], v[88:89], v[86:87] op_sel:[1,1] op_sel_hi:[0,1]
	s_delay_alu instid0(VALU_DEP_1) | instskip(SKIP_2) | instid1(VALU_DEP_3)
	v_pk_fma_f32 v[92:93], v[88:89], v[86:87], v[90:91] op_sel_hi:[1,0,1]
	v_add_nc_u32_e32 v85, 1, v85
	v_pk_fma_f32 v[86:87], v[88:89], v[86:87], v[90:91] neg_lo:[0,0,1] neg_hi:[0,0,1]
	v_mov_b32_e32 v87, v93
	s_delay_alu instid0(VALU_DEP_3) | instskip(NEXT) | instid1(VALU_DEP_2)
	v_cmp_lt_u32_e32 vcc_lo, 14, v85
	v_pk_add_f32 v[80:81], v[80:81], v[86:87]
	s_or_b32 s3, vcc_lo, s3
	s_delay_alu instid0(SALU_CYCLE_1)
	s_and_not1_b32 exec_lo, exec_lo, s3
	s_cbranch_execnz .LBB101_527
; %bb.528:
	s_or_b32 exec_lo, exec_lo, s3
.LBB101_529:
	s_delay_alu instid0(SALU_CYCLE_1) | instskip(SKIP_4) | instid1(VALU_DEP_1)
	s_or_b32 exec_lo, exec_lo, s2
	v_mov_b32_e32 v83, 0
	ds_load_b64 v[84:85], v83 offset:128
	s_wait_dscnt 0x0
	v_pk_mul_f32 v[86:87], v[80:81], v[84:85] op_sel:[1,1] op_sel_hi:[0,1]
	v_pk_fma_f32 v[88:89], v[80:81], v[84:85], v[86:87] op_sel_hi:[1,0,1]
	v_pk_fma_f32 v[80:81], v[80:81], v[84:85], v[86:87] neg_lo:[0,0,1] neg_hi:[0,0,1]
	s_delay_alu instid0(VALU_DEP_2)
	v_mov_b32_e32 v81, v89
	scratch_store_b64 off, v[80:81], off offset:128
.LBB101_530:
	s_wait_xcnt 0x0
	s_or_b32 exec_lo, exec_lo, s0
	scratch_load_b64 v[80:81], off, off offset:136
	s_mov_b32 s0, exec_lo
	s_wait_loadcnt 0x0
	ds_store_b64 v1, v[80:81]
	s_wait_storecnt_dscnt 0x0
	s_barrier_signal -1
	s_barrier_wait -1
	s_wait_xcnt 0x0
	v_cmpx_gt_u32_e32 17, v0
	s_cbranch_execz .LBB101_540
; %bb.531:
	v_cmp_ne_u32_e32 vcc_lo, 1, v82
	s_cbranch_vccnz .LBB101_533
; %bb.532:
	scratch_load_b64 v[80:81], v59, off
	ds_load_b64 v[84:85], v1
	s_wait_loadcnt_dscnt 0x0
	v_pk_mul_f32 v[86:87], v[84:85], v[80:81] op_sel:[1,1] op_sel_hi:[0,1]
	s_delay_alu instid0(VALU_DEP_1) | instskip(SKIP_1) | instid1(VALU_DEP_2)
	v_pk_fma_f32 v[88:89], v[84:85], v[80:81], v[86:87] op_sel_hi:[1,0,1]
	v_pk_fma_f32 v[80:81], v[84:85], v[80:81], v[86:87] neg_lo:[0,0,1] neg_hi:[0,0,1]
	v_mov_b32_e32 v81, v89
	s_cbranch_execz .LBB101_534
	s_branch .LBB101_535
.LBB101_533:
                                        ; implicit-def: $vgpr80_vgpr81
.LBB101_534:
	ds_load_b64 v[80:81], v1
.LBB101_535:
	s_mov_b32 s2, exec_lo
	v_cmpx_ne_u32_e32 16, v0
	s_cbranch_execz .LBB101_539
; %bb.536:
	v_add_nc_u32_e32 v83, 0x138, v58
	v_add3_u32 v84, 0, v58, 8
	v_mov_b32_e32 v85, v0
	s_mov_b32 s3, 0
.LBB101_537:                            ; =>This Inner Loop Header: Depth=1
	scratch_load_b64 v[86:87], v84, off
	ds_load_b64 v[88:89], v83
	s_wait_xcnt 0x0
	v_dual_add_nc_u32 v83, 8, v83 :: v_dual_add_nc_u32 v84, 8, v84
	s_wait_loadcnt_dscnt 0x0
	v_pk_mul_f32 v[90:91], v[88:89], v[86:87] op_sel:[1,1] op_sel_hi:[0,1]
	s_delay_alu instid0(VALU_DEP_1) | instskip(SKIP_2) | instid1(VALU_DEP_3)
	v_pk_fma_f32 v[92:93], v[88:89], v[86:87], v[90:91] op_sel_hi:[1,0,1]
	v_add_nc_u32_e32 v85, 1, v85
	v_pk_fma_f32 v[86:87], v[88:89], v[86:87], v[90:91] neg_lo:[0,0,1] neg_hi:[0,0,1]
	v_mov_b32_e32 v87, v93
	s_delay_alu instid0(VALU_DEP_3) | instskip(NEXT) | instid1(VALU_DEP_2)
	v_cmp_lt_u32_e32 vcc_lo, 15, v85
	v_pk_add_f32 v[80:81], v[80:81], v[86:87]
	s_or_b32 s3, vcc_lo, s3
	s_delay_alu instid0(SALU_CYCLE_1)
	s_and_not1_b32 exec_lo, exec_lo, s3
	s_cbranch_execnz .LBB101_537
; %bb.538:
	s_or_b32 exec_lo, exec_lo, s3
.LBB101_539:
	s_delay_alu instid0(SALU_CYCLE_1) | instskip(SKIP_4) | instid1(VALU_DEP_1)
	s_or_b32 exec_lo, exec_lo, s2
	v_mov_b32_e32 v83, 0
	ds_load_b64 v[84:85], v83 offset:136
	s_wait_dscnt 0x0
	v_pk_mul_f32 v[86:87], v[80:81], v[84:85] op_sel:[1,1] op_sel_hi:[0,1]
	v_pk_fma_f32 v[88:89], v[80:81], v[84:85], v[86:87] op_sel_hi:[1,0,1]
	v_pk_fma_f32 v[80:81], v[80:81], v[84:85], v[86:87] neg_lo:[0,0,1] neg_hi:[0,0,1]
	s_delay_alu instid0(VALU_DEP_2)
	v_mov_b32_e32 v81, v89
	scratch_store_b64 off, v[80:81], off offset:136
.LBB101_540:
	s_wait_xcnt 0x0
	s_or_b32 exec_lo, exec_lo, s0
	scratch_load_b64 v[80:81], off, off offset:144
	s_mov_b32 s0, exec_lo
	s_wait_loadcnt 0x0
	ds_store_b64 v1, v[80:81]
	s_wait_storecnt_dscnt 0x0
	s_barrier_signal -1
	s_barrier_wait -1
	s_wait_xcnt 0x0
	v_cmpx_gt_u32_e32 18, v0
	s_cbranch_execz .LBB101_550
; %bb.541:
	v_cmp_ne_u32_e32 vcc_lo, 1, v82
	s_cbranch_vccnz .LBB101_543
; %bb.542:
	scratch_load_b64 v[80:81], v59, off
	ds_load_b64 v[84:85], v1
	s_wait_loadcnt_dscnt 0x0
	v_pk_mul_f32 v[86:87], v[84:85], v[80:81] op_sel:[1,1] op_sel_hi:[0,1]
	s_delay_alu instid0(VALU_DEP_1) | instskip(SKIP_1) | instid1(VALU_DEP_2)
	v_pk_fma_f32 v[88:89], v[84:85], v[80:81], v[86:87] op_sel_hi:[1,0,1]
	v_pk_fma_f32 v[80:81], v[84:85], v[80:81], v[86:87] neg_lo:[0,0,1] neg_hi:[0,0,1]
	v_mov_b32_e32 v81, v89
	s_cbranch_execz .LBB101_544
	s_branch .LBB101_545
.LBB101_543:
                                        ; implicit-def: $vgpr80_vgpr81
.LBB101_544:
	ds_load_b64 v[80:81], v1
.LBB101_545:
	s_mov_b32 s2, exec_lo
	v_cmpx_ne_u32_e32 17, v0
	s_cbranch_execz .LBB101_549
; %bb.546:
	v_add_nc_u32_e32 v83, 0x138, v58
	v_add3_u32 v84, 0, v58, 8
	v_mov_b32_e32 v85, v0
	s_mov_b32 s3, 0
.LBB101_547:                            ; =>This Inner Loop Header: Depth=1
	scratch_load_b64 v[86:87], v84, off
	ds_load_b64 v[88:89], v83
	s_wait_xcnt 0x0
	v_dual_add_nc_u32 v83, 8, v83 :: v_dual_add_nc_u32 v84, 8, v84
	s_wait_loadcnt_dscnt 0x0
	v_pk_mul_f32 v[90:91], v[88:89], v[86:87] op_sel:[1,1] op_sel_hi:[0,1]
	s_delay_alu instid0(VALU_DEP_1) | instskip(SKIP_2) | instid1(VALU_DEP_3)
	v_pk_fma_f32 v[92:93], v[88:89], v[86:87], v[90:91] op_sel_hi:[1,0,1]
	v_add_nc_u32_e32 v85, 1, v85
	v_pk_fma_f32 v[86:87], v[88:89], v[86:87], v[90:91] neg_lo:[0,0,1] neg_hi:[0,0,1]
	v_mov_b32_e32 v87, v93
	s_delay_alu instid0(VALU_DEP_3) | instskip(NEXT) | instid1(VALU_DEP_2)
	v_cmp_lt_u32_e32 vcc_lo, 16, v85
	v_pk_add_f32 v[80:81], v[80:81], v[86:87]
	s_or_b32 s3, vcc_lo, s3
	s_delay_alu instid0(SALU_CYCLE_1)
	s_and_not1_b32 exec_lo, exec_lo, s3
	s_cbranch_execnz .LBB101_547
; %bb.548:
	s_or_b32 exec_lo, exec_lo, s3
.LBB101_549:
	s_delay_alu instid0(SALU_CYCLE_1) | instskip(SKIP_4) | instid1(VALU_DEP_1)
	s_or_b32 exec_lo, exec_lo, s2
	v_mov_b32_e32 v83, 0
	ds_load_b64 v[84:85], v83 offset:144
	s_wait_dscnt 0x0
	v_pk_mul_f32 v[86:87], v[80:81], v[84:85] op_sel:[1,1] op_sel_hi:[0,1]
	v_pk_fma_f32 v[88:89], v[80:81], v[84:85], v[86:87] op_sel_hi:[1,0,1]
	v_pk_fma_f32 v[80:81], v[80:81], v[84:85], v[86:87] neg_lo:[0,0,1] neg_hi:[0,0,1]
	s_delay_alu instid0(VALU_DEP_2)
	v_mov_b32_e32 v81, v89
	scratch_store_b64 off, v[80:81], off offset:144
.LBB101_550:
	s_wait_xcnt 0x0
	s_or_b32 exec_lo, exec_lo, s0
	scratch_load_b64 v[80:81], off, off offset:152
	s_mov_b32 s0, exec_lo
	s_wait_loadcnt 0x0
	ds_store_b64 v1, v[80:81]
	s_wait_storecnt_dscnt 0x0
	s_barrier_signal -1
	s_barrier_wait -1
	s_wait_xcnt 0x0
	v_cmpx_gt_u32_e32 19, v0
	s_cbranch_execz .LBB101_560
; %bb.551:
	v_cmp_ne_u32_e32 vcc_lo, 1, v82
	s_cbranch_vccnz .LBB101_553
; %bb.552:
	scratch_load_b64 v[80:81], v59, off
	ds_load_b64 v[84:85], v1
	s_wait_loadcnt_dscnt 0x0
	v_pk_mul_f32 v[86:87], v[84:85], v[80:81] op_sel:[1,1] op_sel_hi:[0,1]
	s_delay_alu instid0(VALU_DEP_1) | instskip(SKIP_1) | instid1(VALU_DEP_2)
	v_pk_fma_f32 v[88:89], v[84:85], v[80:81], v[86:87] op_sel_hi:[1,0,1]
	v_pk_fma_f32 v[80:81], v[84:85], v[80:81], v[86:87] neg_lo:[0,0,1] neg_hi:[0,0,1]
	v_mov_b32_e32 v81, v89
	s_cbranch_execz .LBB101_554
	s_branch .LBB101_555
.LBB101_553:
                                        ; implicit-def: $vgpr80_vgpr81
.LBB101_554:
	ds_load_b64 v[80:81], v1
.LBB101_555:
	s_mov_b32 s2, exec_lo
	v_cmpx_ne_u32_e32 18, v0
	s_cbranch_execz .LBB101_559
; %bb.556:
	v_add_nc_u32_e32 v83, 0x138, v58
	v_add3_u32 v84, 0, v58, 8
	v_mov_b32_e32 v85, v0
	s_mov_b32 s3, 0
.LBB101_557:                            ; =>This Inner Loop Header: Depth=1
	scratch_load_b64 v[86:87], v84, off
	ds_load_b64 v[88:89], v83
	s_wait_xcnt 0x0
	v_dual_add_nc_u32 v83, 8, v83 :: v_dual_add_nc_u32 v84, 8, v84
	s_wait_loadcnt_dscnt 0x0
	v_pk_mul_f32 v[90:91], v[88:89], v[86:87] op_sel:[1,1] op_sel_hi:[0,1]
	s_delay_alu instid0(VALU_DEP_1) | instskip(SKIP_2) | instid1(VALU_DEP_3)
	v_pk_fma_f32 v[92:93], v[88:89], v[86:87], v[90:91] op_sel_hi:[1,0,1]
	v_add_nc_u32_e32 v85, 1, v85
	v_pk_fma_f32 v[86:87], v[88:89], v[86:87], v[90:91] neg_lo:[0,0,1] neg_hi:[0,0,1]
	v_mov_b32_e32 v87, v93
	s_delay_alu instid0(VALU_DEP_3) | instskip(NEXT) | instid1(VALU_DEP_2)
	v_cmp_lt_u32_e32 vcc_lo, 17, v85
	v_pk_add_f32 v[80:81], v[80:81], v[86:87]
	s_or_b32 s3, vcc_lo, s3
	s_delay_alu instid0(SALU_CYCLE_1)
	s_and_not1_b32 exec_lo, exec_lo, s3
	s_cbranch_execnz .LBB101_557
; %bb.558:
	s_or_b32 exec_lo, exec_lo, s3
.LBB101_559:
	s_delay_alu instid0(SALU_CYCLE_1) | instskip(SKIP_4) | instid1(VALU_DEP_1)
	s_or_b32 exec_lo, exec_lo, s2
	v_mov_b32_e32 v83, 0
	ds_load_b64 v[84:85], v83 offset:152
	s_wait_dscnt 0x0
	v_pk_mul_f32 v[86:87], v[80:81], v[84:85] op_sel:[1,1] op_sel_hi:[0,1]
	v_pk_fma_f32 v[88:89], v[80:81], v[84:85], v[86:87] op_sel_hi:[1,0,1]
	v_pk_fma_f32 v[80:81], v[80:81], v[84:85], v[86:87] neg_lo:[0,0,1] neg_hi:[0,0,1]
	s_delay_alu instid0(VALU_DEP_2)
	v_mov_b32_e32 v81, v89
	scratch_store_b64 off, v[80:81], off offset:152
.LBB101_560:
	s_wait_xcnt 0x0
	s_or_b32 exec_lo, exec_lo, s0
	scratch_load_b64 v[80:81], off, off offset:160
	s_mov_b32 s0, exec_lo
	s_wait_loadcnt 0x0
	ds_store_b64 v1, v[80:81]
	s_wait_storecnt_dscnt 0x0
	s_barrier_signal -1
	s_barrier_wait -1
	s_wait_xcnt 0x0
	v_cmpx_gt_u32_e32 20, v0
	s_cbranch_execz .LBB101_570
; %bb.561:
	v_cmp_ne_u32_e32 vcc_lo, 1, v82
	s_cbranch_vccnz .LBB101_563
; %bb.562:
	scratch_load_b64 v[80:81], v59, off
	ds_load_b64 v[84:85], v1
	s_wait_loadcnt_dscnt 0x0
	v_pk_mul_f32 v[86:87], v[84:85], v[80:81] op_sel:[1,1] op_sel_hi:[0,1]
	s_delay_alu instid0(VALU_DEP_1) | instskip(SKIP_1) | instid1(VALU_DEP_2)
	v_pk_fma_f32 v[88:89], v[84:85], v[80:81], v[86:87] op_sel_hi:[1,0,1]
	v_pk_fma_f32 v[80:81], v[84:85], v[80:81], v[86:87] neg_lo:[0,0,1] neg_hi:[0,0,1]
	v_mov_b32_e32 v81, v89
	s_cbranch_execz .LBB101_564
	s_branch .LBB101_565
.LBB101_563:
                                        ; implicit-def: $vgpr80_vgpr81
.LBB101_564:
	ds_load_b64 v[80:81], v1
.LBB101_565:
	s_mov_b32 s2, exec_lo
	v_cmpx_ne_u32_e32 19, v0
	s_cbranch_execz .LBB101_569
; %bb.566:
	v_add_nc_u32_e32 v83, 0x138, v58
	v_add3_u32 v84, 0, v58, 8
	v_mov_b32_e32 v85, v0
	s_mov_b32 s3, 0
.LBB101_567:                            ; =>This Inner Loop Header: Depth=1
	scratch_load_b64 v[86:87], v84, off
	ds_load_b64 v[88:89], v83
	s_wait_xcnt 0x0
	v_dual_add_nc_u32 v83, 8, v83 :: v_dual_add_nc_u32 v84, 8, v84
	s_wait_loadcnt_dscnt 0x0
	v_pk_mul_f32 v[90:91], v[88:89], v[86:87] op_sel:[1,1] op_sel_hi:[0,1]
	s_delay_alu instid0(VALU_DEP_1) | instskip(SKIP_2) | instid1(VALU_DEP_3)
	v_pk_fma_f32 v[92:93], v[88:89], v[86:87], v[90:91] op_sel_hi:[1,0,1]
	v_add_nc_u32_e32 v85, 1, v85
	v_pk_fma_f32 v[86:87], v[88:89], v[86:87], v[90:91] neg_lo:[0,0,1] neg_hi:[0,0,1]
	v_mov_b32_e32 v87, v93
	s_delay_alu instid0(VALU_DEP_3) | instskip(NEXT) | instid1(VALU_DEP_2)
	v_cmp_lt_u32_e32 vcc_lo, 18, v85
	v_pk_add_f32 v[80:81], v[80:81], v[86:87]
	s_or_b32 s3, vcc_lo, s3
	s_delay_alu instid0(SALU_CYCLE_1)
	s_and_not1_b32 exec_lo, exec_lo, s3
	s_cbranch_execnz .LBB101_567
; %bb.568:
	s_or_b32 exec_lo, exec_lo, s3
.LBB101_569:
	s_delay_alu instid0(SALU_CYCLE_1) | instskip(SKIP_4) | instid1(VALU_DEP_1)
	s_or_b32 exec_lo, exec_lo, s2
	v_mov_b32_e32 v83, 0
	ds_load_b64 v[84:85], v83 offset:160
	s_wait_dscnt 0x0
	v_pk_mul_f32 v[86:87], v[80:81], v[84:85] op_sel:[1,1] op_sel_hi:[0,1]
	v_pk_fma_f32 v[88:89], v[80:81], v[84:85], v[86:87] op_sel_hi:[1,0,1]
	v_pk_fma_f32 v[80:81], v[80:81], v[84:85], v[86:87] neg_lo:[0,0,1] neg_hi:[0,0,1]
	s_delay_alu instid0(VALU_DEP_2)
	v_mov_b32_e32 v81, v89
	scratch_store_b64 off, v[80:81], off offset:160
.LBB101_570:
	s_wait_xcnt 0x0
	s_or_b32 exec_lo, exec_lo, s0
	scratch_load_b64 v[80:81], off, off offset:168
	s_mov_b32 s0, exec_lo
	s_wait_loadcnt 0x0
	ds_store_b64 v1, v[80:81]
	s_wait_storecnt_dscnt 0x0
	s_barrier_signal -1
	s_barrier_wait -1
	s_wait_xcnt 0x0
	v_cmpx_gt_u32_e32 21, v0
	s_cbranch_execz .LBB101_580
; %bb.571:
	v_cmp_ne_u32_e32 vcc_lo, 1, v82
	s_cbranch_vccnz .LBB101_573
; %bb.572:
	scratch_load_b64 v[80:81], v59, off
	ds_load_b64 v[84:85], v1
	s_wait_loadcnt_dscnt 0x0
	v_pk_mul_f32 v[86:87], v[84:85], v[80:81] op_sel:[1,1] op_sel_hi:[0,1]
	s_delay_alu instid0(VALU_DEP_1) | instskip(SKIP_1) | instid1(VALU_DEP_2)
	v_pk_fma_f32 v[88:89], v[84:85], v[80:81], v[86:87] op_sel_hi:[1,0,1]
	v_pk_fma_f32 v[80:81], v[84:85], v[80:81], v[86:87] neg_lo:[0,0,1] neg_hi:[0,0,1]
	v_mov_b32_e32 v81, v89
	s_cbranch_execz .LBB101_574
	s_branch .LBB101_575
.LBB101_573:
                                        ; implicit-def: $vgpr80_vgpr81
.LBB101_574:
	ds_load_b64 v[80:81], v1
.LBB101_575:
	s_mov_b32 s2, exec_lo
	v_cmpx_ne_u32_e32 20, v0
	s_cbranch_execz .LBB101_579
; %bb.576:
	v_add_nc_u32_e32 v83, 0x138, v58
	v_add3_u32 v84, 0, v58, 8
	v_mov_b32_e32 v85, v0
	s_mov_b32 s3, 0
.LBB101_577:                            ; =>This Inner Loop Header: Depth=1
	scratch_load_b64 v[86:87], v84, off
	ds_load_b64 v[88:89], v83
	s_wait_xcnt 0x0
	v_dual_add_nc_u32 v83, 8, v83 :: v_dual_add_nc_u32 v84, 8, v84
	s_wait_loadcnt_dscnt 0x0
	v_pk_mul_f32 v[90:91], v[88:89], v[86:87] op_sel:[1,1] op_sel_hi:[0,1]
	s_delay_alu instid0(VALU_DEP_1) | instskip(SKIP_2) | instid1(VALU_DEP_3)
	v_pk_fma_f32 v[92:93], v[88:89], v[86:87], v[90:91] op_sel_hi:[1,0,1]
	v_add_nc_u32_e32 v85, 1, v85
	v_pk_fma_f32 v[86:87], v[88:89], v[86:87], v[90:91] neg_lo:[0,0,1] neg_hi:[0,0,1]
	v_mov_b32_e32 v87, v93
	s_delay_alu instid0(VALU_DEP_3) | instskip(NEXT) | instid1(VALU_DEP_2)
	v_cmp_lt_u32_e32 vcc_lo, 19, v85
	v_pk_add_f32 v[80:81], v[80:81], v[86:87]
	s_or_b32 s3, vcc_lo, s3
	s_delay_alu instid0(SALU_CYCLE_1)
	s_and_not1_b32 exec_lo, exec_lo, s3
	s_cbranch_execnz .LBB101_577
; %bb.578:
	s_or_b32 exec_lo, exec_lo, s3
.LBB101_579:
	s_delay_alu instid0(SALU_CYCLE_1) | instskip(SKIP_4) | instid1(VALU_DEP_1)
	s_or_b32 exec_lo, exec_lo, s2
	v_mov_b32_e32 v83, 0
	ds_load_b64 v[84:85], v83 offset:168
	s_wait_dscnt 0x0
	v_pk_mul_f32 v[86:87], v[80:81], v[84:85] op_sel:[1,1] op_sel_hi:[0,1]
	v_pk_fma_f32 v[88:89], v[80:81], v[84:85], v[86:87] op_sel_hi:[1,0,1]
	v_pk_fma_f32 v[80:81], v[80:81], v[84:85], v[86:87] neg_lo:[0,0,1] neg_hi:[0,0,1]
	s_delay_alu instid0(VALU_DEP_2)
	v_mov_b32_e32 v81, v89
	scratch_store_b64 off, v[80:81], off offset:168
.LBB101_580:
	s_wait_xcnt 0x0
	s_or_b32 exec_lo, exec_lo, s0
	scratch_load_b64 v[80:81], off, off offset:176
	s_mov_b32 s0, exec_lo
	s_wait_loadcnt 0x0
	ds_store_b64 v1, v[80:81]
	s_wait_storecnt_dscnt 0x0
	s_barrier_signal -1
	s_barrier_wait -1
	s_wait_xcnt 0x0
	v_cmpx_gt_u32_e32 22, v0
	s_cbranch_execz .LBB101_590
; %bb.581:
	v_cmp_ne_u32_e32 vcc_lo, 1, v82
	s_cbranch_vccnz .LBB101_583
; %bb.582:
	scratch_load_b64 v[80:81], v59, off
	ds_load_b64 v[84:85], v1
	s_wait_loadcnt_dscnt 0x0
	v_pk_mul_f32 v[86:87], v[84:85], v[80:81] op_sel:[1,1] op_sel_hi:[0,1]
	s_delay_alu instid0(VALU_DEP_1) | instskip(SKIP_1) | instid1(VALU_DEP_2)
	v_pk_fma_f32 v[88:89], v[84:85], v[80:81], v[86:87] op_sel_hi:[1,0,1]
	v_pk_fma_f32 v[80:81], v[84:85], v[80:81], v[86:87] neg_lo:[0,0,1] neg_hi:[0,0,1]
	v_mov_b32_e32 v81, v89
	s_cbranch_execz .LBB101_584
	s_branch .LBB101_585
.LBB101_583:
                                        ; implicit-def: $vgpr80_vgpr81
.LBB101_584:
	ds_load_b64 v[80:81], v1
.LBB101_585:
	s_mov_b32 s2, exec_lo
	v_cmpx_ne_u32_e32 21, v0
	s_cbranch_execz .LBB101_589
; %bb.586:
	v_add_nc_u32_e32 v83, 0x138, v58
	v_add3_u32 v84, 0, v58, 8
	v_mov_b32_e32 v85, v0
	s_mov_b32 s3, 0
.LBB101_587:                            ; =>This Inner Loop Header: Depth=1
	scratch_load_b64 v[86:87], v84, off
	ds_load_b64 v[88:89], v83
	s_wait_xcnt 0x0
	v_dual_add_nc_u32 v83, 8, v83 :: v_dual_add_nc_u32 v84, 8, v84
	s_wait_loadcnt_dscnt 0x0
	v_pk_mul_f32 v[90:91], v[88:89], v[86:87] op_sel:[1,1] op_sel_hi:[0,1]
	s_delay_alu instid0(VALU_DEP_1) | instskip(SKIP_2) | instid1(VALU_DEP_3)
	v_pk_fma_f32 v[92:93], v[88:89], v[86:87], v[90:91] op_sel_hi:[1,0,1]
	v_add_nc_u32_e32 v85, 1, v85
	v_pk_fma_f32 v[86:87], v[88:89], v[86:87], v[90:91] neg_lo:[0,0,1] neg_hi:[0,0,1]
	v_mov_b32_e32 v87, v93
	s_delay_alu instid0(VALU_DEP_3) | instskip(NEXT) | instid1(VALU_DEP_2)
	v_cmp_lt_u32_e32 vcc_lo, 20, v85
	v_pk_add_f32 v[80:81], v[80:81], v[86:87]
	s_or_b32 s3, vcc_lo, s3
	s_delay_alu instid0(SALU_CYCLE_1)
	s_and_not1_b32 exec_lo, exec_lo, s3
	s_cbranch_execnz .LBB101_587
; %bb.588:
	s_or_b32 exec_lo, exec_lo, s3
.LBB101_589:
	s_delay_alu instid0(SALU_CYCLE_1) | instskip(SKIP_4) | instid1(VALU_DEP_1)
	s_or_b32 exec_lo, exec_lo, s2
	v_mov_b32_e32 v83, 0
	ds_load_b64 v[84:85], v83 offset:176
	s_wait_dscnt 0x0
	v_pk_mul_f32 v[86:87], v[80:81], v[84:85] op_sel:[1,1] op_sel_hi:[0,1]
	v_pk_fma_f32 v[88:89], v[80:81], v[84:85], v[86:87] op_sel_hi:[1,0,1]
	v_pk_fma_f32 v[80:81], v[80:81], v[84:85], v[86:87] neg_lo:[0,0,1] neg_hi:[0,0,1]
	s_delay_alu instid0(VALU_DEP_2)
	v_mov_b32_e32 v81, v89
	scratch_store_b64 off, v[80:81], off offset:176
.LBB101_590:
	s_wait_xcnt 0x0
	s_or_b32 exec_lo, exec_lo, s0
	scratch_load_b64 v[80:81], off, off offset:184
	s_mov_b32 s0, exec_lo
	s_wait_loadcnt 0x0
	ds_store_b64 v1, v[80:81]
	s_wait_storecnt_dscnt 0x0
	s_barrier_signal -1
	s_barrier_wait -1
	s_wait_xcnt 0x0
	v_cmpx_gt_u32_e32 23, v0
	s_cbranch_execz .LBB101_600
; %bb.591:
	v_cmp_ne_u32_e32 vcc_lo, 1, v82
	s_cbranch_vccnz .LBB101_593
; %bb.592:
	scratch_load_b64 v[80:81], v59, off
	ds_load_b64 v[84:85], v1
	s_wait_loadcnt_dscnt 0x0
	v_pk_mul_f32 v[86:87], v[84:85], v[80:81] op_sel:[1,1] op_sel_hi:[0,1]
	s_delay_alu instid0(VALU_DEP_1) | instskip(SKIP_1) | instid1(VALU_DEP_2)
	v_pk_fma_f32 v[88:89], v[84:85], v[80:81], v[86:87] op_sel_hi:[1,0,1]
	v_pk_fma_f32 v[80:81], v[84:85], v[80:81], v[86:87] neg_lo:[0,0,1] neg_hi:[0,0,1]
	v_mov_b32_e32 v81, v89
	s_cbranch_execz .LBB101_594
	s_branch .LBB101_595
.LBB101_593:
                                        ; implicit-def: $vgpr80_vgpr81
.LBB101_594:
	ds_load_b64 v[80:81], v1
.LBB101_595:
	s_mov_b32 s2, exec_lo
	v_cmpx_ne_u32_e32 22, v0
	s_cbranch_execz .LBB101_599
; %bb.596:
	v_add_nc_u32_e32 v83, 0x138, v58
	v_add3_u32 v84, 0, v58, 8
	v_mov_b32_e32 v85, v0
	s_mov_b32 s3, 0
.LBB101_597:                            ; =>This Inner Loop Header: Depth=1
	scratch_load_b64 v[86:87], v84, off
	ds_load_b64 v[88:89], v83
	s_wait_xcnt 0x0
	v_dual_add_nc_u32 v83, 8, v83 :: v_dual_add_nc_u32 v84, 8, v84
	s_wait_loadcnt_dscnt 0x0
	v_pk_mul_f32 v[90:91], v[88:89], v[86:87] op_sel:[1,1] op_sel_hi:[0,1]
	s_delay_alu instid0(VALU_DEP_1) | instskip(SKIP_2) | instid1(VALU_DEP_3)
	v_pk_fma_f32 v[92:93], v[88:89], v[86:87], v[90:91] op_sel_hi:[1,0,1]
	v_add_nc_u32_e32 v85, 1, v85
	v_pk_fma_f32 v[86:87], v[88:89], v[86:87], v[90:91] neg_lo:[0,0,1] neg_hi:[0,0,1]
	v_mov_b32_e32 v87, v93
	s_delay_alu instid0(VALU_DEP_3) | instskip(NEXT) | instid1(VALU_DEP_2)
	v_cmp_lt_u32_e32 vcc_lo, 21, v85
	v_pk_add_f32 v[80:81], v[80:81], v[86:87]
	s_or_b32 s3, vcc_lo, s3
	s_delay_alu instid0(SALU_CYCLE_1)
	s_and_not1_b32 exec_lo, exec_lo, s3
	s_cbranch_execnz .LBB101_597
; %bb.598:
	s_or_b32 exec_lo, exec_lo, s3
.LBB101_599:
	s_delay_alu instid0(SALU_CYCLE_1) | instskip(SKIP_4) | instid1(VALU_DEP_1)
	s_or_b32 exec_lo, exec_lo, s2
	v_mov_b32_e32 v83, 0
	ds_load_b64 v[84:85], v83 offset:184
	s_wait_dscnt 0x0
	v_pk_mul_f32 v[86:87], v[80:81], v[84:85] op_sel:[1,1] op_sel_hi:[0,1]
	v_pk_fma_f32 v[88:89], v[80:81], v[84:85], v[86:87] op_sel_hi:[1,0,1]
	v_pk_fma_f32 v[80:81], v[80:81], v[84:85], v[86:87] neg_lo:[0,0,1] neg_hi:[0,0,1]
	s_delay_alu instid0(VALU_DEP_2)
	v_mov_b32_e32 v81, v89
	scratch_store_b64 off, v[80:81], off offset:184
.LBB101_600:
	s_wait_xcnt 0x0
	s_or_b32 exec_lo, exec_lo, s0
	scratch_load_b64 v[80:81], off, off offset:192
	s_mov_b32 s0, exec_lo
	s_wait_loadcnt 0x0
	ds_store_b64 v1, v[80:81]
	s_wait_storecnt_dscnt 0x0
	s_barrier_signal -1
	s_barrier_wait -1
	s_wait_xcnt 0x0
	v_cmpx_gt_u32_e32 24, v0
	s_cbranch_execz .LBB101_610
; %bb.601:
	v_cmp_ne_u32_e32 vcc_lo, 1, v82
	s_cbranch_vccnz .LBB101_603
; %bb.602:
	scratch_load_b64 v[80:81], v59, off
	ds_load_b64 v[84:85], v1
	s_wait_loadcnt_dscnt 0x0
	v_pk_mul_f32 v[86:87], v[84:85], v[80:81] op_sel:[1,1] op_sel_hi:[0,1]
	s_delay_alu instid0(VALU_DEP_1) | instskip(SKIP_1) | instid1(VALU_DEP_2)
	v_pk_fma_f32 v[88:89], v[84:85], v[80:81], v[86:87] op_sel_hi:[1,0,1]
	v_pk_fma_f32 v[80:81], v[84:85], v[80:81], v[86:87] neg_lo:[0,0,1] neg_hi:[0,0,1]
	v_mov_b32_e32 v81, v89
	s_cbranch_execz .LBB101_604
	s_branch .LBB101_605
.LBB101_603:
                                        ; implicit-def: $vgpr80_vgpr81
.LBB101_604:
	ds_load_b64 v[80:81], v1
.LBB101_605:
	s_mov_b32 s2, exec_lo
	v_cmpx_ne_u32_e32 23, v0
	s_cbranch_execz .LBB101_609
; %bb.606:
	v_add_nc_u32_e32 v83, 0x138, v58
	v_add3_u32 v84, 0, v58, 8
	v_mov_b32_e32 v85, v0
	s_mov_b32 s3, 0
.LBB101_607:                            ; =>This Inner Loop Header: Depth=1
	scratch_load_b64 v[86:87], v84, off
	ds_load_b64 v[88:89], v83
	s_wait_xcnt 0x0
	v_dual_add_nc_u32 v83, 8, v83 :: v_dual_add_nc_u32 v84, 8, v84
	s_wait_loadcnt_dscnt 0x0
	v_pk_mul_f32 v[90:91], v[88:89], v[86:87] op_sel:[1,1] op_sel_hi:[0,1]
	s_delay_alu instid0(VALU_DEP_1) | instskip(SKIP_2) | instid1(VALU_DEP_3)
	v_pk_fma_f32 v[92:93], v[88:89], v[86:87], v[90:91] op_sel_hi:[1,0,1]
	v_add_nc_u32_e32 v85, 1, v85
	v_pk_fma_f32 v[86:87], v[88:89], v[86:87], v[90:91] neg_lo:[0,0,1] neg_hi:[0,0,1]
	v_mov_b32_e32 v87, v93
	s_delay_alu instid0(VALU_DEP_3) | instskip(NEXT) | instid1(VALU_DEP_2)
	v_cmp_lt_u32_e32 vcc_lo, 22, v85
	v_pk_add_f32 v[80:81], v[80:81], v[86:87]
	s_or_b32 s3, vcc_lo, s3
	s_delay_alu instid0(SALU_CYCLE_1)
	s_and_not1_b32 exec_lo, exec_lo, s3
	s_cbranch_execnz .LBB101_607
; %bb.608:
	s_or_b32 exec_lo, exec_lo, s3
.LBB101_609:
	s_delay_alu instid0(SALU_CYCLE_1) | instskip(SKIP_4) | instid1(VALU_DEP_1)
	s_or_b32 exec_lo, exec_lo, s2
	v_mov_b32_e32 v83, 0
	ds_load_b64 v[84:85], v83 offset:192
	s_wait_dscnt 0x0
	v_pk_mul_f32 v[86:87], v[80:81], v[84:85] op_sel:[1,1] op_sel_hi:[0,1]
	v_pk_fma_f32 v[88:89], v[80:81], v[84:85], v[86:87] op_sel_hi:[1,0,1]
	v_pk_fma_f32 v[80:81], v[80:81], v[84:85], v[86:87] neg_lo:[0,0,1] neg_hi:[0,0,1]
	s_delay_alu instid0(VALU_DEP_2)
	v_mov_b32_e32 v81, v89
	scratch_store_b64 off, v[80:81], off offset:192
.LBB101_610:
	s_wait_xcnt 0x0
	s_or_b32 exec_lo, exec_lo, s0
	scratch_load_b64 v[80:81], off, off offset:200
	s_mov_b32 s0, exec_lo
	s_wait_loadcnt 0x0
	ds_store_b64 v1, v[80:81]
	s_wait_storecnt_dscnt 0x0
	s_barrier_signal -1
	s_barrier_wait -1
	s_wait_xcnt 0x0
	v_cmpx_gt_u32_e32 25, v0
	s_cbranch_execz .LBB101_620
; %bb.611:
	v_cmp_ne_u32_e32 vcc_lo, 1, v82
	s_cbranch_vccnz .LBB101_613
; %bb.612:
	scratch_load_b64 v[80:81], v59, off
	ds_load_b64 v[84:85], v1
	s_wait_loadcnt_dscnt 0x0
	v_pk_mul_f32 v[86:87], v[84:85], v[80:81] op_sel:[1,1] op_sel_hi:[0,1]
	s_delay_alu instid0(VALU_DEP_1) | instskip(SKIP_1) | instid1(VALU_DEP_2)
	v_pk_fma_f32 v[88:89], v[84:85], v[80:81], v[86:87] op_sel_hi:[1,0,1]
	v_pk_fma_f32 v[80:81], v[84:85], v[80:81], v[86:87] neg_lo:[0,0,1] neg_hi:[0,0,1]
	v_mov_b32_e32 v81, v89
	s_cbranch_execz .LBB101_614
	s_branch .LBB101_615
.LBB101_613:
                                        ; implicit-def: $vgpr80_vgpr81
.LBB101_614:
	ds_load_b64 v[80:81], v1
.LBB101_615:
	s_mov_b32 s2, exec_lo
	v_cmpx_ne_u32_e32 24, v0
	s_cbranch_execz .LBB101_619
; %bb.616:
	v_add_nc_u32_e32 v83, 0x138, v58
	v_add3_u32 v84, 0, v58, 8
	v_mov_b32_e32 v85, v0
	s_mov_b32 s3, 0
.LBB101_617:                            ; =>This Inner Loop Header: Depth=1
	scratch_load_b64 v[86:87], v84, off
	ds_load_b64 v[88:89], v83
	s_wait_xcnt 0x0
	v_dual_add_nc_u32 v83, 8, v83 :: v_dual_add_nc_u32 v84, 8, v84
	s_wait_loadcnt_dscnt 0x0
	v_pk_mul_f32 v[90:91], v[88:89], v[86:87] op_sel:[1,1] op_sel_hi:[0,1]
	s_delay_alu instid0(VALU_DEP_1) | instskip(SKIP_2) | instid1(VALU_DEP_3)
	v_pk_fma_f32 v[92:93], v[88:89], v[86:87], v[90:91] op_sel_hi:[1,0,1]
	v_add_nc_u32_e32 v85, 1, v85
	v_pk_fma_f32 v[86:87], v[88:89], v[86:87], v[90:91] neg_lo:[0,0,1] neg_hi:[0,0,1]
	v_mov_b32_e32 v87, v93
	s_delay_alu instid0(VALU_DEP_3) | instskip(NEXT) | instid1(VALU_DEP_2)
	v_cmp_lt_u32_e32 vcc_lo, 23, v85
	v_pk_add_f32 v[80:81], v[80:81], v[86:87]
	s_or_b32 s3, vcc_lo, s3
	s_delay_alu instid0(SALU_CYCLE_1)
	s_and_not1_b32 exec_lo, exec_lo, s3
	s_cbranch_execnz .LBB101_617
; %bb.618:
	s_or_b32 exec_lo, exec_lo, s3
.LBB101_619:
	s_delay_alu instid0(SALU_CYCLE_1) | instskip(SKIP_4) | instid1(VALU_DEP_1)
	s_or_b32 exec_lo, exec_lo, s2
	v_mov_b32_e32 v83, 0
	ds_load_b64 v[84:85], v83 offset:200
	s_wait_dscnt 0x0
	v_pk_mul_f32 v[86:87], v[80:81], v[84:85] op_sel:[1,1] op_sel_hi:[0,1]
	v_pk_fma_f32 v[88:89], v[80:81], v[84:85], v[86:87] op_sel_hi:[1,0,1]
	v_pk_fma_f32 v[80:81], v[80:81], v[84:85], v[86:87] neg_lo:[0,0,1] neg_hi:[0,0,1]
	s_delay_alu instid0(VALU_DEP_2)
	v_mov_b32_e32 v81, v89
	scratch_store_b64 off, v[80:81], off offset:200
.LBB101_620:
	s_wait_xcnt 0x0
	s_or_b32 exec_lo, exec_lo, s0
	scratch_load_b64 v[80:81], off, off offset:208
	s_mov_b32 s0, exec_lo
	s_wait_loadcnt 0x0
	ds_store_b64 v1, v[80:81]
	s_wait_storecnt_dscnt 0x0
	s_barrier_signal -1
	s_barrier_wait -1
	s_wait_xcnt 0x0
	v_cmpx_gt_u32_e32 26, v0
	s_cbranch_execz .LBB101_630
; %bb.621:
	v_cmp_ne_u32_e32 vcc_lo, 1, v82
	s_cbranch_vccnz .LBB101_623
; %bb.622:
	scratch_load_b64 v[80:81], v59, off
	ds_load_b64 v[84:85], v1
	s_wait_loadcnt_dscnt 0x0
	v_pk_mul_f32 v[86:87], v[84:85], v[80:81] op_sel:[1,1] op_sel_hi:[0,1]
	s_delay_alu instid0(VALU_DEP_1) | instskip(SKIP_1) | instid1(VALU_DEP_2)
	v_pk_fma_f32 v[88:89], v[84:85], v[80:81], v[86:87] op_sel_hi:[1,0,1]
	v_pk_fma_f32 v[80:81], v[84:85], v[80:81], v[86:87] neg_lo:[0,0,1] neg_hi:[0,0,1]
	v_mov_b32_e32 v81, v89
	s_cbranch_execz .LBB101_624
	s_branch .LBB101_625
.LBB101_623:
                                        ; implicit-def: $vgpr80_vgpr81
.LBB101_624:
	ds_load_b64 v[80:81], v1
.LBB101_625:
	s_mov_b32 s2, exec_lo
	v_cmpx_ne_u32_e32 25, v0
	s_cbranch_execz .LBB101_629
; %bb.626:
	v_add_nc_u32_e32 v83, 0x138, v58
	v_add3_u32 v84, 0, v58, 8
	v_mov_b32_e32 v85, v0
	s_mov_b32 s3, 0
.LBB101_627:                            ; =>This Inner Loop Header: Depth=1
	scratch_load_b64 v[86:87], v84, off
	ds_load_b64 v[88:89], v83
	s_wait_xcnt 0x0
	v_dual_add_nc_u32 v83, 8, v83 :: v_dual_add_nc_u32 v84, 8, v84
	s_wait_loadcnt_dscnt 0x0
	v_pk_mul_f32 v[90:91], v[88:89], v[86:87] op_sel:[1,1] op_sel_hi:[0,1]
	s_delay_alu instid0(VALU_DEP_1) | instskip(SKIP_2) | instid1(VALU_DEP_3)
	v_pk_fma_f32 v[92:93], v[88:89], v[86:87], v[90:91] op_sel_hi:[1,0,1]
	v_add_nc_u32_e32 v85, 1, v85
	v_pk_fma_f32 v[86:87], v[88:89], v[86:87], v[90:91] neg_lo:[0,0,1] neg_hi:[0,0,1]
	v_mov_b32_e32 v87, v93
	s_delay_alu instid0(VALU_DEP_3) | instskip(NEXT) | instid1(VALU_DEP_2)
	v_cmp_lt_u32_e32 vcc_lo, 24, v85
	v_pk_add_f32 v[80:81], v[80:81], v[86:87]
	s_or_b32 s3, vcc_lo, s3
	s_delay_alu instid0(SALU_CYCLE_1)
	s_and_not1_b32 exec_lo, exec_lo, s3
	s_cbranch_execnz .LBB101_627
; %bb.628:
	s_or_b32 exec_lo, exec_lo, s3
.LBB101_629:
	s_delay_alu instid0(SALU_CYCLE_1) | instskip(SKIP_4) | instid1(VALU_DEP_1)
	s_or_b32 exec_lo, exec_lo, s2
	v_mov_b32_e32 v83, 0
	ds_load_b64 v[84:85], v83 offset:208
	s_wait_dscnt 0x0
	v_pk_mul_f32 v[86:87], v[80:81], v[84:85] op_sel:[1,1] op_sel_hi:[0,1]
	v_pk_fma_f32 v[88:89], v[80:81], v[84:85], v[86:87] op_sel_hi:[1,0,1]
	v_pk_fma_f32 v[80:81], v[80:81], v[84:85], v[86:87] neg_lo:[0,0,1] neg_hi:[0,0,1]
	s_delay_alu instid0(VALU_DEP_2)
	v_mov_b32_e32 v81, v89
	scratch_store_b64 off, v[80:81], off offset:208
.LBB101_630:
	s_wait_xcnt 0x0
	s_or_b32 exec_lo, exec_lo, s0
	scratch_load_b64 v[80:81], off, off offset:216
	s_mov_b32 s0, exec_lo
	s_wait_loadcnt 0x0
	ds_store_b64 v1, v[80:81]
	s_wait_storecnt_dscnt 0x0
	s_barrier_signal -1
	s_barrier_wait -1
	s_wait_xcnt 0x0
	v_cmpx_gt_u32_e32 27, v0
	s_cbranch_execz .LBB101_640
; %bb.631:
	v_cmp_ne_u32_e32 vcc_lo, 1, v82
	s_cbranch_vccnz .LBB101_633
; %bb.632:
	scratch_load_b64 v[80:81], v59, off
	ds_load_b64 v[84:85], v1
	s_wait_loadcnt_dscnt 0x0
	v_pk_mul_f32 v[86:87], v[84:85], v[80:81] op_sel:[1,1] op_sel_hi:[0,1]
	s_delay_alu instid0(VALU_DEP_1) | instskip(SKIP_1) | instid1(VALU_DEP_2)
	v_pk_fma_f32 v[88:89], v[84:85], v[80:81], v[86:87] op_sel_hi:[1,0,1]
	v_pk_fma_f32 v[80:81], v[84:85], v[80:81], v[86:87] neg_lo:[0,0,1] neg_hi:[0,0,1]
	v_mov_b32_e32 v81, v89
	s_cbranch_execz .LBB101_634
	s_branch .LBB101_635
.LBB101_633:
                                        ; implicit-def: $vgpr80_vgpr81
.LBB101_634:
	ds_load_b64 v[80:81], v1
.LBB101_635:
	s_mov_b32 s2, exec_lo
	v_cmpx_ne_u32_e32 26, v0
	s_cbranch_execz .LBB101_639
; %bb.636:
	v_add_nc_u32_e32 v83, 0x138, v58
	v_add3_u32 v84, 0, v58, 8
	v_mov_b32_e32 v85, v0
	s_mov_b32 s3, 0
.LBB101_637:                            ; =>This Inner Loop Header: Depth=1
	scratch_load_b64 v[86:87], v84, off
	ds_load_b64 v[88:89], v83
	s_wait_xcnt 0x0
	v_dual_add_nc_u32 v83, 8, v83 :: v_dual_add_nc_u32 v84, 8, v84
	s_wait_loadcnt_dscnt 0x0
	v_pk_mul_f32 v[90:91], v[88:89], v[86:87] op_sel:[1,1] op_sel_hi:[0,1]
	s_delay_alu instid0(VALU_DEP_1) | instskip(SKIP_2) | instid1(VALU_DEP_3)
	v_pk_fma_f32 v[92:93], v[88:89], v[86:87], v[90:91] op_sel_hi:[1,0,1]
	v_add_nc_u32_e32 v85, 1, v85
	v_pk_fma_f32 v[86:87], v[88:89], v[86:87], v[90:91] neg_lo:[0,0,1] neg_hi:[0,0,1]
	v_mov_b32_e32 v87, v93
	s_delay_alu instid0(VALU_DEP_3) | instskip(NEXT) | instid1(VALU_DEP_2)
	v_cmp_lt_u32_e32 vcc_lo, 25, v85
	v_pk_add_f32 v[80:81], v[80:81], v[86:87]
	s_or_b32 s3, vcc_lo, s3
	s_delay_alu instid0(SALU_CYCLE_1)
	s_and_not1_b32 exec_lo, exec_lo, s3
	s_cbranch_execnz .LBB101_637
; %bb.638:
	s_or_b32 exec_lo, exec_lo, s3
.LBB101_639:
	s_delay_alu instid0(SALU_CYCLE_1) | instskip(SKIP_4) | instid1(VALU_DEP_1)
	s_or_b32 exec_lo, exec_lo, s2
	v_mov_b32_e32 v83, 0
	ds_load_b64 v[84:85], v83 offset:216
	s_wait_dscnt 0x0
	v_pk_mul_f32 v[86:87], v[80:81], v[84:85] op_sel:[1,1] op_sel_hi:[0,1]
	v_pk_fma_f32 v[88:89], v[80:81], v[84:85], v[86:87] op_sel_hi:[1,0,1]
	v_pk_fma_f32 v[80:81], v[80:81], v[84:85], v[86:87] neg_lo:[0,0,1] neg_hi:[0,0,1]
	s_delay_alu instid0(VALU_DEP_2)
	v_mov_b32_e32 v81, v89
	scratch_store_b64 off, v[80:81], off offset:216
.LBB101_640:
	s_wait_xcnt 0x0
	s_or_b32 exec_lo, exec_lo, s0
	scratch_load_b64 v[80:81], off, off offset:224
	s_mov_b32 s0, exec_lo
	s_wait_loadcnt 0x0
	ds_store_b64 v1, v[80:81]
	s_wait_storecnt_dscnt 0x0
	s_barrier_signal -1
	s_barrier_wait -1
	s_wait_xcnt 0x0
	v_cmpx_gt_u32_e32 28, v0
	s_cbranch_execz .LBB101_650
; %bb.641:
	v_cmp_ne_u32_e32 vcc_lo, 1, v82
	s_cbranch_vccnz .LBB101_643
; %bb.642:
	scratch_load_b64 v[80:81], v59, off
	ds_load_b64 v[84:85], v1
	s_wait_loadcnt_dscnt 0x0
	v_pk_mul_f32 v[86:87], v[84:85], v[80:81] op_sel:[1,1] op_sel_hi:[0,1]
	s_delay_alu instid0(VALU_DEP_1) | instskip(SKIP_1) | instid1(VALU_DEP_2)
	v_pk_fma_f32 v[88:89], v[84:85], v[80:81], v[86:87] op_sel_hi:[1,0,1]
	v_pk_fma_f32 v[80:81], v[84:85], v[80:81], v[86:87] neg_lo:[0,0,1] neg_hi:[0,0,1]
	v_mov_b32_e32 v81, v89
	s_cbranch_execz .LBB101_644
	s_branch .LBB101_645
.LBB101_643:
                                        ; implicit-def: $vgpr80_vgpr81
.LBB101_644:
	ds_load_b64 v[80:81], v1
.LBB101_645:
	s_mov_b32 s2, exec_lo
	v_cmpx_ne_u32_e32 27, v0
	s_cbranch_execz .LBB101_649
; %bb.646:
	v_add_nc_u32_e32 v83, 0x138, v58
	v_add3_u32 v84, 0, v58, 8
	v_mov_b32_e32 v85, v0
	s_mov_b32 s3, 0
.LBB101_647:                            ; =>This Inner Loop Header: Depth=1
	scratch_load_b64 v[86:87], v84, off
	ds_load_b64 v[88:89], v83
	s_wait_xcnt 0x0
	v_dual_add_nc_u32 v83, 8, v83 :: v_dual_add_nc_u32 v84, 8, v84
	s_wait_loadcnt_dscnt 0x0
	v_pk_mul_f32 v[90:91], v[88:89], v[86:87] op_sel:[1,1] op_sel_hi:[0,1]
	s_delay_alu instid0(VALU_DEP_1) | instskip(SKIP_2) | instid1(VALU_DEP_3)
	v_pk_fma_f32 v[92:93], v[88:89], v[86:87], v[90:91] op_sel_hi:[1,0,1]
	v_add_nc_u32_e32 v85, 1, v85
	v_pk_fma_f32 v[86:87], v[88:89], v[86:87], v[90:91] neg_lo:[0,0,1] neg_hi:[0,0,1]
	v_mov_b32_e32 v87, v93
	s_delay_alu instid0(VALU_DEP_3) | instskip(NEXT) | instid1(VALU_DEP_2)
	v_cmp_lt_u32_e32 vcc_lo, 26, v85
	v_pk_add_f32 v[80:81], v[80:81], v[86:87]
	s_or_b32 s3, vcc_lo, s3
	s_delay_alu instid0(SALU_CYCLE_1)
	s_and_not1_b32 exec_lo, exec_lo, s3
	s_cbranch_execnz .LBB101_647
; %bb.648:
	s_or_b32 exec_lo, exec_lo, s3
.LBB101_649:
	s_delay_alu instid0(SALU_CYCLE_1) | instskip(SKIP_4) | instid1(VALU_DEP_1)
	s_or_b32 exec_lo, exec_lo, s2
	v_mov_b32_e32 v83, 0
	ds_load_b64 v[84:85], v83 offset:224
	s_wait_dscnt 0x0
	v_pk_mul_f32 v[86:87], v[80:81], v[84:85] op_sel:[1,1] op_sel_hi:[0,1]
	v_pk_fma_f32 v[88:89], v[80:81], v[84:85], v[86:87] op_sel_hi:[1,0,1]
	v_pk_fma_f32 v[80:81], v[80:81], v[84:85], v[86:87] neg_lo:[0,0,1] neg_hi:[0,0,1]
	s_delay_alu instid0(VALU_DEP_2)
	v_mov_b32_e32 v81, v89
	scratch_store_b64 off, v[80:81], off offset:224
.LBB101_650:
	s_wait_xcnt 0x0
	s_or_b32 exec_lo, exec_lo, s0
	scratch_load_b64 v[80:81], off, off offset:232
	s_mov_b32 s0, exec_lo
	s_wait_loadcnt 0x0
	ds_store_b64 v1, v[80:81]
	s_wait_storecnt_dscnt 0x0
	s_barrier_signal -1
	s_barrier_wait -1
	s_wait_xcnt 0x0
	v_cmpx_gt_u32_e32 29, v0
	s_cbranch_execz .LBB101_660
; %bb.651:
	v_cmp_ne_u32_e32 vcc_lo, 1, v82
	s_cbranch_vccnz .LBB101_653
; %bb.652:
	scratch_load_b64 v[80:81], v59, off
	ds_load_b64 v[84:85], v1
	s_wait_loadcnt_dscnt 0x0
	v_pk_mul_f32 v[86:87], v[84:85], v[80:81] op_sel:[1,1] op_sel_hi:[0,1]
	s_delay_alu instid0(VALU_DEP_1) | instskip(SKIP_1) | instid1(VALU_DEP_2)
	v_pk_fma_f32 v[88:89], v[84:85], v[80:81], v[86:87] op_sel_hi:[1,0,1]
	v_pk_fma_f32 v[80:81], v[84:85], v[80:81], v[86:87] neg_lo:[0,0,1] neg_hi:[0,0,1]
	v_mov_b32_e32 v81, v89
	s_cbranch_execz .LBB101_654
	s_branch .LBB101_655
.LBB101_653:
                                        ; implicit-def: $vgpr80_vgpr81
.LBB101_654:
	ds_load_b64 v[80:81], v1
.LBB101_655:
	s_mov_b32 s2, exec_lo
	v_cmpx_ne_u32_e32 28, v0
	s_cbranch_execz .LBB101_659
; %bb.656:
	v_add_nc_u32_e32 v83, 0x138, v58
	v_add3_u32 v84, 0, v58, 8
	v_mov_b32_e32 v85, v0
	s_mov_b32 s3, 0
.LBB101_657:                            ; =>This Inner Loop Header: Depth=1
	scratch_load_b64 v[86:87], v84, off
	ds_load_b64 v[88:89], v83
	s_wait_xcnt 0x0
	v_dual_add_nc_u32 v83, 8, v83 :: v_dual_add_nc_u32 v84, 8, v84
	s_wait_loadcnt_dscnt 0x0
	v_pk_mul_f32 v[90:91], v[88:89], v[86:87] op_sel:[1,1] op_sel_hi:[0,1]
	s_delay_alu instid0(VALU_DEP_1) | instskip(SKIP_2) | instid1(VALU_DEP_3)
	v_pk_fma_f32 v[92:93], v[88:89], v[86:87], v[90:91] op_sel_hi:[1,0,1]
	v_add_nc_u32_e32 v85, 1, v85
	v_pk_fma_f32 v[86:87], v[88:89], v[86:87], v[90:91] neg_lo:[0,0,1] neg_hi:[0,0,1]
	v_mov_b32_e32 v87, v93
	s_delay_alu instid0(VALU_DEP_3) | instskip(NEXT) | instid1(VALU_DEP_2)
	v_cmp_lt_u32_e32 vcc_lo, 27, v85
	v_pk_add_f32 v[80:81], v[80:81], v[86:87]
	s_or_b32 s3, vcc_lo, s3
	s_delay_alu instid0(SALU_CYCLE_1)
	s_and_not1_b32 exec_lo, exec_lo, s3
	s_cbranch_execnz .LBB101_657
; %bb.658:
	s_or_b32 exec_lo, exec_lo, s3
.LBB101_659:
	s_delay_alu instid0(SALU_CYCLE_1) | instskip(SKIP_4) | instid1(VALU_DEP_1)
	s_or_b32 exec_lo, exec_lo, s2
	v_mov_b32_e32 v83, 0
	ds_load_b64 v[84:85], v83 offset:232
	s_wait_dscnt 0x0
	v_pk_mul_f32 v[86:87], v[80:81], v[84:85] op_sel:[1,1] op_sel_hi:[0,1]
	v_pk_fma_f32 v[88:89], v[80:81], v[84:85], v[86:87] op_sel_hi:[1,0,1]
	v_pk_fma_f32 v[80:81], v[80:81], v[84:85], v[86:87] neg_lo:[0,0,1] neg_hi:[0,0,1]
	s_delay_alu instid0(VALU_DEP_2)
	v_mov_b32_e32 v81, v89
	scratch_store_b64 off, v[80:81], off offset:232
.LBB101_660:
	s_wait_xcnt 0x0
	s_or_b32 exec_lo, exec_lo, s0
	scratch_load_b64 v[80:81], off, off offset:240
	s_mov_b32 s0, exec_lo
	s_wait_loadcnt 0x0
	ds_store_b64 v1, v[80:81]
	s_wait_storecnt_dscnt 0x0
	s_barrier_signal -1
	s_barrier_wait -1
	s_wait_xcnt 0x0
	v_cmpx_gt_u32_e32 30, v0
	s_cbranch_execz .LBB101_670
; %bb.661:
	v_cmp_ne_u32_e32 vcc_lo, 1, v82
	s_cbranch_vccnz .LBB101_663
; %bb.662:
	scratch_load_b64 v[80:81], v59, off
	ds_load_b64 v[84:85], v1
	s_wait_loadcnt_dscnt 0x0
	v_pk_mul_f32 v[86:87], v[84:85], v[80:81] op_sel:[1,1] op_sel_hi:[0,1]
	s_delay_alu instid0(VALU_DEP_1) | instskip(SKIP_1) | instid1(VALU_DEP_2)
	v_pk_fma_f32 v[88:89], v[84:85], v[80:81], v[86:87] op_sel_hi:[1,0,1]
	v_pk_fma_f32 v[80:81], v[84:85], v[80:81], v[86:87] neg_lo:[0,0,1] neg_hi:[0,0,1]
	v_mov_b32_e32 v81, v89
	s_cbranch_execz .LBB101_664
	s_branch .LBB101_665
.LBB101_663:
                                        ; implicit-def: $vgpr80_vgpr81
.LBB101_664:
	ds_load_b64 v[80:81], v1
.LBB101_665:
	s_mov_b32 s2, exec_lo
	v_cmpx_ne_u32_e32 29, v0
	s_cbranch_execz .LBB101_669
; %bb.666:
	v_add_nc_u32_e32 v83, 0x138, v58
	v_add3_u32 v84, 0, v58, 8
	v_mov_b32_e32 v85, v0
	s_mov_b32 s3, 0
.LBB101_667:                            ; =>This Inner Loop Header: Depth=1
	scratch_load_b64 v[86:87], v84, off
	ds_load_b64 v[88:89], v83
	s_wait_xcnt 0x0
	v_dual_add_nc_u32 v83, 8, v83 :: v_dual_add_nc_u32 v84, 8, v84
	s_wait_loadcnt_dscnt 0x0
	v_pk_mul_f32 v[90:91], v[88:89], v[86:87] op_sel:[1,1] op_sel_hi:[0,1]
	s_delay_alu instid0(VALU_DEP_1) | instskip(SKIP_2) | instid1(VALU_DEP_3)
	v_pk_fma_f32 v[92:93], v[88:89], v[86:87], v[90:91] op_sel_hi:[1,0,1]
	v_add_nc_u32_e32 v85, 1, v85
	v_pk_fma_f32 v[86:87], v[88:89], v[86:87], v[90:91] neg_lo:[0,0,1] neg_hi:[0,0,1]
	v_mov_b32_e32 v87, v93
	s_delay_alu instid0(VALU_DEP_3) | instskip(NEXT) | instid1(VALU_DEP_2)
	v_cmp_lt_u32_e32 vcc_lo, 28, v85
	v_pk_add_f32 v[80:81], v[80:81], v[86:87]
	s_or_b32 s3, vcc_lo, s3
	s_delay_alu instid0(SALU_CYCLE_1)
	s_and_not1_b32 exec_lo, exec_lo, s3
	s_cbranch_execnz .LBB101_667
; %bb.668:
	s_or_b32 exec_lo, exec_lo, s3
.LBB101_669:
	s_delay_alu instid0(SALU_CYCLE_1) | instskip(SKIP_4) | instid1(VALU_DEP_1)
	s_or_b32 exec_lo, exec_lo, s2
	v_mov_b32_e32 v83, 0
	ds_load_b64 v[84:85], v83 offset:240
	s_wait_dscnt 0x0
	v_pk_mul_f32 v[86:87], v[80:81], v[84:85] op_sel:[1,1] op_sel_hi:[0,1]
	v_pk_fma_f32 v[88:89], v[80:81], v[84:85], v[86:87] op_sel_hi:[1,0,1]
	v_pk_fma_f32 v[80:81], v[80:81], v[84:85], v[86:87] neg_lo:[0,0,1] neg_hi:[0,0,1]
	s_delay_alu instid0(VALU_DEP_2)
	v_mov_b32_e32 v81, v89
	scratch_store_b64 off, v[80:81], off offset:240
.LBB101_670:
	s_wait_xcnt 0x0
	s_or_b32 exec_lo, exec_lo, s0
	scratch_load_b64 v[80:81], off, off offset:248
	s_mov_b32 s0, exec_lo
	s_wait_loadcnt 0x0
	ds_store_b64 v1, v[80:81]
	s_wait_storecnt_dscnt 0x0
	s_barrier_signal -1
	s_barrier_wait -1
	s_wait_xcnt 0x0
	v_cmpx_gt_u32_e32 31, v0
	s_cbranch_execz .LBB101_680
; %bb.671:
	v_cmp_ne_u32_e32 vcc_lo, 1, v82
	s_cbranch_vccnz .LBB101_673
; %bb.672:
	scratch_load_b64 v[80:81], v59, off
	ds_load_b64 v[84:85], v1
	s_wait_loadcnt_dscnt 0x0
	v_pk_mul_f32 v[86:87], v[84:85], v[80:81] op_sel:[1,1] op_sel_hi:[0,1]
	s_delay_alu instid0(VALU_DEP_1) | instskip(SKIP_1) | instid1(VALU_DEP_2)
	v_pk_fma_f32 v[88:89], v[84:85], v[80:81], v[86:87] op_sel_hi:[1,0,1]
	v_pk_fma_f32 v[80:81], v[84:85], v[80:81], v[86:87] neg_lo:[0,0,1] neg_hi:[0,0,1]
	v_mov_b32_e32 v81, v89
	s_cbranch_execz .LBB101_674
	s_branch .LBB101_675
.LBB101_673:
                                        ; implicit-def: $vgpr80_vgpr81
.LBB101_674:
	ds_load_b64 v[80:81], v1
.LBB101_675:
	s_mov_b32 s2, exec_lo
	v_cmpx_ne_u32_e32 30, v0
	s_cbranch_execz .LBB101_679
; %bb.676:
	v_add_nc_u32_e32 v83, 0x138, v58
	v_add3_u32 v84, 0, v58, 8
	v_mov_b32_e32 v85, v0
	s_mov_b32 s3, 0
.LBB101_677:                            ; =>This Inner Loop Header: Depth=1
	scratch_load_b64 v[86:87], v84, off
	ds_load_b64 v[88:89], v83
	s_wait_xcnt 0x0
	v_dual_add_nc_u32 v83, 8, v83 :: v_dual_add_nc_u32 v84, 8, v84
	s_wait_loadcnt_dscnt 0x0
	v_pk_mul_f32 v[90:91], v[88:89], v[86:87] op_sel:[1,1] op_sel_hi:[0,1]
	s_delay_alu instid0(VALU_DEP_1) | instskip(SKIP_2) | instid1(VALU_DEP_3)
	v_pk_fma_f32 v[92:93], v[88:89], v[86:87], v[90:91] op_sel_hi:[1,0,1]
	v_add_nc_u32_e32 v85, 1, v85
	v_pk_fma_f32 v[86:87], v[88:89], v[86:87], v[90:91] neg_lo:[0,0,1] neg_hi:[0,0,1]
	v_mov_b32_e32 v87, v93
	s_delay_alu instid0(VALU_DEP_3) | instskip(NEXT) | instid1(VALU_DEP_2)
	v_cmp_lt_u32_e32 vcc_lo, 29, v85
	v_pk_add_f32 v[80:81], v[80:81], v[86:87]
	s_or_b32 s3, vcc_lo, s3
	s_delay_alu instid0(SALU_CYCLE_1)
	s_and_not1_b32 exec_lo, exec_lo, s3
	s_cbranch_execnz .LBB101_677
; %bb.678:
	s_or_b32 exec_lo, exec_lo, s3
.LBB101_679:
	s_delay_alu instid0(SALU_CYCLE_1) | instskip(SKIP_4) | instid1(VALU_DEP_1)
	s_or_b32 exec_lo, exec_lo, s2
	v_mov_b32_e32 v83, 0
	ds_load_b64 v[84:85], v83 offset:248
	s_wait_dscnt 0x0
	v_pk_mul_f32 v[86:87], v[80:81], v[84:85] op_sel:[1,1] op_sel_hi:[0,1]
	v_pk_fma_f32 v[88:89], v[80:81], v[84:85], v[86:87] op_sel_hi:[1,0,1]
	v_pk_fma_f32 v[80:81], v[80:81], v[84:85], v[86:87] neg_lo:[0,0,1] neg_hi:[0,0,1]
	s_delay_alu instid0(VALU_DEP_2)
	v_mov_b32_e32 v81, v89
	scratch_store_b64 off, v[80:81], off offset:248
.LBB101_680:
	s_wait_xcnt 0x0
	s_or_b32 exec_lo, exec_lo, s0
	scratch_load_b64 v[80:81], off, off offset:256
	s_mov_b32 s0, exec_lo
	s_wait_loadcnt 0x0
	ds_store_b64 v1, v[80:81]
	s_wait_storecnt_dscnt 0x0
	s_barrier_signal -1
	s_barrier_wait -1
	s_wait_xcnt 0x0
	v_cmpx_gt_u32_e32 32, v0
	s_cbranch_execz .LBB101_690
; %bb.681:
	v_cmp_ne_u32_e32 vcc_lo, 1, v82
	s_cbranch_vccnz .LBB101_683
; %bb.682:
	scratch_load_b64 v[80:81], v59, off
	ds_load_b64 v[84:85], v1
	s_wait_loadcnt_dscnt 0x0
	v_pk_mul_f32 v[86:87], v[84:85], v[80:81] op_sel:[1,1] op_sel_hi:[0,1]
	s_delay_alu instid0(VALU_DEP_1) | instskip(SKIP_1) | instid1(VALU_DEP_2)
	v_pk_fma_f32 v[88:89], v[84:85], v[80:81], v[86:87] op_sel_hi:[1,0,1]
	v_pk_fma_f32 v[80:81], v[84:85], v[80:81], v[86:87] neg_lo:[0,0,1] neg_hi:[0,0,1]
	v_mov_b32_e32 v81, v89
	s_cbranch_execz .LBB101_684
	s_branch .LBB101_685
.LBB101_683:
                                        ; implicit-def: $vgpr80_vgpr81
.LBB101_684:
	ds_load_b64 v[80:81], v1
.LBB101_685:
	s_mov_b32 s2, exec_lo
	v_cmpx_ne_u32_e32 31, v0
	s_cbranch_execz .LBB101_689
; %bb.686:
	v_add_nc_u32_e32 v83, 0x138, v58
	v_add3_u32 v84, 0, v58, 8
	v_mov_b32_e32 v85, v0
	s_mov_b32 s3, 0
.LBB101_687:                            ; =>This Inner Loop Header: Depth=1
	scratch_load_b64 v[86:87], v84, off
	ds_load_b64 v[88:89], v83
	s_wait_xcnt 0x0
	v_dual_add_nc_u32 v83, 8, v83 :: v_dual_add_nc_u32 v84, 8, v84
	s_wait_loadcnt_dscnt 0x0
	v_pk_mul_f32 v[90:91], v[88:89], v[86:87] op_sel:[1,1] op_sel_hi:[0,1]
	s_delay_alu instid0(VALU_DEP_1) | instskip(SKIP_2) | instid1(VALU_DEP_3)
	v_pk_fma_f32 v[92:93], v[88:89], v[86:87], v[90:91] op_sel_hi:[1,0,1]
	v_add_nc_u32_e32 v85, 1, v85
	v_pk_fma_f32 v[86:87], v[88:89], v[86:87], v[90:91] neg_lo:[0,0,1] neg_hi:[0,0,1]
	v_mov_b32_e32 v87, v93
	s_delay_alu instid0(VALU_DEP_3) | instskip(NEXT) | instid1(VALU_DEP_2)
	v_cmp_lt_u32_e32 vcc_lo, 30, v85
	v_pk_add_f32 v[80:81], v[80:81], v[86:87]
	s_or_b32 s3, vcc_lo, s3
	s_delay_alu instid0(SALU_CYCLE_1)
	s_and_not1_b32 exec_lo, exec_lo, s3
	s_cbranch_execnz .LBB101_687
; %bb.688:
	s_or_b32 exec_lo, exec_lo, s3
.LBB101_689:
	s_delay_alu instid0(SALU_CYCLE_1) | instskip(SKIP_4) | instid1(VALU_DEP_1)
	s_or_b32 exec_lo, exec_lo, s2
	v_mov_b32_e32 v83, 0
	ds_load_b64 v[84:85], v83 offset:256
	s_wait_dscnt 0x0
	v_pk_mul_f32 v[86:87], v[80:81], v[84:85] op_sel:[1,1] op_sel_hi:[0,1]
	v_pk_fma_f32 v[88:89], v[80:81], v[84:85], v[86:87] op_sel_hi:[1,0,1]
	v_pk_fma_f32 v[80:81], v[80:81], v[84:85], v[86:87] neg_lo:[0,0,1] neg_hi:[0,0,1]
	s_delay_alu instid0(VALU_DEP_2)
	v_mov_b32_e32 v81, v89
	scratch_store_b64 off, v[80:81], off offset:256
.LBB101_690:
	s_wait_xcnt 0x0
	s_or_b32 exec_lo, exec_lo, s0
	scratch_load_b64 v[80:81], off, off offset:264
	s_mov_b32 s0, exec_lo
	s_wait_loadcnt 0x0
	ds_store_b64 v1, v[80:81]
	s_wait_storecnt_dscnt 0x0
	s_barrier_signal -1
	s_barrier_wait -1
	s_wait_xcnt 0x0
	v_cmpx_gt_u32_e32 33, v0
	s_cbranch_execz .LBB101_700
; %bb.691:
	v_cmp_ne_u32_e32 vcc_lo, 1, v82
	s_cbranch_vccnz .LBB101_693
; %bb.692:
	scratch_load_b64 v[80:81], v59, off
	ds_load_b64 v[84:85], v1
	s_wait_loadcnt_dscnt 0x0
	v_pk_mul_f32 v[86:87], v[84:85], v[80:81] op_sel:[1,1] op_sel_hi:[0,1]
	s_delay_alu instid0(VALU_DEP_1) | instskip(SKIP_1) | instid1(VALU_DEP_2)
	v_pk_fma_f32 v[88:89], v[84:85], v[80:81], v[86:87] op_sel_hi:[1,0,1]
	v_pk_fma_f32 v[80:81], v[84:85], v[80:81], v[86:87] neg_lo:[0,0,1] neg_hi:[0,0,1]
	v_mov_b32_e32 v81, v89
	s_cbranch_execz .LBB101_694
	s_branch .LBB101_695
.LBB101_693:
                                        ; implicit-def: $vgpr80_vgpr81
.LBB101_694:
	ds_load_b64 v[80:81], v1
.LBB101_695:
	s_mov_b32 s2, exec_lo
	v_cmpx_ne_u32_e32 32, v0
	s_cbranch_execz .LBB101_699
; %bb.696:
	v_add_nc_u32_e32 v83, 0x138, v58
	v_add3_u32 v84, 0, v58, 8
	v_mov_b32_e32 v85, v0
	s_mov_b32 s3, 0
.LBB101_697:                            ; =>This Inner Loop Header: Depth=1
	scratch_load_b64 v[86:87], v84, off
	ds_load_b64 v[88:89], v83
	s_wait_xcnt 0x0
	v_dual_add_nc_u32 v83, 8, v83 :: v_dual_add_nc_u32 v84, 8, v84
	s_wait_loadcnt_dscnt 0x0
	v_pk_mul_f32 v[90:91], v[88:89], v[86:87] op_sel:[1,1] op_sel_hi:[0,1]
	s_delay_alu instid0(VALU_DEP_1) | instskip(SKIP_2) | instid1(VALU_DEP_3)
	v_pk_fma_f32 v[92:93], v[88:89], v[86:87], v[90:91] op_sel_hi:[1,0,1]
	v_add_nc_u32_e32 v85, 1, v85
	v_pk_fma_f32 v[86:87], v[88:89], v[86:87], v[90:91] neg_lo:[0,0,1] neg_hi:[0,0,1]
	v_mov_b32_e32 v87, v93
	s_delay_alu instid0(VALU_DEP_3) | instskip(NEXT) | instid1(VALU_DEP_2)
	v_cmp_lt_u32_e32 vcc_lo, 31, v85
	v_pk_add_f32 v[80:81], v[80:81], v[86:87]
	s_or_b32 s3, vcc_lo, s3
	s_delay_alu instid0(SALU_CYCLE_1)
	s_and_not1_b32 exec_lo, exec_lo, s3
	s_cbranch_execnz .LBB101_697
; %bb.698:
	s_or_b32 exec_lo, exec_lo, s3
.LBB101_699:
	s_delay_alu instid0(SALU_CYCLE_1) | instskip(SKIP_4) | instid1(VALU_DEP_1)
	s_or_b32 exec_lo, exec_lo, s2
	v_mov_b32_e32 v83, 0
	ds_load_b64 v[84:85], v83 offset:264
	s_wait_dscnt 0x0
	v_pk_mul_f32 v[86:87], v[80:81], v[84:85] op_sel:[1,1] op_sel_hi:[0,1]
	v_pk_fma_f32 v[88:89], v[80:81], v[84:85], v[86:87] op_sel_hi:[1,0,1]
	v_pk_fma_f32 v[80:81], v[80:81], v[84:85], v[86:87] neg_lo:[0,0,1] neg_hi:[0,0,1]
	s_delay_alu instid0(VALU_DEP_2)
	v_mov_b32_e32 v81, v89
	scratch_store_b64 off, v[80:81], off offset:264
.LBB101_700:
	s_wait_xcnt 0x0
	s_or_b32 exec_lo, exec_lo, s0
	scratch_load_b64 v[80:81], off, off offset:272
	s_mov_b32 s0, exec_lo
	s_wait_loadcnt 0x0
	ds_store_b64 v1, v[80:81]
	s_wait_storecnt_dscnt 0x0
	s_barrier_signal -1
	s_barrier_wait -1
	s_wait_xcnt 0x0
	v_cmpx_gt_u32_e32 34, v0
	s_cbranch_execz .LBB101_710
; %bb.701:
	v_cmp_ne_u32_e32 vcc_lo, 1, v82
	s_cbranch_vccnz .LBB101_703
; %bb.702:
	scratch_load_b64 v[80:81], v59, off
	ds_load_b64 v[84:85], v1
	s_wait_loadcnt_dscnt 0x0
	v_pk_mul_f32 v[86:87], v[84:85], v[80:81] op_sel:[1,1] op_sel_hi:[0,1]
	s_delay_alu instid0(VALU_DEP_1) | instskip(SKIP_1) | instid1(VALU_DEP_2)
	v_pk_fma_f32 v[88:89], v[84:85], v[80:81], v[86:87] op_sel_hi:[1,0,1]
	v_pk_fma_f32 v[80:81], v[84:85], v[80:81], v[86:87] neg_lo:[0,0,1] neg_hi:[0,0,1]
	v_mov_b32_e32 v81, v89
	s_cbranch_execz .LBB101_704
	s_branch .LBB101_705
.LBB101_703:
                                        ; implicit-def: $vgpr80_vgpr81
.LBB101_704:
	ds_load_b64 v[80:81], v1
.LBB101_705:
	s_mov_b32 s2, exec_lo
	v_cmpx_ne_u32_e32 33, v0
	s_cbranch_execz .LBB101_709
; %bb.706:
	v_add_nc_u32_e32 v83, 0x138, v58
	v_add3_u32 v84, 0, v58, 8
	v_mov_b32_e32 v85, v0
	s_mov_b32 s3, 0
.LBB101_707:                            ; =>This Inner Loop Header: Depth=1
	scratch_load_b64 v[86:87], v84, off
	ds_load_b64 v[88:89], v83
	s_wait_xcnt 0x0
	v_dual_add_nc_u32 v83, 8, v83 :: v_dual_add_nc_u32 v84, 8, v84
	s_wait_loadcnt_dscnt 0x0
	v_pk_mul_f32 v[90:91], v[88:89], v[86:87] op_sel:[1,1] op_sel_hi:[0,1]
	s_delay_alu instid0(VALU_DEP_1) | instskip(SKIP_2) | instid1(VALU_DEP_3)
	v_pk_fma_f32 v[92:93], v[88:89], v[86:87], v[90:91] op_sel_hi:[1,0,1]
	v_add_nc_u32_e32 v85, 1, v85
	v_pk_fma_f32 v[86:87], v[88:89], v[86:87], v[90:91] neg_lo:[0,0,1] neg_hi:[0,0,1]
	v_mov_b32_e32 v87, v93
	s_delay_alu instid0(VALU_DEP_3) | instskip(NEXT) | instid1(VALU_DEP_2)
	v_cmp_lt_u32_e32 vcc_lo, 32, v85
	v_pk_add_f32 v[80:81], v[80:81], v[86:87]
	s_or_b32 s3, vcc_lo, s3
	s_delay_alu instid0(SALU_CYCLE_1)
	s_and_not1_b32 exec_lo, exec_lo, s3
	s_cbranch_execnz .LBB101_707
; %bb.708:
	s_or_b32 exec_lo, exec_lo, s3
.LBB101_709:
	s_delay_alu instid0(SALU_CYCLE_1) | instskip(SKIP_4) | instid1(VALU_DEP_1)
	s_or_b32 exec_lo, exec_lo, s2
	v_mov_b32_e32 v83, 0
	ds_load_b64 v[84:85], v83 offset:272
	s_wait_dscnt 0x0
	v_pk_mul_f32 v[86:87], v[80:81], v[84:85] op_sel:[1,1] op_sel_hi:[0,1]
	v_pk_fma_f32 v[88:89], v[80:81], v[84:85], v[86:87] op_sel_hi:[1,0,1]
	v_pk_fma_f32 v[80:81], v[80:81], v[84:85], v[86:87] neg_lo:[0,0,1] neg_hi:[0,0,1]
	s_delay_alu instid0(VALU_DEP_2)
	v_mov_b32_e32 v81, v89
	scratch_store_b64 off, v[80:81], off offset:272
.LBB101_710:
	s_wait_xcnt 0x0
	s_or_b32 exec_lo, exec_lo, s0
	scratch_load_b64 v[80:81], off, off offset:280
	s_mov_b32 s0, exec_lo
	s_wait_loadcnt 0x0
	ds_store_b64 v1, v[80:81]
	s_wait_storecnt_dscnt 0x0
	s_barrier_signal -1
	s_barrier_wait -1
	s_wait_xcnt 0x0
	v_cmpx_gt_u32_e32 35, v0
	s_cbranch_execz .LBB101_720
; %bb.711:
	v_cmp_ne_u32_e32 vcc_lo, 1, v82
	s_cbranch_vccnz .LBB101_713
; %bb.712:
	scratch_load_b64 v[80:81], v59, off
	ds_load_b64 v[84:85], v1
	s_wait_loadcnt_dscnt 0x0
	v_pk_mul_f32 v[86:87], v[84:85], v[80:81] op_sel:[1,1] op_sel_hi:[0,1]
	s_delay_alu instid0(VALU_DEP_1) | instskip(SKIP_1) | instid1(VALU_DEP_2)
	v_pk_fma_f32 v[88:89], v[84:85], v[80:81], v[86:87] op_sel_hi:[1,0,1]
	v_pk_fma_f32 v[80:81], v[84:85], v[80:81], v[86:87] neg_lo:[0,0,1] neg_hi:[0,0,1]
	v_mov_b32_e32 v81, v89
	s_cbranch_execz .LBB101_714
	s_branch .LBB101_715
.LBB101_713:
                                        ; implicit-def: $vgpr80_vgpr81
.LBB101_714:
	ds_load_b64 v[80:81], v1
.LBB101_715:
	s_mov_b32 s2, exec_lo
	v_cmpx_ne_u32_e32 34, v0
	s_cbranch_execz .LBB101_719
; %bb.716:
	v_add_nc_u32_e32 v83, 0x138, v58
	v_add3_u32 v84, 0, v58, 8
	v_mov_b32_e32 v85, v0
	s_mov_b32 s3, 0
.LBB101_717:                            ; =>This Inner Loop Header: Depth=1
	scratch_load_b64 v[86:87], v84, off
	ds_load_b64 v[88:89], v83
	s_wait_xcnt 0x0
	v_dual_add_nc_u32 v83, 8, v83 :: v_dual_add_nc_u32 v84, 8, v84
	s_wait_loadcnt_dscnt 0x0
	v_pk_mul_f32 v[90:91], v[88:89], v[86:87] op_sel:[1,1] op_sel_hi:[0,1]
	s_delay_alu instid0(VALU_DEP_1) | instskip(SKIP_2) | instid1(VALU_DEP_3)
	v_pk_fma_f32 v[92:93], v[88:89], v[86:87], v[90:91] op_sel_hi:[1,0,1]
	v_add_nc_u32_e32 v85, 1, v85
	v_pk_fma_f32 v[86:87], v[88:89], v[86:87], v[90:91] neg_lo:[0,0,1] neg_hi:[0,0,1]
	v_mov_b32_e32 v87, v93
	s_delay_alu instid0(VALU_DEP_3) | instskip(NEXT) | instid1(VALU_DEP_2)
	v_cmp_lt_u32_e32 vcc_lo, 33, v85
	v_pk_add_f32 v[80:81], v[80:81], v[86:87]
	s_or_b32 s3, vcc_lo, s3
	s_delay_alu instid0(SALU_CYCLE_1)
	s_and_not1_b32 exec_lo, exec_lo, s3
	s_cbranch_execnz .LBB101_717
; %bb.718:
	s_or_b32 exec_lo, exec_lo, s3
.LBB101_719:
	s_delay_alu instid0(SALU_CYCLE_1) | instskip(SKIP_4) | instid1(VALU_DEP_1)
	s_or_b32 exec_lo, exec_lo, s2
	v_mov_b32_e32 v83, 0
	ds_load_b64 v[84:85], v83 offset:280
	s_wait_dscnt 0x0
	v_pk_mul_f32 v[86:87], v[80:81], v[84:85] op_sel:[1,1] op_sel_hi:[0,1]
	v_pk_fma_f32 v[88:89], v[80:81], v[84:85], v[86:87] op_sel_hi:[1,0,1]
	v_pk_fma_f32 v[80:81], v[80:81], v[84:85], v[86:87] neg_lo:[0,0,1] neg_hi:[0,0,1]
	s_delay_alu instid0(VALU_DEP_2)
	v_mov_b32_e32 v81, v89
	scratch_store_b64 off, v[80:81], off offset:280
.LBB101_720:
	s_wait_xcnt 0x0
	s_or_b32 exec_lo, exec_lo, s0
	scratch_load_b64 v[80:81], off, off offset:288
	v_cmp_gt_u32_e64 s0, 36, v0
	s_wait_loadcnt 0x0
	ds_store_b64 v1, v[80:81]
	s_wait_storecnt_dscnt 0x0
	s_barrier_signal -1
	s_barrier_wait -1
	s_wait_xcnt 0x0
	s_and_saveexec_b32 s2, s0
	s_cbranch_execz .LBB101_730
; %bb.721:
	v_cmp_ne_u32_e32 vcc_lo, 1, v82
	s_cbranch_vccnz .LBB101_723
; %bb.722:
	scratch_load_b64 v[80:81], v59, off
	ds_load_b64 v[84:85], v1
	s_wait_loadcnt_dscnt 0x0
	v_pk_mul_f32 v[86:87], v[84:85], v[80:81] op_sel:[1,1] op_sel_hi:[0,1]
	s_delay_alu instid0(VALU_DEP_1) | instskip(SKIP_1) | instid1(VALU_DEP_2)
	v_pk_fma_f32 v[88:89], v[84:85], v[80:81], v[86:87] op_sel_hi:[1,0,1]
	v_pk_fma_f32 v[80:81], v[84:85], v[80:81], v[86:87] neg_lo:[0,0,1] neg_hi:[0,0,1]
	v_mov_b32_e32 v81, v89
	s_cbranch_execz .LBB101_724
	s_branch .LBB101_725
.LBB101_723:
                                        ; implicit-def: $vgpr80_vgpr81
.LBB101_724:
	ds_load_b64 v[80:81], v1
.LBB101_725:
	s_mov_b32 s3, exec_lo
	v_cmpx_ne_u32_e32 35, v0
	s_cbranch_execz .LBB101_729
; %bb.726:
	v_add_nc_u32_e32 v83, 0x138, v58
	v_add3_u32 v84, 0, v58, 8
	v_mov_b32_e32 v85, v0
	s_mov_b32 s4, 0
.LBB101_727:                            ; =>This Inner Loop Header: Depth=1
	scratch_load_b64 v[86:87], v84, off
	ds_load_b64 v[88:89], v83
	s_wait_xcnt 0x0
	v_dual_add_nc_u32 v83, 8, v83 :: v_dual_add_nc_u32 v84, 8, v84
	s_wait_loadcnt_dscnt 0x0
	v_pk_mul_f32 v[90:91], v[88:89], v[86:87] op_sel:[1,1] op_sel_hi:[0,1]
	s_delay_alu instid0(VALU_DEP_1) | instskip(SKIP_2) | instid1(VALU_DEP_3)
	v_pk_fma_f32 v[92:93], v[88:89], v[86:87], v[90:91] op_sel_hi:[1,0,1]
	v_add_nc_u32_e32 v85, 1, v85
	v_pk_fma_f32 v[86:87], v[88:89], v[86:87], v[90:91] neg_lo:[0,0,1] neg_hi:[0,0,1]
	v_mov_b32_e32 v87, v93
	s_delay_alu instid0(VALU_DEP_3) | instskip(NEXT) | instid1(VALU_DEP_2)
	v_cmp_lt_u32_e32 vcc_lo, 34, v85
	v_pk_add_f32 v[80:81], v[80:81], v[86:87]
	s_or_b32 s4, vcc_lo, s4
	s_delay_alu instid0(SALU_CYCLE_1)
	s_and_not1_b32 exec_lo, exec_lo, s4
	s_cbranch_execnz .LBB101_727
; %bb.728:
	s_or_b32 exec_lo, exec_lo, s4
.LBB101_729:
	s_delay_alu instid0(SALU_CYCLE_1) | instskip(SKIP_4) | instid1(VALU_DEP_1)
	s_or_b32 exec_lo, exec_lo, s3
	v_mov_b32_e32 v83, 0
	ds_load_b64 v[84:85], v83 offset:288
	s_wait_dscnt 0x0
	v_pk_mul_f32 v[86:87], v[80:81], v[84:85] op_sel:[1,1] op_sel_hi:[0,1]
	v_pk_fma_f32 v[88:89], v[80:81], v[84:85], v[86:87] op_sel_hi:[1,0,1]
	v_pk_fma_f32 v[80:81], v[80:81], v[84:85], v[86:87] neg_lo:[0,0,1] neg_hi:[0,0,1]
	s_delay_alu instid0(VALU_DEP_2)
	v_mov_b32_e32 v81, v89
	scratch_store_b64 off, v[80:81], off offset:288
.LBB101_730:
	s_wait_xcnt 0x0
	s_or_b32 exec_lo, exec_lo, s2
	scratch_load_b64 v[80:81], off, off offset:296
	s_mov_b32 s2, exec_lo
                                        ; implicit-def: $vgpr112
                                        ; implicit-def: $sgpr5
	s_wait_loadcnt 0x0
	ds_store_b64 v1, v[80:81]
	s_wait_storecnt_dscnt 0x0
	s_barrier_signal -1
	s_barrier_wait -1
	s_wait_xcnt 0x0
	v_cmpx_ne_u32_e32 37, v0
	s_cbranch_execz .LBB101_740
; %bb.731:
	v_cmp_ne_u32_e32 vcc_lo, 1, v82
	s_cbranch_vccnz .LBB101_733
; %bb.732:
	scratch_load_b64 v[82:83], v59, off
	ds_load_b64 v[84:85], v1
	s_wait_loadcnt_dscnt 0x0
	v_dual_mul_f32 v59, v85, v83 :: v_dual_mul_f32 v81, v84, v83
	s_delay_alu instid0(VALU_DEP_1)
	v_dual_fma_f32 v80, v84, v82, -v59 :: v_dual_fmac_f32 v81, v85, v82
	s_cbranch_execz .LBB101_734
	s_branch .LBB101_735
.LBB101_733:
                                        ; implicit-def: $vgpr81
.LBB101_734:
	ds_load_b64 v[80:81], v1
.LBB101_735:
	s_and_saveexec_b32 s3, s0
	s_cbranch_execz .LBB101_739
; %bb.736:
	v_add_nc_u32_e32 v1, 0x138, v58
	v_add3_u32 v58, 0, v58, 8
	s_mov_b32 s0, 0
.LBB101_737:                            ; =>This Inner Loop Header: Depth=1
	scratch_load_b64 v[82:83], v58, off
	ds_load_b64 v[84:85], v1
	s_wait_loadcnt_dscnt 0x0
	v_dual_add_nc_u32 v1, 8, v1 :: v_dual_mul_f32 v59, v85, v83
	v_dual_mul_f32 v83, v84, v83 :: v_dual_add_nc_u32 v0, 1, v0
	s_delay_alu instid0(VALU_DEP_2) | instskip(NEXT) | instid1(VALU_DEP_2)
	v_fma_f32 v59, v84, v82, -v59
	v_fmac_f32_e32 v83, v85, v82
	s_delay_alu instid0(VALU_DEP_3) | instskip(NEXT) | instid1(VALU_DEP_3)
	v_cmp_lt_u32_e32 vcc_lo, 35, v0
	v_dual_add_nc_u32 v58, 8, v58 :: v_dual_add_f32 v80, v80, v59
	s_delay_alu instid0(VALU_DEP_3) | instskip(SKIP_1) | instid1(SALU_CYCLE_1)
	v_add_f32_e32 v81, v81, v83
	s_or_b32 s0, vcc_lo, s0
	s_and_not1_b32 exec_lo, exec_lo, s0
	s_cbranch_execnz .LBB101_737
; %bb.738:
	s_or_b32 exec_lo, exec_lo, s0
.LBB101_739:
	s_delay_alu instid0(SALU_CYCLE_1)
	s_or_b32 exec_lo, exec_lo, s3
	v_mov_b32_e32 v0, 0
	s_movk_i32 s5, 0x12c
	s_or_b32 s1, s1, exec_lo
	ds_load_b64 v[0:1], v0 offset:296
	s_wait_dscnt 0x0
	v_dual_mul_f32 v58, v81, v1 :: v_dual_mul_f32 v112, v80, v1
	s_delay_alu instid0(VALU_DEP_1)
	v_dual_fma_f32 v1, v80, v0, -v58 :: v_dual_fmac_f32 v112, v81, v0
	scratch_store_b32 off, v1, off offset:296
.LBB101_740:
	s_wait_xcnt 0x0
	s_or_b32 exec_lo, exec_lo, s2
.LBB101_741:
	v_lshl_add_u64 v[110:111], v[6:7], 3, s[6:7]
	v_lshl_add_u64 v[108:109], v[8:9], 3, s[6:7]
	v_lshl_add_u64 v[106:107], v[10:11], 3, s[6:7]
	v_lshl_add_u64 v[104:105], v[12:13], 3, s[6:7]
	v_lshl_add_u64 v[102:103], v[14:15], 3, s[6:7]
	v_lshl_add_u64 v[100:101], v[16:17], 3, s[6:7]
	v_lshl_add_u64 v[98:99], v[18:19], 3, s[6:7]
	v_lshl_add_u64 v[96:97], v[20:21], 3, s[6:7]
	v_lshl_add_u64 v[94:95], v[22:23], 3, s[6:7]
	v_lshl_add_u64 v[92:93], v[24:25], 3, s[6:7]
	v_lshl_add_u64 v[90:91], v[26:27], 3, s[6:7]
	v_lshl_add_u64 v[88:89], v[28:29], 3, s[6:7]
	v_lshl_add_u64 v[86:87], v[30:31], 3, s[6:7]
	v_lshl_add_u64 v[84:85], v[32:33], 3, s[6:7]
	v_lshl_add_u64 v[82:83], v[34:35], 3, s[6:7]
	v_lshl_add_u64 v[80:81], v[36:37], 3, s[6:7]
	v_lshl_add_u64 v[58:59], v[38:39], 3, s[6:7]
	v_lshl_add_u64 v[40:41], v[40:41], 3, s[6:7]
	v_lshl_add_u64 v[38:39], v[42:43], 3, s[6:7]
	v_lshl_add_u64 v[36:37], v[44:45], 3, s[6:7]
	v_lshl_add_u64 v[34:35], v[46:47], 3, s[6:7]
	v_lshl_add_u64 v[32:33], v[48:49], 3, s[6:7]
	v_lshl_add_u64 v[30:31], v[50:51], 3, s[6:7]
	v_lshl_add_u64 v[28:29], v[52:53], 3, s[6:7]
	v_lshl_add_u64 v[26:27], v[54:55], 3, s[6:7]
	v_lshl_add_u64 v[24:25], v[56:57], 3, s[6:7]
	v_lshl_add_u64 v[22:23], v[60:61], 3, s[6:7]
	v_lshl_add_u64 v[20:21], v[62:63], 3, s[6:7]
	v_lshl_add_u64 v[18:19], v[64:65], 3, s[6:7]
	v_lshl_add_u64 v[16:17], v[66:67], 3, s[6:7]
	v_lshl_add_u64 v[14:15], v[68:69], 3, s[6:7]
	v_lshl_add_u64 v[12:13], v[70:71], 3, s[6:7]
	v_lshl_add_u64 v[10:11], v[72:73], 3, s[6:7]
	v_lshl_add_u64 v[8:9], v[74:75], 3, s[6:7]
	v_lshl_add_u64 v[6:7], v[76:77], 3, s[6:7]
	v_lshl_add_u64 v[0:1], v[78:79], 3, s[6:7]
	s_and_saveexec_b32 s0, s1
	s_cbranch_execz .LBB101_743
; %bb.742:
	scratch_store_b32 off, v112, s5
.LBB101_743:
	s_wait_xcnt 0x0
	s_or_b32 exec_lo, exec_lo, s0
	scratch_load_b64 v[42:43], off, off
	s_wait_loadcnt 0x0
	flat_store_b64 v[2:3], v[42:43]
	scratch_load_b64 v[2:3], off, off offset:8
	s_wait_loadcnt 0x0
	flat_store_b64 v[4:5], v[2:3]
	scratch_load_b64 v[2:3], off, off offset:16
	;; [unrolled: 3-line block ×37, first 2 shown]
	s_wait_loadcnt 0x0
	flat_store_b64 v[0:1], v[2:3]
.LBB101_744:
	s_sendmsg sendmsg(MSG_DEALLOC_VGPRS)
	s_endpgm
	.section	.rodata,"a",@progbits
	.p2align	6, 0x0
	.amdhsa_kernel _ZN9rocsolver6v33100L18trti2_kernel_smallILi38E19rocblas_complex_numIfEPKPS3_EEv13rocblas_fill_17rocblas_diagonal_T1_iil
		.amdhsa_group_segment_fixed_size 608
		.amdhsa_private_segment_fixed_size 320
		.amdhsa_kernarg_size 32
		.amdhsa_user_sgpr_count 2
		.amdhsa_user_sgpr_dispatch_ptr 0
		.amdhsa_user_sgpr_queue_ptr 0
		.amdhsa_user_sgpr_kernarg_segment_ptr 1
		.amdhsa_user_sgpr_dispatch_id 0
		.amdhsa_user_sgpr_kernarg_preload_length 0
		.amdhsa_user_sgpr_kernarg_preload_offset 0
		.amdhsa_user_sgpr_private_segment_size 0
		.amdhsa_wavefront_size32 1
		.amdhsa_uses_dynamic_stack 0
		.amdhsa_enable_private_segment 1
		.amdhsa_system_sgpr_workgroup_id_x 1
		.amdhsa_system_sgpr_workgroup_id_y 0
		.amdhsa_system_sgpr_workgroup_id_z 0
		.amdhsa_system_sgpr_workgroup_info 0
		.amdhsa_system_vgpr_workitem_id 0
		.amdhsa_next_free_vgpr 113
		.amdhsa_next_free_sgpr 44
		.amdhsa_named_barrier_count 0
		.amdhsa_reserve_vcc 1
		.amdhsa_float_round_mode_32 0
		.amdhsa_float_round_mode_16_64 0
		.amdhsa_float_denorm_mode_32 3
		.amdhsa_float_denorm_mode_16_64 3
		.amdhsa_fp16_overflow 0
		.amdhsa_memory_ordered 1
		.amdhsa_forward_progress 1
		.amdhsa_inst_pref_size 229
		.amdhsa_round_robin_scheduling 0
		.amdhsa_exception_fp_ieee_invalid_op 0
		.amdhsa_exception_fp_denorm_src 0
		.amdhsa_exception_fp_ieee_div_zero 0
		.amdhsa_exception_fp_ieee_overflow 0
		.amdhsa_exception_fp_ieee_underflow 0
		.amdhsa_exception_fp_ieee_inexact 0
		.amdhsa_exception_int_div_zero 0
	.end_amdhsa_kernel
	.section	.text._ZN9rocsolver6v33100L18trti2_kernel_smallILi38E19rocblas_complex_numIfEPKPS3_EEv13rocblas_fill_17rocblas_diagonal_T1_iil,"axG",@progbits,_ZN9rocsolver6v33100L18trti2_kernel_smallILi38E19rocblas_complex_numIfEPKPS3_EEv13rocblas_fill_17rocblas_diagonal_T1_iil,comdat
.Lfunc_end101:
	.size	_ZN9rocsolver6v33100L18trti2_kernel_smallILi38E19rocblas_complex_numIfEPKPS3_EEv13rocblas_fill_17rocblas_diagonal_T1_iil, .Lfunc_end101-_ZN9rocsolver6v33100L18trti2_kernel_smallILi38E19rocblas_complex_numIfEPKPS3_EEv13rocblas_fill_17rocblas_diagonal_T1_iil
                                        ; -- End function
	.set _ZN9rocsolver6v33100L18trti2_kernel_smallILi38E19rocblas_complex_numIfEPKPS3_EEv13rocblas_fill_17rocblas_diagonal_T1_iil.num_vgpr, 113
	.set _ZN9rocsolver6v33100L18trti2_kernel_smallILi38E19rocblas_complex_numIfEPKPS3_EEv13rocblas_fill_17rocblas_diagonal_T1_iil.num_agpr, 0
	.set _ZN9rocsolver6v33100L18trti2_kernel_smallILi38E19rocblas_complex_numIfEPKPS3_EEv13rocblas_fill_17rocblas_diagonal_T1_iil.numbered_sgpr, 44
	.set _ZN9rocsolver6v33100L18trti2_kernel_smallILi38E19rocblas_complex_numIfEPKPS3_EEv13rocblas_fill_17rocblas_diagonal_T1_iil.num_named_barrier, 0
	.set _ZN9rocsolver6v33100L18trti2_kernel_smallILi38E19rocblas_complex_numIfEPKPS3_EEv13rocblas_fill_17rocblas_diagonal_T1_iil.private_seg_size, 320
	.set _ZN9rocsolver6v33100L18trti2_kernel_smallILi38E19rocblas_complex_numIfEPKPS3_EEv13rocblas_fill_17rocblas_diagonal_T1_iil.uses_vcc, 1
	.set _ZN9rocsolver6v33100L18trti2_kernel_smallILi38E19rocblas_complex_numIfEPKPS3_EEv13rocblas_fill_17rocblas_diagonal_T1_iil.uses_flat_scratch, 0
	.set _ZN9rocsolver6v33100L18trti2_kernel_smallILi38E19rocblas_complex_numIfEPKPS3_EEv13rocblas_fill_17rocblas_diagonal_T1_iil.has_dyn_sized_stack, 0
	.set _ZN9rocsolver6v33100L18trti2_kernel_smallILi38E19rocblas_complex_numIfEPKPS3_EEv13rocblas_fill_17rocblas_diagonal_T1_iil.has_recursion, 0
	.set _ZN9rocsolver6v33100L18trti2_kernel_smallILi38E19rocblas_complex_numIfEPKPS3_EEv13rocblas_fill_17rocblas_diagonal_T1_iil.has_indirect_call, 0
	.section	.AMDGPU.csdata,"",@progbits
; Kernel info:
; codeLenInByte = 29280
; TotalNumSgprs: 46
; NumVgprs: 113
; ScratchSize: 320
; MemoryBound: 0
; FloatMode: 240
; IeeeMode: 1
; LDSByteSize: 608 bytes/workgroup (compile time only)
; SGPRBlocks: 0
; VGPRBlocks: 7
; NumSGPRsForWavesPerEU: 46
; NumVGPRsForWavesPerEU: 113
; NamedBarCnt: 0
; Occupancy: 8
; WaveLimiterHint : 1
; COMPUTE_PGM_RSRC2:SCRATCH_EN: 1
; COMPUTE_PGM_RSRC2:USER_SGPR: 2
; COMPUTE_PGM_RSRC2:TRAP_HANDLER: 0
; COMPUTE_PGM_RSRC2:TGID_X_EN: 1
; COMPUTE_PGM_RSRC2:TGID_Y_EN: 0
; COMPUTE_PGM_RSRC2:TGID_Z_EN: 0
; COMPUTE_PGM_RSRC2:TIDIG_COMP_CNT: 0
	.section	.text._ZN9rocsolver6v33100L18trti2_kernel_smallILi39E19rocblas_complex_numIfEPKPS3_EEv13rocblas_fill_17rocblas_diagonal_T1_iil,"axG",@progbits,_ZN9rocsolver6v33100L18trti2_kernel_smallILi39E19rocblas_complex_numIfEPKPS3_EEv13rocblas_fill_17rocblas_diagonal_T1_iil,comdat
	.globl	_ZN9rocsolver6v33100L18trti2_kernel_smallILi39E19rocblas_complex_numIfEPKPS3_EEv13rocblas_fill_17rocblas_diagonal_T1_iil ; -- Begin function _ZN9rocsolver6v33100L18trti2_kernel_smallILi39E19rocblas_complex_numIfEPKPS3_EEv13rocblas_fill_17rocblas_diagonal_T1_iil
	.p2align	8
	.type	_ZN9rocsolver6v33100L18trti2_kernel_smallILi39E19rocblas_complex_numIfEPKPS3_EEv13rocblas_fill_17rocblas_diagonal_T1_iil,@function
_ZN9rocsolver6v33100L18trti2_kernel_smallILi39E19rocblas_complex_numIfEPKPS3_EEv13rocblas_fill_17rocblas_diagonal_T1_iil: ; @_ZN9rocsolver6v33100L18trti2_kernel_smallILi39E19rocblas_complex_numIfEPKPS3_EEv13rocblas_fill_17rocblas_diagonal_T1_iil
; %bb.0:
	s_mov_b32 s2, exec_lo
	v_cmpx_gt_u32_e32 39, v0
	s_cbranch_execz .LBB102_764
; %bb.1:
	s_clause 0x1
	s_load_b64 s[8:9], s[0:1], 0x10
	s_load_b128 s[4:7], s[0:1], 0x0
	s_wait_xcnt 0x0
	s_bfe_u32 s0, ttmp6, 0x4000c
	s_and_b32 s1, ttmp6, 15
	s_add_co_i32 s0, s0, 1
	s_getreg_b32 s2, hwreg(HW_REG_IB_STS2, 6, 4)
	s_mul_i32 s0, ttmp9, s0
	v_dual_mov_b32 v59, 0 :: v_dual_lshlrev_b32 v58, 3, v0
	s_add_co_i32 s0, s1, s0
	s_wait_kmcnt 0x0
	s_ashr_i32 s1, s8, 31
	s_cmp_eq_u32 s2, 0
	s_cselect_b32 s2, ttmp9, s0
	s_mov_b32 s0, s8
	s_ashr_i32 s3, s2, 31
	s_lshl_b64 s[0:1], s[0:1], 3
	s_lshl_b64 s[2:3], s[2:3], 3
	s_delay_alu instid0(SALU_CYCLE_1)
	s_add_nc_u64 s[2:3], s[6:7], s[2:3]
	s_load_b64 s[2:3], s[2:3], 0x0
	s_wait_kmcnt 0x0
	s_add_nc_u64 s[2:3], s[2:3], s[0:1]
	s_mov_b32 s0, s9
	flat_load_b64 v[6:7], v0, s[2:3] scale_offset
	v_add_nc_u64_e32 v[2:3], s[2:3], v[58:59]
	s_ashr_i32 s1, s9, 31
	s_cmp_lg_u32 s5, 0x84
	s_cselect_b32 s5, -1, 0
	s_delay_alu instid0(SALU_CYCLE_1) | instskip(NEXT) | instid1(VALU_DEP_1)
	s_and_b32 vcc_lo, exec_lo, s5
	v_lshl_add_u64 v[4:5], s[0:1], 3, v[2:3]
	s_mov_b32 s0, -1
	s_wait_loadcnt_dscnt 0x0
	scratch_store_b64 off, v[6:7], off
	flat_load_b64 v[8:9], v[4:5]
	s_wait_xcnt 0x1
	v_add3_u32 v6, s9, s9, v0
	s_wait_loadcnt_dscnt 0x0
	scratch_store_b64 off, v[8:9], off offset:8
	flat_load_b64 v[10:11], v6, s[2:3] scale_offset
	s_wait_xcnt 0x1
	v_add_nc_u32_e32 v8, s9, v6
	s_wait_loadcnt_dscnt 0x0
	scratch_store_b64 off, v[10:11], off offset:16
	flat_load_b64 v[12:13], v8, s[2:3] scale_offset
	s_wait_xcnt 0x1
	v_add_nc_u32_e32 v10, s9, v8
	;; [unrolled: 5-line block ×36, first 2 shown]
	s_wait_loadcnt_dscnt 0x0
	scratch_store_b64 off, v[82:83], off offset:296
	flat_load_b64 v[82:83], v80, s[2:3] scale_offset
	s_wait_loadcnt_dscnt 0x0
	scratch_store_b64 off, v[82:83], off offset:304
	s_cbranch_vccz .LBB102_7
; %bb.2:
	scratch_load_b64 v[82:83], v0, off scale_offset
                                        ; implicit-def: $vgpr87
                                        ; implicit-def: $vgpr84
	s_wait_loadcnt 0x0
	v_cmp_ngt_f32_e64 s0, |v82|, |v83|
	s_wait_xcnt 0x0
	s_and_saveexec_b32 s1, s0
	s_delay_alu instid0(SALU_CYCLE_1)
	s_xor_b32 s0, exec_lo, s1
	s_cbranch_execz .LBB102_4
; %bb.3:
	v_div_scale_f32 v1, null, v83, v83, v82
	v_div_scale_f32 v11, vcc_lo, v82, v83, v82
	s_delay_alu instid0(VALU_DEP_2) | instskip(SKIP_1) | instid1(TRANS32_DEP_1)
	v_rcp_f32_e32 v7, v1
	v_nop
	v_fma_f32 v9, -v1, v7, 1.0
	s_delay_alu instid0(VALU_DEP_1) | instskip(NEXT) | instid1(VALU_DEP_1)
	v_fmac_f32_e32 v7, v9, v7
	v_mul_f32_e32 v9, v11, v7
	s_delay_alu instid0(VALU_DEP_1) | instskip(NEXT) | instid1(VALU_DEP_1)
	v_fma_f32 v13, -v1, v9, v11
	v_fmac_f32_e32 v9, v13, v7
	s_delay_alu instid0(VALU_DEP_1) | instskip(NEXT) | instid1(VALU_DEP_1)
	v_fma_f32 v1, -v1, v9, v11
	v_div_fmas_f32 v1, v1, v7, v9
	s_delay_alu instid0(VALU_DEP_1) | instskip(NEXT) | instid1(VALU_DEP_1)
	v_div_fixup_f32 v1, v1, v83, v82
	v_fmac_f32_e32 v83, v82, v1
	s_delay_alu instid0(VALU_DEP_1) | instskip(NEXT) | instid1(VALU_DEP_1)
	v_div_scale_f32 v7, null, v83, v83, -1.0
	v_rcp_f32_e32 v9, v7
	v_nop
	s_delay_alu instid0(TRANS32_DEP_1) | instskip(NEXT) | instid1(VALU_DEP_1)
	v_fma_f32 v11, -v7, v9, 1.0
	v_fmac_f32_e32 v9, v11, v9
	v_div_scale_f32 v11, vcc_lo, -1.0, v83, -1.0
	s_delay_alu instid0(VALU_DEP_1) | instskip(NEXT) | instid1(VALU_DEP_1)
	v_mul_f32_e32 v13, v11, v9
	v_fma_f32 v15, -v7, v13, v11
	s_delay_alu instid0(VALU_DEP_1) | instskip(NEXT) | instid1(VALU_DEP_1)
	v_fmac_f32_e32 v13, v15, v9
	v_fma_f32 v7, -v7, v13, v11
	s_delay_alu instid0(VALU_DEP_1) | instskip(NEXT) | instid1(VALU_DEP_1)
	v_div_fmas_f32 v7, v7, v9, v13
	v_div_fixup_f32 v87, v7, v83, -1.0
                                        ; implicit-def: $vgpr82_vgpr83
	s_delay_alu instid0(VALU_DEP_1) | instskip(NEXT) | instid1(VALU_DEP_1)
	v_mul_f32_e32 v84, v1, v87
	v_xor_b32_e32 v86, 0x80000000, v84
.LBB102_4:
	s_or_saveexec_b32 s0, s0
	v_lshl_add_u32 v1, v0, 3, 0
	s_xor_b32 exec_lo, exec_lo, s0
	s_cbranch_execz .LBB102_6
; %bb.5:
	v_div_scale_f32 v7, null, v82, v82, v83
	v_div_scale_f32 v13, vcc_lo, v83, v82, v83
	s_delay_alu instid0(VALU_DEP_2) | instskip(SKIP_1) | instid1(TRANS32_DEP_1)
	v_rcp_f32_e32 v9, v7
	v_nop
	v_fma_f32 v11, -v7, v9, 1.0
	s_delay_alu instid0(VALU_DEP_1) | instskip(NEXT) | instid1(VALU_DEP_1)
	v_fmac_f32_e32 v9, v11, v9
	v_mul_f32_e32 v11, v13, v9
	s_delay_alu instid0(VALU_DEP_1) | instskip(NEXT) | instid1(VALU_DEP_1)
	v_fma_f32 v15, -v7, v11, v13
	v_fmac_f32_e32 v11, v15, v9
	s_delay_alu instid0(VALU_DEP_1) | instskip(NEXT) | instid1(VALU_DEP_1)
	v_fma_f32 v7, -v7, v11, v13
	v_div_fmas_f32 v7, v7, v9, v11
	s_delay_alu instid0(VALU_DEP_1) | instskip(NEXT) | instid1(VALU_DEP_1)
	v_div_fixup_f32 v7, v7, v82, v83
	v_fmac_f32_e32 v82, v83, v7
	s_delay_alu instid0(VALU_DEP_1) | instskip(SKIP_1) | instid1(VALU_DEP_2)
	v_div_scale_f32 v9, null, v82, v82, 1.0
	v_div_scale_f32 v15, vcc_lo, 1.0, v82, 1.0
	v_rcp_f32_e32 v11, v9
	v_nop
	s_delay_alu instid0(TRANS32_DEP_1) | instskip(NEXT) | instid1(VALU_DEP_1)
	v_fma_f32 v13, -v9, v11, 1.0
	v_fmac_f32_e32 v11, v13, v11
	s_delay_alu instid0(VALU_DEP_1) | instskip(NEXT) | instid1(VALU_DEP_1)
	v_mul_f32_e32 v13, v15, v11
	v_fma_f32 v17, -v9, v13, v15
	s_delay_alu instid0(VALU_DEP_1) | instskip(NEXT) | instid1(VALU_DEP_1)
	v_fmac_f32_e32 v13, v17, v11
	v_fma_f32 v9, -v9, v13, v15
	s_delay_alu instid0(VALU_DEP_1) | instskip(NEXT) | instid1(VALU_DEP_1)
	v_div_fmas_f32 v9, v9, v11, v13
	v_div_fixup_f32 v86, v9, v82, 1.0
	s_delay_alu instid0(VALU_DEP_1)
	v_xor_b32_e32 v84, 0x80000000, v86
	v_mul_f32_e64 v87, v7, -v86
.LBB102_6:
	s_or_b32 exec_lo, exec_lo, s0
	s_delay_alu instid0(VALU_DEP_1)
	v_xor_b32_e32 v85, 0x80000000, v87
	s_mov_b32 s0, 0
	scratch_store_b64 v1, v[86:87], off
	ds_store_b64 v58, v[84:85]
.LBB102_7:
	s_and_b32 vcc_lo, exec_lo, s0
	s_cbranch_vccz .LBB102_9
; %bb.8:
	s_mov_b64 s[0:1], 0xbf800000
	s_wait_xcnt 0x0
	v_mov_b64_e32 v[82:83], s[0:1]
	ds_store_b64 v58, v[82:83]
.LBB102_9:
	v_dual_ashrrev_i32 v7, 31, v6 :: v_dual_ashrrev_i32 v9, 31, v8
	v_dual_ashrrev_i32 v11, 31, v10 :: v_dual_ashrrev_i32 v13, 31, v12
	;; [unrolled: 1-line block ×18, first 2 shown]
	v_dual_ashrrev_i32 v81, 31, v80 :: v_dual_mov_b32 v59, v58
	s_wait_xcnt 0x0
	v_add_nc_u32_e32 v1, 0x140, v58
	s_cmp_eq_u32 s4, 0x79
	s_cbranch_scc1 .LBB102_13
; %bb.10:
	scratch_load_b64 v[82:83], off, off offset:296
	v_cmp_eq_u32_e64 s0, 38, v0
	s_movk_i32 s1, 0x48
	s_movk_i32 s14, 0x50
	s_movk_i32 s15, 0x58
	s_movk_i32 s16, 0x60
	s_movk_i32 s17, 0x68
	s_movk_i32 s18, 0x70
	s_movk_i32 s19, 0x78
	s_movk_i32 s20, 0x80
	s_movk_i32 s21, 0x88
	s_movk_i32 s22, 0x90
	s_movk_i32 s23, 0x98
	s_movk_i32 s24, 0xa0
	s_movk_i32 s25, 0xa8
	s_movk_i32 s26, 0xb0
	s_movk_i32 s27, 0xb8
	s_movk_i32 s28, 0xc0
	s_movk_i32 s29, 0xc8
	s_movk_i32 s30, 0xd0
	s_movk_i32 s31, 0xd8
	s_movk_i32 s33, 0xe0
	s_movk_i32 s34, 0xe8
	s_movk_i32 s35, 0xf0
	s_movk_i32 s36, 0xf8
	s_movk_i32 s37, 0x100
	s_movk_i32 s38, 0x108
	s_movk_i32 s39, 0x110
	s_movk_i32 s40, 0x118
	s_movk_i32 s41, 0x120
	s_wait_loadcnt 0x0
	ds_store_b64 v1, v[82:83]
	s_wait_storecnt_dscnt 0x0
	s_barrier_signal -1
	s_barrier_wait -1
	s_wait_xcnt 0x0
	s_and_saveexec_b32 s4, s0
	s_cbranch_execz .LBB102_17
; %bb.11:
	s_and_b32 vcc_lo, exec_lo, s5
	s_cbranch_vccz .LBB102_14
; %bb.12:
	scratch_load_b64 v[82:83], v59, off
	ds_load_b64 v[84:85], v1
	s_wait_loadcnt_dscnt 0x0
	v_pk_mul_f32 v[86:87], v[84:85], v[82:83] op_sel:[1,1] op_sel_hi:[0,1]
	v_pk_mul_f32 v[88:89], v[84:85], v[82:83] op_sel_hi:[1,0]
	s_delay_alu instid0(VALU_DEP_2) | instskip(NEXT) | instid1(VALU_DEP_2)
	v_pk_fma_f32 v[82:83], v[84:85], v[82:83], v[86:87] op_sel_hi:[1,0,1]
	v_sub_f32_e32 v82, v88, v86
	s_cbranch_execz .LBB102_15
	s_branch .LBB102_16
.LBB102_13:
	s_mov_b32 s1, 0
                                        ; implicit-def: $vgpr116
                                        ; implicit-def: $sgpr7
	s_cbranch_execnz .LBB102_386
	s_branch .LBB102_761
.LBB102_14:
                                        ; implicit-def: $vgpr83
.LBB102_15:
	ds_load_b64 v[82:83], v1
.LBB102_16:
	s_wait_dscnt 0x0
	v_dual_mov_b32 v84, 0 :: v_dual_mov_b32 v86, v83
	v_mov_b32_e32 v87, v82
	ds_load_b64 v[84:85], v84 offset:296
	s_wait_dscnt 0x0
	v_pk_mul_f32 v[86:87], v[86:87], v[84:85] op_sel:[0,1]
	s_delay_alu instid0(VALU_DEP_1) | instskip(SKIP_1) | instid1(VALU_DEP_2)
	v_pk_fma_f32 v[88:89], v[82:83], v[84:85], v[86:87] op_sel_hi:[1,0,1]
	v_pk_fma_f32 v[82:83], v[82:83], v[84:85], v[86:87] neg_lo:[0,0,1] neg_hi:[0,0,1]
	v_mov_b32_e32 v83, v89
	scratch_store_b64 off, v[82:83], off offset:296
.LBB102_17:
	s_wait_xcnt 0x0
	s_or_b32 exec_lo, exec_lo, s4
	scratch_load_b64 v[82:83], off, off offset:288
	s_mov_b32 s13, s1
	v_cmp_lt_u32_e64 s1, 36, v0
	s_or_b32 s4, 0, 8
	s_mov_b32 s6, 16
	s_mov_b32 s7, 24
	;; [unrolled: 1-line block ×7, first 2 shown]
	s_wait_loadcnt 0x0
	ds_store_b64 v1, v[82:83]
	s_wait_storecnt_dscnt 0x0
	s_barrier_signal -1
	s_barrier_wait -1
	s_wait_xcnt 0x0
	s_and_saveexec_b32 s42, s1
	s_cbranch_execz .LBB102_25
; %bb.18:
	s_and_not1_b32 vcc_lo, exec_lo, s5
	s_cbranch_vccnz .LBB102_20
; %bb.19:
	scratch_load_b64 v[82:83], v59, off
	ds_load_b64 v[84:85], v1
	s_wait_loadcnt_dscnt 0x0
	v_pk_mul_f32 v[86:87], v[84:85], v[82:83] op_sel:[1,1] op_sel_hi:[0,1]
	s_delay_alu instid0(VALU_DEP_1) | instskip(SKIP_1) | instid1(VALU_DEP_2)
	v_pk_fma_f32 v[88:89], v[84:85], v[82:83], v[86:87] op_sel_hi:[1,0,1]
	v_pk_fma_f32 v[82:83], v[84:85], v[82:83], v[86:87] neg_lo:[0,0,1] neg_hi:[0,0,1]
	v_mov_b32_e32 v83, v89
	s_cbranch_execz .LBB102_21
	s_branch .LBB102_22
.LBB102_20:
                                        ; implicit-def: $vgpr82_vgpr83
.LBB102_21:
	ds_load_b64 v[82:83], v1
.LBB102_22:
	s_and_saveexec_b32 s43, s0
	s_cbranch_execz .LBB102_24
; %bb.23:
	scratch_load_b64 v[84:85], off, off offset:296
	v_mov_b32_e32 v86, 0
	ds_load_b64 v[86:87], v86 offset:616
	s_wait_loadcnt_dscnt 0x0
	v_pk_mul_f32 v[88:89], v[86:87], v[84:85] op_sel:[1,1] op_sel_hi:[0,1]
	s_delay_alu instid0(VALU_DEP_1) | instskip(SKIP_1) | instid1(VALU_DEP_2)
	v_pk_fma_f32 v[90:91], v[86:87], v[84:85], v[88:89] op_sel_hi:[1,0,1]
	v_pk_fma_f32 v[84:85], v[86:87], v[84:85], v[88:89] neg_lo:[0,0,1] neg_hi:[0,0,1]
	v_mov_b32_e32 v85, v91
	s_delay_alu instid0(VALU_DEP_1)
	v_pk_add_f32 v[82:83], v[82:83], v[84:85]
.LBB102_24:
	s_or_b32 exec_lo, exec_lo, s43
	v_mov_b32_e32 v84, 0
	ds_load_b64 v[84:85], v84 offset:288
	s_wait_dscnt 0x0
	v_pk_mul_f32 v[86:87], v[82:83], v[84:85] op_sel:[1,1] op_sel_hi:[0,1]
	s_delay_alu instid0(VALU_DEP_1) | instskip(SKIP_1) | instid1(VALU_DEP_2)
	v_pk_fma_f32 v[88:89], v[82:83], v[84:85], v[86:87] op_sel_hi:[1,0,1]
	v_pk_fma_f32 v[82:83], v[82:83], v[84:85], v[86:87] neg_lo:[0,0,1] neg_hi:[0,0,1]
	v_mov_b32_e32 v83, v89
	scratch_store_b64 off, v[82:83], off offset:288
.LBB102_25:
	s_wait_xcnt 0x0
	s_or_b32 exec_lo, exec_lo, s42
	scratch_load_b64 v[82:83], off, off offset:280
	v_cmp_lt_u32_e64 s0, 35, v0
	s_wait_loadcnt 0x0
	ds_store_b64 v1, v[82:83]
	s_wait_storecnt_dscnt 0x0
	s_barrier_signal -1
	s_barrier_wait -1
	s_wait_xcnt 0x0
	s_and_saveexec_b32 s42, s0
	s_cbranch_execz .LBB102_35
; %bb.26:
	s_and_not1_b32 vcc_lo, exec_lo, s5
	s_cbranch_vccnz .LBB102_28
; %bb.27:
	scratch_load_b64 v[82:83], v59, off
	ds_load_b64 v[84:85], v1
	s_wait_loadcnt_dscnt 0x0
	v_pk_mul_f32 v[86:87], v[84:85], v[82:83] op_sel:[1,1] op_sel_hi:[0,1]
	s_delay_alu instid0(VALU_DEP_1) | instskip(SKIP_1) | instid1(VALU_DEP_2)
	v_pk_fma_f32 v[88:89], v[84:85], v[82:83], v[86:87] op_sel_hi:[1,0,1]
	v_pk_fma_f32 v[82:83], v[84:85], v[82:83], v[86:87] neg_lo:[0,0,1] neg_hi:[0,0,1]
	v_mov_b32_e32 v83, v89
	s_cbranch_execz .LBB102_29
	s_branch .LBB102_30
.LBB102_28:
                                        ; implicit-def: $vgpr82_vgpr83
.LBB102_29:
	ds_load_b64 v[82:83], v1
.LBB102_30:
	s_and_saveexec_b32 s43, s1
	s_cbranch_execz .LBB102_34
; %bb.31:
	v_subrev_nc_u32_e32 v84, 36, v0
	s_movk_i32 s44, 0x260
	s_mov_b32 s1, 0
.LBB102_32:                             ; =>This Inner Loop Header: Depth=1
	scratch_load_b64 v[86:87], off, s41
	v_dual_mov_b32 v85, s44 :: v_dual_add_nc_u32 v84, -1, v84
	s_add_co_i32 s44, s44, 8
	s_wait_xcnt 0x0
	s_add_co_i32 s41, s41, 8
	ds_load_b64 v[88:89], v85
	v_cmp_eq_u32_e32 vcc_lo, 0, v84
	s_or_b32 s1, vcc_lo, s1
	s_wait_loadcnt_dscnt 0x0
	v_pk_mul_f32 v[90:91], v[88:89], v[86:87] op_sel:[1,1] op_sel_hi:[0,1]
	s_delay_alu instid0(VALU_DEP_1) | instskip(SKIP_1) | instid1(VALU_DEP_2)
	v_pk_fma_f32 v[92:93], v[88:89], v[86:87], v[90:91] op_sel_hi:[1,0,1]
	v_pk_fma_f32 v[86:87], v[88:89], v[86:87], v[90:91] neg_lo:[0,0,1] neg_hi:[0,0,1]
	v_mov_b32_e32 v87, v93
	s_delay_alu instid0(VALU_DEP_1)
	v_pk_add_f32 v[82:83], v[82:83], v[86:87]
	s_and_not1_b32 exec_lo, exec_lo, s1
	s_cbranch_execnz .LBB102_32
; %bb.33:
	s_or_b32 exec_lo, exec_lo, s1
.LBB102_34:
	s_delay_alu instid0(SALU_CYCLE_1) | instskip(SKIP_4) | instid1(VALU_DEP_1)
	s_or_b32 exec_lo, exec_lo, s43
	v_mov_b32_e32 v84, 0
	ds_load_b64 v[84:85], v84 offset:280
	s_wait_dscnt 0x0
	v_pk_mul_f32 v[86:87], v[82:83], v[84:85] op_sel:[1,1] op_sel_hi:[0,1]
	v_pk_fma_f32 v[88:89], v[82:83], v[84:85], v[86:87] op_sel_hi:[1,0,1]
	v_pk_fma_f32 v[82:83], v[82:83], v[84:85], v[86:87] neg_lo:[0,0,1] neg_hi:[0,0,1]
	s_delay_alu instid0(VALU_DEP_2)
	v_mov_b32_e32 v83, v89
	scratch_store_b64 off, v[82:83], off offset:280
.LBB102_35:
	s_wait_xcnt 0x0
	s_or_b32 exec_lo, exec_lo, s42
	scratch_load_b64 v[82:83], off, off offset:272
	v_cmp_lt_u32_e64 s1, 34, v0
	s_wait_loadcnt 0x0
	ds_store_b64 v1, v[82:83]
	s_wait_storecnt_dscnt 0x0
	s_barrier_signal -1
	s_barrier_wait -1
	s_wait_xcnt 0x0
	s_and_saveexec_b32 s41, s1
	s_cbranch_execz .LBB102_45
; %bb.36:
	s_and_not1_b32 vcc_lo, exec_lo, s5
	s_cbranch_vccnz .LBB102_38
; %bb.37:
	scratch_load_b64 v[82:83], v59, off
	ds_load_b64 v[84:85], v1
	s_wait_loadcnt_dscnt 0x0
	v_pk_mul_f32 v[86:87], v[84:85], v[82:83] op_sel:[1,1] op_sel_hi:[0,1]
	s_delay_alu instid0(VALU_DEP_1) | instskip(SKIP_1) | instid1(VALU_DEP_2)
	v_pk_fma_f32 v[88:89], v[84:85], v[82:83], v[86:87] op_sel_hi:[1,0,1]
	v_pk_fma_f32 v[82:83], v[84:85], v[82:83], v[86:87] neg_lo:[0,0,1] neg_hi:[0,0,1]
	v_mov_b32_e32 v83, v89
	s_cbranch_execz .LBB102_39
	s_branch .LBB102_40
.LBB102_38:
                                        ; implicit-def: $vgpr82_vgpr83
.LBB102_39:
	ds_load_b64 v[82:83], v1
.LBB102_40:
	s_and_saveexec_b32 s42, s0
	s_cbranch_execz .LBB102_44
; %bb.41:
	v_subrev_nc_u32_e32 v84, 35, v0
	s_movk_i32 s43, 0x258
	s_mov_b32 s0, 0
.LBB102_42:                             ; =>This Inner Loop Header: Depth=1
	scratch_load_b64 v[86:87], off, s40
	v_dual_mov_b32 v85, s43 :: v_dual_add_nc_u32 v84, -1, v84
	s_add_co_i32 s43, s43, 8
	s_wait_xcnt 0x0
	s_add_co_i32 s40, s40, 8
	ds_load_b64 v[88:89], v85
	v_cmp_eq_u32_e32 vcc_lo, 0, v84
	s_or_b32 s0, vcc_lo, s0
	s_wait_loadcnt_dscnt 0x0
	v_pk_mul_f32 v[90:91], v[88:89], v[86:87] op_sel:[1,1] op_sel_hi:[0,1]
	s_delay_alu instid0(VALU_DEP_1) | instskip(SKIP_1) | instid1(VALU_DEP_2)
	v_pk_fma_f32 v[92:93], v[88:89], v[86:87], v[90:91] op_sel_hi:[1,0,1]
	v_pk_fma_f32 v[86:87], v[88:89], v[86:87], v[90:91] neg_lo:[0,0,1] neg_hi:[0,0,1]
	v_mov_b32_e32 v87, v93
	s_delay_alu instid0(VALU_DEP_1)
	v_pk_add_f32 v[82:83], v[82:83], v[86:87]
	s_and_not1_b32 exec_lo, exec_lo, s0
	s_cbranch_execnz .LBB102_42
; %bb.43:
	s_or_b32 exec_lo, exec_lo, s0
.LBB102_44:
	s_delay_alu instid0(SALU_CYCLE_1) | instskip(SKIP_4) | instid1(VALU_DEP_1)
	s_or_b32 exec_lo, exec_lo, s42
	v_mov_b32_e32 v84, 0
	ds_load_b64 v[84:85], v84 offset:272
	s_wait_dscnt 0x0
	v_pk_mul_f32 v[86:87], v[82:83], v[84:85] op_sel:[1,1] op_sel_hi:[0,1]
	v_pk_fma_f32 v[88:89], v[82:83], v[84:85], v[86:87] op_sel_hi:[1,0,1]
	v_pk_fma_f32 v[82:83], v[82:83], v[84:85], v[86:87] neg_lo:[0,0,1] neg_hi:[0,0,1]
	s_delay_alu instid0(VALU_DEP_2)
	v_mov_b32_e32 v83, v89
	scratch_store_b64 off, v[82:83], off offset:272
.LBB102_45:
	s_wait_xcnt 0x0
	s_or_b32 exec_lo, exec_lo, s41
	scratch_load_b64 v[82:83], off, off offset:264
	v_cmp_lt_u32_e64 s0, 33, v0
	s_wait_loadcnt 0x0
	ds_store_b64 v1, v[82:83]
	s_wait_storecnt_dscnt 0x0
	s_barrier_signal -1
	s_barrier_wait -1
	s_wait_xcnt 0x0
	s_and_saveexec_b32 s40, s0
	s_cbranch_execz .LBB102_55
; %bb.46:
	s_and_not1_b32 vcc_lo, exec_lo, s5
	s_cbranch_vccnz .LBB102_48
; %bb.47:
	scratch_load_b64 v[82:83], v59, off
	ds_load_b64 v[84:85], v1
	s_wait_loadcnt_dscnt 0x0
	v_pk_mul_f32 v[86:87], v[84:85], v[82:83] op_sel:[1,1] op_sel_hi:[0,1]
	s_delay_alu instid0(VALU_DEP_1) | instskip(SKIP_1) | instid1(VALU_DEP_2)
	v_pk_fma_f32 v[88:89], v[84:85], v[82:83], v[86:87] op_sel_hi:[1,0,1]
	v_pk_fma_f32 v[82:83], v[84:85], v[82:83], v[86:87] neg_lo:[0,0,1] neg_hi:[0,0,1]
	v_mov_b32_e32 v83, v89
	s_cbranch_execz .LBB102_49
	s_branch .LBB102_50
.LBB102_48:
                                        ; implicit-def: $vgpr82_vgpr83
.LBB102_49:
	ds_load_b64 v[82:83], v1
.LBB102_50:
	s_and_saveexec_b32 s41, s1
	s_cbranch_execz .LBB102_54
; %bb.51:
	v_subrev_nc_u32_e32 v84, 34, v0
	s_movk_i32 s42, 0x250
	s_mov_b32 s1, 0
.LBB102_52:                             ; =>This Inner Loop Header: Depth=1
	scratch_load_b64 v[86:87], off, s39
	v_dual_mov_b32 v85, s42 :: v_dual_add_nc_u32 v84, -1, v84
	s_add_co_i32 s42, s42, 8
	s_wait_xcnt 0x0
	s_add_co_i32 s39, s39, 8
	ds_load_b64 v[88:89], v85
	v_cmp_eq_u32_e32 vcc_lo, 0, v84
	s_or_b32 s1, vcc_lo, s1
	s_wait_loadcnt_dscnt 0x0
	v_pk_mul_f32 v[90:91], v[88:89], v[86:87] op_sel:[1,1] op_sel_hi:[0,1]
	s_delay_alu instid0(VALU_DEP_1) | instskip(SKIP_1) | instid1(VALU_DEP_2)
	v_pk_fma_f32 v[92:93], v[88:89], v[86:87], v[90:91] op_sel_hi:[1,0,1]
	v_pk_fma_f32 v[86:87], v[88:89], v[86:87], v[90:91] neg_lo:[0,0,1] neg_hi:[0,0,1]
	v_mov_b32_e32 v87, v93
	s_delay_alu instid0(VALU_DEP_1)
	v_pk_add_f32 v[82:83], v[82:83], v[86:87]
	s_and_not1_b32 exec_lo, exec_lo, s1
	s_cbranch_execnz .LBB102_52
; %bb.53:
	s_or_b32 exec_lo, exec_lo, s1
.LBB102_54:
	s_delay_alu instid0(SALU_CYCLE_1) | instskip(SKIP_4) | instid1(VALU_DEP_1)
	s_or_b32 exec_lo, exec_lo, s41
	v_mov_b32_e32 v84, 0
	ds_load_b64 v[84:85], v84 offset:264
	s_wait_dscnt 0x0
	v_pk_mul_f32 v[86:87], v[82:83], v[84:85] op_sel:[1,1] op_sel_hi:[0,1]
	v_pk_fma_f32 v[88:89], v[82:83], v[84:85], v[86:87] op_sel_hi:[1,0,1]
	v_pk_fma_f32 v[82:83], v[82:83], v[84:85], v[86:87] neg_lo:[0,0,1] neg_hi:[0,0,1]
	s_delay_alu instid0(VALU_DEP_2)
	v_mov_b32_e32 v83, v89
	scratch_store_b64 off, v[82:83], off offset:264
.LBB102_55:
	s_wait_xcnt 0x0
	s_or_b32 exec_lo, exec_lo, s40
	scratch_load_b64 v[82:83], off, off offset:256
	v_cmp_lt_u32_e64 s1, 32, v0
	s_wait_loadcnt 0x0
	ds_store_b64 v1, v[82:83]
	s_wait_storecnt_dscnt 0x0
	s_barrier_signal -1
	s_barrier_wait -1
	s_wait_xcnt 0x0
	s_and_saveexec_b32 s39, s1
	s_cbranch_execz .LBB102_65
; %bb.56:
	s_and_not1_b32 vcc_lo, exec_lo, s5
	s_cbranch_vccnz .LBB102_58
; %bb.57:
	scratch_load_b64 v[82:83], v59, off
	ds_load_b64 v[84:85], v1
	s_wait_loadcnt_dscnt 0x0
	v_pk_mul_f32 v[86:87], v[84:85], v[82:83] op_sel:[1,1] op_sel_hi:[0,1]
	s_delay_alu instid0(VALU_DEP_1) | instskip(SKIP_1) | instid1(VALU_DEP_2)
	v_pk_fma_f32 v[88:89], v[84:85], v[82:83], v[86:87] op_sel_hi:[1,0,1]
	v_pk_fma_f32 v[82:83], v[84:85], v[82:83], v[86:87] neg_lo:[0,0,1] neg_hi:[0,0,1]
	v_mov_b32_e32 v83, v89
	s_cbranch_execz .LBB102_59
	s_branch .LBB102_60
.LBB102_58:
                                        ; implicit-def: $vgpr82_vgpr83
.LBB102_59:
	ds_load_b64 v[82:83], v1
.LBB102_60:
	s_and_saveexec_b32 s40, s0
	s_cbranch_execz .LBB102_64
; %bb.61:
	v_subrev_nc_u32_e32 v84, 33, v0
	s_movk_i32 s41, 0x248
	s_mov_b32 s0, 0
.LBB102_62:                             ; =>This Inner Loop Header: Depth=1
	scratch_load_b64 v[86:87], off, s38
	v_dual_mov_b32 v85, s41 :: v_dual_add_nc_u32 v84, -1, v84
	s_add_co_i32 s41, s41, 8
	s_wait_xcnt 0x0
	s_add_co_i32 s38, s38, 8
	ds_load_b64 v[88:89], v85
	v_cmp_eq_u32_e32 vcc_lo, 0, v84
	s_or_b32 s0, vcc_lo, s0
	s_wait_loadcnt_dscnt 0x0
	v_pk_mul_f32 v[90:91], v[88:89], v[86:87] op_sel:[1,1] op_sel_hi:[0,1]
	s_delay_alu instid0(VALU_DEP_1) | instskip(SKIP_1) | instid1(VALU_DEP_2)
	v_pk_fma_f32 v[92:93], v[88:89], v[86:87], v[90:91] op_sel_hi:[1,0,1]
	v_pk_fma_f32 v[86:87], v[88:89], v[86:87], v[90:91] neg_lo:[0,0,1] neg_hi:[0,0,1]
	v_mov_b32_e32 v87, v93
	s_delay_alu instid0(VALU_DEP_1)
	v_pk_add_f32 v[82:83], v[82:83], v[86:87]
	s_and_not1_b32 exec_lo, exec_lo, s0
	s_cbranch_execnz .LBB102_62
; %bb.63:
	s_or_b32 exec_lo, exec_lo, s0
.LBB102_64:
	s_delay_alu instid0(SALU_CYCLE_1) | instskip(SKIP_4) | instid1(VALU_DEP_1)
	s_or_b32 exec_lo, exec_lo, s40
	v_mov_b32_e32 v84, 0
	ds_load_b64 v[84:85], v84 offset:256
	s_wait_dscnt 0x0
	v_pk_mul_f32 v[86:87], v[82:83], v[84:85] op_sel:[1,1] op_sel_hi:[0,1]
	v_pk_fma_f32 v[88:89], v[82:83], v[84:85], v[86:87] op_sel_hi:[1,0,1]
	v_pk_fma_f32 v[82:83], v[82:83], v[84:85], v[86:87] neg_lo:[0,0,1] neg_hi:[0,0,1]
	s_delay_alu instid0(VALU_DEP_2)
	v_mov_b32_e32 v83, v89
	scratch_store_b64 off, v[82:83], off offset:256
.LBB102_65:
	s_wait_xcnt 0x0
	s_or_b32 exec_lo, exec_lo, s39
	scratch_load_b64 v[82:83], off, off offset:248
	v_cmp_lt_u32_e64 s0, 31, v0
	s_wait_loadcnt 0x0
	ds_store_b64 v1, v[82:83]
	s_wait_storecnt_dscnt 0x0
	s_barrier_signal -1
	s_barrier_wait -1
	s_wait_xcnt 0x0
	s_and_saveexec_b32 s38, s0
	s_cbranch_execz .LBB102_75
; %bb.66:
	s_and_not1_b32 vcc_lo, exec_lo, s5
	s_cbranch_vccnz .LBB102_68
; %bb.67:
	scratch_load_b64 v[82:83], v59, off
	ds_load_b64 v[84:85], v1
	s_wait_loadcnt_dscnt 0x0
	v_pk_mul_f32 v[86:87], v[84:85], v[82:83] op_sel:[1,1] op_sel_hi:[0,1]
	s_delay_alu instid0(VALU_DEP_1) | instskip(SKIP_1) | instid1(VALU_DEP_2)
	v_pk_fma_f32 v[88:89], v[84:85], v[82:83], v[86:87] op_sel_hi:[1,0,1]
	v_pk_fma_f32 v[82:83], v[84:85], v[82:83], v[86:87] neg_lo:[0,0,1] neg_hi:[0,0,1]
	v_mov_b32_e32 v83, v89
	s_cbranch_execz .LBB102_69
	s_branch .LBB102_70
.LBB102_68:
                                        ; implicit-def: $vgpr82_vgpr83
.LBB102_69:
	ds_load_b64 v[82:83], v1
.LBB102_70:
	s_and_saveexec_b32 s39, s1
	s_cbranch_execz .LBB102_74
; %bb.71:
	v_subrev_nc_u32_e32 v84, 32, v0
	s_movk_i32 s40, 0x240
	s_mov_b32 s1, 0
.LBB102_72:                             ; =>This Inner Loop Header: Depth=1
	scratch_load_b64 v[86:87], off, s37
	v_dual_mov_b32 v85, s40 :: v_dual_add_nc_u32 v84, -1, v84
	s_add_co_i32 s40, s40, 8
	s_wait_xcnt 0x0
	s_add_co_i32 s37, s37, 8
	ds_load_b64 v[88:89], v85
	v_cmp_eq_u32_e32 vcc_lo, 0, v84
	s_or_b32 s1, vcc_lo, s1
	s_wait_loadcnt_dscnt 0x0
	v_pk_mul_f32 v[90:91], v[88:89], v[86:87] op_sel:[1,1] op_sel_hi:[0,1]
	s_delay_alu instid0(VALU_DEP_1) | instskip(SKIP_1) | instid1(VALU_DEP_2)
	v_pk_fma_f32 v[92:93], v[88:89], v[86:87], v[90:91] op_sel_hi:[1,0,1]
	v_pk_fma_f32 v[86:87], v[88:89], v[86:87], v[90:91] neg_lo:[0,0,1] neg_hi:[0,0,1]
	v_mov_b32_e32 v87, v93
	s_delay_alu instid0(VALU_DEP_1)
	v_pk_add_f32 v[82:83], v[82:83], v[86:87]
	s_and_not1_b32 exec_lo, exec_lo, s1
	s_cbranch_execnz .LBB102_72
; %bb.73:
	s_or_b32 exec_lo, exec_lo, s1
.LBB102_74:
	s_delay_alu instid0(SALU_CYCLE_1) | instskip(SKIP_4) | instid1(VALU_DEP_1)
	s_or_b32 exec_lo, exec_lo, s39
	v_mov_b32_e32 v84, 0
	ds_load_b64 v[84:85], v84 offset:248
	s_wait_dscnt 0x0
	v_pk_mul_f32 v[86:87], v[82:83], v[84:85] op_sel:[1,1] op_sel_hi:[0,1]
	v_pk_fma_f32 v[88:89], v[82:83], v[84:85], v[86:87] op_sel_hi:[1,0,1]
	v_pk_fma_f32 v[82:83], v[82:83], v[84:85], v[86:87] neg_lo:[0,0,1] neg_hi:[0,0,1]
	s_delay_alu instid0(VALU_DEP_2)
	v_mov_b32_e32 v83, v89
	scratch_store_b64 off, v[82:83], off offset:248
.LBB102_75:
	s_wait_xcnt 0x0
	s_or_b32 exec_lo, exec_lo, s38
	scratch_load_b64 v[82:83], off, off offset:240
	v_cmp_lt_u32_e64 s1, 30, v0
	s_wait_loadcnt 0x0
	ds_store_b64 v1, v[82:83]
	s_wait_storecnt_dscnt 0x0
	s_barrier_signal -1
	s_barrier_wait -1
	s_wait_xcnt 0x0
	s_and_saveexec_b32 s37, s1
	s_cbranch_execz .LBB102_85
; %bb.76:
	s_and_not1_b32 vcc_lo, exec_lo, s5
	s_cbranch_vccnz .LBB102_78
; %bb.77:
	scratch_load_b64 v[82:83], v59, off
	ds_load_b64 v[84:85], v1
	s_wait_loadcnt_dscnt 0x0
	v_pk_mul_f32 v[86:87], v[84:85], v[82:83] op_sel:[1,1] op_sel_hi:[0,1]
	s_delay_alu instid0(VALU_DEP_1) | instskip(SKIP_1) | instid1(VALU_DEP_2)
	v_pk_fma_f32 v[88:89], v[84:85], v[82:83], v[86:87] op_sel_hi:[1,0,1]
	v_pk_fma_f32 v[82:83], v[84:85], v[82:83], v[86:87] neg_lo:[0,0,1] neg_hi:[0,0,1]
	v_mov_b32_e32 v83, v89
	s_cbranch_execz .LBB102_79
	s_branch .LBB102_80
.LBB102_78:
                                        ; implicit-def: $vgpr82_vgpr83
.LBB102_79:
	ds_load_b64 v[82:83], v1
.LBB102_80:
	s_and_saveexec_b32 s38, s0
	s_cbranch_execz .LBB102_84
; %bb.81:
	v_subrev_nc_u32_e32 v84, 31, v0
	s_movk_i32 s39, 0x238
	s_mov_b32 s0, 0
.LBB102_82:                             ; =>This Inner Loop Header: Depth=1
	scratch_load_b64 v[86:87], off, s36
	v_dual_mov_b32 v85, s39 :: v_dual_add_nc_u32 v84, -1, v84
	s_add_co_i32 s39, s39, 8
	s_wait_xcnt 0x0
	s_add_co_i32 s36, s36, 8
	ds_load_b64 v[88:89], v85
	v_cmp_eq_u32_e32 vcc_lo, 0, v84
	s_or_b32 s0, vcc_lo, s0
	s_wait_loadcnt_dscnt 0x0
	v_pk_mul_f32 v[90:91], v[88:89], v[86:87] op_sel:[1,1] op_sel_hi:[0,1]
	s_delay_alu instid0(VALU_DEP_1) | instskip(SKIP_1) | instid1(VALU_DEP_2)
	v_pk_fma_f32 v[92:93], v[88:89], v[86:87], v[90:91] op_sel_hi:[1,0,1]
	v_pk_fma_f32 v[86:87], v[88:89], v[86:87], v[90:91] neg_lo:[0,0,1] neg_hi:[0,0,1]
	v_mov_b32_e32 v87, v93
	s_delay_alu instid0(VALU_DEP_1)
	v_pk_add_f32 v[82:83], v[82:83], v[86:87]
	s_and_not1_b32 exec_lo, exec_lo, s0
	s_cbranch_execnz .LBB102_82
; %bb.83:
	s_or_b32 exec_lo, exec_lo, s0
.LBB102_84:
	s_delay_alu instid0(SALU_CYCLE_1) | instskip(SKIP_4) | instid1(VALU_DEP_1)
	s_or_b32 exec_lo, exec_lo, s38
	v_mov_b32_e32 v84, 0
	ds_load_b64 v[84:85], v84 offset:240
	s_wait_dscnt 0x0
	v_pk_mul_f32 v[86:87], v[82:83], v[84:85] op_sel:[1,1] op_sel_hi:[0,1]
	v_pk_fma_f32 v[88:89], v[82:83], v[84:85], v[86:87] op_sel_hi:[1,0,1]
	v_pk_fma_f32 v[82:83], v[82:83], v[84:85], v[86:87] neg_lo:[0,0,1] neg_hi:[0,0,1]
	s_delay_alu instid0(VALU_DEP_2)
	v_mov_b32_e32 v83, v89
	scratch_store_b64 off, v[82:83], off offset:240
.LBB102_85:
	s_wait_xcnt 0x0
	s_or_b32 exec_lo, exec_lo, s37
	scratch_load_b64 v[82:83], off, off offset:232
	v_cmp_lt_u32_e64 s0, 29, v0
	s_wait_loadcnt 0x0
	ds_store_b64 v1, v[82:83]
	s_wait_storecnt_dscnt 0x0
	s_barrier_signal -1
	s_barrier_wait -1
	s_wait_xcnt 0x0
	s_and_saveexec_b32 s36, s0
	s_cbranch_execz .LBB102_95
; %bb.86:
	s_and_not1_b32 vcc_lo, exec_lo, s5
	s_cbranch_vccnz .LBB102_88
; %bb.87:
	scratch_load_b64 v[82:83], v59, off
	ds_load_b64 v[84:85], v1
	s_wait_loadcnt_dscnt 0x0
	v_pk_mul_f32 v[86:87], v[84:85], v[82:83] op_sel:[1,1] op_sel_hi:[0,1]
	s_delay_alu instid0(VALU_DEP_1) | instskip(SKIP_1) | instid1(VALU_DEP_2)
	v_pk_fma_f32 v[88:89], v[84:85], v[82:83], v[86:87] op_sel_hi:[1,0,1]
	v_pk_fma_f32 v[82:83], v[84:85], v[82:83], v[86:87] neg_lo:[0,0,1] neg_hi:[0,0,1]
	v_mov_b32_e32 v83, v89
	s_cbranch_execz .LBB102_89
	s_branch .LBB102_90
.LBB102_88:
                                        ; implicit-def: $vgpr82_vgpr83
.LBB102_89:
	ds_load_b64 v[82:83], v1
.LBB102_90:
	s_and_saveexec_b32 s37, s1
	s_cbranch_execz .LBB102_94
; %bb.91:
	v_subrev_nc_u32_e32 v84, 30, v0
	s_movk_i32 s38, 0x230
	s_mov_b32 s1, 0
.LBB102_92:                             ; =>This Inner Loop Header: Depth=1
	scratch_load_b64 v[86:87], off, s35
	v_dual_mov_b32 v85, s38 :: v_dual_add_nc_u32 v84, -1, v84
	s_add_co_i32 s38, s38, 8
	s_wait_xcnt 0x0
	s_add_co_i32 s35, s35, 8
	ds_load_b64 v[88:89], v85
	v_cmp_eq_u32_e32 vcc_lo, 0, v84
	s_or_b32 s1, vcc_lo, s1
	s_wait_loadcnt_dscnt 0x0
	v_pk_mul_f32 v[90:91], v[88:89], v[86:87] op_sel:[1,1] op_sel_hi:[0,1]
	s_delay_alu instid0(VALU_DEP_1) | instskip(SKIP_1) | instid1(VALU_DEP_2)
	v_pk_fma_f32 v[92:93], v[88:89], v[86:87], v[90:91] op_sel_hi:[1,0,1]
	v_pk_fma_f32 v[86:87], v[88:89], v[86:87], v[90:91] neg_lo:[0,0,1] neg_hi:[0,0,1]
	v_mov_b32_e32 v87, v93
	s_delay_alu instid0(VALU_DEP_1)
	v_pk_add_f32 v[82:83], v[82:83], v[86:87]
	s_and_not1_b32 exec_lo, exec_lo, s1
	s_cbranch_execnz .LBB102_92
; %bb.93:
	s_or_b32 exec_lo, exec_lo, s1
.LBB102_94:
	s_delay_alu instid0(SALU_CYCLE_1) | instskip(SKIP_4) | instid1(VALU_DEP_1)
	s_or_b32 exec_lo, exec_lo, s37
	v_mov_b32_e32 v84, 0
	ds_load_b64 v[84:85], v84 offset:232
	s_wait_dscnt 0x0
	v_pk_mul_f32 v[86:87], v[82:83], v[84:85] op_sel:[1,1] op_sel_hi:[0,1]
	v_pk_fma_f32 v[88:89], v[82:83], v[84:85], v[86:87] op_sel_hi:[1,0,1]
	v_pk_fma_f32 v[82:83], v[82:83], v[84:85], v[86:87] neg_lo:[0,0,1] neg_hi:[0,0,1]
	s_delay_alu instid0(VALU_DEP_2)
	v_mov_b32_e32 v83, v89
	scratch_store_b64 off, v[82:83], off offset:232
.LBB102_95:
	s_wait_xcnt 0x0
	s_or_b32 exec_lo, exec_lo, s36
	scratch_load_b64 v[82:83], off, off offset:224
	v_cmp_lt_u32_e64 s1, 28, v0
	s_wait_loadcnt 0x0
	ds_store_b64 v1, v[82:83]
	s_wait_storecnt_dscnt 0x0
	s_barrier_signal -1
	s_barrier_wait -1
	s_wait_xcnt 0x0
	s_and_saveexec_b32 s35, s1
	s_cbranch_execz .LBB102_105
; %bb.96:
	s_and_not1_b32 vcc_lo, exec_lo, s5
	s_cbranch_vccnz .LBB102_98
; %bb.97:
	scratch_load_b64 v[82:83], v59, off
	ds_load_b64 v[84:85], v1
	s_wait_loadcnt_dscnt 0x0
	v_pk_mul_f32 v[86:87], v[84:85], v[82:83] op_sel:[1,1] op_sel_hi:[0,1]
	s_delay_alu instid0(VALU_DEP_1) | instskip(SKIP_1) | instid1(VALU_DEP_2)
	v_pk_fma_f32 v[88:89], v[84:85], v[82:83], v[86:87] op_sel_hi:[1,0,1]
	v_pk_fma_f32 v[82:83], v[84:85], v[82:83], v[86:87] neg_lo:[0,0,1] neg_hi:[0,0,1]
	v_mov_b32_e32 v83, v89
	s_cbranch_execz .LBB102_99
	s_branch .LBB102_100
.LBB102_98:
                                        ; implicit-def: $vgpr82_vgpr83
.LBB102_99:
	ds_load_b64 v[82:83], v1
.LBB102_100:
	s_and_saveexec_b32 s36, s0
	s_cbranch_execz .LBB102_104
; %bb.101:
	v_subrev_nc_u32_e32 v84, 29, v0
	s_movk_i32 s37, 0x228
	s_mov_b32 s0, 0
.LBB102_102:                            ; =>This Inner Loop Header: Depth=1
	scratch_load_b64 v[86:87], off, s34
	v_dual_mov_b32 v85, s37 :: v_dual_add_nc_u32 v84, -1, v84
	s_add_co_i32 s37, s37, 8
	s_wait_xcnt 0x0
	s_add_co_i32 s34, s34, 8
	ds_load_b64 v[88:89], v85
	v_cmp_eq_u32_e32 vcc_lo, 0, v84
	s_or_b32 s0, vcc_lo, s0
	s_wait_loadcnt_dscnt 0x0
	v_pk_mul_f32 v[90:91], v[88:89], v[86:87] op_sel:[1,1] op_sel_hi:[0,1]
	s_delay_alu instid0(VALU_DEP_1) | instskip(SKIP_1) | instid1(VALU_DEP_2)
	v_pk_fma_f32 v[92:93], v[88:89], v[86:87], v[90:91] op_sel_hi:[1,0,1]
	v_pk_fma_f32 v[86:87], v[88:89], v[86:87], v[90:91] neg_lo:[0,0,1] neg_hi:[0,0,1]
	v_mov_b32_e32 v87, v93
	s_delay_alu instid0(VALU_DEP_1)
	v_pk_add_f32 v[82:83], v[82:83], v[86:87]
	s_and_not1_b32 exec_lo, exec_lo, s0
	s_cbranch_execnz .LBB102_102
; %bb.103:
	s_or_b32 exec_lo, exec_lo, s0
.LBB102_104:
	s_delay_alu instid0(SALU_CYCLE_1) | instskip(SKIP_4) | instid1(VALU_DEP_1)
	s_or_b32 exec_lo, exec_lo, s36
	v_mov_b32_e32 v84, 0
	ds_load_b64 v[84:85], v84 offset:224
	s_wait_dscnt 0x0
	v_pk_mul_f32 v[86:87], v[82:83], v[84:85] op_sel:[1,1] op_sel_hi:[0,1]
	v_pk_fma_f32 v[88:89], v[82:83], v[84:85], v[86:87] op_sel_hi:[1,0,1]
	v_pk_fma_f32 v[82:83], v[82:83], v[84:85], v[86:87] neg_lo:[0,0,1] neg_hi:[0,0,1]
	s_delay_alu instid0(VALU_DEP_2)
	v_mov_b32_e32 v83, v89
	scratch_store_b64 off, v[82:83], off offset:224
.LBB102_105:
	s_wait_xcnt 0x0
	s_or_b32 exec_lo, exec_lo, s35
	scratch_load_b64 v[82:83], off, off offset:216
	v_cmp_lt_u32_e64 s0, 27, v0
	s_wait_loadcnt 0x0
	ds_store_b64 v1, v[82:83]
	s_wait_storecnt_dscnt 0x0
	s_barrier_signal -1
	s_barrier_wait -1
	s_wait_xcnt 0x0
	s_and_saveexec_b32 s34, s0
	s_cbranch_execz .LBB102_115
; %bb.106:
	s_and_not1_b32 vcc_lo, exec_lo, s5
	s_cbranch_vccnz .LBB102_108
; %bb.107:
	scratch_load_b64 v[82:83], v59, off
	ds_load_b64 v[84:85], v1
	s_wait_loadcnt_dscnt 0x0
	v_pk_mul_f32 v[86:87], v[84:85], v[82:83] op_sel:[1,1] op_sel_hi:[0,1]
	s_delay_alu instid0(VALU_DEP_1) | instskip(SKIP_1) | instid1(VALU_DEP_2)
	v_pk_fma_f32 v[88:89], v[84:85], v[82:83], v[86:87] op_sel_hi:[1,0,1]
	v_pk_fma_f32 v[82:83], v[84:85], v[82:83], v[86:87] neg_lo:[0,0,1] neg_hi:[0,0,1]
	v_mov_b32_e32 v83, v89
	s_cbranch_execz .LBB102_109
	s_branch .LBB102_110
.LBB102_108:
                                        ; implicit-def: $vgpr82_vgpr83
.LBB102_109:
	ds_load_b64 v[82:83], v1
.LBB102_110:
	s_and_saveexec_b32 s35, s1
	s_cbranch_execz .LBB102_114
; %bb.111:
	v_subrev_nc_u32_e32 v84, 28, v0
	s_movk_i32 s36, 0x220
	s_mov_b32 s1, 0
.LBB102_112:                            ; =>This Inner Loop Header: Depth=1
	scratch_load_b64 v[86:87], off, s33
	v_dual_mov_b32 v85, s36 :: v_dual_add_nc_u32 v84, -1, v84
	s_add_co_i32 s36, s36, 8
	s_wait_xcnt 0x0
	s_add_co_i32 s33, s33, 8
	ds_load_b64 v[88:89], v85
	v_cmp_eq_u32_e32 vcc_lo, 0, v84
	s_or_b32 s1, vcc_lo, s1
	s_wait_loadcnt_dscnt 0x0
	v_pk_mul_f32 v[90:91], v[88:89], v[86:87] op_sel:[1,1] op_sel_hi:[0,1]
	s_delay_alu instid0(VALU_DEP_1) | instskip(SKIP_1) | instid1(VALU_DEP_2)
	v_pk_fma_f32 v[92:93], v[88:89], v[86:87], v[90:91] op_sel_hi:[1,0,1]
	v_pk_fma_f32 v[86:87], v[88:89], v[86:87], v[90:91] neg_lo:[0,0,1] neg_hi:[0,0,1]
	v_mov_b32_e32 v87, v93
	s_delay_alu instid0(VALU_DEP_1)
	v_pk_add_f32 v[82:83], v[82:83], v[86:87]
	s_and_not1_b32 exec_lo, exec_lo, s1
	s_cbranch_execnz .LBB102_112
; %bb.113:
	s_or_b32 exec_lo, exec_lo, s1
.LBB102_114:
	s_delay_alu instid0(SALU_CYCLE_1) | instskip(SKIP_4) | instid1(VALU_DEP_1)
	s_or_b32 exec_lo, exec_lo, s35
	v_mov_b32_e32 v84, 0
	ds_load_b64 v[84:85], v84 offset:216
	s_wait_dscnt 0x0
	v_pk_mul_f32 v[86:87], v[82:83], v[84:85] op_sel:[1,1] op_sel_hi:[0,1]
	v_pk_fma_f32 v[88:89], v[82:83], v[84:85], v[86:87] op_sel_hi:[1,0,1]
	v_pk_fma_f32 v[82:83], v[82:83], v[84:85], v[86:87] neg_lo:[0,0,1] neg_hi:[0,0,1]
	s_delay_alu instid0(VALU_DEP_2)
	v_mov_b32_e32 v83, v89
	scratch_store_b64 off, v[82:83], off offset:216
.LBB102_115:
	s_wait_xcnt 0x0
	s_or_b32 exec_lo, exec_lo, s34
	scratch_load_b64 v[82:83], off, off offset:208
	v_cmp_lt_u32_e64 s1, 26, v0
	s_wait_loadcnt 0x0
	ds_store_b64 v1, v[82:83]
	s_wait_storecnt_dscnt 0x0
	s_barrier_signal -1
	s_barrier_wait -1
	s_wait_xcnt 0x0
	s_and_saveexec_b32 s33, s1
	s_cbranch_execz .LBB102_125
; %bb.116:
	s_and_not1_b32 vcc_lo, exec_lo, s5
	s_cbranch_vccnz .LBB102_118
; %bb.117:
	scratch_load_b64 v[82:83], v59, off
	ds_load_b64 v[84:85], v1
	s_wait_loadcnt_dscnt 0x0
	v_pk_mul_f32 v[86:87], v[84:85], v[82:83] op_sel:[1,1] op_sel_hi:[0,1]
	s_delay_alu instid0(VALU_DEP_1) | instskip(SKIP_1) | instid1(VALU_DEP_2)
	v_pk_fma_f32 v[88:89], v[84:85], v[82:83], v[86:87] op_sel_hi:[1,0,1]
	v_pk_fma_f32 v[82:83], v[84:85], v[82:83], v[86:87] neg_lo:[0,0,1] neg_hi:[0,0,1]
	v_mov_b32_e32 v83, v89
	s_cbranch_execz .LBB102_119
	s_branch .LBB102_120
.LBB102_118:
                                        ; implicit-def: $vgpr82_vgpr83
.LBB102_119:
	ds_load_b64 v[82:83], v1
.LBB102_120:
	s_and_saveexec_b32 s34, s0
	s_cbranch_execz .LBB102_124
; %bb.121:
	v_subrev_nc_u32_e32 v84, 27, v0
	s_movk_i32 s35, 0x218
	s_mov_b32 s0, 0
.LBB102_122:                            ; =>This Inner Loop Header: Depth=1
	scratch_load_b64 v[86:87], off, s31
	v_dual_mov_b32 v85, s35 :: v_dual_add_nc_u32 v84, -1, v84
	s_add_co_i32 s35, s35, 8
	s_wait_xcnt 0x0
	s_add_co_i32 s31, s31, 8
	ds_load_b64 v[88:89], v85
	v_cmp_eq_u32_e32 vcc_lo, 0, v84
	s_or_b32 s0, vcc_lo, s0
	s_wait_loadcnt_dscnt 0x0
	v_pk_mul_f32 v[90:91], v[88:89], v[86:87] op_sel:[1,1] op_sel_hi:[0,1]
	s_delay_alu instid0(VALU_DEP_1) | instskip(SKIP_1) | instid1(VALU_DEP_2)
	v_pk_fma_f32 v[92:93], v[88:89], v[86:87], v[90:91] op_sel_hi:[1,0,1]
	v_pk_fma_f32 v[86:87], v[88:89], v[86:87], v[90:91] neg_lo:[0,0,1] neg_hi:[0,0,1]
	v_mov_b32_e32 v87, v93
	s_delay_alu instid0(VALU_DEP_1)
	v_pk_add_f32 v[82:83], v[82:83], v[86:87]
	s_and_not1_b32 exec_lo, exec_lo, s0
	s_cbranch_execnz .LBB102_122
; %bb.123:
	s_or_b32 exec_lo, exec_lo, s0
.LBB102_124:
	s_delay_alu instid0(SALU_CYCLE_1) | instskip(SKIP_4) | instid1(VALU_DEP_1)
	s_or_b32 exec_lo, exec_lo, s34
	v_mov_b32_e32 v84, 0
	ds_load_b64 v[84:85], v84 offset:208
	s_wait_dscnt 0x0
	v_pk_mul_f32 v[86:87], v[82:83], v[84:85] op_sel:[1,1] op_sel_hi:[0,1]
	v_pk_fma_f32 v[88:89], v[82:83], v[84:85], v[86:87] op_sel_hi:[1,0,1]
	v_pk_fma_f32 v[82:83], v[82:83], v[84:85], v[86:87] neg_lo:[0,0,1] neg_hi:[0,0,1]
	s_delay_alu instid0(VALU_DEP_2)
	v_mov_b32_e32 v83, v89
	scratch_store_b64 off, v[82:83], off offset:208
.LBB102_125:
	s_wait_xcnt 0x0
	s_or_b32 exec_lo, exec_lo, s33
	scratch_load_b64 v[82:83], off, off offset:200
	v_cmp_lt_u32_e64 s0, 25, v0
	s_wait_loadcnt 0x0
	ds_store_b64 v1, v[82:83]
	s_wait_storecnt_dscnt 0x0
	s_barrier_signal -1
	s_barrier_wait -1
	s_wait_xcnt 0x0
	s_and_saveexec_b32 s31, s0
	s_cbranch_execz .LBB102_135
; %bb.126:
	s_and_not1_b32 vcc_lo, exec_lo, s5
	s_cbranch_vccnz .LBB102_128
; %bb.127:
	scratch_load_b64 v[82:83], v59, off
	ds_load_b64 v[84:85], v1
	s_wait_loadcnt_dscnt 0x0
	v_pk_mul_f32 v[86:87], v[84:85], v[82:83] op_sel:[1,1] op_sel_hi:[0,1]
	s_delay_alu instid0(VALU_DEP_1) | instskip(SKIP_1) | instid1(VALU_DEP_2)
	v_pk_fma_f32 v[88:89], v[84:85], v[82:83], v[86:87] op_sel_hi:[1,0,1]
	v_pk_fma_f32 v[82:83], v[84:85], v[82:83], v[86:87] neg_lo:[0,0,1] neg_hi:[0,0,1]
	v_mov_b32_e32 v83, v89
	s_cbranch_execz .LBB102_129
	s_branch .LBB102_130
.LBB102_128:
                                        ; implicit-def: $vgpr82_vgpr83
.LBB102_129:
	ds_load_b64 v[82:83], v1
.LBB102_130:
	s_and_saveexec_b32 s33, s1
	s_cbranch_execz .LBB102_134
; %bb.131:
	v_subrev_nc_u32_e32 v84, 26, v0
	s_movk_i32 s34, 0x210
	s_mov_b32 s1, 0
.LBB102_132:                            ; =>This Inner Loop Header: Depth=1
	scratch_load_b64 v[86:87], off, s30
	v_dual_mov_b32 v85, s34 :: v_dual_add_nc_u32 v84, -1, v84
	s_add_co_i32 s34, s34, 8
	s_wait_xcnt 0x0
	s_add_co_i32 s30, s30, 8
	ds_load_b64 v[88:89], v85
	v_cmp_eq_u32_e32 vcc_lo, 0, v84
	s_or_b32 s1, vcc_lo, s1
	s_wait_loadcnt_dscnt 0x0
	v_pk_mul_f32 v[90:91], v[88:89], v[86:87] op_sel:[1,1] op_sel_hi:[0,1]
	s_delay_alu instid0(VALU_DEP_1) | instskip(SKIP_1) | instid1(VALU_DEP_2)
	v_pk_fma_f32 v[92:93], v[88:89], v[86:87], v[90:91] op_sel_hi:[1,0,1]
	v_pk_fma_f32 v[86:87], v[88:89], v[86:87], v[90:91] neg_lo:[0,0,1] neg_hi:[0,0,1]
	v_mov_b32_e32 v87, v93
	s_delay_alu instid0(VALU_DEP_1)
	v_pk_add_f32 v[82:83], v[82:83], v[86:87]
	s_and_not1_b32 exec_lo, exec_lo, s1
	s_cbranch_execnz .LBB102_132
; %bb.133:
	s_or_b32 exec_lo, exec_lo, s1
.LBB102_134:
	s_delay_alu instid0(SALU_CYCLE_1) | instskip(SKIP_4) | instid1(VALU_DEP_1)
	s_or_b32 exec_lo, exec_lo, s33
	v_mov_b32_e32 v84, 0
	ds_load_b64 v[84:85], v84 offset:200
	s_wait_dscnt 0x0
	v_pk_mul_f32 v[86:87], v[82:83], v[84:85] op_sel:[1,1] op_sel_hi:[0,1]
	v_pk_fma_f32 v[88:89], v[82:83], v[84:85], v[86:87] op_sel_hi:[1,0,1]
	v_pk_fma_f32 v[82:83], v[82:83], v[84:85], v[86:87] neg_lo:[0,0,1] neg_hi:[0,0,1]
	s_delay_alu instid0(VALU_DEP_2)
	v_mov_b32_e32 v83, v89
	scratch_store_b64 off, v[82:83], off offset:200
.LBB102_135:
	s_wait_xcnt 0x0
	s_or_b32 exec_lo, exec_lo, s31
	scratch_load_b64 v[82:83], off, off offset:192
	v_cmp_lt_u32_e64 s1, 24, v0
	s_wait_loadcnt 0x0
	ds_store_b64 v1, v[82:83]
	s_wait_storecnt_dscnt 0x0
	s_barrier_signal -1
	s_barrier_wait -1
	s_wait_xcnt 0x0
	s_and_saveexec_b32 s30, s1
	s_cbranch_execz .LBB102_145
; %bb.136:
	s_and_not1_b32 vcc_lo, exec_lo, s5
	s_cbranch_vccnz .LBB102_138
; %bb.137:
	scratch_load_b64 v[82:83], v59, off
	ds_load_b64 v[84:85], v1
	s_wait_loadcnt_dscnt 0x0
	v_pk_mul_f32 v[86:87], v[84:85], v[82:83] op_sel:[1,1] op_sel_hi:[0,1]
	s_delay_alu instid0(VALU_DEP_1) | instskip(SKIP_1) | instid1(VALU_DEP_2)
	v_pk_fma_f32 v[88:89], v[84:85], v[82:83], v[86:87] op_sel_hi:[1,0,1]
	v_pk_fma_f32 v[82:83], v[84:85], v[82:83], v[86:87] neg_lo:[0,0,1] neg_hi:[0,0,1]
	v_mov_b32_e32 v83, v89
	s_cbranch_execz .LBB102_139
	s_branch .LBB102_140
.LBB102_138:
                                        ; implicit-def: $vgpr82_vgpr83
.LBB102_139:
	ds_load_b64 v[82:83], v1
.LBB102_140:
	s_and_saveexec_b32 s31, s0
	s_cbranch_execz .LBB102_144
; %bb.141:
	v_subrev_nc_u32_e32 v84, 25, v0
	s_movk_i32 s33, 0x208
	s_mov_b32 s0, 0
.LBB102_142:                            ; =>This Inner Loop Header: Depth=1
	scratch_load_b64 v[86:87], off, s29
	v_dual_mov_b32 v85, s33 :: v_dual_add_nc_u32 v84, -1, v84
	s_add_co_i32 s33, s33, 8
	s_wait_xcnt 0x0
	s_add_co_i32 s29, s29, 8
	ds_load_b64 v[88:89], v85
	v_cmp_eq_u32_e32 vcc_lo, 0, v84
	s_or_b32 s0, vcc_lo, s0
	s_wait_loadcnt_dscnt 0x0
	v_pk_mul_f32 v[90:91], v[88:89], v[86:87] op_sel:[1,1] op_sel_hi:[0,1]
	s_delay_alu instid0(VALU_DEP_1) | instskip(SKIP_1) | instid1(VALU_DEP_2)
	v_pk_fma_f32 v[92:93], v[88:89], v[86:87], v[90:91] op_sel_hi:[1,0,1]
	v_pk_fma_f32 v[86:87], v[88:89], v[86:87], v[90:91] neg_lo:[0,0,1] neg_hi:[0,0,1]
	v_mov_b32_e32 v87, v93
	s_delay_alu instid0(VALU_DEP_1)
	v_pk_add_f32 v[82:83], v[82:83], v[86:87]
	s_and_not1_b32 exec_lo, exec_lo, s0
	s_cbranch_execnz .LBB102_142
; %bb.143:
	s_or_b32 exec_lo, exec_lo, s0
.LBB102_144:
	s_delay_alu instid0(SALU_CYCLE_1) | instskip(SKIP_4) | instid1(VALU_DEP_1)
	s_or_b32 exec_lo, exec_lo, s31
	v_mov_b32_e32 v84, 0
	ds_load_b64 v[84:85], v84 offset:192
	s_wait_dscnt 0x0
	v_pk_mul_f32 v[86:87], v[82:83], v[84:85] op_sel:[1,1] op_sel_hi:[0,1]
	v_pk_fma_f32 v[88:89], v[82:83], v[84:85], v[86:87] op_sel_hi:[1,0,1]
	v_pk_fma_f32 v[82:83], v[82:83], v[84:85], v[86:87] neg_lo:[0,0,1] neg_hi:[0,0,1]
	s_delay_alu instid0(VALU_DEP_2)
	v_mov_b32_e32 v83, v89
	scratch_store_b64 off, v[82:83], off offset:192
.LBB102_145:
	s_wait_xcnt 0x0
	s_or_b32 exec_lo, exec_lo, s30
	scratch_load_b64 v[82:83], off, off offset:184
	v_cmp_lt_u32_e64 s0, 23, v0
	s_wait_loadcnt 0x0
	ds_store_b64 v1, v[82:83]
	s_wait_storecnt_dscnt 0x0
	s_barrier_signal -1
	s_barrier_wait -1
	s_wait_xcnt 0x0
	s_and_saveexec_b32 s29, s0
	s_cbranch_execz .LBB102_155
; %bb.146:
	s_and_not1_b32 vcc_lo, exec_lo, s5
	s_cbranch_vccnz .LBB102_148
; %bb.147:
	scratch_load_b64 v[82:83], v59, off
	ds_load_b64 v[84:85], v1
	s_wait_loadcnt_dscnt 0x0
	v_pk_mul_f32 v[86:87], v[84:85], v[82:83] op_sel:[1,1] op_sel_hi:[0,1]
	s_delay_alu instid0(VALU_DEP_1) | instskip(SKIP_1) | instid1(VALU_DEP_2)
	v_pk_fma_f32 v[88:89], v[84:85], v[82:83], v[86:87] op_sel_hi:[1,0,1]
	v_pk_fma_f32 v[82:83], v[84:85], v[82:83], v[86:87] neg_lo:[0,0,1] neg_hi:[0,0,1]
	v_mov_b32_e32 v83, v89
	s_cbranch_execz .LBB102_149
	s_branch .LBB102_150
.LBB102_148:
                                        ; implicit-def: $vgpr82_vgpr83
.LBB102_149:
	ds_load_b64 v[82:83], v1
.LBB102_150:
	s_and_saveexec_b32 s30, s1
	s_cbranch_execz .LBB102_154
; %bb.151:
	v_subrev_nc_u32_e32 v84, 24, v0
	s_movk_i32 s31, 0x200
	s_mov_b32 s1, 0
.LBB102_152:                            ; =>This Inner Loop Header: Depth=1
	scratch_load_b64 v[86:87], off, s28
	v_dual_mov_b32 v85, s31 :: v_dual_add_nc_u32 v84, -1, v84
	s_add_co_i32 s31, s31, 8
	s_wait_xcnt 0x0
	s_add_co_i32 s28, s28, 8
	ds_load_b64 v[88:89], v85
	v_cmp_eq_u32_e32 vcc_lo, 0, v84
	s_or_b32 s1, vcc_lo, s1
	s_wait_loadcnt_dscnt 0x0
	v_pk_mul_f32 v[90:91], v[88:89], v[86:87] op_sel:[1,1] op_sel_hi:[0,1]
	s_delay_alu instid0(VALU_DEP_1) | instskip(SKIP_1) | instid1(VALU_DEP_2)
	v_pk_fma_f32 v[92:93], v[88:89], v[86:87], v[90:91] op_sel_hi:[1,0,1]
	v_pk_fma_f32 v[86:87], v[88:89], v[86:87], v[90:91] neg_lo:[0,0,1] neg_hi:[0,0,1]
	v_mov_b32_e32 v87, v93
	s_delay_alu instid0(VALU_DEP_1)
	v_pk_add_f32 v[82:83], v[82:83], v[86:87]
	s_and_not1_b32 exec_lo, exec_lo, s1
	s_cbranch_execnz .LBB102_152
; %bb.153:
	s_or_b32 exec_lo, exec_lo, s1
.LBB102_154:
	s_delay_alu instid0(SALU_CYCLE_1) | instskip(SKIP_4) | instid1(VALU_DEP_1)
	s_or_b32 exec_lo, exec_lo, s30
	v_mov_b32_e32 v84, 0
	ds_load_b64 v[84:85], v84 offset:184
	s_wait_dscnt 0x0
	v_pk_mul_f32 v[86:87], v[82:83], v[84:85] op_sel:[1,1] op_sel_hi:[0,1]
	v_pk_fma_f32 v[88:89], v[82:83], v[84:85], v[86:87] op_sel_hi:[1,0,1]
	v_pk_fma_f32 v[82:83], v[82:83], v[84:85], v[86:87] neg_lo:[0,0,1] neg_hi:[0,0,1]
	s_delay_alu instid0(VALU_DEP_2)
	v_mov_b32_e32 v83, v89
	scratch_store_b64 off, v[82:83], off offset:184
.LBB102_155:
	s_wait_xcnt 0x0
	s_or_b32 exec_lo, exec_lo, s29
	scratch_load_b64 v[82:83], off, off offset:176
	v_cmp_lt_u32_e64 s1, 22, v0
	s_wait_loadcnt 0x0
	ds_store_b64 v1, v[82:83]
	s_wait_storecnt_dscnt 0x0
	s_barrier_signal -1
	s_barrier_wait -1
	s_wait_xcnt 0x0
	s_and_saveexec_b32 s28, s1
	s_cbranch_execz .LBB102_165
; %bb.156:
	s_and_not1_b32 vcc_lo, exec_lo, s5
	s_cbranch_vccnz .LBB102_158
; %bb.157:
	scratch_load_b64 v[82:83], v59, off
	ds_load_b64 v[84:85], v1
	s_wait_loadcnt_dscnt 0x0
	v_pk_mul_f32 v[86:87], v[84:85], v[82:83] op_sel:[1,1] op_sel_hi:[0,1]
	s_delay_alu instid0(VALU_DEP_1) | instskip(SKIP_1) | instid1(VALU_DEP_2)
	v_pk_fma_f32 v[88:89], v[84:85], v[82:83], v[86:87] op_sel_hi:[1,0,1]
	v_pk_fma_f32 v[82:83], v[84:85], v[82:83], v[86:87] neg_lo:[0,0,1] neg_hi:[0,0,1]
	v_mov_b32_e32 v83, v89
	s_cbranch_execz .LBB102_159
	s_branch .LBB102_160
.LBB102_158:
                                        ; implicit-def: $vgpr82_vgpr83
.LBB102_159:
	ds_load_b64 v[82:83], v1
.LBB102_160:
	s_and_saveexec_b32 s29, s0
	s_cbranch_execz .LBB102_164
; %bb.161:
	v_subrev_nc_u32_e32 v84, 23, v0
	s_movk_i32 s30, 0x1f8
	s_mov_b32 s0, 0
.LBB102_162:                            ; =>This Inner Loop Header: Depth=1
	scratch_load_b64 v[86:87], off, s27
	v_dual_mov_b32 v85, s30 :: v_dual_add_nc_u32 v84, -1, v84
	s_add_co_i32 s30, s30, 8
	s_wait_xcnt 0x0
	s_add_co_i32 s27, s27, 8
	ds_load_b64 v[88:89], v85
	v_cmp_eq_u32_e32 vcc_lo, 0, v84
	s_or_b32 s0, vcc_lo, s0
	s_wait_loadcnt_dscnt 0x0
	v_pk_mul_f32 v[90:91], v[88:89], v[86:87] op_sel:[1,1] op_sel_hi:[0,1]
	s_delay_alu instid0(VALU_DEP_1) | instskip(SKIP_1) | instid1(VALU_DEP_2)
	v_pk_fma_f32 v[92:93], v[88:89], v[86:87], v[90:91] op_sel_hi:[1,0,1]
	v_pk_fma_f32 v[86:87], v[88:89], v[86:87], v[90:91] neg_lo:[0,0,1] neg_hi:[0,0,1]
	v_mov_b32_e32 v87, v93
	s_delay_alu instid0(VALU_DEP_1)
	v_pk_add_f32 v[82:83], v[82:83], v[86:87]
	s_and_not1_b32 exec_lo, exec_lo, s0
	s_cbranch_execnz .LBB102_162
; %bb.163:
	s_or_b32 exec_lo, exec_lo, s0
.LBB102_164:
	s_delay_alu instid0(SALU_CYCLE_1) | instskip(SKIP_4) | instid1(VALU_DEP_1)
	s_or_b32 exec_lo, exec_lo, s29
	v_mov_b32_e32 v84, 0
	ds_load_b64 v[84:85], v84 offset:176
	s_wait_dscnt 0x0
	v_pk_mul_f32 v[86:87], v[82:83], v[84:85] op_sel:[1,1] op_sel_hi:[0,1]
	v_pk_fma_f32 v[88:89], v[82:83], v[84:85], v[86:87] op_sel_hi:[1,0,1]
	v_pk_fma_f32 v[82:83], v[82:83], v[84:85], v[86:87] neg_lo:[0,0,1] neg_hi:[0,0,1]
	s_delay_alu instid0(VALU_DEP_2)
	v_mov_b32_e32 v83, v89
	scratch_store_b64 off, v[82:83], off offset:176
.LBB102_165:
	s_wait_xcnt 0x0
	s_or_b32 exec_lo, exec_lo, s28
	scratch_load_b64 v[82:83], off, off offset:168
	v_cmp_lt_u32_e64 s0, 21, v0
	s_wait_loadcnt 0x0
	ds_store_b64 v1, v[82:83]
	s_wait_storecnt_dscnt 0x0
	s_barrier_signal -1
	s_barrier_wait -1
	s_wait_xcnt 0x0
	s_and_saveexec_b32 s27, s0
	s_cbranch_execz .LBB102_175
; %bb.166:
	s_and_not1_b32 vcc_lo, exec_lo, s5
	s_cbranch_vccnz .LBB102_168
; %bb.167:
	scratch_load_b64 v[82:83], v59, off
	ds_load_b64 v[84:85], v1
	s_wait_loadcnt_dscnt 0x0
	v_pk_mul_f32 v[86:87], v[84:85], v[82:83] op_sel:[1,1] op_sel_hi:[0,1]
	s_delay_alu instid0(VALU_DEP_1) | instskip(SKIP_1) | instid1(VALU_DEP_2)
	v_pk_fma_f32 v[88:89], v[84:85], v[82:83], v[86:87] op_sel_hi:[1,0,1]
	v_pk_fma_f32 v[82:83], v[84:85], v[82:83], v[86:87] neg_lo:[0,0,1] neg_hi:[0,0,1]
	v_mov_b32_e32 v83, v89
	s_cbranch_execz .LBB102_169
	s_branch .LBB102_170
.LBB102_168:
                                        ; implicit-def: $vgpr82_vgpr83
.LBB102_169:
	ds_load_b64 v[82:83], v1
.LBB102_170:
	s_and_saveexec_b32 s28, s1
	s_cbranch_execz .LBB102_174
; %bb.171:
	v_subrev_nc_u32_e32 v84, 22, v0
	s_movk_i32 s29, 0x1f0
	s_mov_b32 s1, 0
.LBB102_172:                            ; =>This Inner Loop Header: Depth=1
	scratch_load_b64 v[86:87], off, s26
	v_dual_mov_b32 v85, s29 :: v_dual_add_nc_u32 v84, -1, v84
	s_add_co_i32 s29, s29, 8
	s_wait_xcnt 0x0
	s_add_co_i32 s26, s26, 8
	ds_load_b64 v[88:89], v85
	v_cmp_eq_u32_e32 vcc_lo, 0, v84
	s_or_b32 s1, vcc_lo, s1
	s_wait_loadcnt_dscnt 0x0
	v_pk_mul_f32 v[90:91], v[88:89], v[86:87] op_sel:[1,1] op_sel_hi:[0,1]
	s_delay_alu instid0(VALU_DEP_1) | instskip(SKIP_1) | instid1(VALU_DEP_2)
	v_pk_fma_f32 v[92:93], v[88:89], v[86:87], v[90:91] op_sel_hi:[1,0,1]
	v_pk_fma_f32 v[86:87], v[88:89], v[86:87], v[90:91] neg_lo:[0,0,1] neg_hi:[0,0,1]
	v_mov_b32_e32 v87, v93
	s_delay_alu instid0(VALU_DEP_1)
	v_pk_add_f32 v[82:83], v[82:83], v[86:87]
	s_and_not1_b32 exec_lo, exec_lo, s1
	s_cbranch_execnz .LBB102_172
; %bb.173:
	s_or_b32 exec_lo, exec_lo, s1
.LBB102_174:
	s_delay_alu instid0(SALU_CYCLE_1) | instskip(SKIP_4) | instid1(VALU_DEP_1)
	s_or_b32 exec_lo, exec_lo, s28
	v_mov_b32_e32 v84, 0
	ds_load_b64 v[84:85], v84 offset:168
	s_wait_dscnt 0x0
	v_pk_mul_f32 v[86:87], v[82:83], v[84:85] op_sel:[1,1] op_sel_hi:[0,1]
	v_pk_fma_f32 v[88:89], v[82:83], v[84:85], v[86:87] op_sel_hi:[1,0,1]
	v_pk_fma_f32 v[82:83], v[82:83], v[84:85], v[86:87] neg_lo:[0,0,1] neg_hi:[0,0,1]
	s_delay_alu instid0(VALU_DEP_2)
	v_mov_b32_e32 v83, v89
	scratch_store_b64 off, v[82:83], off offset:168
.LBB102_175:
	s_wait_xcnt 0x0
	s_or_b32 exec_lo, exec_lo, s27
	scratch_load_b64 v[82:83], off, off offset:160
	v_cmp_lt_u32_e64 s1, 20, v0
	s_wait_loadcnt 0x0
	ds_store_b64 v1, v[82:83]
	s_wait_storecnt_dscnt 0x0
	s_barrier_signal -1
	s_barrier_wait -1
	s_wait_xcnt 0x0
	s_and_saveexec_b32 s26, s1
	s_cbranch_execz .LBB102_185
; %bb.176:
	s_and_not1_b32 vcc_lo, exec_lo, s5
	s_cbranch_vccnz .LBB102_178
; %bb.177:
	scratch_load_b64 v[82:83], v59, off
	ds_load_b64 v[84:85], v1
	s_wait_loadcnt_dscnt 0x0
	v_pk_mul_f32 v[86:87], v[84:85], v[82:83] op_sel:[1,1] op_sel_hi:[0,1]
	s_delay_alu instid0(VALU_DEP_1) | instskip(SKIP_1) | instid1(VALU_DEP_2)
	v_pk_fma_f32 v[88:89], v[84:85], v[82:83], v[86:87] op_sel_hi:[1,0,1]
	v_pk_fma_f32 v[82:83], v[84:85], v[82:83], v[86:87] neg_lo:[0,0,1] neg_hi:[0,0,1]
	v_mov_b32_e32 v83, v89
	s_cbranch_execz .LBB102_179
	s_branch .LBB102_180
.LBB102_178:
                                        ; implicit-def: $vgpr82_vgpr83
.LBB102_179:
	ds_load_b64 v[82:83], v1
.LBB102_180:
	s_and_saveexec_b32 s27, s0
	s_cbranch_execz .LBB102_184
; %bb.181:
	v_subrev_nc_u32_e32 v84, 21, v0
	s_movk_i32 s28, 0x1e8
	s_mov_b32 s0, 0
.LBB102_182:                            ; =>This Inner Loop Header: Depth=1
	scratch_load_b64 v[86:87], off, s25
	v_dual_mov_b32 v85, s28 :: v_dual_add_nc_u32 v84, -1, v84
	s_add_co_i32 s28, s28, 8
	s_wait_xcnt 0x0
	s_add_co_i32 s25, s25, 8
	ds_load_b64 v[88:89], v85
	v_cmp_eq_u32_e32 vcc_lo, 0, v84
	s_or_b32 s0, vcc_lo, s0
	s_wait_loadcnt_dscnt 0x0
	v_pk_mul_f32 v[90:91], v[88:89], v[86:87] op_sel:[1,1] op_sel_hi:[0,1]
	s_delay_alu instid0(VALU_DEP_1) | instskip(SKIP_1) | instid1(VALU_DEP_2)
	v_pk_fma_f32 v[92:93], v[88:89], v[86:87], v[90:91] op_sel_hi:[1,0,1]
	v_pk_fma_f32 v[86:87], v[88:89], v[86:87], v[90:91] neg_lo:[0,0,1] neg_hi:[0,0,1]
	v_mov_b32_e32 v87, v93
	s_delay_alu instid0(VALU_DEP_1)
	v_pk_add_f32 v[82:83], v[82:83], v[86:87]
	s_and_not1_b32 exec_lo, exec_lo, s0
	s_cbranch_execnz .LBB102_182
; %bb.183:
	s_or_b32 exec_lo, exec_lo, s0
.LBB102_184:
	s_delay_alu instid0(SALU_CYCLE_1) | instskip(SKIP_4) | instid1(VALU_DEP_1)
	s_or_b32 exec_lo, exec_lo, s27
	v_mov_b32_e32 v84, 0
	ds_load_b64 v[84:85], v84 offset:160
	s_wait_dscnt 0x0
	v_pk_mul_f32 v[86:87], v[82:83], v[84:85] op_sel:[1,1] op_sel_hi:[0,1]
	v_pk_fma_f32 v[88:89], v[82:83], v[84:85], v[86:87] op_sel_hi:[1,0,1]
	v_pk_fma_f32 v[82:83], v[82:83], v[84:85], v[86:87] neg_lo:[0,0,1] neg_hi:[0,0,1]
	s_delay_alu instid0(VALU_DEP_2)
	v_mov_b32_e32 v83, v89
	scratch_store_b64 off, v[82:83], off offset:160
.LBB102_185:
	s_wait_xcnt 0x0
	s_or_b32 exec_lo, exec_lo, s26
	scratch_load_b64 v[82:83], off, off offset:152
	v_cmp_lt_u32_e64 s0, 19, v0
	s_wait_loadcnt 0x0
	ds_store_b64 v1, v[82:83]
	s_wait_storecnt_dscnt 0x0
	s_barrier_signal -1
	s_barrier_wait -1
	s_wait_xcnt 0x0
	s_and_saveexec_b32 s25, s0
	s_cbranch_execz .LBB102_195
; %bb.186:
	s_and_not1_b32 vcc_lo, exec_lo, s5
	s_cbranch_vccnz .LBB102_188
; %bb.187:
	scratch_load_b64 v[82:83], v59, off
	ds_load_b64 v[84:85], v1
	s_wait_loadcnt_dscnt 0x0
	v_pk_mul_f32 v[86:87], v[84:85], v[82:83] op_sel:[1,1] op_sel_hi:[0,1]
	s_delay_alu instid0(VALU_DEP_1) | instskip(SKIP_1) | instid1(VALU_DEP_2)
	v_pk_fma_f32 v[88:89], v[84:85], v[82:83], v[86:87] op_sel_hi:[1,0,1]
	v_pk_fma_f32 v[82:83], v[84:85], v[82:83], v[86:87] neg_lo:[0,0,1] neg_hi:[0,0,1]
	v_mov_b32_e32 v83, v89
	s_cbranch_execz .LBB102_189
	s_branch .LBB102_190
.LBB102_188:
                                        ; implicit-def: $vgpr82_vgpr83
.LBB102_189:
	ds_load_b64 v[82:83], v1
.LBB102_190:
	s_and_saveexec_b32 s26, s1
	s_cbranch_execz .LBB102_194
; %bb.191:
	v_subrev_nc_u32_e32 v84, 20, v0
	s_movk_i32 s27, 0x1e0
	s_mov_b32 s1, 0
.LBB102_192:                            ; =>This Inner Loop Header: Depth=1
	scratch_load_b64 v[86:87], off, s24
	v_dual_mov_b32 v85, s27 :: v_dual_add_nc_u32 v84, -1, v84
	s_add_co_i32 s27, s27, 8
	s_wait_xcnt 0x0
	s_add_co_i32 s24, s24, 8
	ds_load_b64 v[88:89], v85
	v_cmp_eq_u32_e32 vcc_lo, 0, v84
	s_or_b32 s1, vcc_lo, s1
	s_wait_loadcnt_dscnt 0x0
	v_pk_mul_f32 v[90:91], v[88:89], v[86:87] op_sel:[1,1] op_sel_hi:[0,1]
	s_delay_alu instid0(VALU_DEP_1) | instskip(SKIP_1) | instid1(VALU_DEP_2)
	v_pk_fma_f32 v[92:93], v[88:89], v[86:87], v[90:91] op_sel_hi:[1,0,1]
	v_pk_fma_f32 v[86:87], v[88:89], v[86:87], v[90:91] neg_lo:[0,0,1] neg_hi:[0,0,1]
	v_mov_b32_e32 v87, v93
	s_delay_alu instid0(VALU_DEP_1)
	v_pk_add_f32 v[82:83], v[82:83], v[86:87]
	s_and_not1_b32 exec_lo, exec_lo, s1
	s_cbranch_execnz .LBB102_192
; %bb.193:
	s_or_b32 exec_lo, exec_lo, s1
.LBB102_194:
	s_delay_alu instid0(SALU_CYCLE_1) | instskip(SKIP_4) | instid1(VALU_DEP_1)
	s_or_b32 exec_lo, exec_lo, s26
	v_mov_b32_e32 v84, 0
	ds_load_b64 v[84:85], v84 offset:152
	s_wait_dscnt 0x0
	v_pk_mul_f32 v[86:87], v[82:83], v[84:85] op_sel:[1,1] op_sel_hi:[0,1]
	v_pk_fma_f32 v[88:89], v[82:83], v[84:85], v[86:87] op_sel_hi:[1,0,1]
	v_pk_fma_f32 v[82:83], v[82:83], v[84:85], v[86:87] neg_lo:[0,0,1] neg_hi:[0,0,1]
	s_delay_alu instid0(VALU_DEP_2)
	v_mov_b32_e32 v83, v89
	scratch_store_b64 off, v[82:83], off offset:152
.LBB102_195:
	s_wait_xcnt 0x0
	s_or_b32 exec_lo, exec_lo, s25
	scratch_load_b64 v[82:83], off, off offset:144
	v_cmp_lt_u32_e64 s1, 18, v0
	s_wait_loadcnt 0x0
	ds_store_b64 v1, v[82:83]
	s_wait_storecnt_dscnt 0x0
	s_barrier_signal -1
	s_barrier_wait -1
	s_wait_xcnt 0x0
	s_and_saveexec_b32 s24, s1
	s_cbranch_execz .LBB102_205
; %bb.196:
	s_and_not1_b32 vcc_lo, exec_lo, s5
	s_cbranch_vccnz .LBB102_198
; %bb.197:
	scratch_load_b64 v[82:83], v59, off
	ds_load_b64 v[84:85], v1
	s_wait_loadcnt_dscnt 0x0
	v_pk_mul_f32 v[86:87], v[84:85], v[82:83] op_sel:[1,1] op_sel_hi:[0,1]
	s_delay_alu instid0(VALU_DEP_1) | instskip(SKIP_1) | instid1(VALU_DEP_2)
	v_pk_fma_f32 v[88:89], v[84:85], v[82:83], v[86:87] op_sel_hi:[1,0,1]
	v_pk_fma_f32 v[82:83], v[84:85], v[82:83], v[86:87] neg_lo:[0,0,1] neg_hi:[0,0,1]
	v_mov_b32_e32 v83, v89
	s_cbranch_execz .LBB102_199
	s_branch .LBB102_200
.LBB102_198:
                                        ; implicit-def: $vgpr82_vgpr83
.LBB102_199:
	ds_load_b64 v[82:83], v1
.LBB102_200:
	s_and_saveexec_b32 s25, s0
	s_cbranch_execz .LBB102_204
; %bb.201:
	v_subrev_nc_u32_e32 v84, 19, v0
	s_movk_i32 s26, 0x1d8
	s_mov_b32 s0, 0
.LBB102_202:                            ; =>This Inner Loop Header: Depth=1
	scratch_load_b64 v[86:87], off, s23
	v_dual_mov_b32 v85, s26 :: v_dual_add_nc_u32 v84, -1, v84
	s_add_co_i32 s26, s26, 8
	s_wait_xcnt 0x0
	s_add_co_i32 s23, s23, 8
	ds_load_b64 v[88:89], v85
	v_cmp_eq_u32_e32 vcc_lo, 0, v84
	s_or_b32 s0, vcc_lo, s0
	s_wait_loadcnt_dscnt 0x0
	v_pk_mul_f32 v[90:91], v[88:89], v[86:87] op_sel:[1,1] op_sel_hi:[0,1]
	s_delay_alu instid0(VALU_DEP_1) | instskip(SKIP_1) | instid1(VALU_DEP_2)
	v_pk_fma_f32 v[92:93], v[88:89], v[86:87], v[90:91] op_sel_hi:[1,0,1]
	v_pk_fma_f32 v[86:87], v[88:89], v[86:87], v[90:91] neg_lo:[0,0,1] neg_hi:[0,0,1]
	v_mov_b32_e32 v87, v93
	s_delay_alu instid0(VALU_DEP_1)
	v_pk_add_f32 v[82:83], v[82:83], v[86:87]
	s_and_not1_b32 exec_lo, exec_lo, s0
	s_cbranch_execnz .LBB102_202
; %bb.203:
	s_or_b32 exec_lo, exec_lo, s0
.LBB102_204:
	s_delay_alu instid0(SALU_CYCLE_1) | instskip(SKIP_4) | instid1(VALU_DEP_1)
	s_or_b32 exec_lo, exec_lo, s25
	v_mov_b32_e32 v84, 0
	ds_load_b64 v[84:85], v84 offset:144
	s_wait_dscnt 0x0
	v_pk_mul_f32 v[86:87], v[82:83], v[84:85] op_sel:[1,1] op_sel_hi:[0,1]
	v_pk_fma_f32 v[88:89], v[82:83], v[84:85], v[86:87] op_sel_hi:[1,0,1]
	v_pk_fma_f32 v[82:83], v[82:83], v[84:85], v[86:87] neg_lo:[0,0,1] neg_hi:[0,0,1]
	s_delay_alu instid0(VALU_DEP_2)
	v_mov_b32_e32 v83, v89
	scratch_store_b64 off, v[82:83], off offset:144
.LBB102_205:
	s_wait_xcnt 0x0
	s_or_b32 exec_lo, exec_lo, s24
	scratch_load_b64 v[82:83], off, off offset:136
	v_cmp_lt_u32_e64 s0, 17, v0
	s_wait_loadcnt 0x0
	ds_store_b64 v1, v[82:83]
	s_wait_storecnt_dscnt 0x0
	s_barrier_signal -1
	s_barrier_wait -1
	s_wait_xcnt 0x0
	s_and_saveexec_b32 s23, s0
	s_cbranch_execz .LBB102_215
; %bb.206:
	s_and_not1_b32 vcc_lo, exec_lo, s5
	s_cbranch_vccnz .LBB102_208
; %bb.207:
	scratch_load_b64 v[82:83], v59, off
	ds_load_b64 v[84:85], v1
	s_wait_loadcnt_dscnt 0x0
	v_pk_mul_f32 v[86:87], v[84:85], v[82:83] op_sel:[1,1] op_sel_hi:[0,1]
	s_delay_alu instid0(VALU_DEP_1) | instskip(SKIP_1) | instid1(VALU_DEP_2)
	v_pk_fma_f32 v[88:89], v[84:85], v[82:83], v[86:87] op_sel_hi:[1,0,1]
	v_pk_fma_f32 v[82:83], v[84:85], v[82:83], v[86:87] neg_lo:[0,0,1] neg_hi:[0,0,1]
	v_mov_b32_e32 v83, v89
	s_cbranch_execz .LBB102_209
	s_branch .LBB102_210
.LBB102_208:
                                        ; implicit-def: $vgpr82_vgpr83
.LBB102_209:
	ds_load_b64 v[82:83], v1
.LBB102_210:
	s_and_saveexec_b32 s24, s1
	s_cbranch_execz .LBB102_214
; %bb.211:
	v_subrev_nc_u32_e32 v84, 18, v0
	s_movk_i32 s25, 0x1d0
	s_mov_b32 s1, 0
.LBB102_212:                            ; =>This Inner Loop Header: Depth=1
	scratch_load_b64 v[86:87], off, s22
	v_dual_mov_b32 v85, s25 :: v_dual_add_nc_u32 v84, -1, v84
	s_add_co_i32 s25, s25, 8
	s_wait_xcnt 0x0
	s_add_co_i32 s22, s22, 8
	ds_load_b64 v[88:89], v85
	v_cmp_eq_u32_e32 vcc_lo, 0, v84
	s_or_b32 s1, vcc_lo, s1
	s_wait_loadcnt_dscnt 0x0
	v_pk_mul_f32 v[90:91], v[88:89], v[86:87] op_sel:[1,1] op_sel_hi:[0,1]
	s_delay_alu instid0(VALU_DEP_1) | instskip(SKIP_1) | instid1(VALU_DEP_2)
	v_pk_fma_f32 v[92:93], v[88:89], v[86:87], v[90:91] op_sel_hi:[1,0,1]
	v_pk_fma_f32 v[86:87], v[88:89], v[86:87], v[90:91] neg_lo:[0,0,1] neg_hi:[0,0,1]
	v_mov_b32_e32 v87, v93
	s_delay_alu instid0(VALU_DEP_1)
	v_pk_add_f32 v[82:83], v[82:83], v[86:87]
	s_and_not1_b32 exec_lo, exec_lo, s1
	s_cbranch_execnz .LBB102_212
; %bb.213:
	s_or_b32 exec_lo, exec_lo, s1
.LBB102_214:
	s_delay_alu instid0(SALU_CYCLE_1) | instskip(SKIP_4) | instid1(VALU_DEP_1)
	s_or_b32 exec_lo, exec_lo, s24
	v_mov_b32_e32 v84, 0
	ds_load_b64 v[84:85], v84 offset:136
	s_wait_dscnt 0x0
	v_pk_mul_f32 v[86:87], v[82:83], v[84:85] op_sel:[1,1] op_sel_hi:[0,1]
	v_pk_fma_f32 v[88:89], v[82:83], v[84:85], v[86:87] op_sel_hi:[1,0,1]
	v_pk_fma_f32 v[82:83], v[82:83], v[84:85], v[86:87] neg_lo:[0,0,1] neg_hi:[0,0,1]
	s_delay_alu instid0(VALU_DEP_2)
	v_mov_b32_e32 v83, v89
	scratch_store_b64 off, v[82:83], off offset:136
.LBB102_215:
	s_wait_xcnt 0x0
	s_or_b32 exec_lo, exec_lo, s23
	scratch_load_b64 v[82:83], off, off offset:128
	v_cmp_lt_u32_e64 s1, 16, v0
	s_wait_loadcnt 0x0
	ds_store_b64 v1, v[82:83]
	s_wait_storecnt_dscnt 0x0
	s_barrier_signal -1
	s_barrier_wait -1
	s_wait_xcnt 0x0
	s_and_saveexec_b32 s22, s1
	s_cbranch_execz .LBB102_225
; %bb.216:
	s_and_not1_b32 vcc_lo, exec_lo, s5
	s_cbranch_vccnz .LBB102_218
; %bb.217:
	scratch_load_b64 v[82:83], v59, off
	ds_load_b64 v[84:85], v1
	s_wait_loadcnt_dscnt 0x0
	v_pk_mul_f32 v[86:87], v[84:85], v[82:83] op_sel:[1,1] op_sel_hi:[0,1]
	s_delay_alu instid0(VALU_DEP_1) | instskip(SKIP_1) | instid1(VALU_DEP_2)
	v_pk_fma_f32 v[88:89], v[84:85], v[82:83], v[86:87] op_sel_hi:[1,0,1]
	v_pk_fma_f32 v[82:83], v[84:85], v[82:83], v[86:87] neg_lo:[0,0,1] neg_hi:[0,0,1]
	v_mov_b32_e32 v83, v89
	s_cbranch_execz .LBB102_219
	s_branch .LBB102_220
.LBB102_218:
                                        ; implicit-def: $vgpr82_vgpr83
.LBB102_219:
	ds_load_b64 v[82:83], v1
.LBB102_220:
	s_and_saveexec_b32 s23, s0
	s_cbranch_execz .LBB102_224
; %bb.221:
	v_subrev_nc_u32_e32 v84, 17, v0
	s_movk_i32 s24, 0x1c8
	s_mov_b32 s0, 0
.LBB102_222:                            ; =>This Inner Loop Header: Depth=1
	scratch_load_b64 v[86:87], off, s21
	v_dual_mov_b32 v85, s24 :: v_dual_add_nc_u32 v84, -1, v84
	s_add_co_i32 s24, s24, 8
	s_wait_xcnt 0x0
	s_add_co_i32 s21, s21, 8
	ds_load_b64 v[88:89], v85
	v_cmp_eq_u32_e32 vcc_lo, 0, v84
	s_or_b32 s0, vcc_lo, s0
	s_wait_loadcnt_dscnt 0x0
	v_pk_mul_f32 v[90:91], v[88:89], v[86:87] op_sel:[1,1] op_sel_hi:[0,1]
	s_delay_alu instid0(VALU_DEP_1) | instskip(SKIP_1) | instid1(VALU_DEP_2)
	v_pk_fma_f32 v[92:93], v[88:89], v[86:87], v[90:91] op_sel_hi:[1,0,1]
	v_pk_fma_f32 v[86:87], v[88:89], v[86:87], v[90:91] neg_lo:[0,0,1] neg_hi:[0,0,1]
	v_mov_b32_e32 v87, v93
	s_delay_alu instid0(VALU_DEP_1)
	v_pk_add_f32 v[82:83], v[82:83], v[86:87]
	s_and_not1_b32 exec_lo, exec_lo, s0
	s_cbranch_execnz .LBB102_222
; %bb.223:
	s_or_b32 exec_lo, exec_lo, s0
.LBB102_224:
	s_delay_alu instid0(SALU_CYCLE_1) | instskip(SKIP_4) | instid1(VALU_DEP_1)
	s_or_b32 exec_lo, exec_lo, s23
	v_mov_b32_e32 v84, 0
	ds_load_b64 v[84:85], v84 offset:128
	s_wait_dscnt 0x0
	v_pk_mul_f32 v[86:87], v[82:83], v[84:85] op_sel:[1,1] op_sel_hi:[0,1]
	v_pk_fma_f32 v[88:89], v[82:83], v[84:85], v[86:87] op_sel_hi:[1,0,1]
	v_pk_fma_f32 v[82:83], v[82:83], v[84:85], v[86:87] neg_lo:[0,0,1] neg_hi:[0,0,1]
	s_delay_alu instid0(VALU_DEP_2)
	v_mov_b32_e32 v83, v89
	scratch_store_b64 off, v[82:83], off offset:128
.LBB102_225:
	s_wait_xcnt 0x0
	s_or_b32 exec_lo, exec_lo, s22
	scratch_load_b64 v[82:83], off, off offset:120
	v_cmp_lt_u32_e64 s0, 15, v0
	s_wait_loadcnt 0x0
	ds_store_b64 v1, v[82:83]
	s_wait_storecnt_dscnt 0x0
	s_barrier_signal -1
	s_barrier_wait -1
	s_wait_xcnt 0x0
	s_and_saveexec_b32 s21, s0
	s_cbranch_execz .LBB102_235
; %bb.226:
	s_and_not1_b32 vcc_lo, exec_lo, s5
	s_cbranch_vccnz .LBB102_228
; %bb.227:
	scratch_load_b64 v[82:83], v59, off
	ds_load_b64 v[84:85], v1
	s_wait_loadcnt_dscnt 0x0
	v_pk_mul_f32 v[86:87], v[84:85], v[82:83] op_sel:[1,1] op_sel_hi:[0,1]
	s_delay_alu instid0(VALU_DEP_1) | instskip(SKIP_1) | instid1(VALU_DEP_2)
	v_pk_fma_f32 v[88:89], v[84:85], v[82:83], v[86:87] op_sel_hi:[1,0,1]
	v_pk_fma_f32 v[82:83], v[84:85], v[82:83], v[86:87] neg_lo:[0,0,1] neg_hi:[0,0,1]
	v_mov_b32_e32 v83, v89
	s_cbranch_execz .LBB102_229
	s_branch .LBB102_230
.LBB102_228:
                                        ; implicit-def: $vgpr82_vgpr83
.LBB102_229:
	ds_load_b64 v[82:83], v1
.LBB102_230:
	s_and_saveexec_b32 s22, s1
	s_cbranch_execz .LBB102_234
; %bb.231:
	v_add_nc_u32_e32 v84, -16, v0
	s_movk_i32 s23, 0x1c0
	s_mov_b32 s1, 0
.LBB102_232:                            ; =>This Inner Loop Header: Depth=1
	scratch_load_b64 v[86:87], off, s20
	v_dual_mov_b32 v85, s23 :: v_dual_add_nc_u32 v84, -1, v84
	s_add_co_i32 s23, s23, 8
	s_wait_xcnt 0x0
	s_add_co_i32 s20, s20, 8
	ds_load_b64 v[88:89], v85
	v_cmp_eq_u32_e32 vcc_lo, 0, v84
	s_or_b32 s1, vcc_lo, s1
	s_wait_loadcnt_dscnt 0x0
	v_pk_mul_f32 v[90:91], v[88:89], v[86:87] op_sel:[1,1] op_sel_hi:[0,1]
	s_delay_alu instid0(VALU_DEP_1) | instskip(SKIP_1) | instid1(VALU_DEP_2)
	v_pk_fma_f32 v[92:93], v[88:89], v[86:87], v[90:91] op_sel_hi:[1,0,1]
	v_pk_fma_f32 v[86:87], v[88:89], v[86:87], v[90:91] neg_lo:[0,0,1] neg_hi:[0,0,1]
	v_mov_b32_e32 v87, v93
	s_delay_alu instid0(VALU_DEP_1)
	v_pk_add_f32 v[82:83], v[82:83], v[86:87]
	s_and_not1_b32 exec_lo, exec_lo, s1
	s_cbranch_execnz .LBB102_232
; %bb.233:
	s_or_b32 exec_lo, exec_lo, s1
.LBB102_234:
	s_delay_alu instid0(SALU_CYCLE_1) | instskip(SKIP_4) | instid1(VALU_DEP_1)
	s_or_b32 exec_lo, exec_lo, s22
	v_mov_b32_e32 v84, 0
	ds_load_b64 v[84:85], v84 offset:120
	s_wait_dscnt 0x0
	v_pk_mul_f32 v[86:87], v[82:83], v[84:85] op_sel:[1,1] op_sel_hi:[0,1]
	v_pk_fma_f32 v[88:89], v[82:83], v[84:85], v[86:87] op_sel_hi:[1,0,1]
	v_pk_fma_f32 v[82:83], v[82:83], v[84:85], v[86:87] neg_lo:[0,0,1] neg_hi:[0,0,1]
	s_delay_alu instid0(VALU_DEP_2)
	v_mov_b32_e32 v83, v89
	scratch_store_b64 off, v[82:83], off offset:120
.LBB102_235:
	s_wait_xcnt 0x0
	s_or_b32 exec_lo, exec_lo, s21
	scratch_load_b64 v[82:83], off, off offset:112
	v_cmp_lt_u32_e64 s1, 14, v0
	s_wait_loadcnt 0x0
	ds_store_b64 v1, v[82:83]
	s_wait_storecnt_dscnt 0x0
	s_barrier_signal -1
	s_barrier_wait -1
	s_wait_xcnt 0x0
	s_and_saveexec_b32 s20, s1
	s_cbranch_execz .LBB102_245
; %bb.236:
	s_and_not1_b32 vcc_lo, exec_lo, s5
	s_cbranch_vccnz .LBB102_238
; %bb.237:
	scratch_load_b64 v[82:83], v59, off
	ds_load_b64 v[84:85], v1
	s_wait_loadcnt_dscnt 0x0
	v_pk_mul_f32 v[86:87], v[84:85], v[82:83] op_sel:[1,1] op_sel_hi:[0,1]
	s_delay_alu instid0(VALU_DEP_1) | instskip(SKIP_1) | instid1(VALU_DEP_2)
	v_pk_fma_f32 v[88:89], v[84:85], v[82:83], v[86:87] op_sel_hi:[1,0,1]
	v_pk_fma_f32 v[82:83], v[84:85], v[82:83], v[86:87] neg_lo:[0,0,1] neg_hi:[0,0,1]
	v_mov_b32_e32 v83, v89
	s_cbranch_execz .LBB102_239
	s_branch .LBB102_240
.LBB102_238:
                                        ; implicit-def: $vgpr82_vgpr83
.LBB102_239:
	ds_load_b64 v[82:83], v1
.LBB102_240:
	s_and_saveexec_b32 s21, s0
	s_cbranch_execz .LBB102_244
; %bb.241:
	v_add_nc_u32_e32 v84, -15, v0
	s_movk_i32 s22, 0x1b8
	s_mov_b32 s0, 0
.LBB102_242:                            ; =>This Inner Loop Header: Depth=1
	scratch_load_b64 v[86:87], off, s19
	v_dual_mov_b32 v85, s22 :: v_dual_add_nc_u32 v84, -1, v84
	s_add_co_i32 s22, s22, 8
	s_wait_xcnt 0x0
	s_add_co_i32 s19, s19, 8
	ds_load_b64 v[88:89], v85
	v_cmp_eq_u32_e32 vcc_lo, 0, v84
	s_or_b32 s0, vcc_lo, s0
	s_wait_loadcnt_dscnt 0x0
	v_pk_mul_f32 v[90:91], v[88:89], v[86:87] op_sel:[1,1] op_sel_hi:[0,1]
	s_delay_alu instid0(VALU_DEP_1) | instskip(SKIP_1) | instid1(VALU_DEP_2)
	v_pk_fma_f32 v[92:93], v[88:89], v[86:87], v[90:91] op_sel_hi:[1,0,1]
	v_pk_fma_f32 v[86:87], v[88:89], v[86:87], v[90:91] neg_lo:[0,0,1] neg_hi:[0,0,1]
	v_mov_b32_e32 v87, v93
	s_delay_alu instid0(VALU_DEP_1)
	v_pk_add_f32 v[82:83], v[82:83], v[86:87]
	s_and_not1_b32 exec_lo, exec_lo, s0
	s_cbranch_execnz .LBB102_242
; %bb.243:
	s_or_b32 exec_lo, exec_lo, s0
.LBB102_244:
	s_delay_alu instid0(SALU_CYCLE_1) | instskip(SKIP_4) | instid1(VALU_DEP_1)
	s_or_b32 exec_lo, exec_lo, s21
	v_mov_b32_e32 v84, 0
	ds_load_b64 v[84:85], v84 offset:112
	s_wait_dscnt 0x0
	v_pk_mul_f32 v[86:87], v[82:83], v[84:85] op_sel:[1,1] op_sel_hi:[0,1]
	v_pk_fma_f32 v[88:89], v[82:83], v[84:85], v[86:87] op_sel_hi:[1,0,1]
	v_pk_fma_f32 v[82:83], v[82:83], v[84:85], v[86:87] neg_lo:[0,0,1] neg_hi:[0,0,1]
	s_delay_alu instid0(VALU_DEP_2)
	v_mov_b32_e32 v83, v89
	scratch_store_b64 off, v[82:83], off offset:112
.LBB102_245:
	s_wait_xcnt 0x0
	s_or_b32 exec_lo, exec_lo, s20
	scratch_load_b64 v[82:83], off, off offset:104
	v_cmp_lt_u32_e64 s0, 13, v0
	s_wait_loadcnt 0x0
	ds_store_b64 v1, v[82:83]
	s_wait_storecnt_dscnt 0x0
	s_barrier_signal -1
	s_barrier_wait -1
	s_wait_xcnt 0x0
	s_and_saveexec_b32 s19, s0
	s_cbranch_execz .LBB102_255
; %bb.246:
	s_and_not1_b32 vcc_lo, exec_lo, s5
	s_cbranch_vccnz .LBB102_248
; %bb.247:
	scratch_load_b64 v[82:83], v59, off
	ds_load_b64 v[84:85], v1
	s_wait_loadcnt_dscnt 0x0
	v_pk_mul_f32 v[86:87], v[84:85], v[82:83] op_sel:[1,1] op_sel_hi:[0,1]
	s_delay_alu instid0(VALU_DEP_1) | instskip(SKIP_1) | instid1(VALU_DEP_2)
	v_pk_fma_f32 v[88:89], v[84:85], v[82:83], v[86:87] op_sel_hi:[1,0,1]
	v_pk_fma_f32 v[82:83], v[84:85], v[82:83], v[86:87] neg_lo:[0,0,1] neg_hi:[0,0,1]
	v_mov_b32_e32 v83, v89
	s_cbranch_execz .LBB102_249
	s_branch .LBB102_250
.LBB102_248:
                                        ; implicit-def: $vgpr82_vgpr83
.LBB102_249:
	ds_load_b64 v[82:83], v1
.LBB102_250:
	s_and_saveexec_b32 s20, s1
	s_cbranch_execz .LBB102_254
; %bb.251:
	v_add_nc_u32_e32 v84, -14, v0
	s_movk_i32 s21, 0x1b0
	s_mov_b32 s1, 0
.LBB102_252:                            ; =>This Inner Loop Header: Depth=1
	scratch_load_b64 v[86:87], off, s18
	v_dual_mov_b32 v85, s21 :: v_dual_add_nc_u32 v84, -1, v84
	s_add_co_i32 s21, s21, 8
	s_wait_xcnt 0x0
	s_add_co_i32 s18, s18, 8
	ds_load_b64 v[88:89], v85
	v_cmp_eq_u32_e32 vcc_lo, 0, v84
	s_or_b32 s1, vcc_lo, s1
	s_wait_loadcnt_dscnt 0x0
	v_pk_mul_f32 v[90:91], v[88:89], v[86:87] op_sel:[1,1] op_sel_hi:[0,1]
	s_delay_alu instid0(VALU_DEP_1) | instskip(SKIP_1) | instid1(VALU_DEP_2)
	v_pk_fma_f32 v[92:93], v[88:89], v[86:87], v[90:91] op_sel_hi:[1,0,1]
	v_pk_fma_f32 v[86:87], v[88:89], v[86:87], v[90:91] neg_lo:[0,0,1] neg_hi:[0,0,1]
	v_mov_b32_e32 v87, v93
	s_delay_alu instid0(VALU_DEP_1)
	v_pk_add_f32 v[82:83], v[82:83], v[86:87]
	s_and_not1_b32 exec_lo, exec_lo, s1
	s_cbranch_execnz .LBB102_252
; %bb.253:
	s_or_b32 exec_lo, exec_lo, s1
.LBB102_254:
	s_delay_alu instid0(SALU_CYCLE_1) | instskip(SKIP_4) | instid1(VALU_DEP_1)
	s_or_b32 exec_lo, exec_lo, s20
	v_mov_b32_e32 v84, 0
	ds_load_b64 v[84:85], v84 offset:104
	s_wait_dscnt 0x0
	v_pk_mul_f32 v[86:87], v[82:83], v[84:85] op_sel:[1,1] op_sel_hi:[0,1]
	v_pk_fma_f32 v[88:89], v[82:83], v[84:85], v[86:87] op_sel_hi:[1,0,1]
	v_pk_fma_f32 v[82:83], v[82:83], v[84:85], v[86:87] neg_lo:[0,0,1] neg_hi:[0,0,1]
	s_delay_alu instid0(VALU_DEP_2)
	v_mov_b32_e32 v83, v89
	scratch_store_b64 off, v[82:83], off offset:104
.LBB102_255:
	s_wait_xcnt 0x0
	s_or_b32 exec_lo, exec_lo, s19
	scratch_load_b64 v[82:83], off, off offset:96
	v_cmp_lt_u32_e64 s1, 12, v0
	s_wait_loadcnt 0x0
	ds_store_b64 v1, v[82:83]
	s_wait_storecnt_dscnt 0x0
	s_barrier_signal -1
	s_barrier_wait -1
	s_wait_xcnt 0x0
	s_and_saveexec_b32 s18, s1
	s_cbranch_execz .LBB102_265
; %bb.256:
	s_and_not1_b32 vcc_lo, exec_lo, s5
	s_cbranch_vccnz .LBB102_258
; %bb.257:
	scratch_load_b64 v[82:83], v59, off
	ds_load_b64 v[84:85], v1
	s_wait_loadcnt_dscnt 0x0
	v_pk_mul_f32 v[86:87], v[84:85], v[82:83] op_sel:[1,1] op_sel_hi:[0,1]
	s_delay_alu instid0(VALU_DEP_1) | instskip(SKIP_1) | instid1(VALU_DEP_2)
	v_pk_fma_f32 v[88:89], v[84:85], v[82:83], v[86:87] op_sel_hi:[1,0,1]
	v_pk_fma_f32 v[82:83], v[84:85], v[82:83], v[86:87] neg_lo:[0,0,1] neg_hi:[0,0,1]
	v_mov_b32_e32 v83, v89
	s_cbranch_execz .LBB102_259
	s_branch .LBB102_260
.LBB102_258:
                                        ; implicit-def: $vgpr82_vgpr83
.LBB102_259:
	ds_load_b64 v[82:83], v1
.LBB102_260:
	s_and_saveexec_b32 s19, s0
	s_cbranch_execz .LBB102_264
; %bb.261:
	v_add_nc_u32_e32 v84, -13, v0
	s_movk_i32 s20, 0x1a8
	s_mov_b32 s0, 0
.LBB102_262:                            ; =>This Inner Loop Header: Depth=1
	scratch_load_b64 v[86:87], off, s17
	v_dual_mov_b32 v85, s20 :: v_dual_add_nc_u32 v84, -1, v84
	s_add_co_i32 s20, s20, 8
	s_wait_xcnt 0x0
	s_add_co_i32 s17, s17, 8
	ds_load_b64 v[88:89], v85
	v_cmp_eq_u32_e32 vcc_lo, 0, v84
	s_or_b32 s0, vcc_lo, s0
	s_wait_loadcnt_dscnt 0x0
	v_pk_mul_f32 v[90:91], v[88:89], v[86:87] op_sel:[1,1] op_sel_hi:[0,1]
	s_delay_alu instid0(VALU_DEP_1) | instskip(SKIP_1) | instid1(VALU_DEP_2)
	v_pk_fma_f32 v[92:93], v[88:89], v[86:87], v[90:91] op_sel_hi:[1,0,1]
	v_pk_fma_f32 v[86:87], v[88:89], v[86:87], v[90:91] neg_lo:[0,0,1] neg_hi:[0,0,1]
	v_mov_b32_e32 v87, v93
	s_delay_alu instid0(VALU_DEP_1)
	v_pk_add_f32 v[82:83], v[82:83], v[86:87]
	s_and_not1_b32 exec_lo, exec_lo, s0
	s_cbranch_execnz .LBB102_262
; %bb.263:
	s_or_b32 exec_lo, exec_lo, s0
.LBB102_264:
	s_delay_alu instid0(SALU_CYCLE_1) | instskip(SKIP_4) | instid1(VALU_DEP_1)
	s_or_b32 exec_lo, exec_lo, s19
	v_mov_b32_e32 v84, 0
	ds_load_b64 v[84:85], v84 offset:96
	s_wait_dscnt 0x0
	v_pk_mul_f32 v[86:87], v[82:83], v[84:85] op_sel:[1,1] op_sel_hi:[0,1]
	v_pk_fma_f32 v[88:89], v[82:83], v[84:85], v[86:87] op_sel_hi:[1,0,1]
	v_pk_fma_f32 v[82:83], v[82:83], v[84:85], v[86:87] neg_lo:[0,0,1] neg_hi:[0,0,1]
	s_delay_alu instid0(VALU_DEP_2)
	v_mov_b32_e32 v83, v89
	scratch_store_b64 off, v[82:83], off offset:96
.LBB102_265:
	s_wait_xcnt 0x0
	s_or_b32 exec_lo, exec_lo, s18
	scratch_load_b64 v[82:83], off, off offset:88
	v_cmp_lt_u32_e64 s0, 11, v0
	s_wait_loadcnt 0x0
	ds_store_b64 v1, v[82:83]
	s_wait_storecnt_dscnt 0x0
	s_barrier_signal -1
	s_barrier_wait -1
	s_wait_xcnt 0x0
	s_and_saveexec_b32 s17, s0
	s_cbranch_execz .LBB102_275
; %bb.266:
	s_and_not1_b32 vcc_lo, exec_lo, s5
	s_cbranch_vccnz .LBB102_268
; %bb.267:
	scratch_load_b64 v[82:83], v59, off
	ds_load_b64 v[84:85], v1
	s_wait_loadcnt_dscnt 0x0
	v_pk_mul_f32 v[86:87], v[84:85], v[82:83] op_sel:[1,1] op_sel_hi:[0,1]
	s_delay_alu instid0(VALU_DEP_1) | instskip(SKIP_1) | instid1(VALU_DEP_2)
	v_pk_fma_f32 v[88:89], v[84:85], v[82:83], v[86:87] op_sel_hi:[1,0,1]
	v_pk_fma_f32 v[82:83], v[84:85], v[82:83], v[86:87] neg_lo:[0,0,1] neg_hi:[0,0,1]
	v_mov_b32_e32 v83, v89
	s_cbranch_execz .LBB102_269
	s_branch .LBB102_270
.LBB102_268:
                                        ; implicit-def: $vgpr82_vgpr83
.LBB102_269:
	ds_load_b64 v[82:83], v1
.LBB102_270:
	s_and_saveexec_b32 s18, s1
	s_cbranch_execz .LBB102_274
; %bb.271:
	v_add_nc_u32_e32 v84, -12, v0
	s_movk_i32 s19, 0x1a0
	s_mov_b32 s1, 0
.LBB102_272:                            ; =>This Inner Loop Header: Depth=1
	scratch_load_b64 v[86:87], off, s16
	v_dual_mov_b32 v85, s19 :: v_dual_add_nc_u32 v84, -1, v84
	s_add_co_i32 s19, s19, 8
	s_wait_xcnt 0x0
	s_add_co_i32 s16, s16, 8
	ds_load_b64 v[88:89], v85
	v_cmp_eq_u32_e32 vcc_lo, 0, v84
	s_or_b32 s1, vcc_lo, s1
	s_wait_loadcnt_dscnt 0x0
	v_pk_mul_f32 v[90:91], v[88:89], v[86:87] op_sel:[1,1] op_sel_hi:[0,1]
	s_delay_alu instid0(VALU_DEP_1) | instskip(SKIP_1) | instid1(VALU_DEP_2)
	v_pk_fma_f32 v[92:93], v[88:89], v[86:87], v[90:91] op_sel_hi:[1,0,1]
	v_pk_fma_f32 v[86:87], v[88:89], v[86:87], v[90:91] neg_lo:[0,0,1] neg_hi:[0,0,1]
	v_mov_b32_e32 v87, v93
	s_delay_alu instid0(VALU_DEP_1)
	v_pk_add_f32 v[82:83], v[82:83], v[86:87]
	s_and_not1_b32 exec_lo, exec_lo, s1
	s_cbranch_execnz .LBB102_272
; %bb.273:
	s_or_b32 exec_lo, exec_lo, s1
.LBB102_274:
	s_delay_alu instid0(SALU_CYCLE_1) | instskip(SKIP_4) | instid1(VALU_DEP_1)
	s_or_b32 exec_lo, exec_lo, s18
	v_mov_b32_e32 v84, 0
	ds_load_b64 v[84:85], v84 offset:88
	s_wait_dscnt 0x0
	v_pk_mul_f32 v[86:87], v[82:83], v[84:85] op_sel:[1,1] op_sel_hi:[0,1]
	v_pk_fma_f32 v[88:89], v[82:83], v[84:85], v[86:87] op_sel_hi:[1,0,1]
	v_pk_fma_f32 v[82:83], v[82:83], v[84:85], v[86:87] neg_lo:[0,0,1] neg_hi:[0,0,1]
	s_delay_alu instid0(VALU_DEP_2)
	v_mov_b32_e32 v83, v89
	scratch_store_b64 off, v[82:83], off offset:88
.LBB102_275:
	s_wait_xcnt 0x0
	s_or_b32 exec_lo, exec_lo, s17
	scratch_load_b64 v[82:83], off, off offset:80
	v_cmp_lt_u32_e64 s1, 10, v0
	s_wait_loadcnt 0x0
	ds_store_b64 v1, v[82:83]
	s_wait_storecnt_dscnt 0x0
	s_barrier_signal -1
	s_barrier_wait -1
	s_wait_xcnt 0x0
	s_and_saveexec_b32 s16, s1
	s_cbranch_execz .LBB102_285
; %bb.276:
	s_and_not1_b32 vcc_lo, exec_lo, s5
	s_cbranch_vccnz .LBB102_278
; %bb.277:
	scratch_load_b64 v[82:83], v59, off
	ds_load_b64 v[84:85], v1
	s_wait_loadcnt_dscnt 0x0
	v_pk_mul_f32 v[86:87], v[84:85], v[82:83] op_sel:[1,1] op_sel_hi:[0,1]
	s_delay_alu instid0(VALU_DEP_1) | instskip(SKIP_1) | instid1(VALU_DEP_2)
	v_pk_fma_f32 v[88:89], v[84:85], v[82:83], v[86:87] op_sel_hi:[1,0,1]
	v_pk_fma_f32 v[82:83], v[84:85], v[82:83], v[86:87] neg_lo:[0,0,1] neg_hi:[0,0,1]
	v_mov_b32_e32 v83, v89
	s_cbranch_execz .LBB102_279
	s_branch .LBB102_280
.LBB102_278:
                                        ; implicit-def: $vgpr82_vgpr83
.LBB102_279:
	ds_load_b64 v[82:83], v1
.LBB102_280:
	s_and_saveexec_b32 s17, s0
	s_cbranch_execz .LBB102_284
; %bb.281:
	v_add_nc_u32_e32 v84, -11, v0
	s_movk_i32 s18, 0x198
	s_mov_b32 s0, 0
.LBB102_282:                            ; =>This Inner Loop Header: Depth=1
	scratch_load_b64 v[86:87], off, s15
	v_dual_mov_b32 v85, s18 :: v_dual_add_nc_u32 v84, -1, v84
	s_add_co_i32 s18, s18, 8
	s_wait_xcnt 0x0
	s_add_co_i32 s15, s15, 8
	ds_load_b64 v[88:89], v85
	v_cmp_eq_u32_e32 vcc_lo, 0, v84
	s_or_b32 s0, vcc_lo, s0
	s_wait_loadcnt_dscnt 0x0
	v_pk_mul_f32 v[90:91], v[88:89], v[86:87] op_sel:[1,1] op_sel_hi:[0,1]
	s_delay_alu instid0(VALU_DEP_1) | instskip(SKIP_1) | instid1(VALU_DEP_2)
	v_pk_fma_f32 v[92:93], v[88:89], v[86:87], v[90:91] op_sel_hi:[1,0,1]
	v_pk_fma_f32 v[86:87], v[88:89], v[86:87], v[90:91] neg_lo:[0,0,1] neg_hi:[0,0,1]
	v_mov_b32_e32 v87, v93
	s_delay_alu instid0(VALU_DEP_1)
	v_pk_add_f32 v[82:83], v[82:83], v[86:87]
	s_and_not1_b32 exec_lo, exec_lo, s0
	s_cbranch_execnz .LBB102_282
; %bb.283:
	s_or_b32 exec_lo, exec_lo, s0
.LBB102_284:
	s_delay_alu instid0(SALU_CYCLE_1) | instskip(SKIP_4) | instid1(VALU_DEP_1)
	s_or_b32 exec_lo, exec_lo, s17
	v_mov_b32_e32 v84, 0
	ds_load_b64 v[84:85], v84 offset:80
	s_wait_dscnt 0x0
	v_pk_mul_f32 v[86:87], v[82:83], v[84:85] op_sel:[1,1] op_sel_hi:[0,1]
	v_pk_fma_f32 v[88:89], v[82:83], v[84:85], v[86:87] op_sel_hi:[1,0,1]
	v_pk_fma_f32 v[82:83], v[82:83], v[84:85], v[86:87] neg_lo:[0,0,1] neg_hi:[0,0,1]
	s_delay_alu instid0(VALU_DEP_2)
	v_mov_b32_e32 v83, v89
	scratch_store_b64 off, v[82:83], off offset:80
.LBB102_285:
	s_wait_xcnt 0x0
	s_or_b32 exec_lo, exec_lo, s16
	scratch_load_b64 v[82:83], off, off offset:72
	v_cmp_lt_u32_e64 s0, 9, v0
	s_wait_loadcnt 0x0
	ds_store_b64 v1, v[82:83]
	s_wait_storecnt_dscnt 0x0
	s_barrier_signal -1
	s_barrier_wait -1
	s_wait_xcnt 0x0
	s_and_saveexec_b32 s15, s0
	s_cbranch_execz .LBB102_295
; %bb.286:
	s_and_not1_b32 vcc_lo, exec_lo, s5
	s_cbranch_vccnz .LBB102_288
; %bb.287:
	scratch_load_b64 v[82:83], v59, off
	ds_load_b64 v[84:85], v1
	s_wait_loadcnt_dscnt 0x0
	v_pk_mul_f32 v[86:87], v[84:85], v[82:83] op_sel:[1,1] op_sel_hi:[0,1]
	s_delay_alu instid0(VALU_DEP_1) | instskip(SKIP_1) | instid1(VALU_DEP_2)
	v_pk_fma_f32 v[88:89], v[84:85], v[82:83], v[86:87] op_sel_hi:[1,0,1]
	v_pk_fma_f32 v[82:83], v[84:85], v[82:83], v[86:87] neg_lo:[0,0,1] neg_hi:[0,0,1]
	v_mov_b32_e32 v83, v89
	s_cbranch_execz .LBB102_289
	s_branch .LBB102_290
.LBB102_288:
                                        ; implicit-def: $vgpr82_vgpr83
.LBB102_289:
	ds_load_b64 v[82:83], v1
.LBB102_290:
	s_and_saveexec_b32 s16, s1
	s_cbranch_execz .LBB102_294
; %bb.291:
	v_add_nc_u32_e32 v84, -10, v0
	s_movk_i32 s17, 0x190
	s_mov_b32 s1, 0
.LBB102_292:                            ; =>This Inner Loop Header: Depth=1
	scratch_load_b64 v[86:87], off, s14
	v_dual_mov_b32 v85, s17 :: v_dual_add_nc_u32 v84, -1, v84
	s_add_co_i32 s17, s17, 8
	s_wait_xcnt 0x0
	s_add_co_i32 s14, s14, 8
	ds_load_b64 v[88:89], v85
	v_cmp_eq_u32_e32 vcc_lo, 0, v84
	s_or_b32 s1, vcc_lo, s1
	s_wait_loadcnt_dscnt 0x0
	v_pk_mul_f32 v[90:91], v[88:89], v[86:87] op_sel:[1,1] op_sel_hi:[0,1]
	s_delay_alu instid0(VALU_DEP_1) | instskip(SKIP_1) | instid1(VALU_DEP_2)
	v_pk_fma_f32 v[92:93], v[88:89], v[86:87], v[90:91] op_sel_hi:[1,0,1]
	v_pk_fma_f32 v[86:87], v[88:89], v[86:87], v[90:91] neg_lo:[0,0,1] neg_hi:[0,0,1]
	v_mov_b32_e32 v87, v93
	s_delay_alu instid0(VALU_DEP_1)
	v_pk_add_f32 v[82:83], v[82:83], v[86:87]
	s_and_not1_b32 exec_lo, exec_lo, s1
	s_cbranch_execnz .LBB102_292
; %bb.293:
	s_or_b32 exec_lo, exec_lo, s1
.LBB102_294:
	s_delay_alu instid0(SALU_CYCLE_1) | instskip(SKIP_4) | instid1(VALU_DEP_1)
	s_or_b32 exec_lo, exec_lo, s16
	v_mov_b32_e32 v84, 0
	ds_load_b64 v[84:85], v84 offset:72
	s_wait_dscnt 0x0
	v_pk_mul_f32 v[86:87], v[82:83], v[84:85] op_sel:[1,1] op_sel_hi:[0,1]
	v_pk_fma_f32 v[88:89], v[82:83], v[84:85], v[86:87] op_sel_hi:[1,0,1]
	v_pk_fma_f32 v[82:83], v[82:83], v[84:85], v[86:87] neg_lo:[0,0,1] neg_hi:[0,0,1]
	s_delay_alu instid0(VALU_DEP_2)
	v_mov_b32_e32 v83, v89
	scratch_store_b64 off, v[82:83], off offset:72
.LBB102_295:
	s_wait_xcnt 0x0
	s_or_b32 exec_lo, exec_lo, s15
	scratch_load_b64 v[82:83], off, off offset:64
	v_cmp_lt_u32_e64 s1, 8, v0
	s_wait_loadcnt 0x0
	ds_store_b64 v1, v[82:83]
	s_wait_storecnt_dscnt 0x0
	s_barrier_signal -1
	s_barrier_wait -1
	s_wait_xcnt 0x0
	s_and_saveexec_b32 s14, s1
	s_cbranch_execz .LBB102_305
; %bb.296:
	s_and_not1_b32 vcc_lo, exec_lo, s5
	s_cbranch_vccnz .LBB102_298
; %bb.297:
	scratch_load_b64 v[82:83], v59, off
	ds_load_b64 v[84:85], v1
	s_wait_loadcnt_dscnt 0x0
	v_pk_mul_f32 v[86:87], v[84:85], v[82:83] op_sel:[1,1] op_sel_hi:[0,1]
	s_delay_alu instid0(VALU_DEP_1) | instskip(SKIP_1) | instid1(VALU_DEP_2)
	v_pk_fma_f32 v[88:89], v[84:85], v[82:83], v[86:87] op_sel_hi:[1,0,1]
	v_pk_fma_f32 v[82:83], v[84:85], v[82:83], v[86:87] neg_lo:[0,0,1] neg_hi:[0,0,1]
	v_mov_b32_e32 v83, v89
	s_cbranch_execz .LBB102_299
	s_branch .LBB102_300
.LBB102_298:
                                        ; implicit-def: $vgpr82_vgpr83
.LBB102_299:
	ds_load_b64 v[82:83], v1
.LBB102_300:
	s_and_saveexec_b32 s15, s0
	s_cbranch_execz .LBB102_304
; %bb.301:
	v_add_nc_u32_e32 v84, -9, v0
	s_movk_i32 s16, 0x188
	s_mov_b32 s0, 0
.LBB102_302:                            ; =>This Inner Loop Header: Depth=1
	scratch_load_b64 v[86:87], off, s13
	v_dual_mov_b32 v85, s16 :: v_dual_add_nc_u32 v84, -1, v84
	s_add_co_i32 s16, s16, 8
	s_wait_xcnt 0x0
	s_add_co_i32 s13, s13, 8
	ds_load_b64 v[88:89], v85
	v_cmp_eq_u32_e32 vcc_lo, 0, v84
	s_or_b32 s0, vcc_lo, s0
	s_wait_loadcnt_dscnt 0x0
	v_pk_mul_f32 v[90:91], v[88:89], v[86:87] op_sel:[1,1] op_sel_hi:[0,1]
	s_delay_alu instid0(VALU_DEP_1) | instskip(SKIP_1) | instid1(VALU_DEP_2)
	v_pk_fma_f32 v[92:93], v[88:89], v[86:87], v[90:91] op_sel_hi:[1,0,1]
	v_pk_fma_f32 v[86:87], v[88:89], v[86:87], v[90:91] neg_lo:[0,0,1] neg_hi:[0,0,1]
	v_mov_b32_e32 v87, v93
	s_delay_alu instid0(VALU_DEP_1)
	v_pk_add_f32 v[82:83], v[82:83], v[86:87]
	s_and_not1_b32 exec_lo, exec_lo, s0
	s_cbranch_execnz .LBB102_302
; %bb.303:
	s_or_b32 exec_lo, exec_lo, s0
.LBB102_304:
	s_delay_alu instid0(SALU_CYCLE_1) | instskip(SKIP_4) | instid1(VALU_DEP_1)
	s_or_b32 exec_lo, exec_lo, s15
	v_mov_b32_e32 v84, 0
	ds_load_b64 v[84:85], v84 offset:64
	s_wait_dscnt 0x0
	v_pk_mul_f32 v[86:87], v[82:83], v[84:85] op_sel:[1,1] op_sel_hi:[0,1]
	v_pk_fma_f32 v[88:89], v[82:83], v[84:85], v[86:87] op_sel_hi:[1,0,1]
	v_pk_fma_f32 v[82:83], v[82:83], v[84:85], v[86:87] neg_lo:[0,0,1] neg_hi:[0,0,1]
	s_delay_alu instid0(VALU_DEP_2)
	v_mov_b32_e32 v83, v89
	scratch_store_b64 off, v[82:83], off offset:64
.LBB102_305:
	s_wait_xcnt 0x0
	s_or_b32 exec_lo, exec_lo, s14
	scratch_load_b64 v[82:83], off, off offset:56
	v_cmp_lt_u32_e64 s0, 7, v0
	s_wait_loadcnt 0x0
	ds_store_b64 v1, v[82:83]
	s_wait_storecnt_dscnt 0x0
	s_barrier_signal -1
	s_barrier_wait -1
	s_wait_xcnt 0x0
	s_and_saveexec_b32 s13, s0
	s_cbranch_execz .LBB102_315
; %bb.306:
	s_and_not1_b32 vcc_lo, exec_lo, s5
	s_cbranch_vccnz .LBB102_308
; %bb.307:
	scratch_load_b64 v[82:83], v59, off
	ds_load_b64 v[84:85], v1
	s_wait_loadcnt_dscnt 0x0
	v_pk_mul_f32 v[86:87], v[84:85], v[82:83] op_sel:[1,1] op_sel_hi:[0,1]
	s_delay_alu instid0(VALU_DEP_1) | instskip(SKIP_1) | instid1(VALU_DEP_2)
	v_pk_fma_f32 v[88:89], v[84:85], v[82:83], v[86:87] op_sel_hi:[1,0,1]
	v_pk_fma_f32 v[82:83], v[84:85], v[82:83], v[86:87] neg_lo:[0,0,1] neg_hi:[0,0,1]
	v_mov_b32_e32 v83, v89
	s_cbranch_execz .LBB102_309
	s_branch .LBB102_310
.LBB102_308:
                                        ; implicit-def: $vgpr82_vgpr83
.LBB102_309:
	ds_load_b64 v[82:83], v1
.LBB102_310:
	s_and_saveexec_b32 s14, s1
	s_cbranch_execz .LBB102_314
; %bb.311:
	v_add_nc_u32_e32 v84, -8, v0
	s_movk_i32 s15, 0x180
	s_mov_b32 s1, 0
.LBB102_312:                            ; =>This Inner Loop Header: Depth=1
	scratch_load_b64 v[86:87], off, s12
	v_dual_mov_b32 v85, s15 :: v_dual_add_nc_u32 v84, -1, v84
	s_add_co_i32 s15, s15, 8
	s_wait_xcnt 0x0
	s_add_co_i32 s12, s12, 8
	ds_load_b64 v[88:89], v85
	v_cmp_eq_u32_e32 vcc_lo, 0, v84
	s_or_b32 s1, vcc_lo, s1
	s_wait_loadcnt_dscnt 0x0
	v_pk_mul_f32 v[90:91], v[88:89], v[86:87] op_sel:[1,1] op_sel_hi:[0,1]
	s_delay_alu instid0(VALU_DEP_1) | instskip(SKIP_1) | instid1(VALU_DEP_2)
	v_pk_fma_f32 v[92:93], v[88:89], v[86:87], v[90:91] op_sel_hi:[1,0,1]
	v_pk_fma_f32 v[86:87], v[88:89], v[86:87], v[90:91] neg_lo:[0,0,1] neg_hi:[0,0,1]
	v_mov_b32_e32 v87, v93
	s_delay_alu instid0(VALU_DEP_1)
	v_pk_add_f32 v[82:83], v[82:83], v[86:87]
	s_and_not1_b32 exec_lo, exec_lo, s1
	s_cbranch_execnz .LBB102_312
; %bb.313:
	s_or_b32 exec_lo, exec_lo, s1
.LBB102_314:
	s_delay_alu instid0(SALU_CYCLE_1) | instskip(SKIP_4) | instid1(VALU_DEP_1)
	s_or_b32 exec_lo, exec_lo, s14
	v_mov_b32_e32 v84, 0
	ds_load_b64 v[84:85], v84 offset:56
	s_wait_dscnt 0x0
	v_pk_mul_f32 v[86:87], v[82:83], v[84:85] op_sel:[1,1] op_sel_hi:[0,1]
	v_pk_fma_f32 v[88:89], v[82:83], v[84:85], v[86:87] op_sel_hi:[1,0,1]
	v_pk_fma_f32 v[82:83], v[82:83], v[84:85], v[86:87] neg_lo:[0,0,1] neg_hi:[0,0,1]
	s_delay_alu instid0(VALU_DEP_2)
	v_mov_b32_e32 v83, v89
	scratch_store_b64 off, v[82:83], off offset:56
.LBB102_315:
	s_wait_xcnt 0x0
	s_or_b32 exec_lo, exec_lo, s13
	scratch_load_b64 v[82:83], off, off offset:48
	v_cmp_lt_u32_e64 s1, 6, v0
	s_wait_loadcnt 0x0
	ds_store_b64 v1, v[82:83]
	s_wait_storecnt_dscnt 0x0
	s_barrier_signal -1
	s_barrier_wait -1
	s_wait_xcnt 0x0
	s_and_saveexec_b32 s12, s1
	s_cbranch_execz .LBB102_325
; %bb.316:
	s_and_not1_b32 vcc_lo, exec_lo, s5
	s_cbranch_vccnz .LBB102_318
; %bb.317:
	scratch_load_b64 v[82:83], v59, off
	ds_load_b64 v[84:85], v1
	s_wait_loadcnt_dscnt 0x0
	v_pk_mul_f32 v[86:87], v[84:85], v[82:83] op_sel:[1,1] op_sel_hi:[0,1]
	s_delay_alu instid0(VALU_DEP_1) | instskip(SKIP_1) | instid1(VALU_DEP_2)
	v_pk_fma_f32 v[88:89], v[84:85], v[82:83], v[86:87] op_sel_hi:[1,0,1]
	v_pk_fma_f32 v[82:83], v[84:85], v[82:83], v[86:87] neg_lo:[0,0,1] neg_hi:[0,0,1]
	v_mov_b32_e32 v83, v89
	s_cbranch_execz .LBB102_319
	s_branch .LBB102_320
.LBB102_318:
                                        ; implicit-def: $vgpr82_vgpr83
.LBB102_319:
	ds_load_b64 v[82:83], v1
.LBB102_320:
	s_and_saveexec_b32 s13, s0
	s_cbranch_execz .LBB102_324
; %bb.321:
	v_add_nc_u32_e32 v84, -7, v0
	s_movk_i32 s14, 0x178
	s_mov_b32 s0, 0
.LBB102_322:                            ; =>This Inner Loop Header: Depth=1
	scratch_load_b64 v[86:87], off, s11
	v_dual_mov_b32 v85, s14 :: v_dual_add_nc_u32 v84, -1, v84
	s_add_co_i32 s14, s14, 8
	s_wait_xcnt 0x0
	s_add_co_i32 s11, s11, 8
	ds_load_b64 v[88:89], v85
	v_cmp_eq_u32_e32 vcc_lo, 0, v84
	s_or_b32 s0, vcc_lo, s0
	s_wait_loadcnt_dscnt 0x0
	v_pk_mul_f32 v[90:91], v[88:89], v[86:87] op_sel:[1,1] op_sel_hi:[0,1]
	s_delay_alu instid0(VALU_DEP_1) | instskip(SKIP_1) | instid1(VALU_DEP_2)
	v_pk_fma_f32 v[92:93], v[88:89], v[86:87], v[90:91] op_sel_hi:[1,0,1]
	v_pk_fma_f32 v[86:87], v[88:89], v[86:87], v[90:91] neg_lo:[0,0,1] neg_hi:[0,0,1]
	v_mov_b32_e32 v87, v93
	s_delay_alu instid0(VALU_DEP_1)
	v_pk_add_f32 v[82:83], v[82:83], v[86:87]
	s_and_not1_b32 exec_lo, exec_lo, s0
	s_cbranch_execnz .LBB102_322
; %bb.323:
	s_or_b32 exec_lo, exec_lo, s0
.LBB102_324:
	s_delay_alu instid0(SALU_CYCLE_1) | instskip(SKIP_4) | instid1(VALU_DEP_1)
	s_or_b32 exec_lo, exec_lo, s13
	v_mov_b32_e32 v84, 0
	ds_load_b64 v[84:85], v84 offset:48
	s_wait_dscnt 0x0
	v_pk_mul_f32 v[86:87], v[82:83], v[84:85] op_sel:[1,1] op_sel_hi:[0,1]
	v_pk_fma_f32 v[88:89], v[82:83], v[84:85], v[86:87] op_sel_hi:[1,0,1]
	v_pk_fma_f32 v[82:83], v[82:83], v[84:85], v[86:87] neg_lo:[0,0,1] neg_hi:[0,0,1]
	s_delay_alu instid0(VALU_DEP_2)
	v_mov_b32_e32 v83, v89
	scratch_store_b64 off, v[82:83], off offset:48
.LBB102_325:
	s_wait_xcnt 0x0
	s_or_b32 exec_lo, exec_lo, s12
	scratch_load_b64 v[82:83], off, off offset:40
	v_cmp_lt_u32_e64 s0, 5, v0
	s_wait_loadcnt 0x0
	ds_store_b64 v1, v[82:83]
	s_wait_storecnt_dscnt 0x0
	s_barrier_signal -1
	s_barrier_wait -1
	s_wait_xcnt 0x0
	s_and_saveexec_b32 s11, s0
	s_cbranch_execz .LBB102_335
; %bb.326:
	s_and_not1_b32 vcc_lo, exec_lo, s5
	s_cbranch_vccnz .LBB102_328
; %bb.327:
	scratch_load_b64 v[82:83], v59, off
	ds_load_b64 v[84:85], v1
	s_wait_loadcnt_dscnt 0x0
	v_pk_mul_f32 v[86:87], v[84:85], v[82:83] op_sel:[1,1] op_sel_hi:[0,1]
	s_delay_alu instid0(VALU_DEP_1) | instskip(SKIP_1) | instid1(VALU_DEP_2)
	v_pk_fma_f32 v[88:89], v[84:85], v[82:83], v[86:87] op_sel_hi:[1,0,1]
	v_pk_fma_f32 v[82:83], v[84:85], v[82:83], v[86:87] neg_lo:[0,0,1] neg_hi:[0,0,1]
	v_mov_b32_e32 v83, v89
	s_cbranch_execz .LBB102_329
	s_branch .LBB102_330
.LBB102_328:
                                        ; implicit-def: $vgpr82_vgpr83
.LBB102_329:
	ds_load_b64 v[82:83], v1
.LBB102_330:
	s_and_saveexec_b32 s12, s1
	s_cbranch_execz .LBB102_334
; %bb.331:
	v_add_nc_u32_e32 v84, -6, v0
	s_movk_i32 s13, 0x170
	s_mov_b32 s1, 0
.LBB102_332:                            ; =>This Inner Loop Header: Depth=1
	scratch_load_b64 v[86:87], off, s10
	v_dual_mov_b32 v85, s13 :: v_dual_add_nc_u32 v84, -1, v84
	s_add_co_i32 s13, s13, 8
	s_wait_xcnt 0x0
	s_add_co_i32 s10, s10, 8
	ds_load_b64 v[88:89], v85
	v_cmp_eq_u32_e32 vcc_lo, 0, v84
	s_or_b32 s1, vcc_lo, s1
	s_wait_loadcnt_dscnt 0x0
	v_pk_mul_f32 v[90:91], v[88:89], v[86:87] op_sel:[1,1] op_sel_hi:[0,1]
	s_delay_alu instid0(VALU_DEP_1) | instskip(SKIP_1) | instid1(VALU_DEP_2)
	v_pk_fma_f32 v[92:93], v[88:89], v[86:87], v[90:91] op_sel_hi:[1,0,1]
	v_pk_fma_f32 v[86:87], v[88:89], v[86:87], v[90:91] neg_lo:[0,0,1] neg_hi:[0,0,1]
	v_mov_b32_e32 v87, v93
	s_delay_alu instid0(VALU_DEP_1)
	v_pk_add_f32 v[82:83], v[82:83], v[86:87]
	s_and_not1_b32 exec_lo, exec_lo, s1
	s_cbranch_execnz .LBB102_332
; %bb.333:
	s_or_b32 exec_lo, exec_lo, s1
.LBB102_334:
	s_delay_alu instid0(SALU_CYCLE_1) | instskip(SKIP_4) | instid1(VALU_DEP_1)
	s_or_b32 exec_lo, exec_lo, s12
	v_mov_b32_e32 v84, 0
	ds_load_b64 v[84:85], v84 offset:40
	s_wait_dscnt 0x0
	v_pk_mul_f32 v[86:87], v[82:83], v[84:85] op_sel:[1,1] op_sel_hi:[0,1]
	v_pk_fma_f32 v[88:89], v[82:83], v[84:85], v[86:87] op_sel_hi:[1,0,1]
	v_pk_fma_f32 v[82:83], v[82:83], v[84:85], v[86:87] neg_lo:[0,0,1] neg_hi:[0,0,1]
	s_delay_alu instid0(VALU_DEP_2)
	v_mov_b32_e32 v83, v89
	scratch_store_b64 off, v[82:83], off offset:40
.LBB102_335:
	s_wait_xcnt 0x0
	s_or_b32 exec_lo, exec_lo, s11
	scratch_load_b64 v[82:83], off, off offset:32
	v_cmp_lt_u32_e64 s1, 4, v0
	s_wait_loadcnt 0x0
	ds_store_b64 v1, v[82:83]
	s_wait_storecnt_dscnt 0x0
	s_barrier_signal -1
	s_barrier_wait -1
	s_wait_xcnt 0x0
	s_and_saveexec_b32 s10, s1
	s_cbranch_execz .LBB102_345
; %bb.336:
	s_and_not1_b32 vcc_lo, exec_lo, s5
	s_cbranch_vccnz .LBB102_338
; %bb.337:
	scratch_load_b64 v[82:83], v59, off
	ds_load_b64 v[84:85], v1
	s_wait_loadcnt_dscnt 0x0
	v_pk_mul_f32 v[86:87], v[84:85], v[82:83] op_sel:[1,1] op_sel_hi:[0,1]
	s_delay_alu instid0(VALU_DEP_1) | instskip(SKIP_1) | instid1(VALU_DEP_2)
	v_pk_fma_f32 v[88:89], v[84:85], v[82:83], v[86:87] op_sel_hi:[1,0,1]
	v_pk_fma_f32 v[82:83], v[84:85], v[82:83], v[86:87] neg_lo:[0,0,1] neg_hi:[0,0,1]
	v_mov_b32_e32 v83, v89
	s_cbranch_execz .LBB102_339
	s_branch .LBB102_340
.LBB102_338:
                                        ; implicit-def: $vgpr82_vgpr83
.LBB102_339:
	ds_load_b64 v[82:83], v1
.LBB102_340:
	s_and_saveexec_b32 s11, s0
	s_cbranch_execz .LBB102_344
; %bb.341:
	v_add_nc_u32_e32 v84, -5, v0
	s_movk_i32 s12, 0x168
	s_mov_b32 s0, 0
.LBB102_342:                            ; =>This Inner Loop Header: Depth=1
	scratch_load_b64 v[86:87], off, s9
	v_dual_mov_b32 v85, s12 :: v_dual_add_nc_u32 v84, -1, v84
	s_add_co_i32 s12, s12, 8
	s_wait_xcnt 0x0
	s_add_co_i32 s9, s9, 8
	ds_load_b64 v[88:89], v85
	v_cmp_eq_u32_e32 vcc_lo, 0, v84
	s_or_b32 s0, vcc_lo, s0
	s_wait_loadcnt_dscnt 0x0
	v_pk_mul_f32 v[90:91], v[88:89], v[86:87] op_sel:[1,1] op_sel_hi:[0,1]
	s_delay_alu instid0(VALU_DEP_1) | instskip(SKIP_1) | instid1(VALU_DEP_2)
	v_pk_fma_f32 v[92:93], v[88:89], v[86:87], v[90:91] op_sel_hi:[1,0,1]
	v_pk_fma_f32 v[86:87], v[88:89], v[86:87], v[90:91] neg_lo:[0,0,1] neg_hi:[0,0,1]
	v_mov_b32_e32 v87, v93
	s_delay_alu instid0(VALU_DEP_1)
	v_pk_add_f32 v[82:83], v[82:83], v[86:87]
	s_and_not1_b32 exec_lo, exec_lo, s0
	s_cbranch_execnz .LBB102_342
; %bb.343:
	s_or_b32 exec_lo, exec_lo, s0
.LBB102_344:
	s_delay_alu instid0(SALU_CYCLE_1) | instskip(SKIP_4) | instid1(VALU_DEP_1)
	s_or_b32 exec_lo, exec_lo, s11
	v_mov_b32_e32 v84, 0
	ds_load_b64 v[84:85], v84 offset:32
	s_wait_dscnt 0x0
	v_pk_mul_f32 v[86:87], v[82:83], v[84:85] op_sel:[1,1] op_sel_hi:[0,1]
	v_pk_fma_f32 v[88:89], v[82:83], v[84:85], v[86:87] op_sel_hi:[1,0,1]
	v_pk_fma_f32 v[82:83], v[82:83], v[84:85], v[86:87] neg_lo:[0,0,1] neg_hi:[0,0,1]
	s_delay_alu instid0(VALU_DEP_2)
	v_mov_b32_e32 v83, v89
	scratch_store_b64 off, v[82:83], off offset:32
.LBB102_345:
	s_wait_xcnt 0x0
	s_or_b32 exec_lo, exec_lo, s10
	scratch_load_b64 v[82:83], off, off offset:24
	v_cmp_lt_u32_e64 s0, 3, v0
	s_wait_loadcnt 0x0
	ds_store_b64 v1, v[82:83]
	s_wait_storecnt_dscnt 0x0
	s_barrier_signal -1
	s_barrier_wait -1
	s_wait_xcnt 0x0
	s_and_saveexec_b32 s9, s0
	s_cbranch_execz .LBB102_355
; %bb.346:
	s_and_not1_b32 vcc_lo, exec_lo, s5
	s_cbranch_vccnz .LBB102_348
; %bb.347:
	scratch_load_b64 v[82:83], v59, off
	ds_load_b64 v[84:85], v1
	s_wait_loadcnt_dscnt 0x0
	v_pk_mul_f32 v[86:87], v[84:85], v[82:83] op_sel:[1,1] op_sel_hi:[0,1]
	s_delay_alu instid0(VALU_DEP_1) | instskip(SKIP_1) | instid1(VALU_DEP_2)
	v_pk_fma_f32 v[88:89], v[84:85], v[82:83], v[86:87] op_sel_hi:[1,0,1]
	v_pk_fma_f32 v[82:83], v[84:85], v[82:83], v[86:87] neg_lo:[0,0,1] neg_hi:[0,0,1]
	v_mov_b32_e32 v83, v89
	s_cbranch_execz .LBB102_349
	s_branch .LBB102_350
.LBB102_348:
                                        ; implicit-def: $vgpr82_vgpr83
.LBB102_349:
	ds_load_b64 v[82:83], v1
.LBB102_350:
	s_and_saveexec_b32 s10, s1
	s_cbranch_execz .LBB102_354
; %bb.351:
	v_add_nc_u32_e32 v84, -4, v0
	s_movk_i32 s11, 0x160
	s_mov_b32 s1, 0
.LBB102_352:                            ; =>This Inner Loop Header: Depth=1
	scratch_load_b64 v[86:87], off, s8
	v_dual_mov_b32 v85, s11 :: v_dual_add_nc_u32 v84, -1, v84
	s_add_co_i32 s11, s11, 8
	s_wait_xcnt 0x0
	s_add_co_i32 s8, s8, 8
	ds_load_b64 v[88:89], v85
	v_cmp_eq_u32_e32 vcc_lo, 0, v84
	s_or_b32 s1, vcc_lo, s1
	s_wait_loadcnt_dscnt 0x0
	v_pk_mul_f32 v[90:91], v[88:89], v[86:87] op_sel:[1,1] op_sel_hi:[0,1]
	s_delay_alu instid0(VALU_DEP_1) | instskip(SKIP_1) | instid1(VALU_DEP_2)
	v_pk_fma_f32 v[92:93], v[88:89], v[86:87], v[90:91] op_sel_hi:[1,0,1]
	v_pk_fma_f32 v[86:87], v[88:89], v[86:87], v[90:91] neg_lo:[0,0,1] neg_hi:[0,0,1]
	v_mov_b32_e32 v87, v93
	s_delay_alu instid0(VALU_DEP_1)
	v_pk_add_f32 v[82:83], v[82:83], v[86:87]
	s_and_not1_b32 exec_lo, exec_lo, s1
	s_cbranch_execnz .LBB102_352
; %bb.353:
	s_or_b32 exec_lo, exec_lo, s1
.LBB102_354:
	s_delay_alu instid0(SALU_CYCLE_1) | instskip(SKIP_4) | instid1(VALU_DEP_1)
	s_or_b32 exec_lo, exec_lo, s10
	v_mov_b32_e32 v84, 0
	ds_load_b64 v[84:85], v84 offset:24
	s_wait_dscnt 0x0
	v_pk_mul_f32 v[86:87], v[82:83], v[84:85] op_sel:[1,1] op_sel_hi:[0,1]
	v_pk_fma_f32 v[88:89], v[82:83], v[84:85], v[86:87] op_sel_hi:[1,0,1]
	v_pk_fma_f32 v[82:83], v[82:83], v[84:85], v[86:87] neg_lo:[0,0,1] neg_hi:[0,0,1]
	s_delay_alu instid0(VALU_DEP_2)
	v_mov_b32_e32 v83, v89
	scratch_store_b64 off, v[82:83], off offset:24
.LBB102_355:
	s_wait_xcnt 0x0
	s_or_b32 exec_lo, exec_lo, s9
	scratch_load_b64 v[82:83], off, off offset:16
	v_cmp_lt_u32_e64 s1, 2, v0
	s_wait_loadcnt 0x0
	ds_store_b64 v1, v[82:83]
	s_wait_storecnt_dscnt 0x0
	s_barrier_signal -1
	s_barrier_wait -1
	s_wait_xcnt 0x0
	s_and_saveexec_b32 s8, s1
	s_cbranch_execz .LBB102_365
; %bb.356:
	s_and_not1_b32 vcc_lo, exec_lo, s5
	s_cbranch_vccnz .LBB102_358
; %bb.357:
	scratch_load_b64 v[82:83], v59, off
	ds_load_b64 v[84:85], v1
	s_wait_loadcnt_dscnt 0x0
	v_pk_mul_f32 v[86:87], v[84:85], v[82:83] op_sel:[1,1] op_sel_hi:[0,1]
	s_delay_alu instid0(VALU_DEP_1) | instskip(SKIP_1) | instid1(VALU_DEP_2)
	v_pk_fma_f32 v[88:89], v[84:85], v[82:83], v[86:87] op_sel_hi:[1,0,1]
	v_pk_fma_f32 v[82:83], v[84:85], v[82:83], v[86:87] neg_lo:[0,0,1] neg_hi:[0,0,1]
	v_mov_b32_e32 v83, v89
	s_cbranch_execz .LBB102_359
	s_branch .LBB102_360
.LBB102_358:
                                        ; implicit-def: $vgpr82_vgpr83
.LBB102_359:
	ds_load_b64 v[82:83], v1
.LBB102_360:
	s_and_saveexec_b32 s9, s0
	s_cbranch_execz .LBB102_364
; %bb.361:
	v_add_nc_u32_e32 v84, -3, v0
	s_movk_i32 s10, 0x158
	s_mov_b32 s0, 0
.LBB102_362:                            ; =>This Inner Loop Header: Depth=1
	scratch_load_b64 v[86:87], off, s7
	v_dual_mov_b32 v85, s10 :: v_dual_add_nc_u32 v84, -1, v84
	s_add_co_i32 s10, s10, 8
	s_wait_xcnt 0x0
	s_add_co_i32 s7, s7, 8
	ds_load_b64 v[88:89], v85
	v_cmp_eq_u32_e32 vcc_lo, 0, v84
	s_or_b32 s0, vcc_lo, s0
	s_wait_loadcnt_dscnt 0x0
	v_pk_mul_f32 v[90:91], v[88:89], v[86:87] op_sel:[1,1] op_sel_hi:[0,1]
	s_delay_alu instid0(VALU_DEP_1) | instskip(SKIP_1) | instid1(VALU_DEP_2)
	v_pk_fma_f32 v[92:93], v[88:89], v[86:87], v[90:91] op_sel_hi:[1,0,1]
	v_pk_fma_f32 v[86:87], v[88:89], v[86:87], v[90:91] neg_lo:[0,0,1] neg_hi:[0,0,1]
	v_mov_b32_e32 v87, v93
	s_delay_alu instid0(VALU_DEP_1)
	v_pk_add_f32 v[82:83], v[82:83], v[86:87]
	s_and_not1_b32 exec_lo, exec_lo, s0
	s_cbranch_execnz .LBB102_362
; %bb.363:
	s_or_b32 exec_lo, exec_lo, s0
.LBB102_364:
	s_delay_alu instid0(SALU_CYCLE_1) | instskip(SKIP_4) | instid1(VALU_DEP_1)
	s_or_b32 exec_lo, exec_lo, s9
	v_mov_b32_e32 v84, 0
	ds_load_b64 v[84:85], v84 offset:16
	s_wait_dscnt 0x0
	v_pk_mul_f32 v[86:87], v[82:83], v[84:85] op_sel:[1,1] op_sel_hi:[0,1]
	v_pk_fma_f32 v[88:89], v[82:83], v[84:85], v[86:87] op_sel_hi:[1,0,1]
	v_pk_fma_f32 v[82:83], v[82:83], v[84:85], v[86:87] neg_lo:[0,0,1] neg_hi:[0,0,1]
	s_delay_alu instid0(VALU_DEP_2)
	v_mov_b32_e32 v83, v89
	scratch_store_b64 off, v[82:83], off offset:16
.LBB102_365:
	s_wait_xcnt 0x0
	s_or_b32 exec_lo, exec_lo, s8
	scratch_load_b64 v[82:83], off, off offset:8
	v_cmp_lt_u32_e64 s0, 1, v0
	s_wait_loadcnt 0x0
	ds_store_b64 v1, v[82:83]
	s_wait_storecnt_dscnt 0x0
	s_barrier_signal -1
	s_barrier_wait -1
	s_wait_xcnt 0x0
	s_and_saveexec_b32 s7, s0
	s_cbranch_execz .LBB102_375
; %bb.366:
	s_and_not1_b32 vcc_lo, exec_lo, s5
	s_cbranch_vccnz .LBB102_368
; %bb.367:
	scratch_load_b64 v[82:83], v59, off
	ds_load_b64 v[84:85], v1
	s_wait_loadcnt_dscnt 0x0
	v_pk_mul_f32 v[86:87], v[84:85], v[82:83] op_sel:[1,1] op_sel_hi:[0,1]
	s_delay_alu instid0(VALU_DEP_1) | instskip(SKIP_1) | instid1(VALU_DEP_2)
	v_pk_fma_f32 v[88:89], v[84:85], v[82:83], v[86:87] op_sel_hi:[1,0,1]
	v_pk_fma_f32 v[82:83], v[84:85], v[82:83], v[86:87] neg_lo:[0,0,1] neg_hi:[0,0,1]
	v_mov_b32_e32 v83, v89
	s_cbranch_execz .LBB102_369
	s_branch .LBB102_370
.LBB102_368:
                                        ; implicit-def: $vgpr82_vgpr83
.LBB102_369:
	ds_load_b64 v[82:83], v1
.LBB102_370:
	s_and_saveexec_b32 s8, s1
	s_cbranch_execz .LBB102_374
; %bb.371:
	v_add_nc_u32_e32 v84, -2, v0
	s_movk_i32 s9, 0x150
	s_mov_b32 s1, 0
.LBB102_372:                            ; =>This Inner Loop Header: Depth=1
	scratch_load_b64 v[86:87], off, s6
	v_dual_mov_b32 v85, s9 :: v_dual_add_nc_u32 v84, -1, v84
	s_add_co_i32 s9, s9, 8
	s_wait_xcnt 0x0
	s_add_co_i32 s6, s6, 8
	ds_load_b64 v[88:89], v85
	v_cmp_eq_u32_e32 vcc_lo, 0, v84
	s_or_b32 s1, vcc_lo, s1
	s_wait_loadcnt_dscnt 0x0
	v_pk_mul_f32 v[90:91], v[88:89], v[86:87] op_sel:[1,1] op_sel_hi:[0,1]
	s_delay_alu instid0(VALU_DEP_1) | instskip(SKIP_1) | instid1(VALU_DEP_2)
	v_pk_fma_f32 v[92:93], v[88:89], v[86:87], v[90:91] op_sel_hi:[1,0,1]
	v_pk_fma_f32 v[86:87], v[88:89], v[86:87], v[90:91] neg_lo:[0,0,1] neg_hi:[0,0,1]
	v_mov_b32_e32 v87, v93
	s_delay_alu instid0(VALU_DEP_1)
	v_pk_add_f32 v[82:83], v[82:83], v[86:87]
	s_and_not1_b32 exec_lo, exec_lo, s1
	s_cbranch_execnz .LBB102_372
; %bb.373:
	s_or_b32 exec_lo, exec_lo, s1
.LBB102_374:
	s_delay_alu instid0(SALU_CYCLE_1) | instskip(SKIP_4) | instid1(VALU_DEP_1)
	s_or_b32 exec_lo, exec_lo, s8
	v_mov_b32_e32 v84, 0
	ds_load_b64 v[84:85], v84 offset:8
	s_wait_dscnt 0x0
	v_pk_mul_f32 v[86:87], v[82:83], v[84:85] op_sel:[1,1] op_sel_hi:[0,1]
	v_pk_fma_f32 v[88:89], v[82:83], v[84:85], v[86:87] op_sel_hi:[1,0,1]
	v_pk_fma_f32 v[82:83], v[82:83], v[84:85], v[86:87] neg_lo:[0,0,1] neg_hi:[0,0,1]
	s_delay_alu instid0(VALU_DEP_2)
	v_mov_b32_e32 v83, v89
	scratch_store_b64 off, v[82:83], off offset:8
.LBB102_375:
	s_wait_xcnt 0x0
	s_or_b32 exec_lo, exec_lo, s7
	scratch_load_b64 v[82:83], off, off
	s_mov_b32 s6, 0
	s_mov_b32 s1, 0
	s_mov_b32 s8, exec_lo
                                        ; implicit-def: $vgpr116
                                        ; implicit-def: $sgpr7
	s_wait_loadcnt 0x0
	ds_store_b64 v1, v[82:83]
	s_wait_storecnt_dscnt 0x0
	s_barrier_signal -1
	s_barrier_wait -1
	s_wait_xcnt 0x0
	v_cmpx_ne_u32_e32 0, v0
	s_cbranch_execz .LBB102_385
; %bb.376:
	s_and_not1_b32 vcc_lo, exec_lo, s5
	s_cbranch_vccnz .LBB102_378
; %bb.377:
	scratch_load_b64 v[84:85], v59, off
	ds_load_b64 v[86:87], v1
	s_wait_loadcnt_dscnt 0x0
	v_dual_mul_f32 v82, v87, v85 :: v_dual_mul_f32 v83, v86, v85
	s_delay_alu instid0(VALU_DEP_1)
	v_dual_fma_f32 v82, v86, v84, -v82 :: v_dual_fmac_f32 v83, v87, v84
	s_and_not1_b32 vcc_lo, exec_lo, s1
	s_cbranch_vccz .LBB102_379
	s_branch .LBB102_380
.LBB102_378:
                                        ; implicit-def: $vgpr82
.LBB102_379:
	ds_load_b64 v[82:83], v1
.LBB102_380:
	s_and_saveexec_b32 s1, s0
	s_cbranch_execz .LBB102_384
; %bb.381:
	v_add_nc_u32_e32 v84, -1, v0
	s_movk_i32 s7, 0x148
	s_mov_b32 s0, 0
.LBB102_382:                            ; =>This Inner Loop Header: Depth=1
	scratch_load_b64 v[86:87], off, s4
	v_mov_b32_e32 v85, s7
	s_add_co_i32 s7, s7, 8
	s_wait_xcnt 0x0
	s_add_co_i32 s4, s4, 8
	v_add_nc_u32_e32 v84, -1, v84
	ds_load_b64 v[88:89], v85
	v_cmp_eq_u32_e32 vcc_lo, 0, v84
	s_or_b32 s0, vcc_lo, s0
	s_wait_loadcnt_dscnt 0x0
	v_dual_mul_f32 v85, v89, v87 :: v_dual_mul_f32 v87, v88, v87
	s_delay_alu instid0(VALU_DEP_1) | instskip(NEXT) | instid1(VALU_DEP_1)
	v_dual_fma_f32 v85, v88, v86, -v85 :: v_dual_fmac_f32 v87, v89, v86
	v_dual_add_f32 v82, v82, v85 :: v_dual_add_f32 v83, v83, v87
	s_and_not1_b32 exec_lo, exec_lo, s0
	s_cbranch_execnz .LBB102_382
; %bb.383:
	s_or_b32 exec_lo, exec_lo, s0
.LBB102_384:
	s_delay_alu instid0(SALU_CYCLE_1)
	s_or_b32 exec_lo, exec_lo, s1
	v_mov_b32_e32 v84, 0
	s_mov_b32 s1, exec_lo
	s_or_b32 s7, 0, 4
	ds_load_b64 v[84:85], v84
	s_wait_dscnt 0x0
	v_dual_mul_f32 v86, v83, v85 :: v_dual_mul_f32 v116, v82, v85
	s_delay_alu instid0(VALU_DEP_1)
	v_dual_fma_f32 v82, v82, v84, -v86 :: v_dual_fmac_f32 v116, v83, v84
	scratch_store_b32 off, v82, off
.LBB102_385:
	s_wait_xcnt 0x0
	s_or_b32 exec_lo, exec_lo, s8
	s_delay_alu instid0(SALU_CYCLE_1)
	s_and_b32 vcc_lo, exec_lo, s6
	s_cbranch_vccz .LBB102_761
.LBB102_386:
	scratch_load_b64 v[82:83], off, off offset:8
	v_cmp_eq_u32_e64 s0, 0, v0
	s_wait_loadcnt 0x0
	ds_store_b64 v1, v[82:83]
	s_wait_storecnt_dscnt 0x0
	s_barrier_signal -1
	s_barrier_wait -1
	s_wait_xcnt 0x0
	s_and_saveexec_b32 s4, s0
	s_cbranch_execz .LBB102_392
; %bb.387:
	s_and_b32 vcc_lo, exec_lo, s5
	s_cbranch_vccz .LBB102_389
; %bb.388:
	scratch_load_b64 v[82:83], v59, off
	ds_load_b64 v[84:85], v1
	s_wait_loadcnt_dscnt 0x0
	v_pk_mul_f32 v[86:87], v[84:85], v[82:83] op_sel:[1,1] op_sel_hi:[0,1]
	v_pk_mul_f32 v[88:89], v[84:85], v[82:83] op_sel_hi:[1,0]
	s_delay_alu instid0(VALU_DEP_2) | instskip(NEXT) | instid1(VALU_DEP_2)
	v_pk_fma_f32 v[82:83], v[84:85], v[82:83], v[86:87] op_sel_hi:[1,0,1]
	v_sub_f32_e32 v82, v88, v86
	s_cbranch_execz .LBB102_390
	s_branch .LBB102_391
.LBB102_389:
                                        ; implicit-def: $vgpr83
.LBB102_390:
	ds_load_b64 v[82:83], v1
.LBB102_391:
	s_wait_dscnt 0x0
	v_dual_mov_b32 v84, 0 :: v_dual_mov_b32 v86, v83
	v_mov_b32_e32 v87, v82
	ds_load_b64 v[84:85], v84 offset:8
	s_wait_dscnt 0x0
	v_pk_mul_f32 v[86:87], v[86:87], v[84:85] op_sel:[0,1]
	s_delay_alu instid0(VALU_DEP_1) | instskip(SKIP_1) | instid1(VALU_DEP_2)
	v_pk_fma_f32 v[88:89], v[82:83], v[84:85], v[86:87] op_sel_hi:[1,0,1]
	v_pk_fma_f32 v[82:83], v[82:83], v[84:85], v[86:87] neg_lo:[0,0,1] neg_hi:[0,0,1]
	v_mov_b32_e32 v83, v89
	scratch_store_b64 off, v[82:83], off offset:8
.LBB102_392:
	s_wait_xcnt 0x0
	s_or_b32 exec_lo, exec_lo, s4
	scratch_load_b64 v[82:83], off, off offset:16
	v_cndmask_b32_e64 v84, 0, 1, s5
	s_mov_b32 s4, exec_lo
	s_wait_loadcnt 0x0
	ds_store_b64 v1, v[82:83]
	s_wait_storecnt_dscnt 0x0
	s_barrier_signal -1
	s_barrier_wait -1
	s_wait_xcnt 0x0
	v_cmpx_gt_u32_e32 2, v0
	s_cbranch_execz .LBB102_400
; %bb.393:
	s_and_not1_b32 vcc_lo, exec_lo, s5
	s_cbranch_vccnz .LBB102_395
; %bb.394:
	scratch_load_b64 v[82:83], v59, off
	ds_load_b64 v[86:87], v1
	s_wait_loadcnt_dscnt 0x0
	v_pk_mul_f32 v[88:89], v[86:87], v[82:83] op_sel:[1,1] op_sel_hi:[0,1]
	s_delay_alu instid0(VALU_DEP_1) | instskip(SKIP_1) | instid1(VALU_DEP_2)
	v_pk_fma_f32 v[90:91], v[86:87], v[82:83], v[88:89] op_sel_hi:[1,0,1]
	v_pk_fma_f32 v[82:83], v[86:87], v[82:83], v[88:89] neg_lo:[0,0,1] neg_hi:[0,0,1]
	v_mov_b32_e32 v83, v91
	s_cbranch_execz .LBB102_396
	s_branch .LBB102_397
.LBB102_395:
                                        ; implicit-def: $vgpr82_vgpr83
.LBB102_396:
	ds_load_b64 v[82:83], v1
.LBB102_397:
	s_and_saveexec_b32 s5, s0
	s_cbranch_execz .LBB102_399
; %bb.398:
	scratch_load_b64 v[86:87], off, off offset:8
	v_mov_b32_e32 v85, 0
	ds_load_b64 v[88:89], v85 offset:328
	s_wait_loadcnt_dscnt 0x0
	v_pk_mul_f32 v[90:91], v[88:89], v[86:87] op_sel:[1,1] op_sel_hi:[0,1]
	s_delay_alu instid0(VALU_DEP_1) | instskip(SKIP_1) | instid1(VALU_DEP_2)
	v_pk_fma_f32 v[92:93], v[88:89], v[86:87], v[90:91] op_sel_hi:[1,0,1]
	v_pk_fma_f32 v[86:87], v[88:89], v[86:87], v[90:91] neg_lo:[0,0,1] neg_hi:[0,0,1]
	v_mov_b32_e32 v87, v93
	s_delay_alu instid0(VALU_DEP_1)
	v_pk_add_f32 v[82:83], v[82:83], v[86:87]
.LBB102_399:
	s_or_b32 exec_lo, exec_lo, s5
	v_mov_b32_e32 v85, 0
	ds_load_b64 v[86:87], v85 offset:16
	s_wait_dscnt 0x0
	v_pk_mul_f32 v[88:89], v[82:83], v[86:87] op_sel:[1,1] op_sel_hi:[0,1]
	s_delay_alu instid0(VALU_DEP_1) | instskip(SKIP_1) | instid1(VALU_DEP_2)
	v_pk_fma_f32 v[90:91], v[82:83], v[86:87], v[88:89] op_sel_hi:[1,0,1]
	v_pk_fma_f32 v[82:83], v[82:83], v[86:87], v[88:89] neg_lo:[0,0,1] neg_hi:[0,0,1]
	v_mov_b32_e32 v83, v91
	scratch_store_b64 off, v[82:83], off offset:16
.LBB102_400:
	s_wait_xcnt 0x0
	s_or_b32 exec_lo, exec_lo, s4
	scratch_load_b64 v[82:83], off, off offset:24
	s_mov_b32 s4, exec_lo
	s_wait_loadcnt 0x0
	ds_store_b64 v1, v[82:83]
	s_wait_storecnt_dscnt 0x0
	s_barrier_signal -1
	s_barrier_wait -1
	s_wait_xcnt 0x0
	v_cmpx_gt_u32_e32 3, v0
	s_cbranch_execz .LBB102_410
; %bb.401:
	v_cmp_ne_u32_e32 vcc_lo, 1, v84
	s_cbranch_vccnz .LBB102_403
; %bb.402:
	scratch_load_b64 v[82:83], v59, off
	ds_load_b64 v[86:87], v1
	s_wait_loadcnt_dscnt 0x0
	v_pk_mul_f32 v[88:89], v[86:87], v[82:83] op_sel:[1,1] op_sel_hi:[0,1]
	s_delay_alu instid0(VALU_DEP_1) | instskip(SKIP_1) | instid1(VALU_DEP_2)
	v_pk_fma_f32 v[90:91], v[86:87], v[82:83], v[88:89] op_sel_hi:[1,0,1]
	v_pk_fma_f32 v[82:83], v[86:87], v[82:83], v[88:89] neg_lo:[0,0,1] neg_hi:[0,0,1]
	v_mov_b32_e32 v83, v91
	s_cbranch_execz .LBB102_404
	s_branch .LBB102_405
.LBB102_403:
                                        ; implicit-def: $vgpr82_vgpr83
.LBB102_404:
	ds_load_b64 v[82:83], v1
.LBB102_405:
	s_mov_b32 s5, exec_lo
	v_cmpx_ne_u32_e32 2, v0
	s_cbranch_execz .LBB102_409
; %bb.406:
	scratch_load_b64 v[86:87], v59, off offset:8
	ds_load_b64 v[88:89], v1 offset:8
	s_wait_loadcnt_dscnt 0x0
	v_pk_mul_f32 v[90:91], v[88:89], v[86:87] op_sel:[1,1] op_sel_hi:[0,1]
	s_delay_alu instid0(VALU_DEP_1) | instskip(SKIP_1) | instid1(VALU_DEP_2)
	v_pk_fma_f32 v[92:93], v[88:89], v[86:87], v[90:91] op_sel_hi:[1,0,1]
	v_pk_fma_f32 v[86:87], v[88:89], v[86:87], v[90:91] neg_lo:[0,0,1] neg_hi:[0,0,1]
	v_mov_b32_e32 v87, v93
	s_delay_alu instid0(VALU_DEP_1)
	v_pk_add_f32 v[82:83], v[82:83], v[86:87]
	s_and_saveexec_b32 s6, s0
	s_cbranch_execz .LBB102_408
; %bb.407:
	scratch_load_b64 v[86:87], off, off offset:16
	v_mov_b32_e32 v85, 0
	ds_load_b64 v[88:89], v85 offset:336
	s_wait_loadcnt_dscnt 0x0
	v_pk_mul_f32 v[90:91], v[88:89], v[86:87] op_sel:[1,1] op_sel_hi:[0,1]
	s_delay_alu instid0(VALU_DEP_1) | instskip(SKIP_1) | instid1(VALU_DEP_2)
	v_pk_fma_f32 v[92:93], v[88:89], v[86:87], v[90:91] op_sel_hi:[1,0,1]
	v_pk_fma_f32 v[86:87], v[88:89], v[86:87], v[90:91] neg_lo:[0,0,1] neg_hi:[0,0,1]
	v_mov_b32_e32 v87, v93
	s_delay_alu instid0(VALU_DEP_1)
	v_pk_add_f32 v[82:83], v[82:83], v[86:87]
.LBB102_408:
	s_or_b32 exec_lo, exec_lo, s6
.LBB102_409:
	s_delay_alu instid0(SALU_CYCLE_1) | instskip(SKIP_4) | instid1(VALU_DEP_1)
	s_or_b32 exec_lo, exec_lo, s5
	v_mov_b32_e32 v85, 0
	ds_load_b64 v[86:87], v85 offset:24
	s_wait_dscnt 0x0
	v_pk_mul_f32 v[88:89], v[82:83], v[86:87] op_sel:[1,1] op_sel_hi:[0,1]
	v_pk_fma_f32 v[90:91], v[82:83], v[86:87], v[88:89] op_sel_hi:[1,0,1]
	v_pk_fma_f32 v[82:83], v[82:83], v[86:87], v[88:89] neg_lo:[0,0,1] neg_hi:[0,0,1]
	s_delay_alu instid0(VALU_DEP_2)
	v_mov_b32_e32 v83, v91
	scratch_store_b64 off, v[82:83], off offset:24
.LBB102_410:
	s_wait_xcnt 0x0
	s_or_b32 exec_lo, exec_lo, s4
	scratch_load_b64 v[82:83], off, off offset:32
	s_mov_b32 s0, exec_lo
	s_wait_loadcnt 0x0
	ds_store_b64 v1, v[82:83]
	s_wait_storecnt_dscnt 0x0
	s_barrier_signal -1
	s_barrier_wait -1
	s_wait_xcnt 0x0
	v_cmpx_gt_u32_e32 4, v0
	s_cbranch_execz .LBB102_420
; %bb.411:
	v_cmp_ne_u32_e32 vcc_lo, 1, v84
	s_cbranch_vccnz .LBB102_413
; %bb.412:
	scratch_load_b64 v[82:83], v59, off
	ds_load_b64 v[86:87], v1
	s_wait_loadcnt_dscnt 0x0
	v_pk_mul_f32 v[88:89], v[86:87], v[82:83] op_sel:[1,1] op_sel_hi:[0,1]
	s_delay_alu instid0(VALU_DEP_1) | instskip(SKIP_1) | instid1(VALU_DEP_2)
	v_pk_fma_f32 v[90:91], v[86:87], v[82:83], v[88:89] op_sel_hi:[1,0,1]
	v_pk_fma_f32 v[82:83], v[86:87], v[82:83], v[88:89] neg_lo:[0,0,1] neg_hi:[0,0,1]
	v_mov_b32_e32 v83, v91
	s_cbranch_execz .LBB102_414
	s_branch .LBB102_415
.LBB102_413:
                                        ; implicit-def: $vgpr82_vgpr83
.LBB102_414:
	ds_load_b64 v[82:83], v1
.LBB102_415:
	s_mov_b32 s4, exec_lo
	v_cmpx_ne_u32_e32 3, v0
	s_cbranch_execz .LBB102_419
; %bb.416:
	v_add_nc_u32_e32 v85, 0x148, v58
	v_add3_u32 v86, 0, v58, 8
	v_mov_b32_e32 v87, v0
	s_mov_b32 s5, 0
.LBB102_417:                            ; =>This Inner Loop Header: Depth=1
	scratch_load_b64 v[88:89], v86, off
	ds_load_b64 v[90:91], v85
	s_wait_xcnt 0x0
	v_dual_add_nc_u32 v85, 8, v85 :: v_dual_add_nc_u32 v86, 8, v86
	s_wait_loadcnt_dscnt 0x0
	v_pk_mul_f32 v[92:93], v[90:91], v[88:89] op_sel:[1,1] op_sel_hi:[0,1]
	s_delay_alu instid0(VALU_DEP_1) | instskip(SKIP_2) | instid1(VALU_DEP_3)
	v_pk_fma_f32 v[94:95], v[90:91], v[88:89], v[92:93] op_sel_hi:[1,0,1]
	v_add_nc_u32_e32 v87, 1, v87
	v_pk_fma_f32 v[88:89], v[90:91], v[88:89], v[92:93] neg_lo:[0,0,1] neg_hi:[0,0,1]
	v_mov_b32_e32 v89, v95
	s_delay_alu instid0(VALU_DEP_3) | instskip(NEXT) | instid1(VALU_DEP_2)
	v_cmp_lt_u32_e32 vcc_lo, 2, v87
	v_pk_add_f32 v[82:83], v[82:83], v[88:89]
	s_or_b32 s5, vcc_lo, s5
	s_delay_alu instid0(SALU_CYCLE_1)
	s_and_not1_b32 exec_lo, exec_lo, s5
	s_cbranch_execnz .LBB102_417
; %bb.418:
	s_or_b32 exec_lo, exec_lo, s5
.LBB102_419:
	s_delay_alu instid0(SALU_CYCLE_1) | instskip(SKIP_4) | instid1(VALU_DEP_1)
	s_or_b32 exec_lo, exec_lo, s4
	v_mov_b32_e32 v85, 0
	ds_load_b64 v[86:87], v85 offset:32
	s_wait_dscnt 0x0
	v_pk_mul_f32 v[88:89], v[82:83], v[86:87] op_sel:[1,1] op_sel_hi:[0,1]
	v_pk_fma_f32 v[90:91], v[82:83], v[86:87], v[88:89] op_sel_hi:[1,0,1]
	v_pk_fma_f32 v[82:83], v[82:83], v[86:87], v[88:89] neg_lo:[0,0,1] neg_hi:[0,0,1]
	s_delay_alu instid0(VALU_DEP_2)
	v_mov_b32_e32 v83, v91
	scratch_store_b64 off, v[82:83], off offset:32
.LBB102_420:
	s_wait_xcnt 0x0
	s_or_b32 exec_lo, exec_lo, s0
	scratch_load_b64 v[82:83], off, off offset:40
	s_mov_b32 s0, exec_lo
	s_wait_loadcnt 0x0
	ds_store_b64 v1, v[82:83]
	s_wait_storecnt_dscnt 0x0
	s_barrier_signal -1
	s_barrier_wait -1
	s_wait_xcnt 0x0
	v_cmpx_gt_u32_e32 5, v0
	s_cbranch_execz .LBB102_430
; %bb.421:
	v_cmp_ne_u32_e32 vcc_lo, 1, v84
	s_cbranch_vccnz .LBB102_423
; %bb.422:
	scratch_load_b64 v[82:83], v59, off
	ds_load_b64 v[86:87], v1
	s_wait_loadcnt_dscnt 0x0
	v_pk_mul_f32 v[88:89], v[86:87], v[82:83] op_sel:[1,1] op_sel_hi:[0,1]
	s_delay_alu instid0(VALU_DEP_1) | instskip(SKIP_1) | instid1(VALU_DEP_2)
	v_pk_fma_f32 v[90:91], v[86:87], v[82:83], v[88:89] op_sel_hi:[1,0,1]
	v_pk_fma_f32 v[82:83], v[86:87], v[82:83], v[88:89] neg_lo:[0,0,1] neg_hi:[0,0,1]
	v_mov_b32_e32 v83, v91
	s_cbranch_execz .LBB102_424
	s_branch .LBB102_425
.LBB102_423:
                                        ; implicit-def: $vgpr82_vgpr83
.LBB102_424:
	ds_load_b64 v[82:83], v1
.LBB102_425:
	s_mov_b32 s4, exec_lo
	v_cmpx_ne_u32_e32 4, v0
	s_cbranch_execz .LBB102_429
; %bb.426:
	v_add_nc_u32_e32 v85, 0x148, v58
	v_add3_u32 v86, 0, v58, 8
	v_mov_b32_e32 v87, v0
	s_mov_b32 s5, 0
.LBB102_427:                            ; =>This Inner Loop Header: Depth=1
	scratch_load_b64 v[88:89], v86, off
	ds_load_b64 v[90:91], v85
	s_wait_xcnt 0x0
	v_dual_add_nc_u32 v85, 8, v85 :: v_dual_add_nc_u32 v86, 8, v86
	s_wait_loadcnt_dscnt 0x0
	v_pk_mul_f32 v[92:93], v[90:91], v[88:89] op_sel:[1,1] op_sel_hi:[0,1]
	s_delay_alu instid0(VALU_DEP_1) | instskip(SKIP_2) | instid1(VALU_DEP_3)
	v_pk_fma_f32 v[94:95], v[90:91], v[88:89], v[92:93] op_sel_hi:[1,0,1]
	v_add_nc_u32_e32 v87, 1, v87
	v_pk_fma_f32 v[88:89], v[90:91], v[88:89], v[92:93] neg_lo:[0,0,1] neg_hi:[0,0,1]
	v_mov_b32_e32 v89, v95
	s_delay_alu instid0(VALU_DEP_3) | instskip(NEXT) | instid1(VALU_DEP_2)
	v_cmp_lt_u32_e32 vcc_lo, 3, v87
	v_pk_add_f32 v[82:83], v[82:83], v[88:89]
	s_or_b32 s5, vcc_lo, s5
	s_delay_alu instid0(SALU_CYCLE_1)
	s_and_not1_b32 exec_lo, exec_lo, s5
	s_cbranch_execnz .LBB102_427
; %bb.428:
	s_or_b32 exec_lo, exec_lo, s5
.LBB102_429:
	s_delay_alu instid0(SALU_CYCLE_1) | instskip(SKIP_4) | instid1(VALU_DEP_1)
	s_or_b32 exec_lo, exec_lo, s4
	v_mov_b32_e32 v85, 0
	ds_load_b64 v[86:87], v85 offset:40
	s_wait_dscnt 0x0
	v_pk_mul_f32 v[88:89], v[82:83], v[86:87] op_sel:[1,1] op_sel_hi:[0,1]
	v_pk_fma_f32 v[90:91], v[82:83], v[86:87], v[88:89] op_sel_hi:[1,0,1]
	v_pk_fma_f32 v[82:83], v[82:83], v[86:87], v[88:89] neg_lo:[0,0,1] neg_hi:[0,0,1]
	s_delay_alu instid0(VALU_DEP_2)
	v_mov_b32_e32 v83, v91
	scratch_store_b64 off, v[82:83], off offset:40
.LBB102_430:
	s_wait_xcnt 0x0
	s_or_b32 exec_lo, exec_lo, s0
	scratch_load_b64 v[82:83], off, off offset:48
	s_mov_b32 s0, exec_lo
	s_wait_loadcnt 0x0
	ds_store_b64 v1, v[82:83]
	s_wait_storecnt_dscnt 0x0
	s_barrier_signal -1
	s_barrier_wait -1
	s_wait_xcnt 0x0
	v_cmpx_gt_u32_e32 6, v0
	s_cbranch_execz .LBB102_440
; %bb.431:
	v_cmp_ne_u32_e32 vcc_lo, 1, v84
	s_cbranch_vccnz .LBB102_433
; %bb.432:
	scratch_load_b64 v[82:83], v59, off
	ds_load_b64 v[86:87], v1
	s_wait_loadcnt_dscnt 0x0
	v_pk_mul_f32 v[88:89], v[86:87], v[82:83] op_sel:[1,1] op_sel_hi:[0,1]
	s_delay_alu instid0(VALU_DEP_1) | instskip(SKIP_1) | instid1(VALU_DEP_2)
	v_pk_fma_f32 v[90:91], v[86:87], v[82:83], v[88:89] op_sel_hi:[1,0,1]
	v_pk_fma_f32 v[82:83], v[86:87], v[82:83], v[88:89] neg_lo:[0,0,1] neg_hi:[0,0,1]
	v_mov_b32_e32 v83, v91
	s_cbranch_execz .LBB102_434
	s_branch .LBB102_435
.LBB102_433:
                                        ; implicit-def: $vgpr82_vgpr83
.LBB102_434:
	ds_load_b64 v[82:83], v1
.LBB102_435:
	s_mov_b32 s4, exec_lo
	v_cmpx_ne_u32_e32 5, v0
	s_cbranch_execz .LBB102_439
; %bb.436:
	v_add_nc_u32_e32 v85, 0x148, v58
	v_add3_u32 v86, 0, v58, 8
	v_mov_b32_e32 v87, v0
	s_mov_b32 s5, 0
.LBB102_437:                            ; =>This Inner Loop Header: Depth=1
	scratch_load_b64 v[88:89], v86, off
	ds_load_b64 v[90:91], v85
	s_wait_xcnt 0x0
	v_dual_add_nc_u32 v85, 8, v85 :: v_dual_add_nc_u32 v86, 8, v86
	s_wait_loadcnt_dscnt 0x0
	v_pk_mul_f32 v[92:93], v[90:91], v[88:89] op_sel:[1,1] op_sel_hi:[0,1]
	s_delay_alu instid0(VALU_DEP_1) | instskip(SKIP_2) | instid1(VALU_DEP_3)
	v_pk_fma_f32 v[94:95], v[90:91], v[88:89], v[92:93] op_sel_hi:[1,0,1]
	v_add_nc_u32_e32 v87, 1, v87
	v_pk_fma_f32 v[88:89], v[90:91], v[88:89], v[92:93] neg_lo:[0,0,1] neg_hi:[0,0,1]
	v_mov_b32_e32 v89, v95
	s_delay_alu instid0(VALU_DEP_3) | instskip(NEXT) | instid1(VALU_DEP_2)
	v_cmp_lt_u32_e32 vcc_lo, 4, v87
	v_pk_add_f32 v[82:83], v[82:83], v[88:89]
	s_or_b32 s5, vcc_lo, s5
	s_delay_alu instid0(SALU_CYCLE_1)
	s_and_not1_b32 exec_lo, exec_lo, s5
	s_cbranch_execnz .LBB102_437
; %bb.438:
	s_or_b32 exec_lo, exec_lo, s5
.LBB102_439:
	s_delay_alu instid0(SALU_CYCLE_1) | instskip(SKIP_4) | instid1(VALU_DEP_1)
	s_or_b32 exec_lo, exec_lo, s4
	v_mov_b32_e32 v85, 0
	ds_load_b64 v[86:87], v85 offset:48
	s_wait_dscnt 0x0
	v_pk_mul_f32 v[88:89], v[82:83], v[86:87] op_sel:[1,1] op_sel_hi:[0,1]
	v_pk_fma_f32 v[90:91], v[82:83], v[86:87], v[88:89] op_sel_hi:[1,0,1]
	v_pk_fma_f32 v[82:83], v[82:83], v[86:87], v[88:89] neg_lo:[0,0,1] neg_hi:[0,0,1]
	s_delay_alu instid0(VALU_DEP_2)
	v_mov_b32_e32 v83, v91
	scratch_store_b64 off, v[82:83], off offset:48
.LBB102_440:
	s_wait_xcnt 0x0
	s_or_b32 exec_lo, exec_lo, s0
	scratch_load_b64 v[82:83], off, off offset:56
	s_mov_b32 s0, exec_lo
	s_wait_loadcnt 0x0
	ds_store_b64 v1, v[82:83]
	s_wait_storecnt_dscnt 0x0
	s_barrier_signal -1
	s_barrier_wait -1
	s_wait_xcnt 0x0
	v_cmpx_gt_u32_e32 7, v0
	s_cbranch_execz .LBB102_450
; %bb.441:
	v_cmp_ne_u32_e32 vcc_lo, 1, v84
	s_cbranch_vccnz .LBB102_443
; %bb.442:
	scratch_load_b64 v[82:83], v59, off
	ds_load_b64 v[86:87], v1
	s_wait_loadcnt_dscnt 0x0
	v_pk_mul_f32 v[88:89], v[86:87], v[82:83] op_sel:[1,1] op_sel_hi:[0,1]
	s_delay_alu instid0(VALU_DEP_1) | instskip(SKIP_1) | instid1(VALU_DEP_2)
	v_pk_fma_f32 v[90:91], v[86:87], v[82:83], v[88:89] op_sel_hi:[1,0,1]
	v_pk_fma_f32 v[82:83], v[86:87], v[82:83], v[88:89] neg_lo:[0,0,1] neg_hi:[0,0,1]
	v_mov_b32_e32 v83, v91
	s_cbranch_execz .LBB102_444
	s_branch .LBB102_445
.LBB102_443:
                                        ; implicit-def: $vgpr82_vgpr83
.LBB102_444:
	ds_load_b64 v[82:83], v1
.LBB102_445:
	s_mov_b32 s4, exec_lo
	v_cmpx_ne_u32_e32 6, v0
	s_cbranch_execz .LBB102_449
; %bb.446:
	v_add_nc_u32_e32 v85, 0x148, v58
	v_add3_u32 v86, 0, v58, 8
	v_mov_b32_e32 v87, v0
	s_mov_b32 s5, 0
.LBB102_447:                            ; =>This Inner Loop Header: Depth=1
	scratch_load_b64 v[88:89], v86, off
	ds_load_b64 v[90:91], v85
	s_wait_xcnt 0x0
	v_dual_add_nc_u32 v85, 8, v85 :: v_dual_add_nc_u32 v86, 8, v86
	s_wait_loadcnt_dscnt 0x0
	v_pk_mul_f32 v[92:93], v[90:91], v[88:89] op_sel:[1,1] op_sel_hi:[0,1]
	s_delay_alu instid0(VALU_DEP_1) | instskip(SKIP_2) | instid1(VALU_DEP_3)
	v_pk_fma_f32 v[94:95], v[90:91], v[88:89], v[92:93] op_sel_hi:[1,0,1]
	v_add_nc_u32_e32 v87, 1, v87
	v_pk_fma_f32 v[88:89], v[90:91], v[88:89], v[92:93] neg_lo:[0,0,1] neg_hi:[0,0,1]
	v_mov_b32_e32 v89, v95
	s_delay_alu instid0(VALU_DEP_3) | instskip(NEXT) | instid1(VALU_DEP_2)
	v_cmp_lt_u32_e32 vcc_lo, 5, v87
	v_pk_add_f32 v[82:83], v[82:83], v[88:89]
	s_or_b32 s5, vcc_lo, s5
	s_delay_alu instid0(SALU_CYCLE_1)
	s_and_not1_b32 exec_lo, exec_lo, s5
	s_cbranch_execnz .LBB102_447
; %bb.448:
	s_or_b32 exec_lo, exec_lo, s5
.LBB102_449:
	s_delay_alu instid0(SALU_CYCLE_1) | instskip(SKIP_4) | instid1(VALU_DEP_1)
	s_or_b32 exec_lo, exec_lo, s4
	v_mov_b32_e32 v85, 0
	ds_load_b64 v[86:87], v85 offset:56
	s_wait_dscnt 0x0
	v_pk_mul_f32 v[88:89], v[82:83], v[86:87] op_sel:[1,1] op_sel_hi:[0,1]
	v_pk_fma_f32 v[90:91], v[82:83], v[86:87], v[88:89] op_sel_hi:[1,0,1]
	v_pk_fma_f32 v[82:83], v[82:83], v[86:87], v[88:89] neg_lo:[0,0,1] neg_hi:[0,0,1]
	s_delay_alu instid0(VALU_DEP_2)
	v_mov_b32_e32 v83, v91
	scratch_store_b64 off, v[82:83], off offset:56
.LBB102_450:
	s_wait_xcnt 0x0
	s_or_b32 exec_lo, exec_lo, s0
	scratch_load_b64 v[82:83], off, off offset:64
	s_mov_b32 s0, exec_lo
	s_wait_loadcnt 0x0
	ds_store_b64 v1, v[82:83]
	s_wait_storecnt_dscnt 0x0
	s_barrier_signal -1
	s_barrier_wait -1
	s_wait_xcnt 0x0
	v_cmpx_gt_u32_e32 8, v0
	s_cbranch_execz .LBB102_460
; %bb.451:
	v_cmp_ne_u32_e32 vcc_lo, 1, v84
	s_cbranch_vccnz .LBB102_453
; %bb.452:
	scratch_load_b64 v[82:83], v59, off
	ds_load_b64 v[86:87], v1
	s_wait_loadcnt_dscnt 0x0
	v_pk_mul_f32 v[88:89], v[86:87], v[82:83] op_sel:[1,1] op_sel_hi:[0,1]
	s_delay_alu instid0(VALU_DEP_1) | instskip(SKIP_1) | instid1(VALU_DEP_2)
	v_pk_fma_f32 v[90:91], v[86:87], v[82:83], v[88:89] op_sel_hi:[1,0,1]
	v_pk_fma_f32 v[82:83], v[86:87], v[82:83], v[88:89] neg_lo:[0,0,1] neg_hi:[0,0,1]
	v_mov_b32_e32 v83, v91
	s_cbranch_execz .LBB102_454
	s_branch .LBB102_455
.LBB102_453:
                                        ; implicit-def: $vgpr82_vgpr83
.LBB102_454:
	ds_load_b64 v[82:83], v1
.LBB102_455:
	s_mov_b32 s4, exec_lo
	v_cmpx_ne_u32_e32 7, v0
	s_cbranch_execz .LBB102_459
; %bb.456:
	v_add_nc_u32_e32 v85, 0x148, v58
	v_add3_u32 v86, 0, v58, 8
	v_mov_b32_e32 v87, v0
	s_mov_b32 s5, 0
.LBB102_457:                            ; =>This Inner Loop Header: Depth=1
	scratch_load_b64 v[88:89], v86, off
	ds_load_b64 v[90:91], v85
	s_wait_xcnt 0x0
	v_dual_add_nc_u32 v85, 8, v85 :: v_dual_add_nc_u32 v86, 8, v86
	s_wait_loadcnt_dscnt 0x0
	v_pk_mul_f32 v[92:93], v[90:91], v[88:89] op_sel:[1,1] op_sel_hi:[0,1]
	s_delay_alu instid0(VALU_DEP_1) | instskip(SKIP_2) | instid1(VALU_DEP_3)
	v_pk_fma_f32 v[94:95], v[90:91], v[88:89], v[92:93] op_sel_hi:[1,0,1]
	v_add_nc_u32_e32 v87, 1, v87
	v_pk_fma_f32 v[88:89], v[90:91], v[88:89], v[92:93] neg_lo:[0,0,1] neg_hi:[0,0,1]
	v_mov_b32_e32 v89, v95
	s_delay_alu instid0(VALU_DEP_3) | instskip(NEXT) | instid1(VALU_DEP_2)
	v_cmp_lt_u32_e32 vcc_lo, 6, v87
	v_pk_add_f32 v[82:83], v[82:83], v[88:89]
	s_or_b32 s5, vcc_lo, s5
	s_delay_alu instid0(SALU_CYCLE_1)
	s_and_not1_b32 exec_lo, exec_lo, s5
	s_cbranch_execnz .LBB102_457
; %bb.458:
	s_or_b32 exec_lo, exec_lo, s5
.LBB102_459:
	s_delay_alu instid0(SALU_CYCLE_1) | instskip(SKIP_4) | instid1(VALU_DEP_1)
	s_or_b32 exec_lo, exec_lo, s4
	v_mov_b32_e32 v85, 0
	ds_load_b64 v[86:87], v85 offset:64
	s_wait_dscnt 0x0
	v_pk_mul_f32 v[88:89], v[82:83], v[86:87] op_sel:[1,1] op_sel_hi:[0,1]
	v_pk_fma_f32 v[90:91], v[82:83], v[86:87], v[88:89] op_sel_hi:[1,0,1]
	v_pk_fma_f32 v[82:83], v[82:83], v[86:87], v[88:89] neg_lo:[0,0,1] neg_hi:[0,0,1]
	s_delay_alu instid0(VALU_DEP_2)
	v_mov_b32_e32 v83, v91
	scratch_store_b64 off, v[82:83], off offset:64
.LBB102_460:
	s_wait_xcnt 0x0
	s_or_b32 exec_lo, exec_lo, s0
	scratch_load_b64 v[82:83], off, off offset:72
	s_mov_b32 s0, exec_lo
	s_wait_loadcnt 0x0
	ds_store_b64 v1, v[82:83]
	s_wait_storecnt_dscnt 0x0
	s_barrier_signal -1
	s_barrier_wait -1
	s_wait_xcnt 0x0
	v_cmpx_gt_u32_e32 9, v0
	s_cbranch_execz .LBB102_470
; %bb.461:
	v_cmp_ne_u32_e32 vcc_lo, 1, v84
	s_cbranch_vccnz .LBB102_463
; %bb.462:
	scratch_load_b64 v[82:83], v59, off
	ds_load_b64 v[86:87], v1
	s_wait_loadcnt_dscnt 0x0
	v_pk_mul_f32 v[88:89], v[86:87], v[82:83] op_sel:[1,1] op_sel_hi:[0,1]
	s_delay_alu instid0(VALU_DEP_1) | instskip(SKIP_1) | instid1(VALU_DEP_2)
	v_pk_fma_f32 v[90:91], v[86:87], v[82:83], v[88:89] op_sel_hi:[1,0,1]
	v_pk_fma_f32 v[82:83], v[86:87], v[82:83], v[88:89] neg_lo:[0,0,1] neg_hi:[0,0,1]
	v_mov_b32_e32 v83, v91
	s_cbranch_execz .LBB102_464
	s_branch .LBB102_465
.LBB102_463:
                                        ; implicit-def: $vgpr82_vgpr83
.LBB102_464:
	ds_load_b64 v[82:83], v1
.LBB102_465:
	s_mov_b32 s4, exec_lo
	v_cmpx_ne_u32_e32 8, v0
	s_cbranch_execz .LBB102_469
; %bb.466:
	v_add_nc_u32_e32 v85, 0x148, v58
	v_add3_u32 v86, 0, v58, 8
	v_mov_b32_e32 v87, v0
	s_mov_b32 s5, 0
.LBB102_467:                            ; =>This Inner Loop Header: Depth=1
	scratch_load_b64 v[88:89], v86, off
	ds_load_b64 v[90:91], v85
	s_wait_xcnt 0x0
	v_dual_add_nc_u32 v85, 8, v85 :: v_dual_add_nc_u32 v86, 8, v86
	s_wait_loadcnt_dscnt 0x0
	v_pk_mul_f32 v[92:93], v[90:91], v[88:89] op_sel:[1,1] op_sel_hi:[0,1]
	s_delay_alu instid0(VALU_DEP_1) | instskip(SKIP_2) | instid1(VALU_DEP_3)
	v_pk_fma_f32 v[94:95], v[90:91], v[88:89], v[92:93] op_sel_hi:[1,0,1]
	v_add_nc_u32_e32 v87, 1, v87
	v_pk_fma_f32 v[88:89], v[90:91], v[88:89], v[92:93] neg_lo:[0,0,1] neg_hi:[0,0,1]
	v_mov_b32_e32 v89, v95
	s_delay_alu instid0(VALU_DEP_3) | instskip(NEXT) | instid1(VALU_DEP_2)
	v_cmp_lt_u32_e32 vcc_lo, 7, v87
	v_pk_add_f32 v[82:83], v[82:83], v[88:89]
	s_or_b32 s5, vcc_lo, s5
	s_delay_alu instid0(SALU_CYCLE_1)
	s_and_not1_b32 exec_lo, exec_lo, s5
	s_cbranch_execnz .LBB102_467
; %bb.468:
	s_or_b32 exec_lo, exec_lo, s5
.LBB102_469:
	s_delay_alu instid0(SALU_CYCLE_1) | instskip(SKIP_4) | instid1(VALU_DEP_1)
	s_or_b32 exec_lo, exec_lo, s4
	v_mov_b32_e32 v85, 0
	ds_load_b64 v[86:87], v85 offset:72
	s_wait_dscnt 0x0
	v_pk_mul_f32 v[88:89], v[82:83], v[86:87] op_sel:[1,1] op_sel_hi:[0,1]
	v_pk_fma_f32 v[90:91], v[82:83], v[86:87], v[88:89] op_sel_hi:[1,0,1]
	v_pk_fma_f32 v[82:83], v[82:83], v[86:87], v[88:89] neg_lo:[0,0,1] neg_hi:[0,0,1]
	s_delay_alu instid0(VALU_DEP_2)
	v_mov_b32_e32 v83, v91
	scratch_store_b64 off, v[82:83], off offset:72
.LBB102_470:
	s_wait_xcnt 0x0
	s_or_b32 exec_lo, exec_lo, s0
	scratch_load_b64 v[82:83], off, off offset:80
	s_mov_b32 s0, exec_lo
	s_wait_loadcnt 0x0
	ds_store_b64 v1, v[82:83]
	s_wait_storecnt_dscnt 0x0
	s_barrier_signal -1
	s_barrier_wait -1
	s_wait_xcnt 0x0
	v_cmpx_gt_u32_e32 10, v0
	s_cbranch_execz .LBB102_480
; %bb.471:
	v_cmp_ne_u32_e32 vcc_lo, 1, v84
	s_cbranch_vccnz .LBB102_473
; %bb.472:
	scratch_load_b64 v[82:83], v59, off
	ds_load_b64 v[86:87], v1
	s_wait_loadcnt_dscnt 0x0
	v_pk_mul_f32 v[88:89], v[86:87], v[82:83] op_sel:[1,1] op_sel_hi:[0,1]
	s_delay_alu instid0(VALU_DEP_1) | instskip(SKIP_1) | instid1(VALU_DEP_2)
	v_pk_fma_f32 v[90:91], v[86:87], v[82:83], v[88:89] op_sel_hi:[1,0,1]
	v_pk_fma_f32 v[82:83], v[86:87], v[82:83], v[88:89] neg_lo:[0,0,1] neg_hi:[0,0,1]
	v_mov_b32_e32 v83, v91
	s_cbranch_execz .LBB102_474
	s_branch .LBB102_475
.LBB102_473:
                                        ; implicit-def: $vgpr82_vgpr83
.LBB102_474:
	ds_load_b64 v[82:83], v1
.LBB102_475:
	s_mov_b32 s4, exec_lo
	v_cmpx_ne_u32_e32 9, v0
	s_cbranch_execz .LBB102_479
; %bb.476:
	v_add_nc_u32_e32 v85, 0x148, v58
	v_add3_u32 v86, 0, v58, 8
	v_mov_b32_e32 v87, v0
	s_mov_b32 s5, 0
.LBB102_477:                            ; =>This Inner Loop Header: Depth=1
	scratch_load_b64 v[88:89], v86, off
	ds_load_b64 v[90:91], v85
	s_wait_xcnt 0x0
	v_dual_add_nc_u32 v85, 8, v85 :: v_dual_add_nc_u32 v86, 8, v86
	s_wait_loadcnt_dscnt 0x0
	v_pk_mul_f32 v[92:93], v[90:91], v[88:89] op_sel:[1,1] op_sel_hi:[0,1]
	s_delay_alu instid0(VALU_DEP_1) | instskip(SKIP_2) | instid1(VALU_DEP_3)
	v_pk_fma_f32 v[94:95], v[90:91], v[88:89], v[92:93] op_sel_hi:[1,0,1]
	v_add_nc_u32_e32 v87, 1, v87
	v_pk_fma_f32 v[88:89], v[90:91], v[88:89], v[92:93] neg_lo:[0,0,1] neg_hi:[0,0,1]
	v_mov_b32_e32 v89, v95
	s_delay_alu instid0(VALU_DEP_3) | instskip(NEXT) | instid1(VALU_DEP_2)
	v_cmp_lt_u32_e32 vcc_lo, 8, v87
	v_pk_add_f32 v[82:83], v[82:83], v[88:89]
	s_or_b32 s5, vcc_lo, s5
	s_delay_alu instid0(SALU_CYCLE_1)
	s_and_not1_b32 exec_lo, exec_lo, s5
	s_cbranch_execnz .LBB102_477
; %bb.478:
	s_or_b32 exec_lo, exec_lo, s5
.LBB102_479:
	s_delay_alu instid0(SALU_CYCLE_1) | instskip(SKIP_4) | instid1(VALU_DEP_1)
	s_or_b32 exec_lo, exec_lo, s4
	v_mov_b32_e32 v85, 0
	ds_load_b64 v[86:87], v85 offset:80
	s_wait_dscnt 0x0
	v_pk_mul_f32 v[88:89], v[82:83], v[86:87] op_sel:[1,1] op_sel_hi:[0,1]
	v_pk_fma_f32 v[90:91], v[82:83], v[86:87], v[88:89] op_sel_hi:[1,0,1]
	v_pk_fma_f32 v[82:83], v[82:83], v[86:87], v[88:89] neg_lo:[0,0,1] neg_hi:[0,0,1]
	s_delay_alu instid0(VALU_DEP_2)
	v_mov_b32_e32 v83, v91
	scratch_store_b64 off, v[82:83], off offset:80
.LBB102_480:
	s_wait_xcnt 0x0
	s_or_b32 exec_lo, exec_lo, s0
	scratch_load_b64 v[82:83], off, off offset:88
	s_mov_b32 s0, exec_lo
	s_wait_loadcnt 0x0
	ds_store_b64 v1, v[82:83]
	s_wait_storecnt_dscnt 0x0
	s_barrier_signal -1
	s_barrier_wait -1
	s_wait_xcnt 0x0
	v_cmpx_gt_u32_e32 11, v0
	s_cbranch_execz .LBB102_490
; %bb.481:
	v_cmp_ne_u32_e32 vcc_lo, 1, v84
	s_cbranch_vccnz .LBB102_483
; %bb.482:
	scratch_load_b64 v[82:83], v59, off
	ds_load_b64 v[86:87], v1
	s_wait_loadcnt_dscnt 0x0
	v_pk_mul_f32 v[88:89], v[86:87], v[82:83] op_sel:[1,1] op_sel_hi:[0,1]
	s_delay_alu instid0(VALU_DEP_1) | instskip(SKIP_1) | instid1(VALU_DEP_2)
	v_pk_fma_f32 v[90:91], v[86:87], v[82:83], v[88:89] op_sel_hi:[1,0,1]
	v_pk_fma_f32 v[82:83], v[86:87], v[82:83], v[88:89] neg_lo:[0,0,1] neg_hi:[0,0,1]
	v_mov_b32_e32 v83, v91
	s_cbranch_execz .LBB102_484
	s_branch .LBB102_485
.LBB102_483:
                                        ; implicit-def: $vgpr82_vgpr83
.LBB102_484:
	ds_load_b64 v[82:83], v1
.LBB102_485:
	s_mov_b32 s4, exec_lo
	v_cmpx_ne_u32_e32 10, v0
	s_cbranch_execz .LBB102_489
; %bb.486:
	v_add_nc_u32_e32 v85, 0x148, v58
	v_add3_u32 v86, 0, v58, 8
	v_mov_b32_e32 v87, v0
	s_mov_b32 s5, 0
.LBB102_487:                            ; =>This Inner Loop Header: Depth=1
	scratch_load_b64 v[88:89], v86, off
	ds_load_b64 v[90:91], v85
	s_wait_xcnt 0x0
	v_dual_add_nc_u32 v85, 8, v85 :: v_dual_add_nc_u32 v86, 8, v86
	s_wait_loadcnt_dscnt 0x0
	v_pk_mul_f32 v[92:93], v[90:91], v[88:89] op_sel:[1,1] op_sel_hi:[0,1]
	s_delay_alu instid0(VALU_DEP_1) | instskip(SKIP_2) | instid1(VALU_DEP_3)
	v_pk_fma_f32 v[94:95], v[90:91], v[88:89], v[92:93] op_sel_hi:[1,0,1]
	v_add_nc_u32_e32 v87, 1, v87
	v_pk_fma_f32 v[88:89], v[90:91], v[88:89], v[92:93] neg_lo:[0,0,1] neg_hi:[0,0,1]
	v_mov_b32_e32 v89, v95
	s_delay_alu instid0(VALU_DEP_3) | instskip(NEXT) | instid1(VALU_DEP_2)
	v_cmp_lt_u32_e32 vcc_lo, 9, v87
	v_pk_add_f32 v[82:83], v[82:83], v[88:89]
	s_or_b32 s5, vcc_lo, s5
	s_delay_alu instid0(SALU_CYCLE_1)
	s_and_not1_b32 exec_lo, exec_lo, s5
	s_cbranch_execnz .LBB102_487
; %bb.488:
	s_or_b32 exec_lo, exec_lo, s5
.LBB102_489:
	s_delay_alu instid0(SALU_CYCLE_1) | instskip(SKIP_4) | instid1(VALU_DEP_1)
	s_or_b32 exec_lo, exec_lo, s4
	v_mov_b32_e32 v85, 0
	ds_load_b64 v[86:87], v85 offset:88
	s_wait_dscnt 0x0
	v_pk_mul_f32 v[88:89], v[82:83], v[86:87] op_sel:[1,1] op_sel_hi:[0,1]
	v_pk_fma_f32 v[90:91], v[82:83], v[86:87], v[88:89] op_sel_hi:[1,0,1]
	v_pk_fma_f32 v[82:83], v[82:83], v[86:87], v[88:89] neg_lo:[0,0,1] neg_hi:[0,0,1]
	s_delay_alu instid0(VALU_DEP_2)
	v_mov_b32_e32 v83, v91
	scratch_store_b64 off, v[82:83], off offset:88
.LBB102_490:
	s_wait_xcnt 0x0
	s_or_b32 exec_lo, exec_lo, s0
	scratch_load_b64 v[82:83], off, off offset:96
	s_mov_b32 s0, exec_lo
	s_wait_loadcnt 0x0
	ds_store_b64 v1, v[82:83]
	s_wait_storecnt_dscnt 0x0
	s_barrier_signal -1
	s_barrier_wait -1
	s_wait_xcnt 0x0
	v_cmpx_gt_u32_e32 12, v0
	s_cbranch_execz .LBB102_500
; %bb.491:
	v_cmp_ne_u32_e32 vcc_lo, 1, v84
	s_cbranch_vccnz .LBB102_493
; %bb.492:
	scratch_load_b64 v[82:83], v59, off
	ds_load_b64 v[86:87], v1
	s_wait_loadcnt_dscnt 0x0
	v_pk_mul_f32 v[88:89], v[86:87], v[82:83] op_sel:[1,1] op_sel_hi:[0,1]
	s_delay_alu instid0(VALU_DEP_1) | instskip(SKIP_1) | instid1(VALU_DEP_2)
	v_pk_fma_f32 v[90:91], v[86:87], v[82:83], v[88:89] op_sel_hi:[1,0,1]
	v_pk_fma_f32 v[82:83], v[86:87], v[82:83], v[88:89] neg_lo:[0,0,1] neg_hi:[0,0,1]
	v_mov_b32_e32 v83, v91
	s_cbranch_execz .LBB102_494
	s_branch .LBB102_495
.LBB102_493:
                                        ; implicit-def: $vgpr82_vgpr83
.LBB102_494:
	ds_load_b64 v[82:83], v1
.LBB102_495:
	s_mov_b32 s4, exec_lo
	v_cmpx_ne_u32_e32 11, v0
	s_cbranch_execz .LBB102_499
; %bb.496:
	v_add_nc_u32_e32 v85, 0x148, v58
	v_add3_u32 v86, 0, v58, 8
	v_mov_b32_e32 v87, v0
	s_mov_b32 s5, 0
.LBB102_497:                            ; =>This Inner Loop Header: Depth=1
	scratch_load_b64 v[88:89], v86, off
	ds_load_b64 v[90:91], v85
	s_wait_xcnt 0x0
	v_dual_add_nc_u32 v85, 8, v85 :: v_dual_add_nc_u32 v86, 8, v86
	s_wait_loadcnt_dscnt 0x0
	v_pk_mul_f32 v[92:93], v[90:91], v[88:89] op_sel:[1,1] op_sel_hi:[0,1]
	s_delay_alu instid0(VALU_DEP_1) | instskip(SKIP_2) | instid1(VALU_DEP_3)
	v_pk_fma_f32 v[94:95], v[90:91], v[88:89], v[92:93] op_sel_hi:[1,0,1]
	v_add_nc_u32_e32 v87, 1, v87
	v_pk_fma_f32 v[88:89], v[90:91], v[88:89], v[92:93] neg_lo:[0,0,1] neg_hi:[0,0,1]
	v_mov_b32_e32 v89, v95
	s_delay_alu instid0(VALU_DEP_3) | instskip(NEXT) | instid1(VALU_DEP_2)
	v_cmp_lt_u32_e32 vcc_lo, 10, v87
	v_pk_add_f32 v[82:83], v[82:83], v[88:89]
	s_or_b32 s5, vcc_lo, s5
	s_delay_alu instid0(SALU_CYCLE_1)
	s_and_not1_b32 exec_lo, exec_lo, s5
	s_cbranch_execnz .LBB102_497
; %bb.498:
	s_or_b32 exec_lo, exec_lo, s5
.LBB102_499:
	s_delay_alu instid0(SALU_CYCLE_1) | instskip(SKIP_4) | instid1(VALU_DEP_1)
	s_or_b32 exec_lo, exec_lo, s4
	v_mov_b32_e32 v85, 0
	ds_load_b64 v[86:87], v85 offset:96
	s_wait_dscnt 0x0
	v_pk_mul_f32 v[88:89], v[82:83], v[86:87] op_sel:[1,1] op_sel_hi:[0,1]
	v_pk_fma_f32 v[90:91], v[82:83], v[86:87], v[88:89] op_sel_hi:[1,0,1]
	v_pk_fma_f32 v[82:83], v[82:83], v[86:87], v[88:89] neg_lo:[0,0,1] neg_hi:[0,0,1]
	s_delay_alu instid0(VALU_DEP_2)
	v_mov_b32_e32 v83, v91
	scratch_store_b64 off, v[82:83], off offset:96
.LBB102_500:
	s_wait_xcnt 0x0
	s_or_b32 exec_lo, exec_lo, s0
	scratch_load_b64 v[82:83], off, off offset:104
	s_mov_b32 s0, exec_lo
	s_wait_loadcnt 0x0
	ds_store_b64 v1, v[82:83]
	s_wait_storecnt_dscnt 0x0
	s_barrier_signal -1
	s_barrier_wait -1
	s_wait_xcnt 0x0
	v_cmpx_gt_u32_e32 13, v0
	s_cbranch_execz .LBB102_510
; %bb.501:
	v_cmp_ne_u32_e32 vcc_lo, 1, v84
	s_cbranch_vccnz .LBB102_503
; %bb.502:
	scratch_load_b64 v[82:83], v59, off
	ds_load_b64 v[86:87], v1
	s_wait_loadcnt_dscnt 0x0
	v_pk_mul_f32 v[88:89], v[86:87], v[82:83] op_sel:[1,1] op_sel_hi:[0,1]
	s_delay_alu instid0(VALU_DEP_1) | instskip(SKIP_1) | instid1(VALU_DEP_2)
	v_pk_fma_f32 v[90:91], v[86:87], v[82:83], v[88:89] op_sel_hi:[1,0,1]
	v_pk_fma_f32 v[82:83], v[86:87], v[82:83], v[88:89] neg_lo:[0,0,1] neg_hi:[0,0,1]
	v_mov_b32_e32 v83, v91
	s_cbranch_execz .LBB102_504
	s_branch .LBB102_505
.LBB102_503:
                                        ; implicit-def: $vgpr82_vgpr83
.LBB102_504:
	ds_load_b64 v[82:83], v1
.LBB102_505:
	s_mov_b32 s4, exec_lo
	v_cmpx_ne_u32_e32 12, v0
	s_cbranch_execz .LBB102_509
; %bb.506:
	v_add_nc_u32_e32 v85, 0x148, v58
	v_add3_u32 v86, 0, v58, 8
	v_mov_b32_e32 v87, v0
	s_mov_b32 s5, 0
.LBB102_507:                            ; =>This Inner Loop Header: Depth=1
	scratch_load_b64 v[88:89], v86, off
	ds_load_b64 v[90:91], v85
	s_wait_xcnt 0x0
	v_dual_add_nc_u32 v85, 8, v85 :: v_dual_add_nc_u32 v86, 8, v86
	s_wait_loadcnt_dscnt 0x0
	v_pk_mul_f32 v[92:93], v[90:91], v[88:89] op_sel:[1,1] op_sel_hi:[0,1]
	s_delay_alu instid0(VALU_DEP_1) | instskip(SKIP_2) | instid1(VALU_DEP_3)
	v_pk_fma_f32 v[94:95], v[90:91], v[88:89], v[92:93] op_sel_hi:[1,0,1]
	v_add_nc_u32_e32 v87, 1, v87
	v_pk_fma_f32 v[88:89], v[90:91], v[88:89], v[92:93] neg_lo:[0,0,1] neg_hi:[0,0,1]
	v_mov_b32_e32 v89, v95
	s_delay_alu instid0(VALU_DEP_3) | instskip(NEXT) | instid1(VALU_DEP_2)
	v_cmp_lt_u32_e32 vcc_lo, 11, v87
	v_pk_add_f32 v[82:83], v[82:83], v[88:89]
	s_or_b32 s5, vcc_lo, s5
	s_delay_alu instid0(SALU_CYCLE_1)
	s_and_not1_b32 exec_lo, exec_lo, s5
	s_cbranch_execnz .LBB102_507
; %bb.508:
	s_or_b32 exec_lo, exec_lo, s5
.LBB102_509:
	s_delay_alu instid0(SALU_CYCLE_1) | instskip(SKIP_4) | instid1(VALU_DEP_1)
	s_or_b32 exec_lo, exec_lo, s4
	v_mov_b32_e32 v85, 0
	ds_load_b64 v[86:87], v85 offset:104
	s_wait_dscnt 0x0
	v_pk_mul_f32 v[88:89], v[82:83], v[86:87] op_sel:[1,1] op_sel_hi:[0,1]
	v_pk_fma_f32 v[90:91], v[82:83], v[86:87], v[88:89] op_sel_hi:[1,0,1]
	v_pk_fma_f32 v[82:83], v[82:83], v[86:87], v[88:89] neg_lo:[0,0,1] neg_hi:[0,0,1]
	s_delay_alu instid0(VALU_DEP_2)
	v_mov_b32_e32 v83, v91
	scratch_store_b64 off, v[82:83], off offset:104
.LBB102_510:
	s_wait_xcnt 0x0
	s_or_b32 exec_lo, exec_lo, s0
	scratch_load_b64 v[82:83], off, off offset:112
	s_mov_b32 s0, exec_lo
	s_wait_loadcnt 0x0
	ds_store_b64 v1, v[82:83]
	s_wait_storecnt_dscnt 0x0
	s_barrier_signal -1
	s_barrier_wait -1
	s_wait_xcnt 0x0
	v_cmpx_gt_u32_e32 14, v0
	s_cbranch_execz .LBB102_520
; %bb.511:
	v_cmp_ne_u32_e32 vcc_lo, 1, v84
	s_cbranch_vccnz .LBB102_513
; %bb.512:
	scratch_load_b64 v[82:83], v59, off
	ds_load_b64 v[86:87], v1
	s_wait_loadcnt_dscnt 0x0
	v_pk_mul_f32 v[88:89], v[86:87], v[82:83] op_sel:[1,1] op_sel_hi:[0,1]
	s_delay_alu instid0(VALU_DEP_1) | instskip(SKIP_1) | instid1(VALU_DEP_2)
	v_pk_fma_f32 v[90:91], v[86:87], v[82:83], v[88:89] op_sel_hi:[1,0,1]
	v_pk_fma_f32 v[82:83], v[86:87], v[82:83], v[88:89] neg_lo:[0,0,1] neg_hi:[0,0,1]
	v_mov_b32_e32 v83, v91
	s_cbranch_execz .LBB102_514
	s_branch .LBB102_515
.LBB102_513:
                                        ; implicit-def: $vgpr82_vgpr83
.LBB102_514:
	ds_load_b64 v[82:83], v1
.LBB102_515:
	s_mov_b32 s4, exec_lo
	v_cmpx_ne_u32_e32 13, v0
	s_cbranch_execz .LBB102_519
; %bb.516:
	v_add_nc_u32_e32 v85, 0x148, v58
	v_add3_u32 v86, 0, v58, 8
	v_mov_b32_e32 v87, v0
	s_mov_b32 s5, 0
.LBB102_517:                            ; =>This Inner Loop Header: Depth=1
	scratch_load_b64 v[88:89], v86, off
	ds_load_b64 v[90:91], v85
	s_wait_xcnt 0x0
	v_dual_add_nc_u32 v85, 8, v85 :: v_dual_add_nc_u32 v86, 8, v86
	s_wait_loadcnt_dscnt 0x0
	v_pk_mul_f32 v[92:93], v[90:91], v[88:89] op_sel:[1,1] op_sel_hi:[0,1]
	s_delay_alu instid0(VALU_DEP_1) | instskip(SKIP_2) | instid1(VALU_DEP_3)
	v_pk_fma_f32 v[94:95], v[90:91], v[88:89], v[92:93] op_sel_hi:[1,0,1]
	v_add_nc_u32_e32 v87, 1, v87
	v_pk_fma_f32 v[88:89], v[90:91], v[88:89], v[92:93] neg_lo:[0,0,1] neg_hi:[0,0,1]
	v_mov_b32_e32 v89, v95
	s_delay_alu instid0(VALU_DEP_3) | instskip(NEXT) | instid1(VALU_DEP_2)
	v_cmp_lt_u32_e32 vcc_lo, 12, v87
	v_pk_add_f32 v[82:83], v[82:83], v[88:89]
	s_or_b32 s5, vcc_lo, s5
	s_delay_alu instid0(SALU_CYCLE_1)
	s_and_not1_b32 exec_lo, exec_lo, s5
	s_cbranch_execnz .LBB102_517
; %bb.518:
	s_or_b32 exec_lo, exec_lo, s5
.LBB102_519:
	s_delay_alu instid0(SALU_CYCLE_1) | instskip(SKIP_4) | instid1(VALU_DEP_1)
	s_or_b32 exec_lo, exec_lo, s4
	v_mov_b32_e32 v85, 0
	ds_load_b64 v[86:87], v85 offset:112
	s_wait_dscnt 0x0
	v_pk_mul_f32 v[88:89], v[82:83], v[86:87] op_sel:[1,1] op_sel_hi:[0,1]
	v_pk_fma_f32 v[90:91], v[82:83], v[86:87], v[88:89] op_sel_hi:[1,0,1]
	v_pk_fma_f32 v[82:83], v[82:83], v[86:87], v[88:89] neg_lo:[0,0,1] neg_hi:[0,0,1]
	s_delay_alu instid0(VALU_DEP_2)
	v_mov_b32_e32 v83, v91
	scratch_store_b64 off, v[82:83], off offset:112
.LBB102_520:
	s_wait_xcnt 0x0
	s_or_b32 exec_lo, exec_lo, s0
	scratch_load_b64 v[82:83], off, off offset:120
	s_mov_b32 s0, exec_lo
	s_wait_loadcnt 0x0
	ds_store_b64 v1, v[82:83]
	s_wait_storecnt_dscnt 0x0
	s_barrier_signal -1
	s_barrier_wait -1
	s_wait_xcnt 0x0
	v_cmpx_gt_u32_e32 15, v0
	s_cbranch_execz .LBB102_530
; %bb.521:
	v_cmp_ne_u32_e32 vcc_lo, 1, v84
	s_cbranch_vccnz .LBB102_523
; %bb.522:
	scratch_load_b64 v[82:83], v59, off
	ds_load_b64 v[86:87], v1
	s_wait_loadcnt_dscnt 0x0
	v_pk_mul_f32 v[88:89], v[86:87], v[82:83] op_sel:[1,1] op_sel_hi:[0,1]
	s_delay_alu instid0(VALU_DEP_1) | instskip(SKIP_1) | instid1(VALU_DEP_2)
	v_pk_fma_f32 v[90:91], v[86:87], v[82:83], v[88:89] op_sel_hi:[1,0,1]
	v_pk_fma_f32 v[82:83], v[86:87], v[82:83], v[88:89] neg_lo:[0,0,1] neg_hi:[0,0,1]
	v_mov_b32_e32 v83, v91
	s_cbranch_execz .LBB102_524
	s_branch .LBB102_525
.LBB102_523:
                                        ; implicit-def: $vgpr82_vgpr83
.LBB102_524:
	ds_load_b64 v[82:83], v1
.LBB102_525:
	s_mov_b32 s4, exec_lo
	v_cmpx_ne_u32_e32 14, v0
	s_cbranch_execz .LBB102_529
; %bb.526:
	v_add_nc_u32_e32 v85, 0x148, v58
	v_add3_u32 v86, 0, v58, 8
	v_mov_b32_e32 v87, v0
	s_mov_b32 s5, 0
.LBB102_527:                            ; =>This Inner Loop Header: Depth=1
	scratch_load_b64 v[88:89], v86, off
	ds_load_b64 v[90:91], v85
	s_wait_xcnt 0x0
	v_dual_add_nc_u32 v85, 8, v85 :: v_dual_add_nc_u32 v86, 8, v86
	s_wait_loadcnt_dscnt 0x0
	v_pk_mul_f32 v[92:93], v[90:91], v[88:89] op_sel:[1,1] op_sel_hi:[0,1]
	s_delay_alu instid0(VALU_DEP_1) | instskip(SKIP_2) | instid1(VALU_DEP_3)
	v_pk_fma_f32 v[94:95], v[90:91], v[88:89], v[92:93] op_sel_hi:[1,0,1]
	v_add_nc_u32_e32 v87, 1, v87
	v_pk_fma_f32 v[88:89], v[90:91], v[88:89], v[92:93] neg_lo:[0,0,1] neg_hi:[0,0,1]
	v_mov_b32_e32 v89, v95
	s_delay_alu instid0(VALU_DEP_3) | instskip(NEXT) | instid1(VALU_DEP_2)
	v_cmp_lt_u32_e32 vcc_lo, 13, v87
	v_pk_add_f32 v[82:83], v[82:83], v[88:89]
	s_or_b32 s5, vcc_lo, s5
	s_delay_alu instid0(SALU_CYCLE_1)
	s_and_not1_b32 exec_lo, exec_lo, s5
	s_cbranch_execnz .LBB102_527
; %bb.528:
	s_or_b32 exec_lo, exec_lo, s5
.LBB102_529:
	s_delay_alu instid0(SALU_CYCLE_1) | instskip(SKIP_4) | instid1(VALU_DEP_1)
	s_or_b32 exec_lo, exec_lo, s4
	v_mov_b32_e32 v85, 0
	ds_load_b64 v[86:87], v85 offset:120
	s_wait_dscnt 0x0
	v_pk_mul_f32 v[88:89], v[82:83], v[86:87] op_sel:[1,1] op_sel_hi:[0,1]
	v_pk_fma_f32 v[90:91], v[82:83], v[86:87], v[88:89] op_sel_hi:[1,0,1]
	v_pk_fma_f32 v[82:83], v[82:83], v[86:87], v[88:89] neg_lo:[0,0,1] neg_hi:[0,0,1]
	s_delay_alu instid0(VALU_DEP_2)
	v_mov_b32_e32 v83, v91
	scratch_store_b64 off, v[82:83], off offset:120
.LBB102_530:
	s_wait_xcnt 0x0
	s_or_b32 exec_lo, exec_lo, s0
	scratch_load_b64 v[82:83], off, off offset:128
	s_mov_b32 s0, exec_lo
	s_wait_loadcnt 0x0
	ds_store_b64 v1, v[82:83]
	s_wait_storecnt_dscnt 0x0
	s_barrier_signal -1
	s_barrier_wait -1
	s_wait_xcnt 0x0
	v_cmpx_gt_u32_e32 16, v0
	s_cbranch_execz .LBB102_540
; %bb.531:
	v_cmp_ne_u32_e32 vcc_lo, 1, v84
	s_cbranch_vccnz .LBB102_533
; %bb.532:
	scratch_load_b64 v[82:83], v59, off
	ds_load_b64 v[86:87], v1
	s_wait_loadcnt_dscnt 0x0
	v_pk_mul_f32 v[88:89], v[86:87], v[82:83] op_sel:[1,1] op_sel_hi:[0,1]
	s_delay_alu instid0(VALU_DEP_1) | instskip(SKIP_1) | instid1(VALU_DEP_2)
	v_pk_fma_f32 v[90:91], v[86:87], v[82:83], v[88:89] op_sel_hi:[1,0,1]
	v_pk_fma_f32 v[82:83], v[86:87], v[82:83], v[88:89] neg_lo:[0,0,1] neg_hi:[0,0,1]
	v_mov_b32_e32 v83, v91
	s_cbranch_execz .LBB102_534
	s_branch .LBB102_535
.LBB102_533:
                                        ; implicit-def: $vgpr82_vgpr83
.LBB102_534:
	ds_load_b64 v[82:83], v1
.LBB102_535:
	s_mov_b32 s4, exec_lo
	v_cmpx_ne_u32_e32 15, v0
	s_cbranch_execz .LBB102_539
; %bb.536:
	v_add_nc_u32_e32 v85, 0x148, v58
	v_add3_u32 v86, 0, v58, 8
	v_mov_b32_e32 v87, v0
	s_mov_b32 s5, 0
.LBB102_537:                            ; =>This Inner Loop Header: Depth=1
	scratch_load_b64 v[88:89], v86, off
	ds_load_b64 v[90:91], v85
	s_wait_xcnt 0x0
	v_dual_add_nc_u32 v85, 8, v85 :: v_dual_add_nc_u32 v86, 8, v86
	s_wait_loadcnt_dscnt 0x0
	v_pk_mul_f32 v[92:93], v[90:91], v[88:89] op_sel:[1,1] op_sel_hi:[0,1]
	s_delay_alu instid0(VALU_DEP_1) | instskip(SKIP_2) | instid1(VALU_DEP_3)
	v_pk_fma_f32 v[94:95], v[90:91], v[88:89], v[92:93] op_sel_hi:[1,0,1]
	v_add_nc_u32_e32 v87, 1, v87
	v_pk_fma_f32 v[88:89], v[90:91], v[88:89], v[92:93] neg_lo:[0,0,1] neg_hi:[0,0,1]
	v_mov_b32_e32 v89, v95
	s_delay_alu instid0(VALU_DEP_3) | instskip(NEXT) | instid1(VALU_DEP_2)
	v_cmp_lt_u32_e32 vcc_lo, 14, v87
	v_pk_add_f32 v[82:83], v[82:83], v[88:89]
	s_or_b32 s5, vcc_lo, s5
	s_delay_alu instid0(SALU_CYCLE_1)
	s_and_not1_b32 exec_lo, exec_lo, s5
	s_cbranch_execnz .LBB102_537
; %bb.538:
	s_or_b32 exec_lo, exec_lo, s5
.LBB102_539:
	s_delay_alu instid0(SALU_CYCLE_1) | instskip(SKIP_4) | instid1(VALU_DEP_1)
	s_or_b32 exec_lo, exec_lo, s4
	v_mov_b32_e32 v85, 0
	ds_load_b64 v[86:87], v85 offset:128
	s_wait_dscnt 0x0
	v_pk_mul_f32 v[88:89], v[82:83], v[86:87] op_sel:[1,1] op_sel_hi:[0,1]
	v_pk_fma_f32 v[90:91], v[82:83], v[86:87], v[88:89] op_sel_hi:[1,0,1]
	v_pk_fma_f32 v[82:83], v[82:83], v[86:87], v[88:89] neg_lo:[0,0,1] neg_hi:[0,0,1]
	s_delay_alu instid0(VALU_DEP_2)
	v_mov_b32_e32 v83, v91
	scratch_store_b64 off, v[82:83], off offset:128
.LBB102_540:
	s_wait_xcnt 0x0
	s_or_b32 exec_lo, exec_lo, s0
	scratch_load_b64 v[82:83], off, off offset:136
	s_mov_b32 s0, exec_lo
	s_wait_loadcnt 0x0
	ds_store_b64 v1, v[82:83]
	s_wait_storecnt_dscnt 0x0
	s_barrier_signal -1
	s_barrier_wait -1
	s_wait_xcnt 0x0
	v_cmpx_gt_u32_e32 17, v0
	s_cbranch_execz .LBB102_550
; %bb.541:
	v_cmp_ne_u32_e32 vcc_lo, 1, v84
	s_cbranch_vccnz .LBB102_543
; %bb.542:
	scratch_load_b64 v[82:83], v59, off
	ds_load_b64 v[86:87], v1
	s_wait_loadcnt_dscnt 0x0
	v_pk_mul_f32 v[88:89], v[86:87], v[82:83] op_sel:[1,1] op_sel_hi:[0,1]
	s_delay_alu instid0(VALU_DEP_1) | instskip(SKIP_1) | instid1(VALU_DEP_2)
	v_pk_fma_f32 v[90:91], v[86:87], v[82:83], v[88:89] op_sel_hi:[1,0,1]
	v_pk_fma_f32 v[82:83], v[86:87], v[82:83], v[88:89] neg_lo:[0,0,1] neg_hi:[0,0,1]
	v_mov_b32_e32 v83, v91
	s_cbranch_execz .LBB102_544
	s_branch .LBB102_545
.LBB102_543:
                                        ; implicit-def: $vgpr82_vgpr83
.LBB102_544:
	ds_load_b64 v[82:83], v1
.LBB102_545:
	s_mov_b32 s4, exec_lo
	v_cmpx_ne_u32_e32 16, v0
	s_cbranch_execz .LBB102_549
; %bb.546:
	v_add_nc_u32_e32 v85, 0x148, v58
	v_add3_u32 v86, 0, v58, 8
	v_mov_b32_e32 v87, v0
	s_mov_b32 s5, 0
.LBB102_547:                            ; =>This Inner Loop Header: Depth=1
	scratch_load_b64 v[88:89], v86, off
	ds_load_b64 v[90:91], v85
	s_wait_xcnt 0x0
	v_dual_add_nc_u32 v85, 8, v85 :: v_dual_add_nc_u32 v86, 8, v86
	s_wait_loadcnt_dscnt 0x0
	v_pk_mul_f32 v[92:93], v[90:91], v[88:89] op_sel:[1,1] op_sel_hi:[0,1]
	s_delay_alu instid0(VALU_DEP_1) | instskip(SKIP_2) | instid1(VALU_DEP_3)
	v_pk_fma_f32 v[94:95], v[90:91], v[88:89], v[92:93] op_sel_hi:[1,0,1]
	v_add_nc_u32_e32 v87, 1, v87
	v_pk_fma_f32 v[88:89], v[90:91], v[88:89], v[92:93] neg_lo:[0,0,1] neg_hi:[0,0,1]
	v_mov_b32_e32 v89, v95
	s_delay_alu instid0(VALU_DEP_3) | instskip(NEXT) | instid1(VALU_DEP_2)
	v_cmp_lt_u32_e32 vcc_lo, 15, v87
	v_pk_add_f32 v[82:83], v[82:83], v[88:89]
	s_or_b32 s5, vcc_lo, s5
	s_delay_alu instid0(SALU_CYCLE_1)
	s_and_not1_b32 exec_lo, exec_lo, s5
	s_cbranch_execnz .LBB102_547
; %bb.548:
	s_or_b32 exec_lo, exec_lo, s5
.LBB102_549:
	s_delay_alu instid0(SALU_CYCLE_1) | instskip(SKIP_4) | instid1(VALU_DEP_1)
	s_or_b32 exec_lo, exec_lo, s4
	v_mov_b32_e32 v85, 0
	ds_load_b64 v[86:87], v85 offset:136
	s_wait_dscnt 0x0
	v_pk_mul_f32 v[88:89], v[82:83], v[86:87] op_sel:[1,1] op_sel_hi:[0,1]
	v_pk_fma_f32 v[90:91], v[82:83], v[86:87], v[88:89] op_sel_hi:[1,0,1]
	v_pk_fma_f32 v[82:83], v[82:83], v[86:87], v[88:89] neg_lo:[0,0,1] neg_hi:[0,0,1]
	s_delay_alu instid0(VALU_DEP_2)
	v_mov_b32_e32 v83, v91
	scratch_store_b64 off, v[82:83], off offset:136
.LBB102_550:
	s_wait_xcnt 0x0
	s_or_b32 exec_lo, exec_lo, s0
	scratch_load_b64 v[82:83], off, off offset:144
	s_mov_b32 s0, exec_lo
	s_wait_loadcnt 0x0
	ds_store_b64 v1, v[82:83]
	s_wait_storecnt_dscnt 0x0
	s_barrier_signal -1
	s_barrier_wait -1
	s_wait_xcnt 0x0
	v_cmpx_gt_u32_e32 18, v0
	s_cbranch_execz .LBB102_560
; %bb.551:
	v_cmp_ne_u32_e32 vcc_lo, 1, v84
	s_cbranch_vccnz .LBB102_553
; %bb.552:
	scratch_load_b64 v[82:83], v59, off
	ds_load_b64 v[86:87], v1
	s_wait_loadcnt_dscnt 0x0
	v_pk_mul_f32 v[88:89], v[86:87], v[82:83] op_sel:[1,1] op_sel_hi:[0,1]
	s_delay_alu instid0(VALU_DEP_1) | instskip(SKIP_1) | instid1(VALU_DEP_2)
	v_pk_fma_f32 v[90:91], v[86:87], v[82:83], v[88:89] op_sel_hi:[1,0,1]
	v_pk_fma_f32 v[82:83], v[86:87], v[82:83], v[88:89] neg_lo:[0,0,1] neg_hi:[0,0,1]
	v_mov_b32_e32 v83, v91
	s_cbranch_execz .LBB102_554
	s_branch .LBB102_555
.LBB102_553:
                                        ; implicit-def: $vgpr82_vgpr83
.LBB102_554:
	ds_load_b64 v[82:83], v1
.LBB102_555:
	s_mov_b32 s4, exec_lo
	v_cmpx_ne_u32_e32 17, v0
	s_cbranch_execz .LBB102_559
; %bb.556:
	v_add_nc_u32_e32 v85, 0x148, v58
	v_add3_u32 v86, 0, v58, 8
	v_mov_b32_e32 v87, v0
	s_mov_b32 s5, 0
.LBB102_557:                            ; =>This Inner Loop Header: Depth=1
	scratch_load_b64 v[88:89], v86, off
	ds_load_b64 v[90:91], v85
	s_wait_xcnt 0x0
	v_dual_add_nc_u32 v85, 8, v85 :: v_dual_add_nc_u32 v86, 8, v86
	s_wait_loadcnt_dscnt 0x0
	v_pk_mul_f32 v[92:93], v[90:91], v[88:89] op_sel:[1,1] op_sel_hi:[0,1]
	s_delay_alu instid0(VALU_DEP_1) | instskip(SKIP_2) | instid1(VALU_DEP_3)
	v_pk_fma_f32 v[94:95], v[90:91], v[88:89], v[92:93] op_sel_hi:[1,0,1]
	v_add_nc_u32_e32 v87, 1, v87
	v_pk_fma_f32 v[88:89], v[90:91], v[88:89], v[92:93] neg_lo:[0,0,1] neg_hi:[0,0,1]
	v_mov_b32_e32 v89, v95
	s_delay_alu instid0(VALU_DEP_3) | instskip(NEXT) | instid1(VALU_DEP_2)
	v_cmp_lt_u32_e32 vcc_lo, 16, v87
	v_pk_add_f32 v[82:83], v[82:83], v[88:89]
	s_or_b32 s5, vcc_lo, s5
	s_delay_alu instid0(SALU_CYCLE_1)
	s_and_not1_b32 exec_lo, exec_lo, s5
	s_cbranch_execnz .LBB102_557
; %bb.558:
	s_or_b32 exec_lo, exec_lo, s5
.LBB102_559:
	s_delay_alu instid0(SALU_CYCLE_1) | instskip(SKIP_4) | instid1(VALU_DEP_1)
	s_or_b32 exec_lo, exec_lo, s4
	v_mov_b32_e32 v85, 0
	ds_load_b64 v[86:87], v85 offset:144
	s_wait_dscnt 0x0
	v_pk_mul_f32 v[88:89], v[82:83], v[86:87] op_sel:[1,1] op_sel_hi:[0,1]
	v_pk_fma_f32 v[90:91], v[82:83], v[86:87], v[88:89] op_sel_hi:[1,0,1]
	v_pk_fma_f32 v[82:83], v[82:83], v[86:87], v[88:89] neg_lo:[0,0,1] neg_hi:[0,0,1]
	s_delay_alu instid0(VALU_DEP_2)
	v_mov_b32_e32 v83, v91
	scratch_store_b64 off, v[82:83], off offset:144
.LBB102_560:
	s_wait_xcnt 0x0
	s_or_b32 exec_lo, exec_lo, s0
	scratch_load_b64 v[82:83], off, off offset:152
	s_mov_b32 s0, exec_lo
	s_wait_loadcnt 0x0
	ds_store_b64 v1, v[82:83]
	s_wait_storecnt_dscnt 0x0
	s_barrier_signal -1
	s_barrier_wait -1
	s_wait_xcnt 0x0
	v_cmpx_gt_u32_e32 19, v0
	s_cbranch_execz .LBB102_570
; %bb.561:
	v_cmp_ne_u32_e32 vcc_lo, 1, v84
	s_cbranch_vccnz .LBB102_563
; %bb.562:
	scratch_load_b64 v[82:83], v59, off
	ds_load_b64 v[86:87], v1
	s_wait_loadcnt_dscnt 0x0
	v_pk_mul_f32 v[88:89], v[86:87], v[82:83] op_sel:[1,1] op_sel_hi:[0,1]
	s_delay_alu instid0(VALU_DEP_1) | instskip(SKIP_1) | instid1(VALU_DEP_2)
	v_pk_fma_f32 v[90:91], v[86:87], v[82:83], v[88:89] op_sel_hi:[1,0,1]
	v_pk_fma_f32 v[82:83], v[86:87], v[82:83], v[88:89] neg_lo:[0,0,1] neg_hi:[0,0,1]
	v_mov_b32_e32 v83, v91
	s_cbranch_execz .LBB102_564
	s_branch .LBB102_565
.LBB102_563:
                                        ; implicit-def: $vgpr82_vgpr83
.LBB102_564:
	ds_load_b64 v[82:83], v1
.LBB102_565:
	s_mov_b32 s4, exec_lo
	v_cmpx_ne_u32_e32 18, v0
	s_cbranch_execz .LBB102_569
; %bb.566:
	v_add_nc_u32_e32 v85, 0x148, v58
	v_add3_u32 v86, 0, v58, 8
	v_mov_b32_e32 v87, v0
	s_mov_b32 s5, 0
.LBB102_567:                            ; =>This Inner Loop Header: Depth=1
	scratch_load_b64 v[88:89], v86, off
	ds_load_b64 v[90:91], v85
	s_wait_xcnt 0x0
	v_dual_add_nc_u32 v85, 8, v85 :: v_dual_add_nc_u32 v86, 8, v86
	s_wait_loadcnt_dscnt 0x0
	v_pk_mul_f32 v[92:93], v[90:91], v[88:89] op_sel:[1,1] op_sel_hi:[0,1]
	s_delay_alu instid0(VALU_DEP_1) | instskip(SKIP_2) | instid1(VALU_DEP_3)
	v_pk_fma_f32 v[94:95], v[90:91], v[88:89], v[92:93] op_sel_hi:[1,0,1]
	v_add_nc_u32_e32 v87, 1, v87
	v_pk_fma_f32 v[88:89], v[90:91], v[88:89], v[92:93] neg_lo:[0,0,1] neg_hi:[0,0,1]
	v_mov_b32_e32 v89, v95
	s_delay_alu instid0(VALU_DEP_3) | instskip(NEXT) | instid1(VALU_DEP_2)
	v_cmp_lt_u32_e32 vcc_lo, 17, v87
	v_pk_add_f32 v[82:83], v[82:83], v[88:89]
	s_or_b32 s5, vcc_lo, s5
	s_delay_alu instid0(SALU_CYCLE_1)
	s_and_not1_b32 exec_lo, exec_lo, s5
	s_cbranch_execnz .LBB102_567
; %bb.568:
	s_or_b32 exec_lo, exec_lo, s5
.LBB102_569:
	s_delay_alu instid0(SALU_CYCLE_1) | instskip(SKIP_4) | instid1(VALU_DEP_1)
	s_or_b32 exec_lo, exec_lo, s4
	v_mov_b32_e32 v85, 0
	ds_load_b64 v[86:87], v85 offset:152
	s_wait_dscnt 0x0
	v_pk_mul_f32 v[88:89], v[82:83], v[86:87] op_sel:[1,1] op_sel_hi:[0,1]
	v_pk_fma_f32 v[90:91], v[82:83], v[86:87], v[88:89] op_sel_hi:[1,0,1]
	v_pk_fma_f32 v[82:83], v[82:83], v[86:87], v[88:89] neg_lo:[0,0,1] neg_hi:[0,0,1]
	s_delay_alu instid0(VALU_DEP_2)
	v_mov_b32_e32 v83, v91
	scratch_store_b64 off, v[82:83], off offset:152
.LBB102_570:
	s_wait_xcnt 0x0
	s_or_b32 exec_lo, exec_lo, s0
	scratch_load_b64 v[82:83], off, off offset:160
	s_mov_b32 s0, exec_lo
	s_wait_loadcnt 0x0
	ds_store_b64 v1, v[82:83]
	s_wait_storecnt_dscnt 0x0
	s_barrier_signal -1
	s_barrier_wait -1
	s_wait_xcnt 0x0
	v_cmpx_gt_u32_e32 20, v0
	s_cbranch_execz .LBB102_580
; %bb.571:
	v_cmp_ne_u32_e32 vcc_lo, 1, v84
	s_cbranch_vccnz .LBB102_573
; %bb.572:
	scratch_load_b64 v[82:83], v59, off
	ds_load_b64 v[86:87], v1
	s_wait_loadcnt_dscnt 0x0
	v_pk_mul_f32 v[88:89], v[86:87], v[82:83] op_sel:[1,1] op_sel_hi:[0,1]
	s_delay_alu instid0(VALU_DEP_1) | instskip(SKIP_1) | instid1(VALU_DEP_2)
	v_pk_fma_f32 v[90:91], v[86:87], v[82:83], v[88:89] op_sel_hi:[1,0,1]
	v_pk_fma_f32 v[82:83], v[86:87], v[82:83], v[88:89] neg_lo:[0,0,1] neg_hi:[0,0,1]
	v_mov_b32_e32 v83, v91
	s_cbranch_execz .LBB102_574
	s_branch .LBB102_575
.LBB102_573:
                                        ; implicit-def: $vgpr82_vgpr83
.LBB102_574:
	ds_load_b64 v[82:83], v1
.LBB102_575:
	s_mov_b32 s4, exec_lo
	v_cmpx_ne_u32_e32 19, v0
	s_cbranch_execz .LBB102_579
; %bb.576:
	v_add_nc_u32_e32 v85, 0x148, v58
	v_add3_u32 v86, 0, v58, 8
	v_mov_b32_e32 v87, v0
	s_mov_b32 s5, 0
.LBB102_577:                            ; =>This Inner Loop Header: Depth=1
	scratch_load_b64 v[88:89], v86, off
	ds_load_b64 v[90:91], v85
	s_wait_xcnt 0x0
	v_dual_add_nc_u32 v85, 8, v85 :: v_dual_add_nc_u32 v86, 8, v86
	s_wait_loadcnt_dscnt 0x0
	v_pk_mul_f32 v[92:93], v[90:91], v[88:89] op_sel:[1,1] op_sel_hi:[0,1]
	s_delay_alu instid0(VALU_DEP_1) | instskip(SKIP_2) | instid1(VALU_DEP_3)
	v_pk_fma_f32 v[94:95], v[90:91], v[88:89], v[92:93] op_sel_hi:[1,0,1]
	v_add_nc_u32_e32 v87, 1, v87
	v_pk_fma_f32 v[88:89], v[90:91], v[88:89], v[92:93] neg_lo:[0,0,1] neg_hi:[0,0,1]
	v_mov_b32_e32 v89, v95
	s_delay_alu instid0(VALU_DEP_3) | instskip(NEXT) | instid1(VALU_DEP_2)
	v_cmp_lt_u32_e32 vcc_lo, 18, v87
	v_pk_add_f32 v[82:83], v[82:83], v[88:89]
	s_or_b32 s5, vcc_lo, s5
	s_delay_alu instid0(SALU_CYCLE_1)
	s_and_not1_b32 exec_lo, exec_lo, s5
	s_cbranch_execnz .LBB102_577
; %bb.578:
	s_or_b32 exec_lo, exec_lo, s5
.LBB102_579:
	s_delay_alu instid0(SALU_CYCLE_1) | instskip(SKIP_4) | instid1(VALU_DEP_1)
	s_or_b32 exec_lo, exec_lo, s4
	v_mov_b32_e32 v85, 0
	ds_load_b64 v[86:87], v85 offset:160
	s_wait_dscnt 0x0
	v_pk_mul_f32 v[88:89], v[82:83], v[86:87] op_sel:[1,1] op_sel_hi:[0,1]
	v_pk_fma_f32 v[90:91], v[82:83], v[86:87], v[88:89] op_sel_hi:[1,0,1]
	v_pk_fma_f32 v[82:83], v[82:83], v[86:87], v[88:89] neg_lo:[0,0,1] neg_hi:[0,0,1]
	s_delay_alu instid0(VALU_DEP_2)
	v_mov_b32_e32 v83, v91
	scratch_store_b64 off, v[82:83], off offset:160
.LBB102_580:
	s_wait_xcnt 0x0
	s_or_b32 exec_lo, exec_lo, s0
	scratch_load_b64 v[82:83], off, off offset:168
	s_mov_b32 s0, exec_lo
	s_wait_loadcnt 0x0
	ds_store_b64 v1, v[82:83]
	s_wait_storecnt_dscnt 0x0
	s_barrier_signal -1
	s_barrier_wait -1
	s_wait_xcnt 0x0
	v_cmpx_gt_u32_e32 21, v0
	s_cbranch_execz .LBB102_590
; %bb.581:
	v_cmp_ne_u32_e32 vcc_lo, 1, v84
	s_cbranch_vccnz .LBB102_583
; %bb.582:
	scratch_load_b64 v[82:83], v59, off
	ds_load_b64 v[86:87], v1
	s_wait_loadcnt_dscnt 0x0
	v_pk_mul_f32 v[88:89], v[86:87], v[82:83] op_sel:[1,1] op_sel_hi:[0,1]
	s_delay_alu instid0(VALU_DEP_1) | instskip(SKIP_1) | instid1(VALU_DEP_2)
	v_pk_fma_f32 v[90:91], v[86:87], v[82:83], v[88:89] op_sel_hi:[1,0,1]
	v_pk_fma_f32 v[82:83], v[86:87], v[82:83], v[88:89] neg_lo:[0,0,1] neg_hi:[0,0,1]
	v_mov_b32_e32 v83, v91
	s_cbranch_execz .LBB102_584
	s_branch .LBB102_585
.LBB102_583:
                                        ; implicit-def: $vgpr82_vgpr83
.LBB102_584:
	ds_load_b64 v[82:83], v1
.LBB102_585:
	s_mov_b32 s4, exec_lo
	v_cmpx_ne_u32_e32 20, v0
	s_cbranch_execz .LBB102_589
; %bb.586:
	v_add_nc_u32_e32 v85, 0x148, v58
	v_add3_u32 v86, 0, v58, 8
	v_mov_b32_e32 v87, v0
	s_mov_b32 s5, 0
.LBB102_587:                            ; =>This Inner Loop Header: Depth=1
	scratch_load_b64 v[88:89], v86, off
	ds_load_b64 v[90:91], v85
	s_wait_xcnt 0x0
	v_dual_add_nc_u32 v85, 8, v85 :: v_dual_add_nc_u32 v86, 8, v86
	s_wait_loadcnt_dscnt 0x0
	v_pk_mul_f32 v[92:93], v[90:91], v[88:89] op_sel:[1,1] op_sel_hi:[0,1]
	s_delay_alu instid0(VALU_DEP_1) | instskip(SKIP_2) | instid1(VALU_DEP_3)
	v_pk_fma_f32 v[94:95], v[90:91], v[88:89], v[92:93] op_sel_hi:[1,0,1]
	v_add_nc_u32_e32 v87, 1, v87
	v_pk_fma_f32 v[88:89], v[90:91], v[88:89], v[92:93] neg_lo:[0,0,1] neg_hi:[0,0,1]
	v_mov_b32_e32 v89, v95
	s_delay_alu instid0(VALU_DEP_3) | instskip(NEXT) | instid1(VALU_DEP_2)
	v_cmp_lt_u32_e32 vcc_lo, 19, v87
	v_pk_add_f32 v[82:83], v[82:83], v[88:89]
	s_or_b32 s5, vcc_lo, s5
	s_delay_alu instid0(SALU_CYCLE_1)
	s_and_not1_b32 exec_lo, exec_lo, s5
	s_cbranch_execnz .LBB102_587
; %bb.588:
	s_or_b32 exec_lo, exec_lo, s5
.LBB102_589:
	s_delay_alu instid0(SALU_CYCLE_1) | instskip(SKIP_4) | instid1(VALU_DEP_1)
	s_or_b32 exec_lo, exec_lo, s4
	v_mov_b32_e32 v85, 0
	ds_load_b64 v[86:87], v85 offset:168
	s_wait_dscnt 0x0
	v_pk_mul_f32 v[88:89], v[82:83], v[86:87] op_sel:[1,1] op_sel_hi:[0,1]
	v_pk_fma_f32 v[90:91], v[82:83], v[86:87], v[88:89] op_sel_hi:[1,0,1]
	v_pk_fma_f32 v[82:83], v[82:83], v[86:87], v[88:89] neg_lo:[0,0,1] neg_hi:[0,0,1]
	s_delay_alu instid0(VALU_DEP_2)
	v_mov_b32_e32 v83, v91
	scratch_store_b64 off, v[82:83], off offset:168
.LBB102_590:
	s_wait_xcnt 0x0
	s_or_b32 exec_lo, exec_lo, s0
	scratch_load_b64 v[82:83], off, off offset:176
	s_mov_b32 s0, exec_lo
	s_wait_loadcnt 0x0
	ds_store_b64 v1, v[82:83]
	s_wait_storecnt_dscnt 0x0
	s_barrier_signal -1
	s_barrier_wait -1
	s_wait_xcnt 0x0
	v_cmpx_gt_u32_e32 22, v0
	s_cbranch_execz .LBB102_600
; %bb.591:
	v_cmp_ne_u32_e32 vcc_lo, 1, v84
	s_cbranch_vccnz .LBB102_593
; %bb.592:
	scratch_load_b64 v[82:83], v59, off
	ds_load_b64 v[86:87], v1
	s_wait_loadcnt_dscnt 0x0
	v_pk_mul_f32 v[88:89], v[86:87], v[82:83] op_sel:[1,1] op_sel_hi:[0,1]
	s_delay_alu instid0(VALU_DEP_1) | instskip(SKIP_1) | instid1(VALU_DEP_2)
	v_pk_fma_f32 v[90:91], v[86:87], v[82:83], v[88:89] op_sel_hi:[1,0,1]
	v_pk_fma_f32 v[82:83], v[86:87], v[82:83], v[88:89] neg_lo:[0,0,1] neg_hi:[0,0,1]
	v_mov_b32_e32 v83, v91
	s_cbranch_execz .LBB102_594
	s_branch .LBB102_595
.LBB102_593:
                                        ; implicit-def: $vgpr82_vgpr83
.LBB102_594:
	ds_load_b64 v[82:83], v1
.LBB102_595:
	s_mov_b32 s4, exec_lo
	v_cmpx_ne_u32_e32 21, v0
	s_cbranch_execz .LBB102_599
; %bb.596:
	v_add_nc_u32_e32 v85, 0x148, v58
	v_add3_u32 v86, 0, v58, 8
	v_mov_b32_e32 v87, v0
	s_mov_b32 s5, 0
.LBB102_597:                            ; =>This Inner Loop Header: Depth=1
	scratch_load_b64 v[88:89], v86, off
	ds_load_b64 v[90:91], v85
	s_wait_xcnt 0x0
	v_dual_add_nc_u32 v85, 8, v85 :: v_dual_add_nc_u32 v86, 8, v86
	s_wait_loadcnt_dscnt 0x0
	v_pk_mul_f32 v[92:93], v[90:91], v[88:89] op_sel:[1,1] op_sel_hi:[0,1]
	s_delay_alu instid0(VALU_DEP_1) | instskip(SKIP_2) | instid1(VALU_DEP_3)
	v_pk_fma_f32 v[94:95], v[90:91], v[88:89], v[92:93] op_sel_hi:[1,0,1]
	v_add_nc_u32_e32 v87, 1, v87
	v_pk_fma_f32 v[88:89], v[90:91], v[88:89], v[92:93] neg_lo:[0,0,1] neg_hi:[0,0,1]
	v_mov_b32_e32 v89, v95
	s_delay_alu instid0(VALU_DEP_3) | instskip(NEXT) | instid1(VALU_DEP_2)
	v_cmp_lt_u32_e32 vcc_lo, 20, v87
	v_pk_add_f32 v[82:83], v[82:83], v[88:89]
	s_or_b32 s5, vcc_lo, s5
	s_delay_alu instid0(SALU_CYCLE_1)
	s_and_not1_b32 exec_lo, exec_lo, s5
	s_cbranch_execnz .LBB102_597
; %bb.598:
	s_or_b32 exec_lo, exec_lo, s5
.LBB102_599:
	s_delay_alu instid0(SALU_CYCLE_1) | instskip(SKIP_4) | instid1(VALU_DEP_1)
	s_or_b32 exec_lo, exec_lo, s4
	v_mov_b32_e32 v85, 0
	ds_load_b64 v[86:87], v85 offset:176
	s_wait_dscnt 0x0
	v_pk_mul_f32 v[88:89], v[82:83], v[86:87] op_sel:[1,1] op_sel_hi:[0,1]
	v_pk_fma_f32 v[90:91], v[82:83], v[86:87], v[88:89] op_sel_hi:[1,0,1]
	v_pk_fma_f32 v[82:83], v[82:83], v[86:87], v[88:89] neg_lo:[0,0,1] neg_hi:[0,0,1]
	s_delay_alu instid0(VALU_DEP_2)
	v_mov_b32_e32 v83, v91
	scratch_store_b64 off, v[82:83], off offset:176
.LBB102_600:
	s_wait_xcnt 0x0
	s_or_b32 exec_lo, exec_lo, s0
	scratch_load_b64 v[82:83], off, off offset:184
	s_mov_b32 s0, exec_lo
	s_wait_loadcnt 0x0
	ds_store_b64 v1, v[82:83]
	s_wait_storecnt_dscnt 0x0
	s_barrier_signal -1
	s_barrier_wait -1
	s_wait_xcnt 0x0
	v_cmpx_gt_u32_e32 23, v0
	s_cbranch_execz .LBB102_610
; %bb.601:
	v_cmp_ne_u32_e32 vcc_lo, 1, v84
	s_cbranch_vccnz .LBB102_603
; %bb.602:
	scratch_load_b64 v[82:83], v59, off
	ds_load_b64 v[86:87], v1
	s_wait_loadcnt_dscnt 0x0
	v_pk_mul_f32 v[88:89], v[86:87], v[82:83] op_sel:[1,1] op_sel_hi:[0,1]
	s_delay_alu instid0(VALU_DEP_1) | instskip(SKIP_1) | instid1(VALU_DEP_2)
	v_pk_fma_f32 v[90:91], v[86:87], v[82:83], v[88:89] op_sel_hi:[1,0,1]
	v_pk_fma_f32 v[82:83], v[86:87], v[82:83], v[88:89] neg_lo:[0,0,1] neg_hi:[0,0,1]
	v_mov_b32_e32 v83, v91
	s_cbranch_execz .LBB102_604
	s_branch .LBB102_605
.LBB102_603:
                                        ; implicit-def: $vgpr82_vgpr83
.LBB102_604:
	ds_load_b64 v[82:83], v1
.LBB102_605:
	s_mov_b32 s4, exec_lo
	v_cmpx_ne_u32_e32 22, v0
	s_cbranch_execz .LBB102_609
; %bb.606:
	v_add_nc_u32_e32 v85, 0x148, v58
	v_add3_u32 v86, 0, v58, 8
	v_mov_b32_e32 v87, v0
	s_mov_b32 s5, 0
.LBB102_607:                            ; =>This Inner Loop Header: Depth=1
	scratch_load_b64 v[88:89], v86, off
	ds_load_b64 v[90:91], v85
	s_wait_xcnt 0x0
	v_dual_add_nc_u32 v85, 8, v85 :: v_dual_add_nc_u32 v86, 8, v86
	s_wait_loadcnt_dscnt 0x0
	v_pk_mul_f32 v[92:93], v[90:91], v[88:89] op_sel:[1,1] op_sel_hi:[0,1]
	s_delay_alu instid0(VALU_DEP_1) | instskip(SKIP_2) | instid1(VALU_DEP_3)
	v_pk_fma_f32 v[94:95], v[90:91], v[88:89], v[92:93] op_sel_hi:[1,0,1]
	v_add_nc_u32_e32 v87, 1, v87
	v_pk_fma_f32 v[88:89], v[90:91], v[88:89], v[92:93] neg_lo:[0,0,1] neg_hi:[0,0,1]
	v_mov_b32_e32 v89, v95
	s_delay_alu instid0(VALU_DEP_3) | instskip(NEXT) | instid1(VALU_DEP_2)
	v_cmp_lt_u32_e32 vcc_lo, 21, v87
	v_pk_add_f32 v[82:83], v[82:83], v[88:89]
	s_or_b32 s5, vcc_lo, s5
	s_delay_alu instid0(SALU_CYCLE_1)
	s_and_not1_b32 exec_lo, exec_lo, s5
	s_cbranch_execnz .LBB102_607
; %bb.608:
	s_or_b32 exec_lo, exec_lo, s5
.LBB102_609:
	s_delay_alu instid0(SALU_CYCLE_1) | instskip(SKIP_4) | instid1(VALU_DEP_1)
	s_or_b32 exec_lo, exec_lo, s4
	v_mov_b32_e32 v85, 0
	ds_load_b64 v[86:87], v85 offset:184
	s_wait_dscnt 0x0
	v_pk_mul_f32 v[88:89], v[82:83], v[86:87] op_sel:[1,1] op_sel_hi:[0,1]
	v_pk_fma_f32 v[90:91], v[82:83], v[86:87], v[88:89] op_sel_hi:[1,0,1]
	v_pk_fma_f32 v[82:83], v[82:83], v[86:87], v[88:89] neg_lo:[0,0,1] neg_hi:[0,0,1]
	s_delay_alu instid0(VALU_DEP_2)
	v_mov_b32_e32 v83, v91
	scratch_store_b64 off, v[82:83], off offset:184
.LBB102_610:
	s_wait_xcnt 0x0
	s_or_b32 exec_lo, exec_lo, s0
	scratch_load_b64 v[82:83], off, off offset:192
	s_mov_b32 s0, exec_lo
	s_wait_loadcnt 0x0
	ds_store_b64 v1, v[82:83]
	s_wait_storecnt_dscnt 0x0
	s_barrier_signal -1
	s_barrier_wait -1
	s_wait_xcnt 0x0
	v_cmpx_gt_u32_e32 24, v0
	s_cbranch_execz .LBB102_620
; %bb.611:
	v_cmp_ne_u32_e32 vcc_lo, 1, v84
	s_cbranch_vccnz .LBB102_613
; %bb.612:
	scratch_load_b64 v[82:83], v59, off
	ds_load_b64 v[86:87], v1
	s_wait_loadcnt_dscnt 0x0
	v_pk_mul_f32 v[88:89], v[86:87], v[82:83] op_sel:[1,1] op_sel_hi:[0,1]
	s_delay_alu instid0(VALU_DEP_1) | instskip(SKIP_1) | instid1(VALU_DEP_2)
	v_pk_fma_f32 v[90:91], v[86:87], v[82:83], v[88:89] op_sel_hi:[1,0,1]
	v_pk_fma_f32 v[82:83], v[86:87], v[82:83], v[88:89] neg_lo:[0,0,1] neg_hi:[0,0,1]
	v_mov_b32_e32 v83, v91
	s_cbranch_execz .LBB102_614
	s_branch .LBB102_615
.LBB102_613:
                                        ; implicit-def: $vgpr82_vgpr83
.LBB102_614:
	ds_load_b64 v[82:83], v1
.LBB102_615:
	s_mov_b32 s4, exec_lo
	v_cmpx_ne_u32_e32 23, v0
	s_cbranch_execz .LBB102_619
; %bb.616:
	v_add_nc_u32_e32 v85, 0x148, v58
	v_add3_u32 v86, 0, v58, 8
	v_mov_b32_e32 v87, v0
	s_mov_b32 s5, 0
.LBB102_617:                            ; =>This Inner Loop Header: Depth=1
	scratch_load_b64 v[88:89], v86, off
	ds_load_b64 v[90:91], v85
	s_wait_xcnt 0x0
	v_dual_add_nc_u32 v85, 8, v85 :: v_dual_add_nc_u32 v86, 8, v86
	s_wait_loadcnt_dscnt 0x0
	v_pk_mul_f32 v[92:93], v[90:91], v[88:89] op_sel:[1,1] op_sel_hi:[0,1]
	s_delay_alu instid0(VALU_DEP_1) | instskip(SKIP_2) | instid1(VALU_DEP_3)
	v_pk_fma_f32 v[94:95], v[90:91], v[88:89], v[92:93] op_sel_hi:[1,0,1]
	v_add_nc_u32_e32 v87, 1, v87
	v_pk_fma_f32 v[88:89], v[90:91], v[88:89], v[92:93] neg_lo:[0,0,1] neg_hi:[0,0,1]
	v_mov_b32_e32 v89, v95
	s_delay_alu instid0(VALU_DEP_3) | instskip(NEXT) | instid1(VALU_DEP_2)
	v_cmp_lt_u32_e32 vcc_lo, 22, v87
	v_pk_add_f32 v[82:83], v[82:83], v[88:89]
	s_or_b32 s5, vcc_lo, s5
	s_delay_alu instid0(SALU_CYCLE_1)
	s_and_not1_b32 exec_lo, exec_lo, s5
	s_cbranch_execnz .LBB102_617
; %bb.618:
	s_or_b32 exec_lo, exec_lo, s5
.LBB102_619:
	s_delay_alu instid0(SALU_CYCLE_1) | instskip(SKIP_4) | instid1(VALU_DEP_1)
	s_or_b32 exec_lo, exec_lo, s4
	v_mov_b32_e32 v85, 0
	ds_load_b64 v[86:87], v85 offset:192
	s_wait_dscnt 0x0
	v_pk_mul_f32 v[88:89], v[82:83], v[86:87] op_sel:[1,1] op_sel_hi:[0,1]
	v_pk_fma_f32 v[90:91], v[82:83], v[86:87], v[88:89] op_sel_hi:[1,0,1]
	v_pk_fma_f32 v[82:83], v[82:83], v[86:87], v[88:89] neg_lo:[0,0,1] neg_hi:[0,0,1]
	s_delay_alu instid0(VALU_DEP_2)
	v_mov_b32_e32 v83, v91
	scratch_store_b64 off, v[82:83], off offset:192
.LBB102_620:
	s_wait_xcnt 0x0
	s_or_b32 exec_lo, exec_lo, s0
	scratch_load_b64 v[82:83], off, off offset:200
	s_mov_b32 s0, exec_lo
	s_wait_loadcnt 0x0
	ds_store_b64 v1, v[82:83]
	s_wait_storecnt_dscnt 0x0
	s_barrier_signal -1
	s_barrier_wait -1
	s_wait_xcnt 0x0
	v_cmpx_gt_u32_e32 25, v0
	s_cbranch_execz .LBB102_630
; %bb.621:
	v_cmp_ne_u32_e32 vcc_lo, 1, v84
	s_cbranch_vccnz .LBB102_623
; %bb.622:
	scratch_load_b64 v[82:83], v59, off
	ds_load_b64 v[86:87], v1
	s_wait_loadcnt_dscnt 0x0
	v_pk_mul_f32 v[88:89], v[86:87], v[82:83] op_sel:[1,1] op_sel_hi:[0,1]
	s_delay_alu instid0(VALU_DEP_1) | instskip(SKIP_1) | instid1(VALU_DEP_2)
	v_pk_fma_f32 v[90:91], v[86:87], v[82:83], v[88:89] op_sel_hi:[1,0,1]
	v_pk_fma_f32 v[82:83], v[86:87], v[82:83], v[88:89] neg_lo:[0,0,1] neg_hi:[0,0,1]
	v_mov_b32_e32 v83, v91
	s_cbranch_execz .LBB102_624
	s_branch .LBB102_625
.LBB102_623:
                                        ; implicit-def: $vgpr82_vgpr83
.LBB102_624:
	ds_load_b64 v[82:83], v1
.LBB102_625:
	s_mov_b32 s4, exec_lo
	v_cmpx_ne_u32_e32 24, v0
	s_cbranch_execz .LBB102_629
; %bb.626:
	v_add_nc_u32_e32 v85, 0x148, v58
	v_add3_u32 v86, 0, v58, 8
	v_mov_b32_e32 v87, v0
	s_mov_b32 s5, 0
.LBB102_627:                            ; =>This Inner Loop Header: Depth=1
	scratch_load_b64 v[88:89], v86, off
	ds_load_b64 v[90:91], v85
	s_wait_xcnt 0x0
	v_dual_add_nc_u32 v85, 8, v85 :: v_dual_add_nc_u32 v86, 8, v86
	s_wait_loadcnt_dscnt 0x0
	v_pk_mul_f32 v[92:93], v[90:91], v[88:89] op_sel:[1,1] op_sel_hi:[0,1]
	s_delay_alu instid0(VALU_DEP_1) | instskip(SKIP_2) | instid1(VALU_DEP_3)
	v_pk_fma_f32 v[94:95], v[90:91], v[88:89], v[92:93] op_sel_hi:[1,0,1]
	v_add_nc_u32_e32 v87, 1, v87
	v_pk_fma_f32 v[88:89], v[90:91], v[88:89], v[92:93] neg_lo:[0,0,1] neg_hi:[0,0,1]
	v_mov_b32_e32 v89, v95
	s_delay_alu instid0(VALU_DEP_3) | instskip(NEXT) | instid1(VALU_DEP_2)
	v_cmp_lt_u32_e32 vcc_lo, 23, v87
	v_pk_add_f32 v[82:83], v[82:83], v[88:89]
	s_or_b32 s5, vcc_lo, s5
	s_delay_alu instid0(SALU_CYCLE_1)
	s_and_not1_b32 exec_lo, exec_lo, s5
	s_cbranch_execnz .LBB102_627
; %bb.628:
	s_or_b32 exec_lo, exec_lo, s5
.LBB102_629:
	s_delay_alu instid0(SALU_CYCLE_1) | instskip(SKIP_4) | instid1(VALU_DEP_1)
	s_or_b32 exec_lo, exec_lo, s4
	v_mov_b32_e32 v85, 0
	ds_load_b64 v[86:87], v85 offset:200
	s_wait_dscnt 0x0
	v_pk_mul_f32 v[88:89], v[82:83], v[86:87] op_sel:[1,1] op_sel_hi:[0,1]
	v_pk_fma_f32 v[90:91], v[82:83], v[86:87], v[88:89] op_sel_hi:[1,0,1]
	v_pk_fma_f32 v[82:83], v[82:83], v[86:87], v[88:89] neg_lo:[0,0,1] neg_hi:[0,0,1]
	s_delay_alu instid0(VALU_DEP_2)
	v_mov_b32_e32 v83, v91
	scratch_store_b64 off, v[82:83], off offset:200
.LBB102_630:
	s_wait_xcnt 0x0
	s_or_b32 exec_lo, exec_lo, s0
	scratch_load_b64 v[82:83], off, off offset:208
	s_mov_b32 s0, exec_lo
	s_wait_loadcnt 0x0
	ds_store_b64 v1, v[82:83]
	s_wait_storecnt_dscnt 0x0
	s_barrier_signal -1
	s_barrier_wait -1
	s_wait_xcnt 0x0
	v_cmpx_gt_u32_e32 26, v0
	s_cbranch_execz .LBB102_640
; %bb.631:
	v_cmp_ne_u32_e32 vcc_lo, 1, v84
	s_cbranch_vccnz .LBB102_633
; %bb.632:
	scratch_load_b64 v[82:83], v59, off
	ds_load_b64 v[86:87], v1
	s_wait_loadcnt_dscnt 0x0
	v_pk_mul_f32 v[88:89], v[86:87], v[82:83] op_sel:[1,1] op_sel_hi:[0,1]
	s_delay_alu instid0(VALU_DEP_1) | instskip(SKIP_1) | instid1(VALU_DEP_2)
	v_pk_fma_f32 v[90:91], v[86:87], v[82:83], v[88:89] op_sel_hi:[1,0,1]
	v_pk_fma_f32 v[82:83], v[86:87], v[82:83], v[88:89] neg_lo:[0,0,1] neg_hi:[0,0,1]
	v_mov_b32_e32 v83, v91
	s_cbranch_execz .LBB102_634
	s_branch .LBB102_635
.LBB102_633:
                                        ; implicit-def: $vgpr82_vgpr83
.LBB102_634:
	ds_load_b64 v[82:83], v1
.LBB102_635:
	s_mov_b32 s4, exec_lo
	v_cmpx_ne_u32_e32 25, v0
	s_cbranch_execz .LBB102_639
; %bb.636:
	v_add_nc_u32_e32 v85, 0x148, v58
	v_add3_u32 v86, 0, v58, 8
	v_mov_b32_e32 v87, v0
	s_mov_b32 s5, 0
.LBB102_637:                            ; =>This Inner Loop Header: Depth=1
	scratch_load_b64 v[88:89], v86, off
	ds_load_b64 v[90:91], v85
	s_wait_xcnt 0x0
	v_dual_add_nc_u32 v85, 8, v85 :: v_dual_add_nc_u32 v86, 8, v86
	s_wait_loadcnt_dscnt 0x0
	v_pk_mul_f32 v[92:93], v[90:91], v[88:89] op_sel:[1,1] op_sel_hi:[0,1]
	s_delay_alu instid0(VALU_DEP_1) | instskip(SKIP_2) | instid1(VALU_DEP_3)
	v_pk_fma_f32 v[94:95], v[90:91], v[88:89], v[92:93] op_sel_hi:[1,0,1]
	v_add_nc_u32_e32 v87, 1, v87
	v_pk_fma_f32 v[88:89], v[90:91], v[88:89], v[92:93] neg_lo:[0,0,1] neg_hi:[0,0,1]
	v_mov_b32_e32 v89, v95
	s_delay_alu instid0(VALU_DEP_3) | instskip(NEXT) | instid1(VALU_DEP_2)
	v_cmp_lt_u32_e32 vcc_lo, 24, v87
	v_pk_add_f32 v[82:83], v[82:83], v[88:89]
	s_or_b32 s5, vcc_lo, s5
	s_delay_alu instid0(SALU_CYCLE_1)
	s_and_not1_b32 exec_lo, exec_lo, s5
	s_cbranch_execnz .LBB102_637
; %bb.638:
	s_or_b32 exec_lo, exec_lo, s5
.LBB102_639:
	s_delay_alu instid0(SALU_CYCLE_1) | instskip(SKIP_4) | instid1(VALU_DEP_1)
	s_or_b32 exec_lo, exec_lo, s4
	v_mov_b32_e32 v85, 0
	ds_load_b64 v[86:87], v85 offset:208
	s_wait_dscnt 0x0
	v_pk_mul_f32 v[88:89], v[82:83], v[86:87] op_sel:[1,1] op_sel_hi:[0,1]
	v_pk_fma_f32 v[90:91], v[82:83], v[86:87], v[88:89] op_sel_hi:[1,0,1]
	v_pk_fma_f32 v[82:83], v[82:83], v[86:87], v[88:89] neg_lo:[0,0,1] neg_hi:[0,0,1]
	s_delay_alu instid0(VALU_DEP_2)
	v_mov_b32_e32 v83, v91
	scratch_store_b64 off, v[82:83], off offset:208
.LBB102_640:
	s_wait_xcnt 0x0
	s_or_b32 exec_lo, exec_lo, s0
	scratch_load_b64 v[82:83], off, off offset:216
	s_mov_b32 s0, exec_lo
	s_wait_loadcnt 0x0
	ds_store_b64 v1, v[82:83]
	s_wait_storecnt_dscnt 0x0
	s_barrier_signal -1
	s_barrier_wait -1
	s_wait_xcnt 0x0
	v_cmpx_gt_u32_e32 27, v0
	s_cbranch_execz .LBB102_650
; %bb.641:
	v_cmp_ne_u32_e32 vcc_lo, 1, v84
	s_cbranch_vccnz .LBB102_643
; %bb.642:
	scratch_load_b64 v[82:83], v59, off
	ds_load_b64 v[86:87], v1
	s_wait_loadcnt_dscnt 0x0
	v_pk_mul_f32 v[88:89], v[86:87], v[82:83] op_sel:[1,1] op_sel_hi:[0,1]
	s_delay_alu instid0(VALU_DEP_1) | instskip(SKIP_1) | instid1(VALU_DEP_2)
	v_pk_fma_f32 v[90:91], v[86:87], v[82:83], v[88:89] op_sel_hi:[1,0,1]
	v_pk_fma_f32 v[82:83], v[86:87], v[82:83], v[88:89] neg_lo:[0,0,1] neg_hi:[0,0,1]
	v_mov_b32_e32 v83, v91
	s_cbranch_execz .LBB102_644
	s_branch .LBB102_645
.LBB102_643:
                                        ; implicit-def: $vgpr82_vgpr83
.LBB102_644:
	ds_load_b64 v[82:83], v1
.LBB102_645:
	s_mov_b32 s4, exec_lo
	v_cmpx_ne_u32_e32 26, v0
	s_cbranch_execz .LBB102_649
; %bb.646:
	v_add_nc_u32_e32 v85, 0x148, v58
	v_add3_u32 v86, 0, v58, 8
	v_mov_b32_e32 v87, v0
	s_mov_b32 s5, 0
.LBB102_647:                            ; =>This Inner Loop Header: Depth=1
	scratch_load_b64 v[88:89], v86, off
	ds_load_b64 v[90:91], v85
	s_wait_xcnt 0x0
	v_dual_add_nc_u32 v85, 8, v85 :: v_dual_add_nc_u32 v86, 8, v86
	s_wait_loadcnt_dscnt 0x0
	v_pk_mul_f32 v[92:93], v[90:91], v[88:89] op_sel:[1,1] op_sel_hi:[0,1]
	s_delay_alu instid0(VALU_DEP_1) | instskip(SKIP_2) | instid1(VALU_DEP_3)
	v_pk_fma_f32 v[94:95], v[90:91], v[88:89], v[92:93] op_sel_hi:[1,0,1]
	v_add_nc_u32_e32 v87, 1, v87
	v_pk_fma_f32 v[88:89], v[90:91], v[88:89], v[92:93] neg_lo:[0,0,1] neg_hi:[0,0,1]
	v_mov_b32_e32 v89, v95
	s_delay_alu instid0(VALU_DEP_3) | instskip(NEXT) | instid1(VALU_DEP_2)
	v_cmp_lt_u32_e32 vcc_lo, 25, v87
	v_pk_add_f32 v[82:83], v[82:83], v[88:89]
	s_or_b32 s5, vcc_lo, s5
	s_delay_alu instid0(SALU_CYCLE_1)
	s_and_not1_b32 exec_lo, exec_lo, s5
	s_cbranch_execnz .LBB102_647
; %bb.648:
	s_or_b32 exec_lo, exec_lo, s5
.LBB102_649:
	s_delay_alu instid0(SALU_CYCLE_1) | instskip(SKIP_4) | instid1(VALU_DEP_1)
	s_or_b32 exec_lo, exec_lo, s4
	v_mov_b32_e32 v85, 0
	ds_load_b64 v[86:87], v85 offset:216
	s_wait_dscnt 0x0
	v_pk_mul_f32 v[88:89], v[82:83], v[86:87] op_sel:[1,1] op_sel_hi:[0,1]
	v_pk_fma_f32 v[90:91], v[82:83], v[86:87], v[88:89] op_sel_hi:[1,0,1]
	v_pk_fma_f32 v[82:83], v[82:83], v[86:87], v[88:89] neg_lo:[0,0,1] neg_hi:[0,0,1]
	s_delay_alu instid0(VALU_DEP_2)
	v_mov_b32_e32 v83, v91
	scratch_store_b64 off, v[82:83], off offset:216
.LBB102_650:
	s_wait_xcnt 0x0
	s_or_b32 exec_lo, exec_lo, s0
	scratch_load_b64 v[82:83], off, off offset:224
	s_mov_b32 s0, exec_lo
	s_wait_loadcnt 0x0
	ds_store_b64 v1, v[82:83]
	s_wait_storecnt_dscnt 0x0
	s_barrier_signal -1
	s_barrier_wait -1
	s_wait_xcnt 0x0
	v_cmpx_gt_u32_e32 28, v0
	s_cbranch_execz .LBB102_660
; %bb.651:
	v_cmp_ne_u32_e32 vcc_lo, 1, v84
	s_cbranch_vccnz .LBB102_653
; %bb.652:
	scratch_load_b64 v[82:83], v59, off
	ds_load_b64 v[86:87], v1
	s_wait_loadcnt_dscnt 0x0
	v_pk_mul_f32 v[88:89], v[86:87], v[82:83] op_sel:[1,1] op_sel_hi:[0,1]
	s_delay_alu instid0(VALU_DEP_1) | instskip(SKIP_1) | instid1(VALU_DEP_2)
	v_pk_fma_f32 v[90:91], v[86:87], v[82:83], v[88:89] op_sel_hi:[1,0,1]
	v_pk_fma_f32 v[82:83], v[86:87], v[82:83], v[88:89] neg_lo:[0,0,1] neg_hi:[0,0,1]
	v_mov_b32_e32 v83, v91
	s_cbranch_execz .LBB102_654
	s_branch .LBB102_655
.LBB102_653:
                                        ; implicit-def: $vgpr82_vgpr83
.LBB102_654:
	ds_load_b64 v[82:83], v1
.LBB102_655:
	s_mov_b32 s4, exec_lo
	v_cmpx_ne_u32_e32 27, v0
	s_cbranch_execz .LBB102_659
; %bb.656:
	v_add_nc_u32_e32 v85, 0x148, v58
	v_add3_u32 v86, 0, v58, 8
	v_mov_b32_e32 v87, v0
	s_mov_b32 s5, 0
.LBB102_657:                            ; =>This Inner Loop Header: Depth=1
	scratch_load_b64 v[88:89], v86, off
	ds_load_b64 v[90:91], v85
	s_wait_xcnt 0x0
	v_dual_add_nc_u32 v85, 8, v85 :: v_dual_add_nc_u32 v86, 8, v86
	s_wait_loadcnt_dscnt 0x0
	v_pk_mul_f32 v[92:93], v[90:91], v[88:89] op_sel:[1,1] op_sel_hi:[0,1]
	s_delay_alu instid0(VALU_DEP_1) | instskip(SKIP_2) | instid1(VALU_DEP_3)
	v_pk_fma_f32 v[94:95], v[90:91], v[88:89], v[92:93] op_sel_hi:[1,0,1]
	v_add_nc_u32_e32 v87, 1, v87
	v_pk_fma_f32 v[88:89], v[90:91], v[88:89], v[92:93] neg_lo:[0,0,1] neg_hi:[0,0,1]
	v_mov_b32_e32 v89, v95
	s_delay_alu instid0(VALU_DEP_3) | instskip(NEXT) | instid1(VALU_DEP_2)
	v_cmp_lt_u32_e32 vcc_lo, 26, v87
	v_pk_add_f32 v[82:83], v[82:83], v[88:89]
	s_or_b32 s5, vcc_lo, s5
	s_delay_alu instid0(SALU_CYCLE_1)
	s_and_not1_b32 exec_lo, exec_lo, s5
	s_cbranch_execnz .LBB102_657
; %bb.658:
	s_or_b32 exec_lo, exec_lo, s5
.LBB102_659:
	s_delay_alu instid0(SALU_CYCLE_1) | instskip(SKIP_4) | instid1(VALU_DEP_1)
	s_or_b32 exec_lo, exec_lo, s4
	v_mov_b32_e32 v85, 0
	ds_load_b64 v[86:87], v85 offset:224
	s_wait_dscnt 0x0
	v_pk_mul_f32 v[88:89], v[82:83], v[86:87] op_sel:[1,1] op_sel_hi:[0,1]
	v_pk_fma_f32 v[90:91], v[82:83], v[86:87], v[88:89] op_sel_hi:[1,0,1]
	v_pk_fma_f32 v[82:83], v[82:83], v[86:87], v[88:89] neg_lo:[0,0,1] neg_hi:[0,0,1]
	s_delay_alu instid0(VALU_DEP_2)
	v_mov_b32_e32 v83, v91
	scratch_store_b64 off, v[82:83], off offset:224
.LBB102_660:
	s_wait_xcnt 0x0
	s_or_b32 exec_lo, exec_lo, s0
	scratch_load_b64 v[82:83], off, off offset:232
	s_mov_b32 s0, exec_lo
	s_wait_loadcnt 0x0
	ds_store_b64 v1, v[82:83]
	s_wait_storecnt_dscnt 0x0
	s_barrier_signal -1
	s_barrier_wait -1
	s_wait_xcnt 0x0
	v_cmpx_gt_u32_e32 29, v0
	s_cbranch_execz .LBB102_670
; %bb.661:
	v_cmp_ne_u32_e32 vcc_lo, 1, v84
	s_cbranch_vccnz .LBB102_663
; %bb.662:
	scratch_load_b64 v[82:83], v59, off
	ds_load_b64 v[86:87], v1
	s_wait_loadcnt_dscnt 0x0
	v_pk_mul_f32 v[88:89], v[86:87], v[82:83] op_sel:[1,1] op_sel_hi:[0,1]
	s_delay_alu instid0(VALU_DEP_1) | instskip(SKIP_1) | instid1(VALU_DEP_2)
	v_pk_fma_f32 v[90:91], v[86:87], v[82:83], v[88:89] op_sel_hi:[1,0,1]
	v_pk_fma_f32 v[82:83], v[86:87], v[82:83], v[88:89] neg_lo:[0,0,1] neg_hi:[0,0,1]
	v_mov_b32_e32 v83, v91
	s_cbranch_execz .LBB102_664
	s_branch .LBB102_665
.LBB102_663:
                                        ; implicit-def: $vgpr82_vgpr83
.LBB102_664:
	ds_load_b64 v[82:83], v1
.LBB102_665:
	s_mov_b32 s4, exec_lo
	v_cmpx_ne_u32_e32 28, v0
	s_cbranch_execz .LBB102_669
; %bb.666:
	v_add_nc_u32_e32 v85, 0x148, v58
	v_add3_u32 v86, 0, v58, 8
	v_mov_b32_e32 v87, v0
	s_mov_b32 s5, 0
.LBB102_667:                            ; =>This Inner Loop Header: Depth=1
	scratch_load_b64 v[88:89], v86, off
	ds_load_b64 v[90:91], v85
	s_wait_xcnt 0x0
	v_dual_add_nc_u32 v85, 8, v85 :: v_dual_add_nc_u32 v86, 8, v86
	s_wait_loadcnt_dscnt 0x0
	v_pk_mul_f32 v[92:93], v[90:91], v[88:89] op_sel:[1,1] op_sel_hi:[0,1]
	s_delay_alu instid0(VALU_DEP_1) | instskip(SKIP_2) | instid1(VALU_DEP_3)
	v_pk_fma_f32 v[94:95], v[90:91], v[88:89], v[92:93] op_sel_hi:[1,0,1]
	v_add_nc_u32_e32 v87, 1, v87
	v_pk_fma_f32 v[88:89], v[90:91], v[88:89], v[92:93] neg_lo:[0,0,1] neg_hi:[0,0,1]
	v_mov_b32_e32 v89, v95
	s_delay_alu instid0(VALU_DEP_3) | instskip(NEXT) | instid1(VALU_DEP_2)
	v_cmp_lt_u32_e32 vcc_lo, 27, v87
	v_pk_add_f32 v[82:83], v[82:83], v[88:89]
	s_or_b32 s5, vcc_lo, s5
	s_delay_alu instid0(SALU_CYCLE_1)
	s_and_not1_b32 exec_lo, exec_lo, s5
	s_cbranch_execnz .LBB102_667
; %bb.668:
	s_or_b32 exec_lo, exec_lo, s5
.LBB102_669:
	s_delay_alu instid0(SALU_CYCLE_1) | instskip(SKIP_4) | instid1(VALU_DEP_1)
	s_or_b32 exec_lo, exec_lo, s4
	v_mov_b32_e32 v85, 0
	ds_load_b64 v[86:87], v85 offset:232
	s_wait_dscnt 0x0
	v_pk_mul_f32 v[88:89], v[82:83], v[86:87] op_sel:[1,1] op_sel_hi:[0,1]
	v_pk_fma_f32 v[90:91], v[82:83], v[86:87], v[88:89] op_sel_hi:[1,0,1]
	v_pk_fma_f32 v[82:83], v[82:83], v[86:87], v[88:89] neg_lo:[0,0,1] neg_hi:[0,0,1]
	s_delay_alu instid0(VALU_DEP_2)
	v_mov_b32_e32 v83, v91
	scratch_store_b64 off, v[82:83], off offset:232
.LBB102_670:
	s_wait_xcnt 0x0
	s_or_b32 exec_lo, exec_lo, s0
	scratch_load_b64 v[82:83], off, off offset:240
	s_mov_b32 s0, exec_lo
	s_wait_loadcnt 0x0
	ds_store_b64 v1, v[82:83]
	s_wait_storecnt_dscnt 0x0
	s_barrier_signal -1
	s_barrier_wait -1
	s_wait_xcnt 0x0
	v_cmpx_gt_u32_e32 30, v0
	s_cbranch_execz .LBB102_680
; %bb.671:
	v_cmp_ne_u32_e32 vcc_lo, 1, v84
	s_cbranch_vccnz .LBB102_673
; %bb.672:
	scratch_load_b64 v[82:83], v59, off
	ds_load_b64 v[86:87], v1
	s_wait_loadcnt_dscnt 0x0
	v_pk_mul_f32 v[88:89], v[86:87], v[82:83] op_sel:[1,1] op_sel_hi:[0,1]
	s_delay_alu instid0(VALU_DEP_1) | instskip(SKIP_1) | instid1(VALU_DEP_2)
	v_pk_fma_f32 v[90:91], v[86:87], v[82:83], v[88:89] op_sel_hi:[1,0,1]
	v_pk_fma_f32 v[82:83], v[86:87], v[82:83], v[88:89] neg_lo:[0,0,1] neg_hi:[0,0,1]
	v_mov_b32_e32 v83, v91
	s_cbranch_execz .LBB102_674
	s_branch .LBB102_675
.LBB102_673:
                                        ; implicit-def: $vgpr82_vgpr83
.LBB102_674:
	ds_load_b64 v[82:83], v1
.LBB102_675:
	s_mov_b32 s4, exec_lo
	v_cmpx_ne_u32_e32 29, v0
	s_cbranch_execz .LBB102_679
; %bb.676:
	v_add_nc_u32_e32 v85, 0x148, v58
	v_add3_u32 v86, 0, v58, 8
	v_mov_b32_e32 v87, v0
	s_mov_b32 s5, 0
.LBB102_677:                            ; =>This Inner Loop Header: Depth=1
	scratch_load_b64 v[88:89], v86, off
	ds_load_b64 v[90:91], v85
	s_wait_xcnt 0x0
	v_dual_add_nc_u32 v85, 8, v85 :: v_dual_add_nc_u32 v86, 8, v86
	s_wait_loadcnt_dscnt 0x0
	v_pk_mul_f32 v[92:93], v[90:91], v[88:89] op_sel:[1,1] op_sel_hi:[0,1]
	s_delay_alu instid0(VALU_DEP_1) | instskip(SKIP_2) | instid1(VALU_DEP_3)
	v_pk_fma_f32 v[94:95], v[90:91], v[88:89], v[92:93] op_sel_hi:[1,0,1]
	v_add_nc_u32_e32 v87, 1, v87
	v_pk_fma_f32 v[88:89], v[90:91], v[88:89], v[92:93] neg_lo:[0,0,1] neg_hi:[0,0,1]
	v_mov_b32_e32 v89, v95
	s_delay_alu instid0(VALU_DEP_3) | instskip(NEXT) | instid1(VALU_DEP_2)
	v_cmp_lt_u32_e32 vcc_lo, 28, v87
	v_pk_add_f32 v[82:83], v[82:83], v[88:89]
	s_or_b32 s5, vcc_lo, s5
	s_delay_alu instid0(SALU_CYCLE_1)
	s_and_not1_b32 exec_lo, exec_lo, s5
	s_cbranch_execnz .LBB102_677
; %bb.678:
	s_or_b32 exec_lo, exec_lo, s5
.LBB102_679:
	s_delay_alu instid0(SALU_CYCLE_1) | instskip(SKIP_4) | instid1(VALU_DEP_1)
	s_or_b32 exec_lo, exec_lo, s4
	v_mov_b32_e32 v85, 0
	ds_load_b64 v[86:87], v85 offset:240
	s_wait_dscnt 0x0
	v_pk_mul_f32 v[88:89], v[82:83], v[86:87] op_sel:[1,1] op_sel_hi:[0,1]
	v_pk_fma_f32 v[90:91], v[82:83], v[86:87], v[88:89] op_sel_hi:[1,0,1]
	v_pk_fma_f32 v[82:83], v[82:83], v[86:87], v[88:89] neg_lo:[0,0,1] neg_hi:[0,0,1]
	s_delay_alu instid0(VALU_DEP_2)
	v_mov_b32_e32 v83, v91
	scratch_store_b64 off, v[82:83], off offset:240
.LBB102_680:
	s_wait_xcnt 0x0
	s_or_b32 exec_lo, exec_lo, s0
	scratch_load_b64 v[82:83], off, off offset:248
	s_mov_b32 s0, exec_lo
	s_wait_loadcnt 0x0
	ds_store_b64 v1, v[82:83]
	s_wait_storecnt_dscnt 0x0
	s_barrier_signal -1
	s_barrier_wait -1
	s_wait_xcnt 0x0
	v_cmpx_gt_u32_e32 31, v0
	s_cbranch_execz .LBB102_690
; %bb.681:
	v_cmp_ne_u32_e32 vcc_lo, 1, v84
	s_cbranch_vccnz .LBB102_683
; %bb.682:
	scratch_load_b64 v[82:83], v59, off
	ds_load_b64 v[86:87], v1
	s_wait_loadcnt_dscnt 0x0
	v_pk_mul_f32 v[88:89], v[86:87], v[82:83] op_sel:[1,1] op_sel_hi:[0,1]
	s_delay_alu instid0(VALU_DEP_1) | instskip(SKIP_1) | instid1(VALU_DEP_2)
	v_pk_fma_f32 v[90:91], v[86:87], v[82:83], v[88:89] op_sel_hi:[1,0,1]
	v_pk_fma_f32 v[82:83], v[86:87], v[82:83], v[88:89] neg_lo:[0,0,1] neg_hi:[0,0,1]
	v_mov_b32_e32 v83, v91
	s_cbranch_execz .LBB102_684
	s_branch .LBB102_685
.LBB102_683:
                                        ; implicit-def: $vgpr82_vgpr83
.LBB102_684:
	ds_load_b64 v[82:83], v1
.LBB102_685:
	s_mov_b32 s4, exec_lo
	v_cmpx_ne_u32_e32 30, v0
	s_cbranch_execz .LBB102_689
; %bb.686:
	v_add_nc_u32_e32 v85, 0x148, v58
	v_add3_u32 v86, 0, v58, 8
	v_mov_b32_e32 v87, v0
	s_mov_b32 s5, 0
.LBB102_687:                            ; =>This Inner Loop Header: Depth=1
	scratch_load_b64 v[88:89], v86, off
	ds_load_b64 v[90:91], v85
	s_wait_xcnt 0x0
	v_dual_add_nc_u32 v85, 8, v85 :: v_dual_add_nc_u32 v86, 8, v86
	s_wait_loadcnt_dscnt 0x0
	v_pk_mul_f32 v[92:93], v[90:91], v[88:89] op_sel:[1,1] op_sel_hi:[0,1]
	s_delay_alu instid0(VALU_DEP_1) | instskip(SKIP_2) | instid1(VALU_DEP_3)
	v_pk_fma_f32 v[94:95], v[90:91], v[88:89], v[92:93] op_sel_hi:[1,0,1]
	v_add_nc_u32_e32 v87, 1, v87
	v_pk_fma_f32 v[88:89], v[90:91], v[88:89], v[92:93] neg_lo:[0,0,1] neg_hi:[0,0,1]
	v_mov_b32_e32 v89, v95
	s_delay_alu instid0(VALU_DEP_3) | instskip(NEXT) | instid1(VALU_DEP_2)
	v_cmp_lt_u32_e32 vcc_lo, 29, v87
	v_pk_add_f32 v[82:83], v[82:83], v[88:89]
	s_or_b32 s5, vcc_lo, s5
	s_delay_alu instid0(SALU_CYCLE_1)
	s_and_not1_b32 exec_lo, exec_lo, s5
	s_cbranch_execnz .LBB102_687
; %bb.688:
	s_or_b32 exec_lo, exec_lo, s5
.LBB102_689:
	s_delay_alu instid0(SALU_CYCLE_1) | instskip(SKIP_4) | instid1(VALU_DEP_1)
	s_or_b32 exec_lo, exec_lo, s4
	v_mov_b32_e32 v85, 0
	ds_load_b64 v[86:87], v85 offset:248
	s_wait_dscnt 0x0
	v_pk_mul_f32 v[88:89], v[82:83], v[86:87] op_sel:[1,1] op_sel_hi:[0,1]
	v_pk_fma_f32 v[90:91], v[82:83], v[86:87], v[88:89] op_sel_hi:[1,0,1]
	v_pk_fma_f32 v[82:83], v[82:83], v[86:87], v[88:89] neg_lo:[0,0,1] neg_hi:[0,0,1]
	s_delay_alu instid0(VALU_DEP_2)
	v_mov_b32_e32 v83, v91
	scratch_store_b64 off, v[82:83], off offset:248
.LBB102_690:
	s_wait_xcnt 0x0
	s_or_b32 exec_lo, exec_lo, s0
	scratch_load_b64 v[82:83], off, off offset:256
	s_mov_b32 s0, exec_lo
	s_wait_loadcnt 0x0
	ds_store_b64 v1, v[82:83]
	s_wait_storecnt_dscnt 0x0
	s_barrier_signal -1
	s_barrier_wait -1
	s_wait_xcnt 0x0
	v_cmpx_gt_u32_e32 32, v0
	s_cbranch_execz .LBB102_700
; %bb.691:
	v_cmp_ne_u32_e32 vcc_lo, 1, v84
	s_cbranch_vccnz .LBB102_693
; %bb.692:
	scratch_load_b64 v[82:83], v59, off
	ds_load_b64 v[86:87], v1
	s_wait_loadcnt_dscnt 0x0
	v_pk_mul_f32 v[88:89], v[86:87], v[82:83] op_sel:[1,1] op_sel_hi:[0,1]
	s_delay_alu instid0(VALU_DEP_1) | instskip(SKIP_1) | instid1(VALU_DEP_2)
	v_pk_fma_f32 v[90:91], v[86:87], v[82:83], v[88:89] op_sel_hi:[1,0,1]
	v_pk_fma_f32 v[82:83], v[86:87], v[82:83], v[88:89] neg_lo:[0,0,1] neg_hi:[0,0,1]
	v_mov_b32_e32 v83, v91
	s_cbranch_execz .LBB102_694
	s_branch .LBB102_695
.LBB102_693:
                                        ; implicit-def: $vgpr82_vgpr83
.LBB102_694:
	ds_load_b64 v[82:83], v1
.LBB102_695:
	s_mov_b32 s4, exec_lo
	v_cmpx_ne_u32_e32 31, v0
	s_cbranch_execz .LBB102_699
; %bb.696:
	v_add_nc_u32_e32 v85, 0x148, v58
	v_add3_u32 v86, 0, v58, 8
	v_mov_b32_e32 v87, v0
	s_mov_b32 s5, 0
.LBB102_697:                            ; =>This Inner Loop Header: Depth=1
	scratch_load_b64 v[88:89], v86, off
	ds_load_b64 v[90:91], v85
	s_wait_xcnt 0x0
	v_dual_add_nc_u32 v85, 8, v85 :: v_dual_add_nc_u32 v86, 8, v86
	s_wait_loadcnt_dscnt 0x0
	v_pk_mul_f32 v[92:93], v[90:91], v[88:89] op_sel:[1,1] op_sel_hi:[0,1]
	s_delay_alu instid0(VALU_DEP_1) | instskip(SKIP_2) | instid1(VALU_DEP_3)
	v_pk_fma_f32 v[94:95], v[90:91], v[88:89], v[92:93] op_sel_hi:[1,0,1]
	v_add_nc_u32_e32 v87, 1, v87
	v_pk_fma_f32 v[88:89], v[90:91], v[88:89], v[92:93] neg_lo:[0,0,1] neg_hi:[0,0,1]
	v_mov_b32_e32 v89, v95
	s_delay_alu instid0(VALU_DEP_3) | instskip(NEXT) | instid1(VALU_DEP_2)
	v_cmp_lt_u32_e32 vcc_lo, 30, v87
	v_pk_add_f32 v[82:83], v[82:83], v[88:89]
	s_or_b32 s5, vcc_lo, s5
	s_delay_alu instid0(SALU_CYCLE_1)
	s_and_not1_b32 exec_lo, exec_lo, s5
	s_cbranch_execnz .LBB102_697
; %bb.698:
	s_or_b32 exec_lo, exec_lo, s5
.LBB102_699:
	s_delay_alu instid0(SALU_CYCLE_1) | instskip(SKIP_4) | instid1(VALU_DEP_1)
	s_or_b32 exec_lo, exec_lo, s4
	v_mov_b32_e32 v85, 0
	ds_load_b64 v[86:87], v85 offset:256
	s_wait_dscnt 0x0
	v_pk_mul_f32 v[88:89], v[82:83], v[86:87] op_sel:[1,1] op_sel_hi:[0,1]
	v_pk_fma_f32 v[90:91], v[82:83], v[86:87], v[88:89] op_sel_hi:[1,0,1]
	v_pk_fma_f32 v[82:83], v[82:83], v[86:87], v[88:89] neg_lo:[0,0,1] neg_hi:[0,0,1]
	s_delay_alu instid0(VALU_DEP_2)
	v_mov_b32_e32 v83, v91
	scratch_store_b64 off, v[82:83], off offset:256
.LBB102_700:
	s_wait_xcnt 0x0
	s_or_b32 exec_lo, exec_lo, s0
	scratch_load_b64 v[82:83], off, off offset:264
	s_mov_b32 s0, exec_lo
	s_wait_loadcnt 0x0
	ds_store_b64 v1, v[82:83]
	s_wait_storecnt_dscnt 0x0
	s_barrier_signal -1
	s_barrier_wait -1
	s_wait_xcnt 0x0
	v_cmpx_gt_u32_e32 33, v0
	s_cbranch_execz .LBB102_710
; %bb.701:
	v_cmp_ne_u32_e32 vcc_lo, 1, v84
	s_cbranch_vccnz .LBB102_703
; %bb.702:
	scratch_load_b64 v[82:83], v59, off
	ds_load_b64 v[86:87], v1
	s_wait_loadcnt_dscnt 0x0
	v_pk_mul_f32 v[88:89], v[86:87], v[82:83] op_sel:[1,1] op_sel_hi:[0,1]
	s_delay_alu instid0(VALU_DEP_1) | instskip(SKIP_1) | instid1(VALU_DEP_2)
	v_pk_fma_f32 v[90:91], v[86:87], v[82:83], v[88:89] op_sel_hi:[1,0,1]
	v_pk_fma_f32 v[82:83], v[86:87], v[82:83], v[88:89] neg_lo:[0,0,1] neg_hi:[0,0,1]
	v_mov_b32_e32 v83, v91
	s_cbranch_execz .LBB102_704
	s_branch .LBB102_705
.LBB102_703:
                                        ; implicit-def: $vgpr82_vgpr83
.LBB102_704:
	ds_load_b64 v[82:83], v1
.LBB102_705:
	s_mov_b32 s4, exec_lo
	v_cmpx_ne_u32_e32 32, v0
	s_cbranch_execz .LBB102_709
; %bb.706:
	v_add_nc_u32_e32 v85, 0x148, v58
	v_add3_u32 v86, 0, v58, 8
	v_mov_b32_e32 v87, v0
	s_mov_b32 s5, 0
.LBB102_707:                            ; =>This Inner Loop Header: Depth=1
	scratch_load_b64 v[88:89], v86, off
	ds_load_b64 v[90:91], v85
	s_wait_xcnt 0x0
	v_dual_add_nc_u32 v85, 8, v85 :: v_dual_add_nc_u32 v86, 8, v86
	s_wait_loadcnt_dscnt 0x0
	v_pk_mul_f32 v[92:93], v[90:91], v[88:89] op_sel:[1,1] op_sel_hi:[0,1]
	s_delay_alu instid0(VALU_DEP_1) | instskip(SKIP_2) | instid1(VALU_DEP_3)
	v_pk_fma_f32 v[94:95], v[90:91], v[88:89], v[92:93] op_sel_hi:[1,0,1]
	v_add_nc_u32_e32 v87, 1, v87
	v_pk_fma_f32 v[88:89], v[90:91], v[88:89], v[92:93] neg_lo:[0,0,1] neg_hi:[0,0,1]
	v_mov_b32_e32 v89, v95
	s_delay_alu instid0(VALU_DEP_3) | instskip(NEXT) | instid1(VALU_DEP_2)
	v_cmp_lt_u32_e32 vcc_lo, 31, v87
	v_pk_add_f32 v[82:83], v[82:83], v[88:89]
	s_or_b32 s5, vcc_lo, s5
	s_delay_alu instid0(SALU_CYCLE_1)
	s_and_not1_b32 exec_lo, exec_lo, s5
	s_cbranch_execnz .LBB102_707
; %bb.708:
	s_or_b32 exec_lo, exec_lo, s5
.LBB102_709:
	s_delay_alu instid0(SALU_CYCLE_1) | instskip(SKIP_4) | instid1(VALU_DEP_1)
	s_or_b32 exec_lo, exec_lo, s4
	v_mov_b32_e32 v85, 0
	ds_load_b64 v[86:87], v85 offset:264
	s_wait_dscnt 0x0
	v_pk_mul_f32 v[88:89], v[82:83], v[86:87] op_sel:[1,1] op_sel_hi:[0,1]
	v_pk_fma_f32 v[90:91], v[82:83], v[86:87], v[88:89] op_sel_hi:[1,0,1]
	v_pk_fma_f32 v[82:83], v[82:83], v[86:87], v[88:89] neg_lo:[0,0,1] neg_hi:[0,0,1]
	s_delay_alu instid0(VALU_DEP_2)
	v_mov_b32_e32 v83, v91
	scratch_store_b64 off, v[82:83], off offset:264
.LBB102_710:
	s_wait_xcnt 0x0
	s_or_b32 exec_lo, exec_lo, s0
	scratch_load_b64 v[82:83], off, off offset:272
	s_mov_b32 s0, exec_lo
	s_wait_loadcnt 0x0
	ds_store_b64 v1, v[82:83]
	s_wait_storecnt_dscnt 0x0
	s_barrier_signal -1
	s_barrier_wait -1
	s_wait_xcnt 0x0
	v_cmpx_gt_u32_e32 34, v0
	s_cbranch_execz .LBB102_720
; %bb.711:
	v_cmp_ne_u32_e32 vcc_lo, 1, v84
	s_cbranch_vccnz .LBB102_713
; %bb.712:
	scratch_load_b64 v[82:83], v59, off
	ds_load_b64 v[86:87], v1
	s_wait_loadcnt_dscnt 0x0
	v_pk_mul_f32 v[88:89], v[86:87], v[82:83] op_sel:[1,1] op_sel_hi:[0,1]
	s_delay_alu instid0(VALU_DEP_1) | instskip(SKIP_1) | instid1(VALU_DEP_2)
	v_pk_fma_f32 v[90:91], v[86:87], v[82:83], v[88:89] op_sel_hi:[1,0,1]
	v_pk_fma_f32 v[82:83], v[86:87], v[82:83], v[88:89] neg_lo:[0,0,1] neg_hi:[0,0,1]
	v_mov_b32_e32 v83, v91
	s_cbranch_execz .LBB102_714
	s_branch .LBB102_715
.LBB102_713:
                                        ; implicit-def: $vgpr82_vgpr83
.LBB102_714:
	ds_load_b64 v[82:83], v1
.LBB102_715:
	s_mov_b32 s4, exec_lo
	v_cmpx_ne_u32_e32 33, v0
	s_cbranch_execz .LBB102_719
; %bb.716:
	v_add_nc_u32_e32 v85, 0x148, v58
	v_add3_u32 v86, 0, v58, 8
	v_mov_b32_e32 v87, v0
	s_mov_b32 s5, 0
.LBB102_717:                            ; =>This Inner Loop Header: Depth=1
	scratch_load_b64 v[88:89], v86, off
	ds_load_b64 v[90:91], v85
	s_wait_xcnt 0x0
	v_dual_add_nc_u32 v85, 8, v85 :: v_dual_add_nc_u32 v86, 8, v86
	s_wait_loadcnt_dscnt 0x0
	v_pk_mul_f32 v[92:93], v[90:91], v[88:89] op_sel:[1,1] op_sel_hi:[0,1]
	s_delay_alu instid0(VALU_DEP_1) | instskip(SKIP_2) | instid1(VALU_DEP_3)
	v_pk_fma_f32 v[94:95], v[90:91], v[88:89], v[92:93] op_sel_hi:[1,0,1]
	v_add_nc_u32_e32 v87, 1, v87
	v_pk_fma_f32 v[88:89], v[90:91], v[88:89], v[92:93] neg_lo:[0,0,1] neg_hi:[0,0,1]
	v_mov_b32_e32 v89, v95
	s_delay_alu instid0(VALU_DEP_3) | instskip(NEXT) | instid1(VALU_DEP_2)
	v_cmp_lt_u32_e32 vcc_lo, 32, v87
	v_pk_add_f32 v[82:83], v[82:83], v[88:89]
	s_or_b32 s5, vcc_lo, s5
	s_delay_alu instid0(SALU_CYCLE_1)
	s_and_not1_b32 exec_lo, exec_lo, s5
	s_cbranch_execnz .LBB102_717
; %bb.718:
	s_or_b32 exec_lo, exec_lo, s5
.LBB102_719:
	s_delay_alu instid0(SALU_CYCLE_1) | instskip(SKIP_4) | instid1(VALU_DEP_1)
	s_or_b32 exec_lo, exec_lo, s4
	v_mov_b32_e32 v85, 0
	ds_load_b64 v[86:87], v85 offset:272
	s_wait_dscnt 0x0
	v_pk_mul_f32 v[88:89], v[82:83], v[86:87] op_sel:[1,1] op_sel_hi:[0,1]
	v_pk_fma_f32 v[90:91], v[82:83], v[86:87], v[88:89] op_sel_hi:[1,0,1]
	v_pk_fma_f32 v[82:83], v[82:83], v[86:87], v[88:89] neg_lo:[0,0,1] neg_hi:[0,0,1]
	s_delay_alu instid0(VALU_DEP_2)
	v_mov_b32_e32 v83, v91
	scratch_store_b64 off, v[82:83], off offset:272
.LBB102_720:
	s_wait_xcnt 0x0
	s_or_b32 exec_lo, exec_lo, s0
	scratch_load_b64 v[82:83], off, off offset:280
	s_mov_b32 s0, exec_lo
	s_wait_loadcnt 0x0
	ds_store_b64 v1, v[82:83]
	s_wait_storecnt_dscnt 0x0
	s_barrier_signal -1
	s_barrier_wait -1
	s_wait_xcnt 0x0
	v_cmpx_gt_u32_e32 35, v0
	s_cbranch_execz .LBB102_730
; %bb.721:
	v_cmp_ne_u32_e32 vcc_lo, 1, v84
	s_cbranch_vccnz .LBB102_723
; %bb.722:
	scratch_load_b64 v[82:83], v59, off
	ds_load_b64 v[86:87], v1
	s_wait_loadcnt_dscnt 0x0
	v_pk_mul_f32 v[88:89], v[86:87], v[82:83] op_sel:[1,1] op_sel_hi:[0,1]
	s_delay_alu instid0(VALU_DEP_1) | instskip(SKIP_1) | instid1(VALU_DEP_2)
	v_pk_fma_f32 v[90:91], v[86:87], v[82:83], v[88:89] op_sel_hi:[1,0,1]
	v_pk_fma_f32 v[82:83], v[86:87], v[82:83], v[88:89] neg_lo:[0,0,1] neg_hi:[0,0,1]
	v_mov_b32_e32 v83, v91
	s_cbranch_execz .LBB102_724
	s_branch .LBB102_725
.LBB102_723:
                                        ; implicit-def: $vgpr82_vgpr83
.LBB102_724:
	ds_load_b64 v[82:83], v1
.LBB102_725:
	s_mov_b32 s4, exec_lo
	v_cmpx_ne_u32_e32 34, v0
	s_cbranch_execz .LBB102_729
; %bb.726:
	v_add_nc_u32_e32 v85, 0x148, v58
	v_add3_u32 v86, 0, v58, 8
	v_mov_b32_e32 v87, v0
	s_mov_b32 s5, 0
.LBB102_727:                            ; =>This Inner Loop Header: Depth=1
	scratch_load_b64 v[88:89], v86, off
	ds_load_b64 v[90:91], v85
	s_wait_xcnt 0x0
	v_dual_add_nc_u32 v85, 8, v85 :: v_dual_add_nc_u32 v86, 8, v86
	s_wait_loadcnt_dscnt 0x0
	v_pk_mul_f32 v[92:93], v[90:91], v[88:89] op_sel:[1,1] op_sel_hi:[0,1]
	s_delay_alu instid0(VALU_DEP_1) | instskip(SKIP_2) | instid1(VALU_DEP_3)
	v_pk_fma_f32 v[94:95], v[90:91], v[88:89], v[92:93] op_sel_hi:[1,0,1]
	v_add_nc_u32_e32 v87, 1, v87
	v_pk_fma_f32 v[88:89], v[90:91], v[88:89], v[92:93] neg_lo:[0,0,1] neg_hi:[0,0,1]
	v_mov_b32_e32 v89, v95
	s_delay_alu instid0(VALU_DEP_3) | instskip(NEXT) | instid1(VALU_DEP_2)
	v_cmp_lt_u32_e32 vcc_lo, 33, v87
	v_pk_add_f32 v[82:83], v[82:83], v[88:89]
	s_or_b32 s5, vcc_lo, s5
	s_delay_alu instid0(SALU_CYCLE_1)
	s_and_not1_b32 exec_lo, exec_lo, s5
	s_cbranch_execnz .LBB102_727
; %bb.728:
	s_or_b32 exec_lo, exec_lo, s5
.LBB102_729:
	s_delay_alu instid0(SALU_CYCLE_1) | instskip(SKIP_4) | instid1(VALU_DEP_1)
	s_or_b32 exec_lo, exec_lo, s4
	v_mov_b32_e32 v85, 0
	ds_load_b64 v[86:87], v85 offset:280
	s_wait_dscnt 0x0
	v_pk_mul_f32 v[88:89], v[82:83], v[86:87] op_sel:[1,1] op_sel_hi:[0,1]
	v_pk_fma_f32 v[90:91], v[82:83], v[86:87], v[88:89] op_sel_hi:[1,0,1]
	v_pk_fma_f32 v[82:83], v[82:83], v[86:87], v[88:89] neg_lo:[0,0,1] neg_hi:[0,0,1]
	s_delay_alu instid0(VALU_DEP_2)
	v_mov_b32_e32 v83, v91
	scratch_store_b64 off, v[82:83], off offset:280
.LBB102_730:
	s_wait_xcnt 0x0
	s_or_b32 exec_lo, exec_lo, s0
	scratch_load_b64 v[82:83], off, off offset:288
	s_mov_b32 s0, exec_lo
	s_wait_loadcnt 0x0
	ds_store_b64 v1, v[82:83]
	s_wait_storecnt_dscnt 0x0
	s_barrier_signal -1
	s_barrier_wait -1
	s_wait_xcnt 0x0
	v_cmpx_gt_u32_e32 36, v0
	s_cbranch_execz .LBB102_740
; %bb.731:
	v_cmp_ne_u32_e32 vcc_lo, 1, v84
	s_cbranch_vccnz .LBB102_733
; %bb.732:
	scratch_load_b64 v[82:83], v59, off
	ds_load_b64 v[86:87], v1
	s_wait_loadcnt_dscnt 0x0
	v_pk_mul_f32 v[88:89], v[86:87], v[82:83] op_sel:[1,1] op_sel_hi:[0,1]
	s_delay_alu instid0(VALU_DEP_1) | instskip(SKIP_1) | instid1(VALU_DEP_2)
	v_pk_fma_f32 v[90:91], v[86:87], v[82:83], v[88:89] op_sel_hi:[1,0,1]
	v_pk_fma_f32 v[82:83], v[86:87], v[82:83], v[88:89] neg_lo:[0,0,1] neg_hi:[0,0,1]
	v_mov_b32_e32 v83, v91
	s_cbranch_execz .LBB102_734
	s_branch .LBB102_735
.LBB102_733:
                                        ; implicit-def: $vgpr82_vgpr83
.LBB102_734:
	ds_load_b64 v[82:83], v1
.LBB102_735:
	s_mov_b32 s4, exec_lo
	v_cmpx_ne_u32_e32 35, v0
	s_cbranch_execz .LBB102_739
; %bb.736:
	v_add_nc_u32_e32 v85, 0x148, v58
	v_add3_u32 v86, 0, v58, 8
	v_mov_b32_e32 v87, v0
	s_mov_b32 s5, 0
.LBB102_737:                            ; =>This Inner Loop Header: Depth=1
	scratch_load_b64 v[88:89], v86, off
	ds_load_b64 v[90:91], v85
	s_wait_xcnt 0x0
	v_dual_add_nc_u32 v85, 8, v85 :: v_dual_add_nc_u32 v86, 8, v86
	s_wait_loadcnt_dscnt 0x0
	v_pk_mul_f32 v[92:93], v[90:91], v[88:89] op_sel:[1,1] op_sel_hi:[0,1]
	s_delay_alu instid0(VALU_DEP_1) | instskip(SKIP_2) | instid1(VALU_DEP_3)
	v_pk_fma_f32 v[94:95], v[90:91], v[88:89], v[92:93] op_sel_hi:[1,0,1]
	v_add_nc_u32_e32 v87, 1, v87
	v_pk_fma_f32 v[88:89], v[90:91], v[88:89], v[92:93] neg_lo:[0,0,1] neg_hi:[0,0,1]
	v_mov_b32_e32 v89, v95
	s_delay_alu instid0(VALU_DEP_3) | instskip(NEXT) | instid1(VALU_DEP_2)
	v_cmp_lt_u32_e32 vcc_lo, 34, v87
	v_pk_add_f32 v[82:83], v[82:83], v[88:89]
	s_or_b32 s5, vcc_lo, s5
	s_delay_alu instid0(SALU_CYCLE_1)
	s_and_not1_b32 exec_lo, exec_lo, s5
	s_cbranch_execnz .LBB102_737
; %bb.738:
	s_or_b32 exec_lo, exec_lo, s5
.LBB102_739:
	s_delay_alu instid0(SALU_CYCLE_1) | instskip(SKIP_4) | instid1(VALU_DEP_1)
	s_or_b32 exec_lo, exec_lo, s4
	v_mov_b32_e32 v85, 0
	ds_load_b64 v[86:87], v85 offset:288
	s_wait_dscnt 0x0
	v_pk_mul_f32 v[88:89], v[82:83], v[86:87] op_sel:[1,1] op_sel_hi:[0,1]
	v_pk_fma_f32 v[90:91], v[82:83], v[86:87], v[88:89] op_sel_hi:[1,0,1]
	v_pk_fma_f32 v[82:83], v[82:83], v[86:87], v[88:89] neg_lo:[0,0,1] neg_hi:[0,0,1]
	s_delay_alu instid0(VALU_DEP_2)
	v_mov_b32_e32 v83, v91
	scratch_store_b64 off, v[82:83], off offset:288
.LBB102_740:
	s_wait_xcnt 0x0
	s_or_b32 exec_lo, exec_lo, s0
	scratch_load_b64 v[82:83], off, off offset:296
	v_cmp_gt_u32_e64 s0, 37, v0
	s_wait_loadcnt 0x0
	ds_store_b64 v1, v[82:83]
	s_wait_storecnt_dscnt 0x0
	s_barrier_signal -1
	s_barrier_wait -1
	s_wait_xcnt 0x0
	s_and_saveexec_b32 s4, s0
	s_cbranch_execz .LBB102_750
; %bb.741:
	v_cmp_ne_u32_e32 vcc_lo, 1, v84
	s_cbranch_vccnz .LBB102_743
; %bb.742:
	scratch_load_b64 v[82:83], v59, off
	ds_load_b64 v[86:87], v1
	s_wait_loadcnt_dscnt 0x0
	v_pk_mul_f32 v[88:89], v[86:87], v[82:83] op_sel:[1,1] op_sel_hi:[0,1]
	s_delay_alu instid0(VALU_DEP_1) | instskip(SKIP_1) | instid1(VALU_DEP_2)
	v_pk_fma_f32 v[90:91], v[86:87], v[82:83], v[88:89] op_sel_hi:[1,0,1]
	v_pk_fma_f32 v[82:83], v[86:87], v[82:83], v[88:89] neg_lo:[0,0,1] neg_hi:[0,0,1]
	v_mov_b32_e32 v83, v91
	s_cbranch_execz .LBB102_744
	s_branch .LBB102_745
.LBB102_743:
                                        ; implicit-def: $vgpr82_vgpr83
.LBB102_744:
	ds_load_b64 v[82:83], v1
.LBB102_745:
	s_mov_b32 s5, exec_lo
	v_cmpx_ne_u32_e32 36, v0
	s_cbranch_execz .LBB102_749
; %bb.746:
	v_add_nc_u32_e32 v85, 0x148, v58
	v_add3_u32 v86, 0, v58, 8
	v_mov_b32_e32 v87, v0
	s_mov_b32 s6, 0
.LBB102_747:                            ; =>This Inner Loop Header: Depth=1
	scratch_load_b64 v[88:89], v86, off
	ds_load_b64 v[90:91], v85
	s_wait_xcnt 0x0
	v_dual_add_nc_u32 v85, 8, v85 :: v_dual_add_nc_u32 v86, 8, v86
	s_wait_loadcnt_dscnt 0x0
	v_pk_mul_f32 v[92:93], v[90:91], v[88:89] op_sel:[1,1] op_sel_hi:[0,1]
	s_delay_alu instid0(VALU_DEP_1) | instskip(SKIP_2) | instid1(VALU_DEP_3)
	v_pk_fma_f32 v[94:95], v[90:91], v[88:89], v[92:93] op_sel_hi:[1,0,1]
	v_add_nc_u32_e32 v87, 1, v87
	v_pk_fma_f32 v[88:89], v[90:91], v[88:89], v[92:93] neg_lo:[0,0,1] neg_hi:[0,0,1]
	v_mov_b32_e32 v89, v95
	s_delay_alu instid0(VALU_DEP_3) | instskip(NEXT) | instid1(VALU_DEP_2)
	v_cmp_lt_u32_e32 vcc_lo, 35, v87
	v_pk_add_f32 v[82:83], v[82:83], v[88:89]
	s_or_b32 s6, vcc_lo, s6
	s_delay_alu instid0(SALU_CYCLE_1)
	s_and_not1_b32 exec_lo, exec_lo, s6
	s_cbranch_execnz .LBB102_747
; %bb.748:
	s_or_b32 exec_lo, exec_lo, s6
.LBB102_749:
	s_delay_alu instid0(SALU_CYCLE_1) | instskip(SKIP_4) | instid1(VALU_DEP_1)
	s_or_b32 exec_lo, exec_lo, s5
	v_mov_b32_e32 v85, 0
	ds_load_b64 v[86:87], v85 offset:296
	s_wait_dscnt 0x0
	v_pk_mul_f32 v[88:89], v[82:83], v[86:87] op_sel:[1,1] op_sel_hi:[0,1]
	v_pk_fma_f32 v[90:91], v[82:83], v[86:87], v[88:89] op_sel_hi:[1,0,1]
	v_pk_fma_f32 v[82:83], v[82:83], v[86:87], v[88:89] neg_lo:[0,0,1] neg_hi:[0,0,1]
	s_delay_alu instid0(VALU_DEP_2)
	v_mov_b32_e32 v83, v91
	scratch_store_b64 off, v[82:83], off offset:296
.LBB102_750:
	s_wait_xcnt 0x0
	s_or_b32 exec_lo, exec_lo, s4
	scratch_load_b64 v[82:83], off, off offset:304
	s_mov_b32 s4, exec_lo
                                        ; implicit-def: $vgpr116
                                        ; implicit-def: $sgpr7
	s_wait_loadcnt 0x0
	ds_store_b64 v1, v[82:83]
	s_wait_storecnt_dscnt 0x0
	s_barrier_signal -1
	s_barrier_wait -1
	s_wait_xcnt 0x0
	v_cmpx_ne_u32_e32 38, v0
	s_cbranch_execz .LBB102_760
; %bb.751:
	v_cmp_ne_u32_e32 vcc_lo, 1, v84
	s_cbranch_vccnz .LBB102_753
; %bb.752:
	scratch_load_b64 v[84:85], v59, off
	ds_load_b64 v[86:87], v1
	s_wait_loadcnt_dscnt 0x0
	v_dual_mul_f32 v59, v87, v85 :: v_dual_mul_f32 v83, v86, v85
	s_delay_alu instid0(VALU_DEP_1) | instskip(NEXT) | instid1(VALU_DEP_2)
	v_fma_f32 v82, v86, v84, -v59
	v_fmac_f32_e32 v83, v87, v84
	s_cbranch_execz .LBB102_754
	s_branch .LBB102_755
.LBB102_753:
                                        ; implicit-def: $vgpr83
.LBB102_754:
	ds_load_b64 v[82:83], v1
.LBB102_755:
	s_and_saveexec_b32 s5, s0
	s_cbranch_execz .LBB102_759
; %bb.756:
	v_add_nc_u32_e32 v1, 0x148, v58
	v_add3_u32 v58, 0, v58, 8
	s_mov_b32 s0, 0
.LBB102_757:                            ; =>This Inner Loop Header: Depth=1
	scratch_load_b64 v[84:85], v58, off
	ds_load_b64 v[86:87], v1
	v_dual_add_nc_u32 v0, 1, v0 :: v_dual_add_nc_u32 v1, 8, v1
	s_delay_alu instid0(VALU_DEP_1) | instskip(SKIP_3) | instid1(VALU_DEP_1)
	v_cmp_lt_u32_e32 vcc_lo, 36, v0
	s_or_b32 s0, vcc_lo, s0
	s_wait_loadcnt_dscnt 0x0
	v_dual_mul_f32 v59, v87, v85 :: v_dual_mul_f32 v85, v86, v85
	v_dual_fma_f32 v59, v86, v84, -v59 :: v_dual_fmac_f32 v85, v87, v84
	s_delay_alu instid0(VALU_DEP_1) | instskip(NEXT) | instid1(VALU_DEP_2)
	v_dual_add_nc_u32 v58, 8, v58 :: v_dual_add_f32 v82, v82, v59
	v_add_f32_e32 v83, v83, v85
	s_and_not1_b32 exec_lo, exec_lo, s0
	s_cbranch_execnz .LBB102_757
; %bb.758:
	s_or_b32 exec_lo, exec_lo, s0
.LBB102_759:
	s_delay_alu instid0(SALU_CYCLE_1)
	s_or_b32 exec_lo, exec_lo, s5
	v_mov_b32_e32 v0, 0
	s_movk_i32 s7, 0x134
	s_or_b32 s1, s1, exec_lo
	ds_load_b64 v[0:1], v0 offset:304
	s_wait_dscnt 0x0
	v_dual_mul_f32 v58, v83, v1 :: v_dual_mul_f32 v116, v82, v1
	s_delay_alu instid0(VALU_DEP_1)
	v_dual_fma_f32 v1, v82, v0, -v58 :: v_dual_fmac_f32 v116, v83, v0
	scratch_store_b32 off, v1, off offset:304
.LBB102_760:
	s_wait_xcnt 0x0
	s_or_b32 exec_lo, exec_lo, s4
.LBB102_761:
	v_lshl_add_u64 v[114:115], v[6:7], 3, s[2:3]
	v_lshl_add_u64 v[112:113], v[8:9], 3, s[2:3]
	v_lshl_add_u64 v[110:111], v[10:11], 3, s[2:3]
	v_lshl_add_u64 v[108:109], v[12:13], 3, s[2:3]
	v_lshl_add_u64 v[106:107], v[14:15], 3, s[2:3]
	v_lshl_add_u64 v[104:105], v[16:17], 3, s[2:3]
	v_lshl_add_u64 v[102:103], v[18:19], 3, s[2:3]
	v_lshl_add_u64 v[100:101], v[20:21], 3, s[2:3]
	v_lshl_add_u64 v[98:99], v[22:23], 3, s[2:3]
	v_lshl_add_u64 v[96:97], v[24:25], 3, s[2:3]
	v_lshl_add_u64 v[94:95], v[26:27], 3, s[2:3]
	v_lshl_add_u64 v[92:93], v[28:29], 3, s[2:3]
	v_lshl_add_u64 v[90:91], v[30:31], 3, s[2:3]
	v_lshl_add_u64 v[88:89], v[32:33], 3, s[2:3]
	v_lshl_add_u64 v[86:87], v[34:35], 3, s[2:3]
	v_lshl_add_u64 v[84:85], v[36:37], 3, s[2:3]
	v_lshl_add_u64 v[82:83], v[38:39], 3, s[2:3]
	v_lshl_add_u64 v[58:59], v[40:41], 3, s[2:3]
	v_lshl_add_u64 v[40:41], v[42:43], 3, s[2:3]
	v_lshl_add_u64 v[38:39], v[44:45], 3, s[2:3]
	v_lshl_add_u64 v[36:37], v[46:47], 3, s[2:3]
	v_lshl_add_u64 v[34:35], v[48:49], 3, s[2:3]
	v_lshl_add_u64 v[32:33], v[50:51], 3, s[2:3]
	v_lshl_add_u64 v[30:31], v[52:53], 3, s[2:3]
	v_lshl_add_u64 v[28:29], v[54:55], 3, s[2:3]
	v_lshl_add_u64 v[26:27], v[56:57], 3, s[2:3]
	v_lshl_add_u64 v[24:25], v[60:61], 3, s[2:3]
	v_lshl_add_u64 v[22:23], v[62:63], 3, s[2:3]
	v_lshl_add_u64 v[20:21], v[64:65], 3, s[2:3]
	v_lshl_add_u64 v[18:19], v[66:67], 3, s[2:3]
	v_lshl_add_u64 v[16:17], v[68:69], 3, s[2:3]
	v_lshl_add_u64 v[14:15], v[70:71], 3, s[2:3]
	v_lshl_add_u64 v[12:13], v[72:73], 3, s[2:3]
	v_lshl_add_u64 v[10:11], v[74:75], 3, s[2:3]
	v_lshl_add_u64 v[8:9], v[76:77], 3, s[2:3]
	v_lshl_add_u64 v[6:7], v[78:79], 3, s[2:3]
	v_lshl_add_u64 v[0:1], v[80:81], 3, s[2:3]
	s_and_saveexec_b32 s0, s1
	s_cbranch_execz .LBB102_763
; %bb.762:
	scratch_store_b32 off, v116, s7
.LBB102_763:
	s_wait_xcnt 0x0
	s_or_b32 exec_lo, exec_lo, s0
	scratch_load_b64 v[42:43], off, off
	s_wait_loadcnt 0x0
	flat_store_b64 v[2:3], v[42:43]
	scratch_load_b64 v[2:3], off, off offset:8
	s_wait_loadcnt 0x0
	flat_store_b64 v[4:5], v[2:3]
	scratch_load_b64 v[2:3], off, off offset:16
	;; [unrolled: 3-line block ×38, first 2 shown]
	s_wait_loadcnt 0x0
	flat_store_b64 v[0:1], v[2:3]
.LBB102_764:
	s_sendmsg sendmsg(MSG_DEALLOC_VGPRS)
	s_endpgm
	.section	.rodata,"a",@progbits
	.p2align	6, 0x0
	.amdhsa_kernel _ZN9rocsolver6v33100L18trti2_kernel_smallILi39E19rocblas_complex_numIfEPKPS3_EEv13rocblas_fill_17rocblas_diagonal_T1_iil
		.amdhsa_group_segment_fixed_size 632
		.amdhsa_private_segment_fixed_size 320
		.amdhsa_kernarg_size 32
		.amdhsa_user_sgpr_count 2
		.amdhsa_user_sgpr_dispatch_ptr 0
		.amdhsa_user_sgpr_queue_ptr 0
		.amdhsa_user_sgpr_kernarg_segment_ptr 1
		.amdhsa_user_sgpr_dispatch_id 0
		.amdhsa_user_sgpr_kernarg_preload_length 0
		.amdhsa_user_sgpr_kernarg_preload_offset 0
		.amdhsa_user_sgpr_private_segment_size 0
		.amdhsa_wavefront_size32 1
		.amdhsa_uses_dynamic_stack 0
		.amdhsa_enable_private_segment 1
		.amdhsa_system_sgpr_workgroup_id_x 1
		.amdhsa_system_sgpr_workgroup_id_y 0
		.amdhsa_system_sgpr_workgroup_id_z 0
		.amdhsa_system_sgpr_workgroup_info 0
		.amdhsa_system_vgpr_workitem_id 0
		.amdhsa_next_free_vgpr 117
		.amdhsa_next_free_sgpr 45
		.amdhsa_named_barrier_count 0
		.amdhsa_reserve_vcc 1
		.amdhsa_float_round_mode_32 0
		.amdhsa_float_round_mode_16_64 0
		.amdhsa_float_denorm_mode_32 3
		.amdhsa_float_denorm_mode_16_64 3
		.amdhsa_fp16_overflow 0
		.amdhsa_memory_ordered 1
		.amdhsa_forward_progress 1
		.amdhsa_inst_pref_size 235
		.amdhsa_round_robin_scheduling 0
		.amdhsa_exception_fp_ieee_invalid_op 0
		.amdhsa_exception_fp_denorm_src 0
		.amdhsa_exception_fp_ieee_div_zero 0
		.amdhsa_exception_fp_ieee_overflow 0
		.amdhsa_exception_fp_ieee_underflow 0
		.amdhsa_exception_fp_ieee_inexact 0
		.amdhsa_exception_int_div_zero 0
	.end_amdhsa_kernel
	.section	.text._ZN9rocsolver6v33100L18trti2_kernel_smallILi39E19rocblas_complex_numIfEPKPS3_EEv13rocblas_fill_17rocblas_diagonal_T1_iil,"axG",@progbits,_ZN9rocsolver6v33100L18trti2_kernel_smallILi39E19rocblas_complex_numIfEPKPS3_EEv13rocblas_fill_17rocblas_diagonal_T1_iil,comdat
.Lfunc_end102:
	.size	_ZN9rocsolver6v33100L18trti2_kernel_smallILi39E19rocblas_complex_numIfEPKPS3_EEv13rocblas_fill_17rocblas_diagonal_T1_iil, .Lfunc_end102-_ZN9rocsolver6v33100L18trti2_kernel_smallILi39E19rocblas_complex_numIfEPKPS3_EEv13rocblas_fill_17rocblas_diagonal_T1_iil
                                        ; -- End function
	.set _ZN9rocsolver6v33100L18trti2_kernel_smallILi39E19rocblas_complex_numIfEPKPS3_EEv13rocblas_fill_17rocblas_diagonal_T1_iil.num_vgpr, 117
	.set _ZN9rocsolver6v33100L18trti2_kernel_smallILi39E19rocblas_complex_numIfEPKPS3_EEv13rocblas_fill_17rocblas_diagonal_T1_iil.num_agpr, 0
	.set _ZN9rocsolver6v33100L18trti2_kernel_smallILi39E19rocblas_complex_numIfEPKPS3_EEv13rocblas_fill_17rocblas_diagonal_T1_iil.numbered_sgpr, 45
	.set _ZN9rocsolver6v33100L18trti2_kernel_smallILi39E19rocblas_complex_numIfEPKPS3_EEv13rocblas_fill_17rocblas_diagonal_T1_iil.num_named_barrier, 0
	.set _ZN9rocsolver6v33100L18trti2_kernel_smallILi39E19rocblas_complex_numIfEPKPS3_EEv13rocblas_fill_17rocblas_diagonal_T1_iil.private_seg_size, 320
	.set _ZN9rocsolver6v33100L18trti2_kernel_smallILi39E19rocblas_complex_numIfEPKPS3_EEv13rocblas_fill_17rocblas_diagonal_T1_iil.uses_vcc, 1
	.set _ZN9rocsolver6v33100L18trti2_kernel_smallILi39E19rocblas_complex_numIfEPKPS3_EEv13rocblas_fill_17rocblas_diagonal_T1_iil.uses_flat_scratch, 0
	.set _ZN9rocsolver6v33100L18trti2_kernel_smallILi39E19rocblas_complex_numIfEPKPS3_EEv13rocblas_fill_17rocblas_diagonal_T1_iil.has_dyn_sized_stack, 0
	.set _ZN9rocsolver6v33100L18trti2_kernel_smallILi39E19rocblas_complex_numIfEPKPS3_EEv13rocblas_fill_17rocblas_diagonal_T1_iil.has_recursion, 0
	.set _ZN9rocsolver6v33100L18trti2_kernel_smallILi39E19rocblas_complex_numIfEPKPS3_EEv13rocblas_fill_17rocblas_diagonal_T1_iil.has_indirect_call, 0
	.section	.AMDGPU.csdata,"",@progbits
; Kernel info:
; codeLenInByte = 30056
; TotalNumSgprs: 47
; NumVgprs: 117
; ScratchSize: 320
; MemoryBound: 0
; FloatMode: 240
; IeeeMode: 1
; LDSByteSize: 632 bytes/workgroup (compile time only)
; SGPRBlocks: 0
; VGPRBlocks: 7
; NumSGPRsForWavesPerEU: 47
; NumVGPRsForWavesPerEU: 117
; NamedBarCnt: 0
; Occupancy: 8
; WaveLimiterHint : 1
; COMPUTE_PGM_RSRC2:SCRATCH_EN: 1
; COMPUTE_PGM_RSRC2:USER_SGPR: 2
; COMPUTE_PGM_RSRC2:TRAP_HANDLER: 0
; COMPUTE_PGM_RSRC2:TGID_X_EN: 1
; COMPUTE_PGM_RSRC2:TGID_Y_EN: 0
; COMPUTE_PGM_RSRC2:TGID_Z_EN: 0
; COMPUTE_PGM_RSRC2:TIDIG_COMP_CNT: 0
	.section	.text._ZN9rocsolver6v33100L18trti2_kernel_smallILi40E19rocblas_complex_numIfEPKPS3_EEv13rocblas_fill_17rocblas_diagonal_T1_iil,"axG",@progbits,_ZN9rocsolver6v33100L18trti2_kernel_smallILi40E19rocblas_complex_numIfEPKPS3_EEv13rocblas_fill_17rocblas_diagonal_T1_iil,comdat
	.globl	_ZN9rocsolver6v33100L18trti2_kernel_smallILi40E19rocblas_complex_numIfEPKPS3_EEv13rocblas_fill_17rocblas_diagonal_T1_iil ; -- Begin function _ZN9rocsolver6v33100L18trti2_kernel_smallILi40E19rocblas_complex_numIfEPKPS3_EEv13rocblas_fill_17rocblas_diagonal_T1_iil
	.p2align	8
	.type	_ZN9rocsolver6v33100L18trti2_kernel_smallILi40E19rocblas_complex_numIfEPKPS3_EEv13rocblas_fill_17rocblas_diagonal_T1_iil,@function
_ZN9rocsolver6v33100L18trti2_kernel_smallILi40E19rocblas_complex_numIfEPKPS3_EEv13rocblas_fill_17rocblas_diagonal_T1_iil: ; @_ZN9rocsolver6v33100L18trti2_kernel_smallILi40E19rocblas_complex_numIfEPKPS3_EEv13rocblas_fill_17rocblas_diagonal_T1_iil
; %bb.0:
	s_mov_b32 s2, exec_lo
	v_cmpx_gt_u32_e32 40, v0
	s_cbranch_execz .LBB103_784
; %bb.1:
	s_clause 0x1
	s_load_b64 s[2:3], s[0:1], 0x10
	s_load_b128 s[4:7], s[0:1], 0x0
	s_wait_xcnt 0x0
	s_bfe_u32 s0, ttmp6, 0x4000c
	s_and_b32 s1, ttmp6, 15
	s_add_co_i32 s0, s0, 1
	s_getreg_b32 s8, hwreg(HW_REG_IB_STS2, 6, 4)
	s_mul_i32 s0, ttmp9, s0
	v_dual_mov_b32 v59, 0 :: v_dual_lshlrev_b32 v58, 3, v0
	s_add_co_i32 s0, s1, s0
	s_wait_kmcnt 0x0
	s_ashr_i32 s1, s2, 31
	s_cmp_eq_u32 s8, 0
	s_cselect_b32 s8, ttmp9, s0
	s_mov_b32 s0, s2
	s_ashr_i32 s9, s8, 31
	s_lshl_b64 s[0:1], s[0:1], 3
	s_lshl_b64 s[8:9], s[8:9], 3
	s_delay_alu instid0(SALU_CYCLE_1)
	s_add_nc_u64 s[6:7], s[6:7], s[8:9]
	s_load_b64 s[6:7], s[6:7], 0x0
	s_wait_kmcnt 0x0
	s_add_nc_u64 s[6:7], s[6:7], s[0:1]
	s_mov_b32 s0, s3
	flat_load_b64 v[6:7], v0, s[6:7] scale_offset
	v_add_nc_u64_e32 v[2:3], s[6:7], v[58:59]
	s_ashr_i32 s1, s3, 31
	s_cmp_lg_u32 s5, 0x84
	s_delay_alu instid0(VALU_DEP_1)
	v_lshl_add_u64 v[4:5], s[0:1], 3, v[2:3]
	s_mov_b32 s0, -1
	s_wait_loadcnt_dscnt 0x0
	scratch_store_b64 off, v[6:7], off
	flat_load_b64 v[8:9], v[4:5]
	s_wait_xcnt 0x1
	v_add3_u32 v6, s3, s3, v0
	s_wait_loadcnt_dscnt 0x0
	scratch_store_b64 off, v[8:9], off offset:8
	flat_load_b64 v[10:11], v6, s[6:7] scale_offset
	s_wait_xcnt 0x1
	v_add_nc_u32_e32 v8, s3, v6
	s_wait_loadcnt_dscnt 0x0
	scratch_store_b64 off, v[10:11], off offset:16
	flat_load_b64 v[12:13], v8, s[6:7] scale_offset
	s_wait_xcnt 0x1
	v_add_nc_u32_e32 v10, s3, v8
	;; [unrolled: 5-line block ×37, first 2 shown]
	s_cselect_b32 s3, -1, 0
	s_delay_alu instid0(SALU_CYCLE_1)
	s_and_b32 vcc_lo, exec_lo, s3
	s_wait_loadcnt_dscnt 0x0
	scratch_store_b64 off, v[84:85], off offset:304
	flat_load_b64 v[84:85], v82, s[6:7] scale_offset
	s_wait_loadcnt_dscnt 0x0
	scratch_store_b64 off, v[84:85], off offset:312
	s_cbranch_vccz .LBB103_7
; %bb.2:
	scratch_load_b64 v[84:85], v0, off scale_offset
                                        ; implicit-def: $vgpr89
                                        ; implicit-def: $vgpr86
	s_wait_loadcnt 0x0
	v_cmp_ngt_f32_e64 s0, |v84|, |v85|
	s_wait_xcnt 0x0
	s_and_saveexec_b32 s1, s0
	s_delay_alu instid0(SALU_CYCLE_1)
	s_xor_b32 s0, exec_lo, s1
	s_cbranch_execz .LBB103_4
; %bb.3:
	v_div_scale_f32 v1, null, v85, v85, v84
	v_div_scale_f32 v11, vcc_lo, v84, v85, v84
	s_delay_alu instid0(VALU_DEP_2) | instskip(SKIP_1) | instid1(TRANS32_DEP_1)
	v_rcp_f32_e32 v7, v1
	v_nop
	v_fma_f32 v9, -v1, v7, 1.0
	s_delay_alu instid0(VALU_DEP_1) | instskip(NEXT) | instid1(VALU_DEP_1)
	v_fmac_f32_e32 v7, v9, v7
	v_mul_f32_e32 v9, v11, v7
	s_delay_alu instid0(VALU_DEP_1) | instskip(NEXT) | instid1(VALU_DEP_1)
	v_fma_f32 v13, -v1, v9, v11
	v_fmac_f32_e32 v9, v13, v7
	s_delay_alu instid0(VALU_DEP_1) | instskip(NEXT) | instid1(VALU_DEP_1)
	v_fma_f32 v1, -v1, v9, v11
	v_div_fmas_f32 v1, v1, v7, v9
	s_delay_alu instid0(VALU_DEP_1) | instskip(NEXT) | instid1(VALU_DEP_1)
	v_div_fixup_f32 v1, v1, v85, v84
	v_fmac_f32_e32 v85, v84, v1
	s_delay_alu instid0(VALU_DEP_1) | instskip(NEXT) | instid1(VALU_DEP_1)
	v_div_scale_f32 v7, null, v85, v85, -1.0
	v_rcp_f32_e32 v9, v7
	v_nop
	s_delay_alu instid0(TRANS32_DEP_1) | instskip(NEXT) | instid1(VALU_DEP_1)
	v_fma_f32 v11, -v7, v9, 1.0
	v_fmac_f32_e32 v9, v11, v9
	v_div_scale_f32 v11, vcc_lo, -1.0, v85, -1.0
	s_delay_alu instid0(VALU_DEP_1) | instskip(NEXT) | instid1(VALU_DEP_1)
	v_mul_f32_e32 v13, v11, v9
	v_fma_f32 v15, -v7, v13, v11
	s_delay_alu instid0(VALU_DEP_1) | instskip(NEXT) | instid1(VALU_DEP_1)
	v_fmac_f32_e32 v13, v15, v9
	v_fma_f32 v7, -v7, v13, v11
	s_delay_alu instid0(VALU_DEP_1) | instskip(NEXT) | instid1(VALU_DEP_1)
	v_div_fmas_f32 v7, v7, v9, v13
	v_div_fixup_f32 v89, v7, v85, -1.0
                                        ; implicit-def: $vgpr84_vgpr85
	s_delay_alu instid0(VALU_DEP_1) | instskip(NEXT) | instid1(VALU_DEP_1)
	v_mul_f32_e32 v86, v1, v89
	v_xor_b32_e32 v88, 0x80000000, v86
.LBB103_4:
	s_or_saveexec_b32 s0, s0
	v_lshl_add_u32 v1, v0, 3, 0
	s_xor_b32 exec_lo, exec_lo, s0
	s_cbranch_execz .LBB103_6
; %bb.5:
	v_div_scale_f32 v7, null, v84, v84, v85
	v_div_scale_f32 v13, vcc_lo, v85, v84, v85
	s_delay_alu instid0(VALU_DEP_2) | instskip(SKIP_1) | instid1(TRANS32_DEP_1)
	v_rcp_f32_e32 v9, v7
	v_nop
	v_fma_f32 v11, -v7, v9, 1.0
	s_delay_alu instid0(VALU_DEP_1) | instskip(NEXT) | instid1(VALU_DEP_1)
	v_fmac_f32_e32 v9, v11, v9
	v_mul_f32_e32 v11, v13, v9
	s_delay_alu instid0(VALU_DEP_1) | instskip(NEXT) | instid1(VALU_DEP_1)
	v_fma_f32 v15, -v7, v11, v13
	v_fmac_f32_e32 v11, v15, v9
	s_delay_alu instid0(VALU_DEP_1) | instskip(NEXT) | instid1(VALU_DEP_1)
	v_fma_f32 v7, -v7, v11, v13
	v_div_fmas_f32 v7, v7, v9, v11
	s_delay_alu instid0(VALU_DEP_1) | instskip(NEXT) | instid1(VALU_DEP_1)
	v_div_fixup_f32 v7, v7, v84, v85
	v_fmac_f32_e32 v84, v85, v7
	s_delay_alu instid0(VALU_DEP_1) | instskip(SKIP_1) | instid1(VALU_DEP_2)
	v_div_scale_f32 v9, null, v84, v84, 1.0
	v_div_scale_f32 v15, vcc_lo, 1.0, v84, 1.0
	v_rcp_f32_e32 v11, v9
	v_nop
	s_delay_alu instid0(TRANS32_DEP_1) | instskip(NEXT) | instid1(VALU_DEP_1)
	v_fma_f32 v13, -v9, v11, 1.0
	v_fmac_f32_e32 v11, v13, v11
	s_delay_alu instid0(VALU_DEP_1) | instskip(NEXT) | instid1(VALU_DEP_1)
	v_mul_f32_e32 v13, v15, v11
	v_fma_f32 v17, -v9, v13, v15
	s_delay_alu instid0(VALU_DEP_1) | instskip(NEXT) | instid1(VALU_DEP_1)
	v_fmac_f32_e32 v13, v17, v11
	v_fma_f32 v9, -v9, v13, v15
	s_delay_alu instid0(VALU_DEP_1) | instskip(NEXT) | instid1(VALU_DEP_1)
	v_div_fmas_f32 v9, v9, v11, v13
	v_div_fixup_f32 v88, v9, v84, 1.0
	s_delay_alu instid0(VALU_DEP_1)
	v_xor_b32_e32 v86, 0x80000000, v88
	v_mul_f32_e64 v89, v7, -v88
.LBB103_6:
	s_or_b32 exec_lo, exec_lo, s0
	s_delay_alu instid0(VALU_DEP_1)
	v_xor_b32_e32 v87, 0x80000000, v89
	s_mov_b32 s0, 0
	scratch_store_b64 v1, v[88:89], off
	ds_store_b64 v58, v[86:87]
.LBB103_7:
	s_and_b32 vcc_lo, exec_lo, s0
	s_cbranch_vccz .LBB103_9
; %bb.8:
	s_mov_b64 s[0:1], 0xbf800000
	s_wait_xcnt 0x0
	v_mov_b64_e32 v[84:85], s[0:1]
	ds_store_b64 v58, v[84:85]
.LBB103_9:
	v_dual_ashrrev_i32 v7, 31, v6 :: v_dual_ashrrev_i32 v9, 31, v8
	v_dual_ashrrev_i32 v11, 31, v10 :: v_dual_ashrrev_i32 v13, 31, v12
	;; [unrolled: 1-line block ×19, first 2 shown]
	s_wait_xcnt 0x0
	v_add_nc_u32_e32 v1, 0x140, v58
	v_mov_b32_e32 v59, v58
	s_cmp_eq_u32 s4, 0x79
	s_cbranch_scc1 .LBB103_13
; %bb.10:
	scratch_load_b64 v[84:85], off, off offset:304
	v_cmp_eq_u32_e64 s0, 39, v0
	s_movk_i32 s1, 0x48
	s_movk_i32 s14, 0x50
	;; [unrolled: 1-line block ×29, first 2 shown]
	s_wait_loadcnt 0x0
	ds_store_b64 v1, v[84:85]
	s_wait_storecnt_dscnt 0x0
	s_barrier_signal -1
	s_barrier_wait -1
	s_wait_xcnt 0x0
	s_and_saveexec_b32 s2, s0
	s_cbranch_execz .LBB103_17
; %bb.11:
	s_and_b32 vcc_lo, exec_lo, s3
	s_cbranch_vccz .LBB103_14
; %bb.12:
	scratch_load_b64 v[84:85], v59, off
	ds_load_b64 v[86:87], v1
	s_wait_loadcnt_dscnt 0x0
	v_pk_mul_f32 v[88:89], v[86:87], v[84:85] op_sel:[1,1] op_sel_hi:[0,1]
	v_pk_mul_f32 v[90:91], v[86:87], v[84:85] op_sel_hi:[1,0]
	s_delay_alu instid0(VALU_DEP_2) | instskip(NEXT) | instid1(VALU_DEP_2)
	v_pk_fma_f32 v[84:85], v[86:87], v[84:85], v[88:89] op_sel_hi:[1,0,1]
	v_sub_f32_e32 v84, v90, v88
	s_cbranch_execz .LBB103_15
	s_branch .LBB103_16
.LBB103_13:
	s_mov_b32 s1, 0
                                        ; implicit-def: $vgpr118
                                        ; implicit-def: $sgpr5
	s_cbranch_execnz .LBB103_396
	s_branch .LBB103_781
.LBB103_14:
                                        ; implicit-def: $vgpr85
.LBB103_15:
	ds_load_b64 v[84:85], v1
.LBB103_16:
	s_wait_dscnt 0x0
	v_dual_mov_b32 v86, 0 :: v_dual_mov_b32 v88, v85
	v_mov_b32_e32 v89, v84
	ds_load_b64 v[86:87], v86 offset:304
	s_wait_dscnt 0x0
	v_pk_mul_f32 v[88:89], v[88:89], v[86:87] op_sel:[0,1]
	s_delay_alu instid0(VALU_DEP_1) | instskip(SKIP_1) | instid1(VALU_DEP_2)
	v_pk_fma_f32 v[90:91], v[84:85], v[86:87], v[88:89] op_sel_hi:[1,0,1]
	v_pk_fma_f32 v[84:85], v[84:85], v[86:87], v[88:89] neg_lo:[0,0,1] neg_hi:[0,0,1]
	v_mov_b32_e32 v85, v91
	scratch_store_b64 off, v[84:85], off offset:304
.LBB103_17:
	s_wait_xcnt 0x0
	s_or_b32 exec_lo, exec_lo, s2
	scratch_load_b64 v[84:85], off, off offset:296
	s_mov_b32 s13, s1
	v_cmp_lt_u32_e64 s1, 37, v0
	s_or_b32 s4, 0, 8
	s_mov_b32 s5, 16
	s_mov_b32 s8, 24
	;; [unrolled: 1-line block ×7, first 2 shown]
	s_wait_loadcnt 0x0
	ds_store_b64 v1, v[84:85]
	s_wait_storecnt_dscnt 0x0
	s_barrier_signal -1
	s_barrier_wait -1
	s_wait_xcnt 0x0
	s_and_saveexec_b32 s43, s1
	s_cbranch_execz .LBB103_25
; %bb.18:
	s_and_not1_b32 vcc_lo, exec_lo, s3
	s_cbranch_vccnz .LBB103_20
; %bb.19:
	scratch_load_b64 v[84:85], v59, off
	ds_load_b64 v[86:87], v1
	s_wait_loadcnt_dscnt 0x0
	v_pk_mul_f32 v[88:89], v[86:87], v[84:85] op_sel:[1,1] op_sel_hi:[0,1]
	s_delay_alu instid0(VALU_DEP_1) | instskip(SKIP_1) | instid1(VALU_DEP_2)
	v_pk_fma_f32 v[90:91], v[86:87], v[84:85], v[88:89] op_sel_hi:[1,0,1]
	v_pk_fma_f32 v[84:85], v[86:87], v[84:85], v[88:89] neg_lo:[0,0,1] neg_hi:[0,0,1]
	v_mov_b32_e32 v85, v91
	s_cbranch_execz .LBB103_21
	s_branch .LBB103_22
.LBB103_20:
                                        ; implicit-def: $vgpr84_vgpr85
.LBB103_21:
	ds_load_b64 v[84:85], v1
.LBB103_22:
	s_and_saveexec_b32 s44, s0
	s_cbranch_execz .LBB103_24
; %bb.23:
	scratch_load_b64 v[86:87], off, off offset:304
	v_mov_b32_e32 v88, 0
	ds_load_b64 v[88:89], v88 offset:624
	s_wait_loadcnt_dscnt 0x0
	v_pk_mul_f32 v[90:91], v[88:89], v[86:87] op_sel:[1,1] op_sel_hi:[0,1]
	s_delay_alu instid0(VALU_DEP_1) | instskip(SKIP_1) | instid1(VALU_DEP_2)
	v_pk_fma_f32 v[92:93], v[88:89], v[86:87], v[90:91] op_sel_hi:[1,0,1]
	v_pk_fma_f32 v[86:87], v[88:89], v[86:87], v[90:91] neg_lo:[0,0,1] neg_hi:[0,0,1]
	v_mov_b32_e32 v87, v93
	s_delay_alu instid0(VALU_DEP_1)
	v_pk_add_f32 v[84:85], v[84:85], v[86:87]
.LBB103_24:
	s_or_b32 exec_lo, exec_lo, s44
	v_mov_b32_e32 v86, 0
	ds_load_b64 v[86:87], v86 offset:296
	s_wait_dscnt 0x0
	v_pk_mul_f32 v[88:89], v[84:85], v[86:87] op_sel:[1,1] op_sel_hi:[0,1]
	s_delay_alu instid0(VALU_DEP_1) | instskip(SKIP_1) | instid1(VALU_DEP_2)
	v_pk_fma_f32 v[90:91], v[84:85], v[86:87], v[88:89] op_sel_hi:[1,0,1]
	v_pk_fma_f32 v[84:85], v[84:85], v[86:87], v[88:89] neg_lo:[0,0,1] neg_hi:[0,0,1]
	v_mov_b32_e32 v85, v91
	scratch_store_b64 off, v[84:85], off offset:296
.LBB103_25:
	s_wait_xcnt 0x0
	s_or_b32 exec_lo, exec_lo, s43
	scratch_load_b64 v[84:85], off, off offset:288
	v_cmp_lt_u32_e64 s0, 36, v0
	s_wait_loadcnt 0x0
	ds_store_b64 v1, v[84:85]
	s_wait_storecnt_dscnt 0x0
	s_barrier_signal -1
	s_barrier_wait -1
	s_wait_xcnt 0x0
	s_and_saveexec_b32 s43, s0
	s_cbranch_execz .LBB103_35
; %bb.26:
	s_and_not1_b32 vcc_lo, exec_lo, s3
	s_cbranch_vccnz .LBB103_28
; %bb.27:
	scratch_load_b64 v[84:85], v59, off
	ds_load_b64 v[86:87], v1
	s_wait_loadcnt_dscnt 0x0
	v_pk_mul_f32 v[88:89], v[86:87], v[84:85] op_sel:[1,1] op_sel_hi:[0,1]
	s_delay_alu instid0(VALU_DEP_1) | instskip(SKIP_1) | instid1(VALU_DEP_2)
	v_pk_fma_f32 v[90:91], v[86:87], v[84:85], v[88:89] op_sel_hi:[1,0,1]
	v_pk_fma_f32 v[84:85], v[86:87], v[84:85], v[88:89] neg_lo:[0,0,1] neg_hi:[0,0,1]
	v_mov_b32_e32 v85, v91
	s_cbranch_execz .LBB103_29
	s_branch .LBB103_30
.LBB103_28:
                                        ; implicit-def: $vgpr84_vgpr85
.LBB103_29:
	ds_load_b64 v[84:85], v1
.LBB103_30:
	s_and_saveexec_b32 s44, s1
	s_cbranch_execz .LBB103_34
; %bb.31:
	v_subrev_nc_u32_e32 v86, 37, v0
	s_movk_i32 s45, 0x268
	s_mov_b32 s1, 0
.LBB103_32:                             ; =>This Inner Loop Header: Depth=1
	scratch_load_b64 v[88:89], off, s42
	v_dual_mov_b32 v87, s45 :: v_dual_add_nc_u32 v86, -1, v86
	s_add_co_i32 s45, s45, 8
	s_wait_xcnt 0x0
	s_add_co_i32 s42, s42, 8
	ds_load_b64 v[90:91], v87
	v_cmp_eq_u32_e32 vcc_lo, 0, v86
	s_or_b32 s1, vcc_lo, s1
	s_wait_loadcnt_dscnt 0x0
	v_pk_mul_f32 v[92:93], v[90:91], v[88:89] op_sel:[1,1] op_sel_hi:[0,1]
	s_delay_alu instid0(VALU_DEP_1) | instskip(SKIP_1) | instid1(VALU_DEP_2)
	v_pk_fma_f32 v[94:95], v[90:91], v[88:89], v[92:93] op_sel_hi:[1,0,1]
	v_pk_fma_f32 v[88:89], v[90:91], v[88:89], v[92:93] neg_lo:[0,0,1] neg_hi:[0,0,1]
	v_mov_b32_e32 v89, v95
	s_delay_alu instid0(VALU_DEP_1)
	v_pk_add_f32 v[84:85], v[84:85], v[88:89]
	s_and_not1_b32 exec_lo, exec_lo, s1
	s_cbranch_execnz .LBB103_32
; %bb.33:
	s_or_b32 exec_lo, exec_lo, s1
.LBB103_34:
	s_delay_alu instid0(SALU_CYCLE_1) | instskip(SKIP_4) | instid1(VALU_DEP_1)
	s_or_b32 exec_lo, exec_lo, s44
	v_mov_b32_e32 v86, 0
	ds_load_b64 v[86:87], v86 offset:288
	s_wait_dscnt 0x0
	v_pk_mul_f32 v[88:89], v[84:85], v[86:87] op_sel:[1,1] op_sel_hi:[0,1]
	v_pk_fma_f32 v[90:91], v[84:85], v[86:87], v[88:89] op_sel_hi:[1,0,1]
	v_pk_fma_f32 v[84:85], v[84:85], v[86:87], v[88:89] neg_lo:[0,0,1] neg_hi:[0,0,1]
	s_delay_alu instid0(VALU_DEP_2)
	v_mov_b32_e32 v85, v91
	scratch_store_b64 off, v[84:85], off offset:288
.LBB103_35:
	s_wait_xcnt 0x0
	s_or_b32 exec_lo, exec_lo, s43
	scratch_load_b64 v[84:85], off, off offset:280
	v_cmp_lt_u32_e64 s1, 35, v0
	s_wait_loadcnt 0x0
	ds_store_b64 v1, v[84:85]
	s_wait_storecnt_dscnt 0x0
	s_barrier_signal -1
	s_barrier_wait -1
	s_wait_xcnt 0x0
	s_and_saveexec_b32 s42, s1
	s_cbranch_execz .LBB103_45
; %bb.36:
	s_and_not1_b32 vcc_lo, exec_lo, s3
	s_cbranch_vccnz .LBB103_38
; %bb.37:
	scratch_load_b64 v[84:85], v59, off
	ds_load_b64 v[86:87], v1
	s_wait_loadcnt_dscnt 0x0
	v_pk_mul_f32 v[88:89], v[86:87], v[84:85] op_sel:[1,1] op_sel_hi:[0,1]
	s_delay_alu instid0(VALU_DEP_1) | instskip(SKIP_1) | instid1(VALU_DEP_2)
	v_pk_fma_f32 v[90:91], v[86:87], v[84:85], v[88:89] op_sel_hi:[1,0,1]
	v_pk_fma_f32 v[84:85], v[86:87], v[84:85], v[88:89] neg_lo:[0,0,1] neg_hi:[0,0,1]
	v_mov_b32_e32 v85, v91
	s_cbranch_execz .LBB103_39
	s_branch .LBB103_40
.LBB103_38:
                                        ; implicit-def: $vgpr84_vgpr85
.LBB103_39:
	ds_load_b64 v[84:85], v1
.LBB103_40:
	s_and_saveexec_b32 s43, s0
	s_cbranch_execz .LBB103_44
; %bb.41:
	v_subrev_nc_u32_e32 v86, 36, v0
	s_movk_i32 s44, 0x260
	s_mov_b32 s0, 0
.LBB103_42:                             ; =>This Inner Loop Header: Depth=1
	scratch_load_b64 v[88:89], off, s41
	v_dual_mov_b32 v87, s44 :: v_dual_add_nc_u32 v86, -1, v86
	s_add_co_i32 s44, s44, 8
	s_wait_xcnt 0x0
	s_add_co_i32 s41, s41, 8
	ds_load_b64 v[90:91], v87
	v_cmp_eq_u32_e32 vcc_lo, 0, v86
	s_or_b32 s0, vcc_lo, s0
	s_wait_loadcnt_dscnt 0x0
	v_pk_mul_f32 v[92:93], v[90:91], v[88:89] op_sel:[1,1] op_sel_hi:[0,1]
	s_delay_alu instid0(VALU_DEP_1) | instskip(SKIP_1) | instid1(VALU_DEP_2)
	v_pk_fma_f32 v[94:95], v[90:91], v[88:89], v[92:93] op_sel_hi:[1,0,1]
	v_pk_fma_f32 v[88:89], v[90:91], v[88:89], v[92:93] neg_lo:[0,0,1] neg_hi:[0,0,1]
	v_mov_b32_e32 v89, v95
	s_delay_alu instid0(VALU_DEP_1)
	v_pk_add_f32 v[84:85], v[84:85], v[88:89]
	s_and_not1_b32 exec_lo, exec_lo, s0
	s_cbranch_execnz .LBB103_42
; %bb.43:
	s_or_b32 exec_lo, exec_lo, s0
.LBB103_44:
	s_delay_alu instid0(SALU_CYCLE_1) | instskip(SKIP_4) | instid1(VALU_DEP_1)
	s_or_b32 exec_lo, exec_lo, s43
	v_mov_b32_e32 v86, 0
	ds_load_b64 v[86:87], v86 offset:280
	s_wait_dscnt 0x0
	v_pk_mul_f32 v[88:89], v[84:85], v[86:87] op_sel:[1,1] op_sel_hi:[0,1]
	v_pk_fma_f32 v[90:91], v[84:85], v[86:87], v[88:89] op_sel_hi:[1,0,1]
	v_pk_fma_f32 v[84:85], v[84:85], v[86:87], v[88:89] neg_lo:[0,0,1] neg_hi:[0,0,1]
	s_delay_alu instid0(VALU_DEP_2)
	v_mov_b32_e32 v85, v91
	scratch_store_b64 off, v[84:85], off offset:280
.LBB103_45:
	s_wait_xcnt 0x0
	s_or_b32 exec_lo, exec_lo, s42
	scratch_load_b64 v[84:85], off, off offset:272
	v_cmp_lt_u32_e64 s0, 34, v0
	s_wait_loadcnt 0x0
	ds_store_b64 v1, v[84:85]
	s_wait_storecnt_dscnt 0x0
	s_barrier_signal -1
	s_barrier_wait -1
	s_wait_xcnt 0x0
	s_and_saveexec_b32 s41, s0
	s_cbranch_execz .LBB103_55
; %bb.46:
	s_and_not1_b32 vcc_lo, exec_lo, s3
	s_cbranch_vccnz .LBB103_48
; %bb.47:
	scratch_load_b64 v[84:85], v59, off
	ds_load_b64 v[86:87], v1
	s_wait_loadcnt_dscnt 0x0
	v_pk_mul_f32 v[88:89], v[86:87], v[84:85] op_sel:[1,1] op_sel_hi:[0,1]
	s_delay_alu instid0(VALU_DEP_1) | instskip(SKIP_1) | instid1(VALU_DEP_2)
	v_pk_fma_f32 v[90:91], v[86:87], v[84:85], v[88:89] op_sel_hi:[1,0,1]
	v_pk_fma_f32 v[84:85], v[86:87], v[84:85], v[88:89] neg_lo:[0,0,1] neg_hi:[0,0,1]
	v_mov_b32_e32 v85, v91
	s_cbranch_execz .LBB103_49
	s_branch .LBB103_50
.LBB103_48:
                                        ; implicit-def: $vgpr84_vgpr85
.LBB103_49:
	ds_load_b64 v[84:85], v1
.LBB103_50:
	s_and_saveexec_b32 s42, s1
	s_cbranch_execz .LBB103_54
; %bb.51:
	v_subrev_nc_u32_e32 v86, 35, v0
	s_movk_i32 s43, 0x258
	s_mov_b32 s1, 0
.LBB103_52:                             ; =>This Inner Loop Header: Depth=1
	scratch_load_b64 v[88:89], off, s40
	v_dual_mov_b32 v87, s43 :: v_dual_add_nc_u32 v86, -1, v86
	s_add_co_i32 s43, s43, 8
	s_wait_xcnt 0x0
	s_add_co_i32 s40, s40, 8
	ds_load_b64 v[90:91], v87
	v_cmp_eq_u32_e32 vcc_lo, 0, v86
	s_or_b32 s1, vcc_lo, s1
	s_wait_loadcnt_dscnt 0x0
	v_pk_mul_f32 v[92:93], v[90:91], v[88:89] op_sel:[1,1] op_sel_hi:[0,1]
	s_delay_alu instid0(VALU_DEP_1) | instskip(SKIP_1) | instid1(VALU_DEP_2)
	v_pk_fma_f32 v[94:95], v[90:91], v[88:89], v[92:93] op_sel_hi:[1,0,1]
	v_pk_fma_f32 v[88:89], v[90:91], v[88:89], v[92:93] neg_lo:[0,0,1] neg_hi:[0,0,1]
	v_mov_b32_e32 v89, v95
	s_delay_alu instid0(VALU_DEP_1)
	v_pk_add_f32 v[84:85], v[84:85], v[88:89]
	s_and_not1_b32 exec_lo, exec_lo, s1
	s_cbranch_execnz .LBB103_52
; %bb.53:
	s_or_b32 exec_lo, exec_lo, s1
.LBB103_54:
	s_delay_alu instid0(SALU_CYCLE_1) | instskip(SKIP_4) | instid1(VALU_DEP_1)
	s_or_b32 exec_lo, exec_lo, s42
	v_mov_b32_e32 v86, 0
	ds_load_b64 v[86:87], v86 offset:272
	s_wait_dscnt 0x0
	v_pk_mul_f32 v[88:89], v[84:85], v[86:87] op_sel:[1,1] op_sel_hi:[0,1]
	v_pk_fma_f32 v[90:91], v[84:85], v[86:87], v[88:89] op_sel_hi:[1,0,1]
	v_pk_fma_f32 v[84:85], v[84:85], v[86:87], v[88:89] neg_lo:[0,0,1] neg_hi:[0,0,1]
	s_delay_alu instid0(VALU_DEP_2)
	v_mov_b32_e32 v85, v91
	scratch_store_b64 off, v[84:85], off offset:272
.LBB103_55:
	s_wait_xcnt 0x0
	s_or_b32 exec_lo, exec_lo, s41
	scratch_load_b64 v[84:85], off, off offset:264
	v_cmp_lt_u32_e64 s1, 33, v0
	s_wait_loadcnt 0x0
	ds_store_b64 v1, v[84:85]
	s_wait_storecnt_dscnt 0x0
	s_barrier_signal -1
	s_barrier_wait -1
	s_wait_xcnt 0x0
	s_and_saveexec_b32 s40, s1
	s_cbranch_execz .LBB103_65
; %bb.56:
	s_and_not1_b32 vcc_lo, exec_lo, s3
	s_cbranch_vccnz .LBB103_58
; %bb.57:
	scratch_load_b64 v[84:85], v59, off
	ds_load_b64 v[86:87], v1
	s_wait_loadcnt_dscnt 0x0
	v_pk_mul_f32 v[88:89], v[86:87], v[84:85] op_sel:[1,1] op_sel_hi:[0,1]
	s_delay_alu instid0(VALU_DEP_1) | instskip(SKIP_1) | instid1(VALU_DEP_2)
	v_pk_fma_f32 v[90:91], v[86:87], v[84:85], v[88:89] op_sel_hi:[1,0,1]
	v_pk_fma_f32 v[84:85], v[86:87], v[84:85], v[88:89] neg_lo:[0,0,1] neg_hi:[0,0,1]
	v_mov_b32_e32 v85, v91
	s_cbranch_execz .LBB103_59
	s_branch .LBB103_60
.LBB103_58:
                                        ; implicit-def: $vgpr84_vgpr85
.LBB103_59:
	ds_load_b64 v[84:85], v1
.LBB103_60:
	s_and_saveexec_b32 s41, s0
	s_cbranch_execz .LBB103_64
; %bb.61:
	v_subrev_nc_u32_e32 v86, 34, v0
	s_movk_i32 s42, 0x250
	s_mov_b32 s0, 0
.LBB103_62:                             ; =>This Inner Loop Header: Depth=1
	scratch_load_b64 v[88:89], off, s39
	v_dual_mov_b32 v87, s42 :: v_dual_add_nc_u32 v86, -1, v86
	s_add_co_i32 s42, s42, 8
	s_wait_xcnt 0x0
	s_add_co_i32 s39, s39, 8
	ds_load_b64 v[90:91], v87
	v_cmp_eq_u32_e32 vcc_lo, 0, v86
	s_or_b32 s0, vcc_lo, s0
	s_wait_loadcnt_dscnt 0x0
	v_pk_mul_f32 v[92:93], v[90:91], v[88:89] op_sel:[1,1] op_sel_hi:[0,1]
	s_delay_alu instid0(VALU_DEP_1) | instskip(SKIP_1) | instid1(VALU_DEP_2)
	v_pk_fma_f32 v[94:95], v[90:91], v[88:89], v[92:93] op_sel_hi:[1,0,1]
	v_pk_fma_f32 v[88:89], v[90:91], v[88:89], v[92:93] neg_lo:[0,0,1] neg_hi:[0,0,1]
	v_mov_b32_e32 v89, v95
	s_delay_alu instid0(VALU_DEP_1)
	v_pk_add_f32 v[84:85], v[84:85], v[88:89]
	s_and_not1_b32 exec_lo, exec_lo, s0
	s_cbranch_execnz .LBB103_62
; %bb.63:
	s_or_b32 exec_lo, exec_lo, s0
.LBB103_64:
	s_delay_alu instid0(SALU_CYCLE_1) | instskip(SKIP_4) | instid1(VALU_DEP_1)
	s_or_b32 exec_lo, exec_lo, s41
	v_mov_b32_e32 v86, 0
	ds_load_b64 v[86:87], v86 offset:264
	s_wait_dscnt 0x0
	v_pk_mul_f32 v[88:89], v[84:85], v[86:87] op_sel:[1,1] op_sel_hi:[0,1]
	v_pk_fma_f32 v[90:91], v[84:85], v[86:87], v[88:89] op_sel_hi:[1,0,1]
	v_pk_fma_f32 v[84:85], v[84:85], v[86:87], v[88:89] neg_lo:[0,0,1] neg_hi:[0,0,1]
	s_delay_alu instid0(VALU_DEP_2)
	v_mov_b32_e32 v85, v91
	scratch_store_b64 off, v[84:85], off offset:264
.LBB103_65:
	s_wait_xcnt 0x0
	s_or_b32 exec_lo, exec_lo, s40
	scratch_load_b64 v[84:85], off, off offset:256
	v_cmp_lt_u32_e64 s0, 32, v0
	s_wait_loadcnt 0x0
	ds_store_b64 v1, v[84:85]
	s_wait_storecnt_dscnt 0x0
	s_barrier_signal -1
	s_barrier_wait -1
	s_wait_xcnt 0x0
	s_and_saveexec_b32 s39, s0
	s_cbranch_execz .LBB103_75
; %bb.66:
	s_and_not1_b32 vcc_lo, exec_lo, s3
	s_cbranch_vccnz .LBB103_68
; %bb.67:
	scratch_load_b64 v[84:85], v59, off
	ds_load_b64 v[86:87], v1
	s_wait_loadcnt_dscnt 0x0
	v_pk_mul_f32 v[88:89], v[86:87], v[84:85] op_sel:[1,1] op_sel_hi:[0,1]
	s_delay_alu instid0(VALU_DEP_1) | instskip(SKIP_1) | instid1(VALU_DEP_2)
	v_pk_fma_f32 v[90:91], v[86:87], v[84:85], v[88:89] op_sel_hi:[1,0,1]
	v_pk_fma_f32 v[84:85], v[86:87], v[84:85], v[88:89] neg_lo:[0,0,1] neg_hi:[0,0,1]
	v_mov_b32_e32 v85, v91
	s_cbranch_execz .LBB103_69
	s_branch .LBB103_70
.LBB103_68:
                                        ; implicit-def: $vgpr84_vgpr85
.LBB103_69:
	ds_load_b64 v[84:85], v1
.LBB103_70:
	s_and_saveexec_b32 s40, s1
	s_cbranch_execz .LBB103_74
; %bb.71:
	v_subrev_nc_u32_e32 v86, 33, v0
	s_movk_i32 s41, 0x248
	s_mov_b32 s1, 0
.LBB103_72:                             ; =>This Inner Loop Header: Depth=1
	scratch_load_b64 v[88:89], off, s38
	v_dual_mov_b32 v87, s41 :: v_dual_add_nc_u32 v86, -1, v86
	s_add_co_i32 s41, s41, 8
	s_wait_xcnt 0x0
	s_add_co_i32 s38, s38, 8
	ds_load_b64 v[90:91], v87
	v_cmp_eq_u32_e32 vcc_lo, 0, v86
	s_or_b32 s1, vcc_lo, s1
	s_wait_loadcnt_dscnt 0x0
	v_pk_mul_f32 v[92:93], v[90:91], v[88:89] op_sel:[1,1] op_sel_hi:[0,1]
	s_delay_alu instid0(VALU_DEP_1) | instskip(SKIP_1) | instid1(VALU_DEP_2)
	v_pk_fma_f32 v[94:95], v[90:91], v[88:89], v[92:93] op_sel_hi:[1,0,1]
	v_pk_fma_f32 v[88:89], v[90:91], v[88:89], v[92:93] neg_lo:[0,0,1] neg_hi:[0,0,1]
	v_mov_b32_e32 v89, v95
	s_delay_alu instid0(VALU_DEP_1)
	v_pk_add_f32 v[84:85], v[84:85], v[88:89]
	s_and_not1_b32 exec_lo, exec_lo, s1
	s_cbranch_execnz .LBB103_72
; %bb.73:
	s_or_b32 exec_lo, exec_lo, s1
.LBB103_74:
	s_delay_alu instid0(SALU_CYCLE_1) | instskip(SKIP_4) | instid1(VALU_DEP_1)
	s_or_b32 exec_lo, exec_lo, s40
	v_mov_b32_e32 v86, 0
	ds_load_b64 v[86:87], v86 offset:256
	s_wait_dscnt 0x0
	v_pk_mul_f32 v[88:89], v[84:85], v[86:87] op_sel:[1,1] op_sel_hi:[0,1]
	v_pk_fma_f32 v[90:91], v[84:85], v[86:87], v[88:89] op_sel_hi:[1,0,1]
	v_pk_fma_f32 v[84:85], v[84:85], v[86:87], v[88:89] neg_lo:[0,0,1] neg_hi:[0,0,1]
	s_delay_alu instid0(VALU_DEP_2)
	v_mov_b32_e32 v85, v91
	scratch_store_b64 off, v[84:85], off offset:256
.LBB103_75:
	s_wait_xcnt 0x0
	s_or_b32 exec_lo, exec_lo, s39
	scratch_load_b64 v[84:85], off, off offset:248
	v_cmp_lt_u32_e64 s1, 31, v0
	s_wait_loadcnt 0x0
	ds_store_b64 v1, v[84:85]
	s_wait_storecnt_dscnt 0x0
	s_barrier_signal -1
	s_barrier_wait -1
	s_wait_xcnt 0x0
	s_and_saveexec_b32 s38, s1
	s_cbranch_execz .LBB103_85
; %bb.76:
	s_and_not1_b32 vcc_lo, exec_lo, s3
	s_cbranch_vccnz .LBB103_78
; %bb.77:
	scratch_load_b64 v[84:85], v59, off
	ds_load_b64 v[86:87], v1
	s_wait_loadcnt_dscnt 0x0
	v_pk_mul_f32 v[88:89], v[86:87], v[84:85] op_sel:[1,1] op_sel_hi:[0,1]
	s_delay_alu instid0(VALU_DEP_1) | instskip(SKIP_1) | instid1(VALU_DEP_2)
	v_pk_fma_f32 v[90:91], v[86:87], v[84:85], v[88:89] op_sel_hi:[1,0,1]
	v_pk_fma_f32 v[84:85], v[86:87], v[84:85], v[88:89] neg_lo:[0,0,1] neg_hi:[0,0,1]
	v_mov_b32_e32 v85, v91
	s_cbranch_execz .LBB103_79
	s_branch .LBB103_80
.LBB103_78:
                                        ; implicit-def: $vgpr84_vgpr85
.LBB103_79:
	ds_load_b64 v[84:85], v1
.LBB103_80:
	s_and_saveexec_b32 s39, s0
	s_cbranch_execz .LBB103_84
; %bb.81:
	v_subrev_nc_u32_e32 v86, 32, v0
	s_movk_i32 s40, 0x240
	s_mov_b32 s0, 0
.LBB103_82:                             ; =>This Inner Loop Header: Depth=1
	scratch_load_b64 v[88:89], off, s37
	v_dual_mov_b32 v87, s40 :: v_dual_add_nc_u32 v86, -1, v86
	s_add_co_i32 s40, s40, 8
	s_wait_xcnt 0x0
	s_add_co_i32 s37, s37, 8
	ds_load_b64 v[90:91], v87
	v_cmp_eq_u32_e32 vcc_lo, 0, v86
	s_or_b32 s0, vcc_lo, s0
	s_wait_loadcnt_dscnt 0x0
	v_pk_mul_f32 v[92:93], v[90:91], v[88:89] op_sel:[1,1] op_sel_hi:[0,1]
	s_delay_alu instid0(VALU_DEP_1) | instskip(SKIP_1) | instid1(VALU_DEP_2)
	v_pk_fma_f32 v[94:95], v[90:91], v[88:89], v[92:93] op_sel_hi:[1,0,1]
	v_pk_fma_f32 v[88:89], v[90:91], v[88:89], v[92:93] neg_lo:[0,0,1] neg_hi:[0,0,1]
	v_mov_b32_e32 v89, v95
	s_delay_alu instid0(VALU_DEP_1)
	v_pk_add_f32 v[84:85], v[84:85], v[88:89]
	s_and_not1_b32 exec_lo, exec_lo, s0
	s_cbranch_execnz .LBB103_82
; %bb.83:
	s_or_b32 exec_lo, exec_lo, s0
.LBB103_84:
	s_delay_alu instid0(SALU_CYCLE_1) | instskip(SKIP_4) | instid1(VALU_DEP_1)
	s_or_b32 exec_lo, exec_lo, s39
	v_mov_b32_e32 v86, 0
	ds_load_b64 v[86:87], v86 offset:248
	s_wait_dscnt 0x0
	v_pk_mul_f32 v[88:89], v[84:85], v[86:87] op_sel:[1,1] op_sel_hi:[0,1]
	v_pk_fma_f32 v[90:91], v[84:85], v[86:87], v[88:89] op_sel_hi:[1,0,1]
	v_pk_fma_f32 v[84:85], v[84:85], v[86:87], v[88:89] neg_lo:[0,0,1] neg_hi:[0,0,1]
	s_delay_alu instid0(VALU_DEP_2)
	v_mov_b32_e32 v85, v91
	scratch_store_b64 off, v[84:85], off offset:248
.LBB103_85:
	s_wait_xcnt 0x0
	s_or_b32 exec_lo, exec_lo, s38
	scratch_load_b64 v[84:85], off, off offset:240
	v_cmp_lt_u32_e64 s0, 30, v0
	s_wait_loadcnt 0x0
	ds_store_b64 v1, v[84:85]
	s_wait_storecnt_dscnt 0x0
	s_barrier_signal -1
	s_barrier_wait -1
	s_wait_xcnt 0x0
	s_and_saveexec_b32 s37, s0
	s_cbranch_execz .LBB103_95
; %bb.86:
	s_and_not1_b32 vcc_lo, exec_lo, s3
	s_cbranch_vccnz .LBB103_88
; %bb.87:
	scratch_load_b64 v[84:85], v59, off
	ds_load_b64 v[86:87], v1
	s_wait_loadcnt_dscnt 0x0
	v_pk_mul_f32 v[88:89], v[86:87], v[84:85] op_sel:[1,1] op_sel_hi:[0,1]
	s_delay_alu instid0(VALU_DEP_1) | instskip(SKIP_1) | instid1(VALU_DEP_2)
	v_pk_fma_f32 v[90:91], v[86:87], v[84:85], v[88:89] op_sel_hi:[1,0,1]
	v_pk_fma_f32 v[84:85], v[86:87], v[84:85], v[88:89] neg_lo:[0,0,1] neg_hi:[0,0,1]
	v_mov_b32_e32 v85, v91
	s_cbranch_execz .LBB103_89
	s_branch .LBB103_90
.LBB103_88:
                                        ; implicit-def: $vgpr84_vgpr85
.LBB103_89:
	ds_load_b64 v[84:85], v1
.LBB103_90:
	s_and_saveexec_b32 s38, s1
	s_cbranch_execz .LBB103_94
; %bb.91:
	v_subrev_nc_u32_e32 v86, 31, v0
	s_movk_i32 s39, 0x238
	s_mov_b32 s1, 0
.LBB103_92:                             ; =>This Inner Loop Header: Depth=1
	scratch_load_b64 v[88:89], off, s36
	v_dual_mov_b32 v87, s39 :: v_dual_add_nc_u32 v86, -1, v86
	s_add_co_i32 s39, s39, 8
	s_wait_xcnt 0x0
	s_add_co_i32 s36, s36, 8
	ds_load_b64 v[90:91], v87
	v_cmp_eq_u32_e32 vcc_lo, 0, v86
	s_or_b32 s1, vcc_lo, s1
	s_wait_loadcnt_dscnt 0x0
	v_pk_mul_f32 v[92:93], v[90:91], v[88:89] op_sel:[1,1] op_sel_hi:[0,1]
	s_delay_alu instid0(VALU_DEP_1) | instskip(SKIP_1) | instid1(VALU_DEP_2)
	v_pk_fma_f32 v[94:95], v[90:91], v[88:89], v[92:93] op_sel_hi:[1,0,1]
	v_pk_fma_f32 v[88:89], v[90:91], v[88:89], v[92:93] neg_lo:[0,0,1] neg_hi:[0,0,1]
	v_mov_b32_e32 v89, v95
	s_delay_alu instid0(VALU_DEP_1)
	v_pk_add_f32 v[84:85], v[84:85], v[88:89]
	s_and_not1_b32 exec_lo, exec_lo, s1
	s_cbranch_execnz .LBB103_92
; %bb.93:
	s_or_b32 exec_lo, exec_lo, s1
.LBB103_94:
	s_delay_alu instid0(SALU_CYCLE_1) | instskip(SKIP_4) | instid1(VALU_DEP_1)
	s_or_b32 exec_lo, exec_lo, s38
	v_mov_b32_e32 v86, 0
	ds_load_b64 v[86:87], v86 offset:240
	s_wait_dscnt 0x0
	v_pk_mul_f32 v[88:89], v[84:85], v[86:87] op_sel:[1,1] op_sel_hi:[0,1]
	v_pk_fma_f32 v[90:91], v[84:85], v[86:87], v[88:89] op_sel_hi:[1,0,1]
	v_pk_fma_f32 v[84:85], v[84:85], v[86:87], v[88:89] neg_lo:[0,0,1] neg_hi:[0,0,1]
	s_delay_alu instid0(VALU_DEP_2)
	v_mov_b32_e32 v85, v91
	scratch_store_b64 off, v[84:85], off offset:240
.LBB103_95:
	s_wait_xcnt 0x0
	s_or_b32 exec_lo, exec_lo, s37
	scratch_load_b64 v[84:85], off, off offset:232
	v_cmp_lt_u32_e64 s1, 29, v0
	s_wait_loadcnt 0x0
	ds_store_b64 v1, v[84:85]
	s_wait_storecnt_dscnt 0x0
	s_barrier_signal -1
	s_barrier_wait -1
	s_wait_xcnt 0x0
	s_and_saveexec_b32 s36, s1
	s_cbranch_execz .LBB103_105
; %bb.96:
	s_and_not1_b32 vcc_lo, exec_lo, s3
	s_cbranch_vccnz .LBB103_98
; %bb.97:
	scratch_load_b64 v[84:85], v59, off
	ds_load_b64 v[86:87], v1
	s_wait_loadcnt_dscnt 0x0
	v_pk_mul_f32 v[88:89], v[86:87], v[84:85] op_sel:[1,1] op_sel_hi:[0,1]
	s_delay_alu instid0(VALU_DEP_1) | instskip(SKIP_1) | instid1(VALU_DEP_2)
	v_pk_fma_f32 v[90:91], v[86:87], v[84:85], v[88:89] op_sel_hi:[1,0,1]
	v_pk_fma_f32 v[84:85], v[86:87], v[84:85], v[88:89] neg_lo:[0,0,1] neg_hi:[0,0,1]
	v_mov_b32_e32 v85, v91
	s_cbranch_execz .LBB103_99
	s_branch .LBB103_100
.LBB103_98:
                                        ; implicit-def: $vgpr84_vgpr85
.LBB103_99:
	ds_load_b64 v[84:85], v1
.LBB103_100:
	s_and_saveexec_b32 s37, s0
	s_cbranch_execz .LBB103_104
; %bb.101:
	v_subrev_nc_u32_e32 v86, 30, v0
	s_movk_i32 s38, 0x230
	s_mov_b32 s0, 0
.LBB103_102:                            ; =>This Inner Loop Header: Depth=1
	scratch_load_b64 v[88:89], off, s35
	v_dual_mov_b32 v87, s38 :: v_dual_add_nc_u32 v86, -1, v86
	s_add_co_i32 s38, s38, 8
	s_wait_xcnt 0x0
	s_add_co_i32 s35, s35, 8
	ds_load_b64 v[90:91], v87
	v_cmp_eq_u32_e32 vcc_lo, 0, v86
	s_or_b32 s0, vcc_lo, s0
	s_wait_loadcnt_dscnt 0x0
	v_pk_mul_f32 v[92:93], v[90:91], v[88:89] op_sel:[1,1] op_sel_hi:[0,1]
	s_delay_alu instid0(VALU_DEP_1) | instskip(SKIP_1) | instid1(VALU_DEP_2)
	v_pk_fma_f32 v[94:95], v[90:91], v[88:89], v[92:93] op_sel_hi:[1,0,1]
	v_pk_fma_f32 v[88:89], v[90:91], v[88:89], v[92:93] neg_lo:[0,0,1] neg_hi:[0,0,1]
	v_mov_b32_e32 v89, v95
	s_delay_alu instid0(VALU_DEP_1)
	v_pk_add_f32 v[84:85], v[84:85], v[88:89]
	s_and_not1_b32 exec_lo, exec_lo, s0
	s_cbranch_execnz .LBB103_102
; %bb.103:
	s_or_b32 exec_lo, exec_lo, s0
.LBB103_104:
	s_delay_alu instid0(SALU_CYCLE_1) | instskip(SKIP_4) | instid1(VALU_DEP_1)
	s_or_b32 exec_lo, exec_lo, s37
	v_mov_b32_e32 v86, 0
	ds_load_b64 v[86:87], v86 offset:232
	s_wait_dscnt 0x0
	v_pk_mul_f32 v[88:89], v[84:85], v[86:87] op_sel:[1,1] op_sel_hi:[0,1]
	v_pk_fma_f32 v[90:91], v[84:85], v[86:87], v[88:89] op_sel_hi:[1,0,1]
	v_pk_fma_f32 v[84:85], v[84:85], v[86:87], v[88:89] neg_lo:[0,0,1] neg_hi:[0,0,1]
	s_delay_alu instid0(VALU_DEP_2)
	v_mov_b32_e32 v85, v91
	scratch_store_b64 off, v[84:85], off offset:232
.LBB103_105:
	s_wait_xcnt 0x0
	s_or_b32 exec_lo, exec_lo, s36
	scratch_load_b64 v[84:85], off, off offset:224
	v_cmp_lt_u32_e64 s0, 28, v0
	s_wait_loadcnt 0x0
	ds_store_b64 v1, v[84:85]
	s_wait_storecnt_dscnt 0x0
	s_barrier_signal -1
	s_barrier_wait -1
	s_wait_xcnt 0x0
	s_and_saveexec_b32 s35, s0
	s_cbranch_execz .LBB103_115
; %bb.106:
	s_and_not1_b32 vcc_lo, exec_lo, s3
	s_cbranch_vccnz .LBB103_108
; %bb.107:
	scratch_load_b64 v[84:85], v59, off
	ds_load_b64 v[86:87], v1
	s_wait_loadcnt_dscnt 0x0
	v_pk_mul_f32 v[88:89], v[86:87], v[84:85] op_sel:[1,1] op_sel_hi:[0,1]
	s_delay_alu instid0(VALU_DEP_1) | instskip(SKIP_1) | instid1(VALU_DEP_2)
	v_pk_fma_f32 v[90:91], v[86:87], v[84:85], v[88:89] op_sel_hi:[1,0,1]
	v_pk_fma_f32 v[84:85], v[86:87], v[84:85], v[88:89] neg_lo:[0,0,1] neg_hi:[0,0,1]
	v_mov_b32_e32 v85, v91
	s_cbranch_execz .LBB103_109
	s_branch .LBB103_110
.LBB103_108:
                                        ; implicit-def: $vgpr84_vgpr85
.LBB103_109:
	ds_load_b64 v[84:85], v1
.LBB103_110:
	s_and_saveexec_b32 s36, s1
	s_cbranch_execz .LBB103_114
; %bb.111:
	v_subrev_nc_u32_e32 v86, 29, v0
	s_movk_i32 s37, 0x228
	s_mov_b32 s1, 0
.LBB103_112:                            ; =>This Inner Loop Header: Depth=1
	scratch_load_b64 v[88:89], off, s34
	v_dual_mov_b32 v87, s37 :: v_dual_add_nc_u32 v86, -1, v86
	s_add_co_i32 s37, s37, 8
	s_wait_xcnt 0x0
	s_add_co_i32 s34, s34, 8
	ds_load_b64 v[90:91], v87
	v_cmp_eq_u32_e32 vcc_lo, 0, v86
	s_or_b32 s1, vcc_lo, s1
	s_wait_loadcnt_dscnt 0x0
	v_pk_mul_f32 v[92:93], v[90:91], v[88:89] op_sel:[1,1] op_sel_hi:[0,1]
	s_delay_alu instid0(VALU_DEP_1) | instskip(SKIP_1) | instid1(VALU_DEP_2)
	v_pk_fma_f32 v[94:95], v[90:91], v[88:89], v[92:93] op_sel_hi:[1,0,1]
	v_pk_fma_f32 v[88:89], v[90:91], v[88:89], v[92:93] neg_lo:[0,0,1] neg_hi:[0,0,1]
	v_mov_b32_e32 v89, v95
	s_delay_alu instid0(VALU_DEP_1)
	v_pk_add_f32 v[84:85], v[84:85], v[88:89]
	s_and_not1_b32 exec_lo, exec_lo, s1
	s_cbranch_execnz .LBB103_112
; %bb.113:
	s_or_b32 exec_lo, exec_lo, s1
.LBB103_114:
	s_delay_alu instid0(SALU_CYCLE_1) | instskip(SKIP_4) | instid1(VALU_DEP_1)
	s_or_b32 exec_lo, exec_lo, s36
	v_mov_b32_e32 v86, 0
	ds_load_b64 v[86:87], v86 offset:224
	s_wait_dscnt 0x0
	v_pk_mul_f32 v[88:89], v[84:85], v[86:87] op_sel:[1,1] op_sel_hi:[0,1]
	v_pk_fma_f32 v[90:91], v[84:85], v[86:87], v[88:89] op_sel_hi:[1,0,1]
	v_pk_fma_f32 v[84:85], v[84:85], v[86:87], v[88:89] neg_lo:[0,0,1] neg_hi:[0,0,1]
	s_delay_alu instid0(VALU_DEP_2)
	v_mov_b32_e32 v85, v91
	scratch_store_b64 off, v[84:85], off offset:224
.LBB103_115:
	s_wait_xcnt 0x0
	s_or_b32 exec_lo, exec_lo, s35
	scratch_load_b64 v[84:85], off, off offset:216
	v_cmp_lt_u32_e64 s1, 27, v0
	s_wait_loadcnt 0x0
	ds_store_b64 v1, v[84:85]
	s_wait_storecnt_dscnt 0x0
	s_barrier_signal -1
	s_barrier_wait -1
	s_wait_xcnt 0x0
	s_and_saveexec_b32 s34, s1
	s_cbranch_execz .LBB103_125
; %bb.116:
	s_and_not1_b32 vcc_lo, exec_lo, s3
	s_cbranch_vccnz .LBB103_118
; %bb.117:
	scratch_load_b64 v[84:85], v59, off
	ds_load_b64 v[86:87], v1
	s_wait_loadcnt_dscnt 0x0
	v_pk_mul_f32 v[88:89], v[86:87], v[84:85] op_sel:[1,1] op_sel_hi:[0,1]
	s_delay_alu instid0(VALU_DEP_1) | instskip(SKIP_1) | instid1(VALU_DEP_2)
	v_pk_fma_f32 v[90:91], v[86:87], v[84:85], v[88:89] op_sel_hi:[1,0,1]
	v_pk_fma_f32 v[84:85], v[86:87], v[84:85], v[88:89] neg_lo:[0,0,1] neg_hi:[0,0,1]
	v_mov_b32_e32 v85, v91
	s_cbranch_execz .LBB103_119
	s_branch .LBB103_120
.LBB103_118:
                                        ; implicit-def: $vgpr84_vgpr85
.LBB103_119:
	ds_load_b64 v[84:85], v1
.LBB103_120:
	s_and_saveexec_b32 s35, s0
	s_cbranch_execz .LBB103_124
; %bb.121:
	v_subrev_nc_u32_e32 v86, 28, v0
	s_movk_i32 s36, 0x220
	s_mov_b32 s0, 0
.LBB103_122:                            ; =>This Inner Loop Header: Depth=1
	scratch_load_b64 v[88:89], off, s33
	v_dual_mov_b32 v87, s36 :: v_dual_add_nc_u32 v86, -1, v86
	s_add_co_i32 s36, s36, 8
	s_wait_xcnt 0x0
	s_add_co_i32 s33, s33, 8
	ds_load_b64 v[90:91], v87
	v_cmp_eq_u32_e32 vcc_lo, 0, v86
	s_or_b32 s0, vcc_lo, s0
	s_wait_loadcnt_dscnt 0x0
	v_pk_mul_f32 v[92:93], v[90:91], v[88:89] op_sel:[1,1] op_sel_hi:[0,1]
	s_delay_alu instid0(VALU_DEP_1) | instskip(SKIP_1) | instid1(VALU_DEP_2)
	v_pk_fma_f32 v[94:95], v[90:91], v[88:89], v[92:93] op_sel_hi:[1,0,1]
	v_pk_fma_f32 v[88:89], v[90:91], v[88:89], v[92:93] neg_lo:[0,0,1] neg_hi:[0,0,1]
	v_mov_b32_e32 v89, v95
	s_delay_alu instid0(VALU_DEP_1)
	v_pk_add_f32 v[84:85], v[84:85], v[88:89]
	s_and_not1_b32 exec_lo, exec_lo, s0
	s_cbranch_execnz .LBB103_122
; %bb.123:
	s_or_b32 exec_lo, exec_lo, s0
.LBB103_124:
	s_delay_alu instid0(SALU_CYCLE_1) | instskip(SKIP_4) | instid1(VALU_DEP_1)
	s_or_b32 exec_lo, exec_lo, s35
	v_mov_b32_e32 v86, 0
	ds_load_b64 v[86:87], v86 offset:216
	s_wait_dscnt 0x0
	v_pk_mul_f32 v[88:89], v[84:85], v[86:87] op_sel:[1,1] op_sel_hi:[0,1]
	v_pk_fma_f32 v[90:91], v[84:85], v[86:87], v[88:89] op_sel_hi:[1,0,1]
	v_pk_fma_f32 v[84:85], v[84:85], v[86:87], v[88:89] neg_lo:[0,0,1] neg_hi:[0,0,1]
	s_delay_alu instid0(VALU_DEP_2)
	v_mov_b32_e32 v85, v91
	scratch_store_b64 off, v[84:85], off offset:216
.LBB103_125:
	s_wait_xcnt 0x0
	s_or_b32 exec_lo, exec_lo, s34
	scratch_load_b64 v[84:85], off, off offset:208
	v_cmp_lt_u32_e64 s0, 26, v0
	s_wait_loadcnt 0x0
	ds_store_b64 v1, v[84:85]
	s_wait_storecnt_dscnt 0x0
	s_barrier_signal -1
	s_barrier_wait -1
	s_wait_xcnt 0x0
	s_and_saveexec_b32 s33, s0
	s_cbranch_execz .LBB103_135
; %bb.126:
	s_and_not1_b32 vcc_lo, exec_lo, s3
	s_cbranch_vccnz .LBB103_128
; %bb.127:
	scratch_load_b64 v[84:85], v59, off
	ds_load_b64 v[86:87], v1
	s_wait_loadcnt_dscnt 0x0
	v_pk_mul_f32 v[88:89], v[86:87], v[84:85] op_sel:[1,1] op_sel_hi:[0,1]
	s_delay_alu instid0(VALU_DEP_1) | instskip(SKIP_1) | instid1(VALU_DEP_2)
	v_pk_fma_f32 v[90:91], v[86:87], v[84:85], v[88:89] op_sel_hi:[1,0,1]
	v_pk_fma_f32 v[84:85], v[86:87], v[84:85], v[88:89] neg_lo:[0,0,1] neg_hi:[0,0,1]
	v_mov_b32_e32 v85, v91
	s_cbranch_execz .LBB103_129
	s_branch .LBB103_130
.LBB103_128:
                                        ; implicit-def: $vgpr84_vgpr85
.LBB103_129:
	ds_load_b64 v[84:85], v1
.LBB103_130:
	s_and_saveexec_b32 s34, s1
	s_cbranch_execz .LBB103_134
; %bb.131:
	v_subrev_nc_u32_e32 v86, 27, v0
	s_movk_i32 s35, 0x218
	s_mov_b32 s1, 0
.LBB103_132:                            ; =>This Inner Loop Header: Depth=1
	scratch_load_b64 v[88:89], off, s31
	v_dual_mov_b32 v87, s35 :: v_dual_add_nc_u32 v86, -1, v86
	s_add_co_i32 s35, s35, 8
	s_wait_xcnt 0x0
	s_add_co_i32 s31, s31, 8
	ds_load_b64 v[90:91], v87
	v_cmp_eq_u32_e32 vcc_lo, 0, v86
	s_or_b32 s1, vcc_lo, s1
	s_wait_loadcnt_dscnt 0x0
	v_pk_mul_f32 v[92:93], v[90:91], v[88:89] op_sel:[1,1] op_sel_hi:[0,1]
	s_delay_alu instid0(VALU_DEP_1) | instskip(SKIP_1) | instid1(VALU_DEP_2)
	v_pk_fma_f32 v[94:95], v[90:91], v[88:89], v[92:93] op_sel_hi:[1,0,1]
	v_pk_fma_f32 v[88:89], v[90:91], v[88:89], v[92:93] neg_lo:[0,0,1] neg_hi:[0,0,1]
	v_mov_b32_e32 v89, v95
	s_delay_alu instid0(VALU_DEP_1)
	v_pk_add_f32 v[84:85], v[84:85], v[88:89]
	s_and_not1_b32 exec_lo, exec_lo, s1
	s_cbranch_execnz .LBB103_132
; %bb.133:
	s_or_b32 exec_lo, exec_lo, s1
.LBB103_134:
	s_delay_alu instid0(SALU_CYCLE_1) | instskip(SKIP_4) | instid1(VALU_DEP_1)
	s_or_b32 exec_lo, exec_lo, s34
	v_mov_b32_e32 v86, 0
	ds_load_b64 v[86:87], v86 offset:208
	s_wait_dscnt 0x0
	v_pk_mul_f32 v[88:89], v[84:85], v[86:87] op_sel:[1,1] op_sel_hi:[0,1]
	v_pk_fma_f32 v[90:91], v[84:85], v[86:87], v[88:89] op_sel_hi:[1,0,1]
	v_pk_fma_f32 v[84:85], v[84:85], v[86:87], v[88:89] neg_lo:[0,0,1] neg_hi:[0,0,1]
	s_delay_alu instid0(VALU_DEP_2)
	v_mov_b32_e32 v85, v91
	scratch_store_b64 off, v[84:85], off offset:208
.LBB103_135:
	s_wait_xcnt 0x0
	s_or_b32 exec_lo, exec_lo, s33
	scratch_load_b64 v[84:85], off, off offset:200
	v_cmp_lt_u32_e64 s1, 25, v0
	s_wait_loadcnt 0x0
	ds_store_b64 v1, v[84:85]
	s_wait_storecnt_dscnt 0x0
	s_barrier_signal -1
	s_barrier_wait -1
	s_wait_xcnt 0x0
	s_and_saveexec_b32 s31, s1
	s_cbranch_execz .LBB103_145
; %bb.136:
	s_and_not1_b32 vcc_lo, exec_lo, s3
	s_cbranch_vccnz .LBB103_138
; %bb.137:
	scratch_load_b64 v[84:85], v59, off
	ds_load_b64 v[86:87], v1
	s_wait_loadcnt_dscnt 0x0
	v_pk_mul_f32 v[88:89], v[86:87], v[84:85] op_sel:[1,1] op_sel_hi:[0,1]
	s_delay_alu instid0(VALU_DEP_1) | instskip(SKIP_1) | instid1(VALU_DEP_2)
	v_pk_fma_f32 v[90:91], v[86:87], v[84:85], v[88:89] op_sel_hi:[1,0,1]
	v_pk_fma_f32 v[84:85], v[86:87], v[84:85], v[88:89] neg_lo:[0,0,1] neg_hi:[0,0,1]
	v_mov_b32_e32 v85, v91
	s_cbranch_execz .LBB103_139
	s_branch .LBB103_140
.LBB103_138:
                                        ; implicit-def: $vgpr84_vgpr85
.LBB103_139:
	ds_load_b64 v[84:85], v1
.LBB103_140:
	s_and_saveexec_b32 s33, s0
	s_cbranch_execz .LBB103_144
; %bb.141:
	v_subrev_nc_u32_e32 v86, 26, v0
	s_movk_i32 s34, 0x210
	s_mov_b32 s0, 0
.LBB103_142:                            ; =>This Inner Loop Header: Depth=1
	scratch_load_b64 v[88:89], off, s30
	v_dual_mov_b32 v87, s34 :: v_dual_add_nc_u32 v86, -1, v86
	s_add_co_i32 s34, s34, 8
	s_wait_xcnt 0x0
	s_add_co_i32 s30, s30, 8
	ds_load_b64 v[90:91], v87
	v_cmp_eq_u32_e32 vcc_lo, 0, v86
	s_or_b32 s0, vcc_lo, s0
	s_wait_loadcnt_dscnt 0x0
	v_pk_mul_f32 v[92:93], v[90:91], v[88:89] op_sel:[1,1] op_sel_hi:[0,1]
	s_delay_alu instid0(VALU_DEP_1) | instskip(SKIP_1) | instid1(VALU_DEP_2)
	v_pk_fma_f32 v[94:95], v[90:91], v[88:89], v[92:93] op_sel_hi:[1,0,1]
	v_pk_fma_f32 v[88:89], v[90:91], v[88:89], v[92:93] neg_lo:[0,0,1] neg_hi:[0,0,1]
	v_mov_b32_e32 v89, v95
	s_delay_alu instid0(VALU_DEP_1)
	v_pk_add_f32 v[84:85], v[84:85], v[88:89]
	s_and_not1_b32 exec_lo, exec_lo, s0
	s_cbranch_execnz .LBB103_142
; %bb.143:
	s_or_b32 exec_lo, exec_lo, s0
.LBB103_144:
	s_delay_alu instid0(SALU_CYCLE_1) | instskip(SKIP_4) | instid1(VALU_DEP_1)
	s_or_b32 exec_lo, exec_lo, s33
	v_mov_b32_e32 v86, 0
	ds_load_b64 v[86:87], v86 offset:200
	s_wait_dscnt 0x0
	v_pk_mul_f32 v[88:89], v[84:85], v[86:87] op_sel:[1,1] op_sel_hi:[0,1]
	v_pk_fma_f32 v[90:91], v[84:85], v[86:87], v[88:89] op_sel_hi:[1,0,1]
	v_pk_fma_f32 v[84:85], v[84:85], v[86:87], v[88:89] neg_lo:[0,0,1] neg_hi:[0,0,1]
	s_delay_alu instid0(VALU_DEP_2)
	v_mov_b32_e32 v85, v91
	scratch_store_b64 off, v[84:85], off offset:200
.LBB103_145:
	s_wait_xcnt 0x0
	s_or_b32 exec_lo, exec_lo, s31
	scratch_load_b64 v[84:85], off, off offset:192
	v_cmp_lt_u32_e64 s0, 24, v0
	s_wait_loadcnt 0x0
	ds_store_b64 v1, v[84:85]
	s_wait_storecnt_dscnt 0x0
	s_barrier_signal -1
	s_barrier_wait -1
	s_wait_xcnt 0x0
	s_and_saveexec_b32 s30, s0
	s_cbranch_execz .LBB103_155
; %bb.146:
	s_and_not1_b32 vcc_lo, exec_lo, s3
	s_cbranch_vccnz .LBB103_148
; %bb.147:
	scratch_load_b64 v[84:85], v59, off
	ds_load_b64 v[86:87], v1
	s_wait_loadcnt_dscnt 0x0
	v_pk_mul_f32 v[88:89], v[86:87], v[84:85] op_sel:[1,1] op_sel_hi:[0,1]
	s_delay_alu instid0(VALU_DEP_1) | instskip(SKIP_1) | instid1(VALU_DEP_2)
	v_pk_fma_f32 v[90:91], v[86:87], v[84:85], v[88:89] op_sel_hi:[1,0,1]
	v_pk_fma_f32 v[84:85], v[86:87], v[84:85], v[88:89] neg_lo:[0,0,1] neg_hi:[0,0,1]
	v_mov_b32_e32 v85, v91
	s_cbranch_execz .LBB103_149
	s_branch .LBB103_150
.LBB103_148:
                                        ; implicit-def: $vgpr84_vgpr85
.LBB103_149:
	ds_load_b64 v[84:85], v1
.LBB103_150:
	s_and_saveexec_b32 s31, s1
	s_cbranch_execz .LBB103_154
; %bb.151:
	v_subrev_nc_u32_e32 v86, 25, v0
	s_movk_i32 s33, 0x208
	s_mov_b32 s1, 0
.LBB103_152:                            ; =>This Inner Loop Header: Depth=1
	scratch_load_b64 v[88:89], off, s29
	v_dual_mov_b32 v87, s33 :: v_dual_add_nc_u32 v86, -1, v86
	s_add_co_i32 s33, s33, 8
	s_wait_xcnt 0x0
	s_add_co_i32 s29, s29, 8
	ds_load_b64 v[90:91], v87
	v_cmp_eq_u32_e32 vcc_lo, 0, v86
	s_or_b32 s1, vcc_lo, s1
	s_wait_loadcnt_dscnt 0x0
	v_pk_mul_f32 v[92:93], v[90:91], v[88:89] op_sel:[1,1] op_sel_hi:[0,1]
	s_delay_alu instid0(VALU_DEP_1) | instskip(SKIP_1) | instid1(VALU_DEP_2)
	v_pk_fma_f32 v[94:95], v[90:91], v[88:89], v[92:93] op_sel_hi:[1,0,1]
	v_pk_fma_f32 v[88:89], v[90:91], v[88:89], v[92:93] neg_lo:[0,0,1] neg_hi:[0,0,1]
	v_mov_b32_e32 v89, v95
	s_delay_alu instid0(VALU_DEP_1)
	v_pk_add_f32 v[84:85], v[84:85], v[88:89]
	s_and_not1_b32 exec_lo, exec_lo, s1
	s_cbranch_execnz .LBB103_152
; %bb.153:
	s_or_b32 exec_lo, exec_lo, s1
.LBB103_154:
	s_delay_alu instid0(SALU_CYCLE_1) | instskip(SKIP_4) | instid1(VALU_DEP_1)
	s_or_b32 exec_lo, exec_lo, s31
	v_mov_b32_e32 v86, 0
	ds_load_b64 v[86:87], v86 offset:192
	s_wait_dscnt 0x0
	v_pk_mul_f32 v[88:89], v[84:85], v[86:87] op_sel:[1,1] op_sel_hi:[0,1]
	v_pk_fma_f32 v[90:91], v[84:85], v[86:87], v[88:89] op_sel_hi:[1,0,1]
	v_pk_fma_f32 v[84:85], v[84:85], v[86:87], v[88:89] neg_lo:[0,0,1] neg_hi:[0,0,1]
	s_delay_alu instid0(VALU_DEP_2)
	v_mov_b32_e32 v85, v91
	scratch_store_b64 off, v[84:85], off offset:192
.LBB103_155:
	s_wait_xcnt 0x0
	s_or_b32 exec_lo, exec_lo, s30
	scratch_load_b64 v[84:85], off, off offset:184
	v_cmp_lt_u32_e64 s1, 23, v0
	s_wait_loadcnt 0x0
	ds_store_b64 v1, v[84:85]
	s_wait_storecnt_dscnt 0x0
	s_barrier_signal -1
	s_barrier_wait -1
	s_wait_xcnt 0x0
	s_and_saveexec_b32 s29, s1
	s_cbranch_execz .LBB103_165
; %bb.156:
	s_and_not1_b32 vcc_lo, exec_lo, s3
	s_cbranch_vccnz .LBB103_158
; %bb.157:
	scratch_load_b64 v[84:85], v59, off
	ds_load_b64 v[86:87], v1
	s_wait_loadcnt_dscnt 0x0
	v_pk_mul_f32 v[88:89], v[86:87], v[84:85] op_sel:[1,1] op_sel_hi:[0,1]
	s_delay_alu instid0(VALU_DEP_1) | instskip(SKIP_1) | instid1(VALU_DEP_2)
	v_pk_fma_f32 v[90:91], v[86:87], v[84:85], v[88:89] op_sel_hi:[1,0,1]
	v_pk_fma_f32 v[84:85], v[86:87], v[84:85], v[88:89] neg_lo:[0,0,1] neg_hi:[0,0,1]
	v_mov_b32_e32 v85, v91
	s_cbranch_execz .LBB103_159
	s_branch .LBB103_160
.LBB103_158:
                                        ; implicit-def: $vgpr84_vgpr85
.LBB103_159:
	ds_load_b64 v[84:85], v1
.LBB103_160:
	s_and_saveexec_b32 s30, s0
	s_cbranch_execz .LBB103_164
; %bb.161:
	v_subrev_nc_u32_e32 v86, 24, v0
	s_movk_i32 s31, 0x200
	s_mov_b32 s0, 0
.LBB103_162:                            ; =>This Inner Loop Header: Depth=1
	scratch_load_b64 v[88:89], off, s28
	v_dual_mov_b32 v87, s31 :: v_dual_add_nc_u32 v86, -1, v86
	s_add_co_i32 s31, s31, 8
	s_wait_xcnt 0x0
	s_add_co_i32 s28, s28, 8
	ds_load_b64 v[90:91], v87
	v_cmp_eq_u32_e32 vcc_lo, 0, v86
	s_or_b32 s0, vcc_lo, s0
	s_wait_loadcnt_dscnt 0x0
	v_pk_mul_f32 v[92:93], v[90:91], v[88:89] op_sel:[1,1] op_sel_hi:[0,1]
	s_delay_alu instid0(VALU_DEP_1) | instskip(SKIP_1) | instid1(VALU_DEP_2)
	v_pk_fma_f32 v[94:95], v[90:91], v[88:89], v[92:93] op_sel_hi:[1,0,1]
	v_pk_fma_f32 v[88:89], v[90:91], v[88:89], v[92:93] neg_lo:[0,0,1] neg_hi:[0,0,1]
	v_mov_b32_e32 v89, v95
	s_delay_alu instid0(VALU_DEP_1)
	v_pk_add_f32 v[84:85], v[84:85], v[88:89]
	s_and_not1_b32 exec_lo, exec_lo, s0
	s_cbranch_execnz .LBB103_162
; %bb.163:
	s_or_b32 exec_lo, exec_lo, s0
.LBB103_164:
	s_delay_alu instid0(SALU_CYCLE_1) | instskip(SKIP_4) | instid1(VALU_DEP_1)
	s_or_b32 exec_lo, exec_lo, s30
	v_mov_b32_e32 v86, 0
	ds_load_b64 v[86:87], v86 offset:184
	s_wait_dscnt 0x0
	v_pk_mul_f32 v[88:89], v[84:85], v[86:87] op_sel:[1,1] op_sel_hi:[0,1]
	v_pk_fma_f32 v[90:91], v[84:85], v[86:87], v[88:89] op_sel_hi:[1,0,1]
	v_pk_fma_f32 v[84:85], v[84:85], v[86:87], v[88:89] neg_lo:[0,0,1] neg_hi:[0,0,1]
	s_delay_alu instid0(VALU_DEP_2)
	v_mov_b32_e32 v85, v91
	scratch_store_b64 off, v[84:85], off offset:184
.LBB103_165:
	s_wait_xcnt 0x0
	s_or_b32 exec_lo, exec_lo, s29
	scratch_load_b64 v[84:85], off, off offset:176
	v_cmp_lt_u32_e64 s0, 22, v0
	s_wait_loadcnt 0x0
	ds_store_b64 v1, v[84:85]
	s_wait_storecnt_dscnt 0x0
	s_barrier_signal -1
	s_barrier_wait -1
	s_wait_xcnt 0x0
	s_and_saveexec_b32 s28, s0
	s_cbranch_execz .LBB103_175
; %bb.166:
	s_and_not1_b32 vcc_lo, exec_lo, s3
	s_cbranch_vccnz .LBB103_168
; %bb.167:
	scratch_load_b64 v[84:85], v59, off
	ds_load_b64 v[86:87], v1
	s_wait_loadcnt_dscnt 0x0
	v_pk_mul_f32 v[88:89], v[86:87], v[84:85] op_sel:[1,1] op_sel_hi:[0,1]
	s_delay_alu instid0(VALU_DEP_1) | instskip(SKIP_1) | instid1(VALU_DEP_2)
	v_pk_fma_f32 v[90:91], v[86:87], v[84:85], v[88:89] op_sel_hi:[1,0,1]
	v_pk_fma_f32 v[84:85], v[86:87], v[84:85], v[88:89] neg_lo:[0,0,1] neg_hi:[0,0,1]
	v_mov_b32_e32 v85, v91
	s_cbranch_execz .LBB103_169
	s_branch .LBB103_170
.LBB103_168:
                                        ; implicit-def: $vgpr84_vgpr85
.LBB103_169:
	ds_load_b64 v[84:85], v1
.LBB103_170:
	s_and_saveexec_b32 s29, s1
	s_cbranch_execz .LBB103_174
; %bb.171:
	v_subrev_nc_u32_e32 v86, 23, v0
	s_movk_i32 s30, 0x1f8
	s_mov_b32 s1, 0
.LBB103_172:                            ; =>This Inner Loop Header: Depth=1
	scratch_load_b64 v[88:89], off, s27
	v_dual_mov_b32 v87, s30 :: v_dual_add_nc_u32 v86, -1, v86
	s_add_co_i32 s30, s30, 8
	s_wait_xcnt 0x0
	s_add_co_i32 s27, s27, 8
	ds_load_b64 v[90:91], v87
	v_cmp_eq_u32_e32 vcc_lo, 0, v86
	s_or_b32 s1, vcc_lo, s1
	s_wait_loadcnt_dscnt 0x0
	v_pk_mul_f32 v[92:93], v[90:91], v[88:89] op_sel:[1,1] op_sel_hi:[0,1]
	s_delay_alu instid0(VALU_DEP_1) | instskip(SKIP_1) | instid1(VALU_DEP_2)
	v_pk_fma_f32 v[94:95], v[90:91], v[88:89], v[92:93] op_sel_hi:[1,0,1]
	v_pk_fma_f32 v[88:89], v[90:91], v[88:89], v[92:93] neg_lo:[0,0,1] neg_hi:[0,0,1]
	v_mov_b32_e32 v89, v95
	s_delay_alu instid0(VALU_DEP_1)
	v_pk_add_f32 v[84:85], v[84:85], v[88:89]
	s_and_not1_b32 exec_lo, exec_lo, s1
	s_cbranch_execnz .LBB103_172
; %bb.173:
	s_or_b32 exec_lo, exec_lo, s1
.LBB103_174:
	s_delay_alu instid0(SALU_CYCLE_1) | instskip(SKIP_4) | instid1(VALU_DEP_1)
	s_or_b32 exec_lo, exec_lo, s29
	v_mov_b32_e32 v86, 0
	ds_load_b64 v[86:87], v86 offset:176
	s_wait_dscnt 0x0
	v_pk_mul_f32 v[88:89], v[84:85], v[86:87] op_sel:[1,1] op_sel_hi:[0,1]
	v_pk_fma_f32 v[90:91], v[84:85], v[86:87], v[88:89] op_sel_hi:[1,0,1]
	v_pk_fma_f32 v[84:85], v[84:85], v[86:87], v[88:89] neg_lo:[0,0,1] neg_hi:[0,0,1]
	s_delay_alu instid0(VALU_DEP_2)
	v_mov_b32_e32 v85, v91
	scratch_store_b64 off, v[84:85], off offset:176
.LBB103_175:
	s_wait_xcnt 0x0
	s_or_b32 exec_lo, exec_lo, s28
	scratch_load_b64 v[84:85], off, off offset:168
	v_cmp_lt_u32_e64 s1, 21, v0
	s_wait_loadcnt 0x0
	ds_store_b64 v1, v[84:85]
	s_wait_storecnt_dscnt 0x0
	s_barrier_signal -1
	s_barrier_wait -1
	s_wait_xcnt 0x0
	s_and_saveexec_b32 s27, s1
	s_cbranch_execz .LBB103_185
; %bb.176:
	s_and_not1_b32 vcc_lo, exec_lo, s3
	s_cbranch_vccnz .LBB103_178
; %bb.177:
	scratch_load_b64 v[84:85], v59, off
	ds_load_b64 v[86:87], v1
	s_wait_loadcnt_dscnt 0x0
	v_pk_mul_f32 v[88:89], v[86:87], v[84:85] op_sel:[1,1] op_sel_hi:[0,1]
	s_delay_alu instid0(VALU_DEP_1) | instskip(SKIP_1) | instid1(VALU_DEP_2)
	v_pk_fma_f32 v[90:91], v[86:87], v[84:85], v[88:89] op_sel_hi:[1,0,1]
	v_pk_fma_f32 v[84:85], v[86:87], v[84:85], v[88:89] neg_lo:[0,0,1] neg_hi:[0,0,1]
	v_mov_b32_e32 v85, v91
	s_cbranch_execz .LBB103_179
	s_branch .LBB103_180
.LBB103_178:
                                        ; implicit-def: $vgpr84_vgpr85
.LBB103_179:
	ds_load_b64 v[84:85], v1
.LBB103_180:
	s_and_saveexec_b32 s28, s0
	s_cbranch_execz .LBB103_184
; %bb.181:
	v_subrev_nc_u32_e32 v86, 22, v0
	s_movk_i32 s29, 0x1f0
	s_mov_b32 s0, 0
.LBB103_182:                            ; =>This Inner Loop Header: Depth=1
	scratch_load_b64 v[88:89], off, s26
	v_dual_mov_b32 v87, s29 :: v_dual_add_nc_u32 v86, -1, v86
	s_add_co_i32 s29, s29, 8
	s_wait_xcnt 0x0
	s_add_co_i32 s26, s26, 8
	ds_load_b64 v[90:91], v87
	v_cmp_eq_u32_e32 vcc_lo, 0, v86
	s_or_b32 s0, vcc_lo, s0
	s_wait_loadcnt_dscnt 0x0
	v_pk_mul_f32 v[92:93], v[90:91], v[88:89] op_sel:[1,1] op_sel_hi:[0,1]
	s_delay_alu instid0(VALU_DEP_1) | instskip(SKIP_1) | instid1(VALU_DEP_2)
	v_pk_fma_f32 v[94:95], v[90:91], v[88:89], v[92:93] op_sel_hi:[1,0,1]
	v_pk_fma_f32 v[88:89], v[90:91], v[88:89], v[92:93] neg_lo:[0,0,1] neg_hi:[0,0,1]
	v_mov_b32_e32 v89, v95
	s_delay_alu instid0(VALU_DEP_1)
	v_pk_add_f32 v[84:85], v[84:85], v[88:89]
	s_and_not1_b32 exec_lo, exec_lo, s0
	s_cbranch_execnz .LBB103_182
; %bb.183:
	s_or_b32 exec_lo, exec_lo, s0
.LBB103_184:
	s_delay_alu instid0(SALU_CYCLE_1) | instskip(SKIP_4) | instid1(VALU_DEP_1)
	s_or_b32 exec_lo, exec_lo, s28
	v_mov_b32_e32 v86, 0
	ds_load_b64 v[86:87], v86 offset:168
	s_wait_dscnt 0x0
	v_pk_mul_f32 v[88:89], v[84:85], v[86:87] op_sel:[1,1] op_sel_hi:[0,1]
	v_pk_fma_f32 v[90:91], v[84:85], v[86:87], v[88:89] op_sel_hi:[1,0,1]
	v_pk_fma_f32 v[84:85], v[84:85], v[86:87], v[88:89] neg_lo:[0,0,1] neg_hi:[0,0,1]
	s_delay_alu instid0(VALU_DEP_2)
	v_mov_b32_e32 v85, v91
	scratch_store_b64 off, v[84:85], off offset:168
.LBB103_185:
	s_wait_xcnt 0x0
	s_or_b32 exec_lo, exec_lo, s27
	scratch_load_b64 v[84:85], off, off offset:160
	v_cmp_lt_u32_e64 s0, 20, v0
	s_wait_loadcnt 0x0
	ds_store_b64 v1, v[84:85]
	s_wait_storecnt_dscnt 0x0
	s_barrier_signal -1
	s_barrier_wait -1
	s_wait_xcnt 0x0
	s_and_saveexec_b32 s26, s0
	s_cbranch_execz .LBB103_195
; %bb.186:
	s_and_not1_b32 vcc_lo, exec_lo, s3
	s_cbranch_vccnz .LBB103_188
; %bb.187:
	scratch_load_b64 v[84:85], v59, off
	ds_load_b64 v[86:87], v1
	s_wait_loadcnt_dscnt 0x0
	v_pk_mul_f32 v[88:89], v[86:87], v[84:85] op_sel:[1,1] op_sel_hi:[0,1]
	s_delay_alu instid0(VALU_DEP_1) | instskip(SKIP_1) | instid1(VALU_DEP_2)
	v_pk_fma_f32 v[90:91], v[86:87], v[84:85], v[88:89] op_sel_hi:[1,0,1]
	v_pk_fma_f32 v[84:85], v[86:87], v[84:85], v[88:89] neg_lo:[0,0,1] neg_hi:[0,0,1]
	v_mov_b32_e32 v85, v91
	s_cbranch_execz .LBB103_189
	s_branch .LBB103_190
.LBB103_188:
                                        ; implicit-def: $vgpr84_vgpr85
.LBB103_189:
	ds_load_b64 v[84:85], v1
.LBB103_190:
	s_and_saveexec_b32 s27, s1
	s_cbranch_execz .LBB103_194
; %bb.191:
	v_subrev_nc_u32_e32 v86, 21, v0
	s_movk_i32 s28, 0x1e8
	s_mov_b32 s1, 0
.LBB103_192:                            ; =>This Inner Loop Header: Depth=1
	scratch_load_b64 v[88:89], off, s25
	v_dual_mov_b32 v87, s28 :: v_dual_add_nc_u32 v86, -1, v86
	s_add_co_i32 s28, s28, 8
	s_wait_xcnt 0x0
	s_add_co_i32 s25, s25, 8
	ds_load_b64 v[90:91], v87
	v_cmp_eq_u32_e32 vcc_lo, 0, v86
	s_or_b32 s1, vcc_lo, s1
	s_wait_loadcnt_dscnt 0x0
	v_pk_mul_f32 v[92:93], v[90:91], v[88:89] op_sel:[1,1] op_sel_hi:[0,1]
	s_delay_alu instid0(VALU_DEP_1) | instskip(SKIP_1) | instid1(VALU_DEP_2)
	v_pk_fma_f32 v[94:95], v[90:91], v[88:89], v[92:93] op_sel_hi:[1,0,1]
	v_pk_fma_f32 v[88:89], v[90:91], v[88:89], v[92:93] neg_lo:[0,0,1] neg_hi:[0,0,1]
	v_mov_b32_e32 v89, v95
	s_delay_alu instid0(VALU_DEP_1)
	v_pk_add_f32 v[84:85], v[84:85], v[88:89]
	s_and_not1_b32 exec_lo, exec_lo, s1
	s_cbranch_execnz .LBB103_192
; %bb.193:
	s_or_b32 exec_lo, exec_lo, s1
.LBB103_194:
	s_delay_alu instid0(SALU_CYCLE_1) | instskip(SKIP_4) | instid1(VALU_DEP_1)
	s_or_b32 exec_lo, exec_lo, s27
	v_mov_b32_e32 v86, 0
	ds_load_b64 v[86:87], v86 offset:160
	s_wait_dscnt 0x0
	v_pk_mul_f32 v[88:89], v[84:85], v[86:87] op_sel:[1,1] op_sel_hi:[0,1]
	v_pk_fma_f32 v[90:91], v[84:85], v[86:87], v[88:89] op_sel_hi:[1,0,1]
	v_pk_fma_f32 v[84:85], v[84:85], v[86:87], v[88:89] neg_lo:[0,0,1] neg_hi:[0,0,1]
	s_delay_alu instid0(VALU_DEP_2)
	v_mov_b32_e32 v85, v91
	scratch_store_b64 off, v[84:85], off offset:160
.LBB103_195:
	s_wait_xcnt 0x0
	s_or_b32 exec_lo, exec_lo, s26
	scratch_load_b64 v[84:85], off, off offset:152
	v_cmp_lt_u32_e64 s1, 19, v0
	s_wait_loadcnt 0x0
	ds_store_b64 v1, v[84:85]
	s_wait_storecnt_dscnt 0x0
	s_barrier_signal -1
	s_barrier_wait -1
	s_wait_xcnt 0x0
	s_and_saveexec_b32 s25, s1
	s_cbranch_execz .LBB103_205
; %bb.196:
	s_and_not1_b32 vcc_lo, exec_lo, s3
	s_cbranch_vccnz .LBB103_198
; %bb.197:
	scratch_load_b64 v[84:85], v59, off
	ds_load_b64 v[86:87], v1
	s_wait_loadcnt_dscnt 0x0
	v_pk_mul_f32 v[88:89], v[86:87], v[84:85] op_sel:[1,1] op_sel_hi:[0,1]
	s_delay_alu instid0(VALU_DEP_1) | instskip(SKIP_1) | instid1(VALU_DEP_2)
	v_pk_fma_f32 v[90:91], v[86:87], v[84:85], v[88:89] op_sel_hi:[1,0,1]
	v_pk_fma_f32 v[84:85], v[86:87], v[84:85], v[88:89] neg_lo:[0,0,1] neg_hi:[0,0,1]
	v_mov_b32_e32 v85, v91
	s_cbranch_execz .LBB103_199
	s_branch .LBB103_200
.LBB103_198:
                                        ; implicit-def: $vgpr84_vgpr85
.LBB103_199:
	ds_load_b64 v[84:85], v1
.LBB103_200:
	s_and_saveexec_b32 s26, s0
	s_cbranch_execz .LBB103_204
; %bb.201:
	v_subrev_nc_u32_e32 v86, 20, v0
	s_movk_i32 s27, 0x1e0
	s_mov_b32 s0, 0
.LBB103_202:                            ; =>This Inner Loop Header: Depth=1
	scratch_load_b64 v[88:89], off, s24
	v_dual_mov_b32 v87, s27 :: v_dual_add_nc_u32 v86, -1, v86
	s_add_co_i32 s27, s27, 8
	s_wait_xcnt 0x0
	s_add_co_i32 s24, s24, 8
	ds_load_b64 v[90:91], v87
	v_cmp_eq_u32_e32 vcc_lo, 0, v86
	s_or_b32 s0, vcc_lo, s0
	s_wait_loadcnt_dscnt 0x0
	v_pk_mul_f32 v[92:93], v[90:91], v[88:89] op_sel:[1,1] op_sel_hi:[0,1]
	s_delay_alu instid0(VALU_DEP_1) | instskip(SKIP_1) | instid1(VALU_DEP_2)
	v_pk_fma_f32 v[94:95], v[90:91], v[88:89], v[92:93] op_sel_hi:[1,0,1]
	v_pk_fma_f32 v[88:89], v[90:91], v[88:89], v[92:93] neg_lo:[0,0,1] neg_hi:[0,0,1]
	v_mov_b32_e32 v89, v95
	s_delay_alu instid0(VALU_DEP_1)
	v_pk_add_f32 v[84:85], v[84:85], v[88:89]
	s_and_not1_b32 exec_lo, exec_lo, s0
	s_cbranch_execnz .LBB103_202
; %bb.203:
	s_or_b32 exec_lo, exec_lo, s0
.LBB103_204:
	s_delay_alu instid0(SALU_CYCLE_1) | instskip(SKIP_4) | instid1(VALU_DEP_1)
	s_or_b32 exec_lo, exec_lo, s26
	v_mov_b32_e32 v86, 0
	ds_load_b64 v[86:87], v86 offset:152
	s_wait_dscnt 0x0
	v_pk_mul_f32 v[88:89], v[84:85], v[86:87] op_sel:[1,1] op_sel_hi:[0,1]
	v_pk_fma_f32 v[90:91], v[84:85], v[86:87], v[88:89] op_sel_hi:[1,0,1]
	v_pk_fma_f32 v[84:85], v[84:85], v[86:87], v[88:89] neg_lo:[0,0,1] neg_hi:[0,0,1]
	s_delay_alu instid0(VALU_DEP_2)
	v_mov_b32_e32 v85, v91
	scratch_store_b64 off, v[84:85], off offset:152
.LBB103_205:
	s_wait_xcnt 0x0
	s_or_b32 exec_lo, exec_lo, s25
	scratch_load_b64 v[84:85], off, off offset:144
	v_cmp_lt_u32_e64 s0, 18, v0
	s_wait_loadcnt 0x0
	ds_store_b64 v1, v[84:85]
	s_wait_storecnt_dscnt 0x0
	s_barrier_signal -1
	s_barrier_wait -1
	s_wait_xcnt 0x0
	s_and_saveexec_b32 s24, s0
	s_cbranch_execz .LBB103_215
; %bb.206:
	s_and_not1_b32 vcc_lo, exec_lo, s3
	s_cbranch_vccnz .LBB103_208
; %bb.207:
	scratch_load_b64 v[84:85], v59, off
	ds_load_b64 v[86:87], v1
	s_wait_loadcnt_dscnt 0x0
	v_pk_mul_f32 v[88:89], v[86:87], v[84:85] op_sel:[1,1] op_sel_hi:[0,1]
	s_delay_alu instid0(VALU_DEP_1) | instskip(SKIP_1) | instid1(VALU_DEP_2)
	v_pk_fma_f32 v[90:91], v[86:87], v[84:85], v[88:89] op_sel_hi:[1,0,1]
	v_pk_fma_f32 v[84:85], v[86:87], v[84:85], v[88:89] neg_lo:[0,0,1] neg_hi:[0,0,1]
	v_mov_b32_e32 v85, v91
	s_cbranch_execz .LBB103_209
	s_branch .LBB103_210
.LBB103_208:
                                        ; implicit-def: $vgpr84_vgpr85
.LBB103_209:
	ds_load_b64 v[84:85], v1
.LBB103_210:
	s_and_saveexec_b32 s25, s1
	s_cbranch_execz .LBB103_214
; %bb.211:
	v_subrev_nc_u32_e32 v86, 19, v0
	s_movk_i32 s26, 0x1d8
	s_mov_b32 s1, 0
.LBB103_212:                            ; =>This Inner Loop Header: Depth=1
	scratch_load_b64 v[88:89], off, s23
	v_dual_mov_b32 v87, s26 :: v_dual_add_nc_u32 v86, -1, v86
	s_add_co_i32 s26, s26, 8
	s_wait_xcnt 0x0
	s_add_co_i32 s23, s23, 8
	ds_load_b64 v[90:91], v87
	v_cmp_eq_u32_e32 vcc_lo, 0, v86
	s_or_b32 s1, vcc_lo, s1
	s_wait_loadcnt_dscnt 0x0
	v_pk_mul_f32 v[92:93], v[90:91], v[88:89] op_sel:[1,1] op_sel_hi:[0,1]
	s_delay_alu instid0(VALU_DEP_1) | instskip(SKIP_1) | instid1(VALU_DEP_2)
	v_pk_fma_f32 v[94:95], v[90:91], v[88:89], v[92:93] op_sel_hi:[1,0,1]
	v_pk_fma_f32 v[88:89], v[90:91], v[88:89], v[92:93] neg_lo:[0,0,1] neg_hi:[0,0,1]
	v_mov_b32_e32 v89, v95
	s_delay_alu instid0(VALU_DEP_1)
	v_pk_add_f32 v[84:85], v[84:85], v[88:89]
	s_and_not1_b32 exec_lo, exec_lo, s1
	s_cbranch_execnz .LBB103_212
; %bb.213:
	s_or_b32 exec_lo, exec_lo, s1
.LBB103_214:
	s_delay_alu instid0(SALU_CYCLE_1) | instskip(SKIP_4) | instid1(VALU_DEP_1)
	s_or_b32 exec_lo, exec_lo, s25
	v_mov_b32_e32 v86, 0
	ds_load_b64 v[86:87], v86 offset:144
	s_wait_dscnt 0x0
	v_pk_mul_f32 v[88:89], v[84:85], v[86:87] op_sel:[1,1] op_sel_hi:[0,1]
	v_pk_fma_f32 v[90:91], v[84:85], v[86:87], v[88:89] op_sel_hi:[1,0,1]
	v_pk_fma_f32 v[84:85], v[84:85], v[86:87], v[88:89] neg_lo:[0,0,1] neg_hi:[0,0,1]
	s_delay_alu instid0(VALU_DEP_2)
	v_mov_b32_e32 v85, v91
	scratch_store_b64 off, v[84:85], off offset:144
.LBB103_215:
	s_wait_xcnt 0x0
	s_or_b32 exec_lo, exec_lo, s24
	scratch_load_b64 v[84:85], off, off offset:136
	v_cmp_lt_u32_e64 s1, 17, v0
	s_wait_loadcnt 0x0
	ds_store_b64 v1, v[84:85]
	s_wait_storecnt_dscnt 0x0
	s_barrier_signal -1
	s_barrier_wait -1
	s_wait_xcnt 0x0
	s_and_saveexec_b32 s23, s1
	s_cbranch_execz .LBB103_225
; %bb.216:
	s_and_not1_b32 vcc_lo, exec_lo, s3
	s_cbranch_vccnz .LBB103_218
; %bb.217:
	scratch_load_b64 v[84:85], v59, off
	ds_load_b64 v[86:87], v1
	s_wait_loadcnt_dscnt 0x0
	v_pk_mul_f32 v[88:89], v[86:87], v[84:85] op_sel:[1,1] op_sel_hi:[0,1]
	s_delay_alu instid0(VALU_DEP_1) | instskip(SKIP_1) | instid1(VALU_DEP_2)
	v_pk_fma_f32 v[90:91], v[86:87], v[84:85], v[88:89] op_sel_hi:[1,0,1]
	v_pk_fma_f32 v[84:85], v[86:87], v[84:85], v[88:89] neg_lo:[0,0,1] neg_hi:[0,0,1]
	v_mov_b32_e32 v85, v91
	s_cbranch_execz .LBB103_219
	s_branch .LBB103_220
.LBB103_218:
                                        ; implicit-def: $vgpr84_vgpr85
.LBB103_219:
	ds_load_b64 v[84:85], v1
.LBB103_220:
	s_and_saveexec_b32 s24, s0
	s_cbranch_execz .LBB103_224
; %bb.221:
	v_subrev_nc_u32_e32 v86, 18, v0
	s_movk_i32 s25, 0x1d0
	s_mov_b32 s0, 0
.LBB103_222:                            ; =>This Inner Loop Header: Depth=1
	scratch_load_b64 v[88:89], off, s22
	v_dual_mov_b32 v87, s25 :: v_dual_add_nc_u32 v86, -1, v86
	s_add_co_i32 s25, s25, 8
	s_wait_xcnt 0x0
	s_add_co_i32 s22, s22, 8
	ds_load_b64 v[90:91], v87
	v_cmp_eq_u32_e32 vcc_lo, 0, v86
	s_or_b32 s0, vcc_lo, s0
	s_wait_loadcnt_dscnt 0x0
	v_pk_mul_f32 v[92:93], v[90:91], v[88:89] op_sel:[1,1] op_sel_hi:[0,1]
	s_delay_alu instid0(VALU_DEP_1) | instskip(SKIP_1) | instid1(VALU_DEP_2)
	v_pk_fma_f32 v[94:95], v[90:91], v[88:89], v[92:93] op_sel_hi:[1,0,1]
	v_pk_fma_f32 v[88:89], v[90:91], v[88:89], v[92:93] neg_lo:[0,0,1] neg_hi:[0,0,1]
	v_mov_b32_e32 v89, v95
	s_delay_alu instid0(VALU_DEP_1)
	v_pk_add_f32 v[84:85], v[84:85], v[88:89]
	s_and_not1_b32 exec_lo, exec_lo, s0
	s_cbranch_execnz .LBB103_222
; %bb.223:
	s_or_b32 exec_lo, exec_lo, s0
.LBB103_224:
	s_delay_alu instid0(SALU_CYCLE_1) | instskip(SKIP_4) | instid1(VALU_DEP_1)
	s_or_b32 exec_lo, exec_lo, s24
	v_mov_b32_e32 v86, 0
	ds_load_b64 v[86:87], v86 offset:136
	s_wait_dscnt 0x0
	v_pk_mul_f32 v[88:89], v[84:85], v[86:87] op_sel:[1,1] op_sel_hi:[0,1]
	v_pk_fma_f32 v[90:91], v[84:85], v[86:87], v[88:89] op_sel_hi:[1,0,1]
	v_pk_fma_f32 v[84:85], v[84:85], v[86:87], v[88:89] neg_lo:[0,0,1] neg_hi:[0,0,1]
	s_delay_alu instid0(VALU_DEP_2)
	v_mov_b32_e32 v85, v91
	scratch_store_b64 off, v[84:85], off offset:136
.LBB103_225:
	s_wait_xcnt 0x0
	s_or_b32 exec_lo, exec_lo, s23
	scratch_load_b64 v[84:85], off, off offset:128
	v_cmp_lt_u32_e64 s0, 16, v0
	s_wait_loadcnt 0x0
	ds_store_b64 v1, v[84:85]
	s_wait_storecnt_dscnt 0x0
	s_barrier_signal -1
	s_barrier_wait -1
	s_wait_xcnt 0x0
	s_and_saveexec_b32 s22, s0
	s_cbranch_execz .LBB103_235
; %bb.226:
	s_and_not1_b32 vcc_lo, exec_lo, s3
	s_cbranch_vccnz .LBB103_228
; %bb.227:
	scratch_load_b64 v[84:85], v59, off
	ds_load_b64 v[86:87], v1
	s_wait_loadcnt_dscnt 0x0
	v_pk_mul_f32 v[88:89], v[86:87], v[84:85] op_sel:[1,1] op_sel_hi:[0,1]
	s_delay_alu instid0(VALU_DEP_1) | instskip(SKIP_1) | instid1(VALU_DEP_2)
	v_pk_fma_f32 v[90:91], v[86:87], v[84:85], v[88:89] op_sel_hi:[1,0,1]
	v_pk_fma_f32 v[84:85], v[86:87], v[84:85], v[88:89] neg_lo:[0,0,1] neg_hi:[0,0,1]
	v_mov_b32_e32 v85, v91
	s_cbranch_execz .LBB103_229
	s_branch .LBB103_230
.LBB103_228:
                                        ; implicit-def: $vgpr84_vgpr85
.LBB103_229:
	ds_load_b64 v[84:85], v1
.LBB103_230:
	s_and_saveexec_b32 s23, s1
	s_cbranch_execz .LBB103_234
; %bb.231:
	v_subrev_nc_u32_e32 v86, 17, v0
	s_movk_i32 s24, 0x1c8
	s_mov_b32 s1, 0
.LBB103_232:                            ; =>This Inner Loop Header: Depth=1
	scratch_load_b64 v[88:89], off, s21
	v_dual_mov_b32 v87, s24 :: v_dual_add_nc_u32 v86, -1, v86
	s_add_co_i32 s24, s24, 8
	s_wait_xcnt 0x0
	s_add_co_i32 s21, s21, 8
	ds_load_b64 v[90:91], v87
	v_cmp_eq_u32_e32 vcc_lo, 0, v86
	s_or_b32 s1, vcc_lo, s1
	s_wait_loadcnt_dscnt 0x0
	v_pk_mul_f32 v[92:93], v[90:91], v[88:89] op_sel:[1,1] op_sel_hi:[0,1]
	s_delay_alu instid0(VALU_DEP_1) | instskip(SKIP_1) | instid1(VALU_DEP_2)
	v_pk_fma_f32 v[94:95], v[90:91], v[88:89], v[92:93] op_sel_hi:[1,0,1]
	v_pk_fma_f32 v[88:89], v[90:91], v[88:89], v[92:93] neg_lo:[0,0,1] neg_hi:[0,0,1]
	v_mov_b32_e32 v89, v95
	s_delay_alu instid0(VALU_DEP_1)
	v_pk_add_f32 v[84:85], v[84:85], v[88:89]
	s_and_not1_b32 exec_lo, exec_lo, s1
	s_cbranch_execnz .LBB103_232
; %bb.233:
	s_or_b32 exec_lo, exec_lo, s1
.LBB103_234:
	s_delay_alu instid0(SALU_CYCLE_1) | instskip(SKIP_4) | instid1(VALU_DEP_1)
	s_or_b32 exec_lo, exec_lo, s23
	v_mov_b32_e32 v86, 0
	ds_load_b64 v[86:87], v86 offset:128
	s_wait_dscnt 0x0
	v_pk_mul_f32 v[88:89], v[84:85], v[86:87] op_sel:[1,1] op_sel_hi:[0,1]
	v_pk_fma_f32 v[90:91], v[84:85], v[86:87], v[88:89] op_sel_hi:[1,0,1]
	v_pk_fma_f32 v[84:85], v[84:85], v[86:87], v[88:89] neg_lo:[0,0,1] neg_hi:[0,0,1]
	s_delay_alu instid0(VALU_DEP_2)
	v_mov_b32_e32 v85, v91
	scratch_store_b64 off, v[84:85], off offset:128
.LBB103_235:
	s_wait_xcnt 0x0
	s_or_b32 exec_lo, exec_lo, s22
	scratch_load_b64 v[84:85], off, off offset:120
	v_cmp_lt_u32_e64 s1, 15, v0
	s_wait_loadcnt 0x0
	ds_store_b64 v1, v[84:85]
	s_wait_storecnt_dscnt 0x0
	s_barrier_signal -1
	s_barrier_wait -1
	s_wait_xcnt 0x0
	s_and_saveexec_b32 s21, s1
	s_cbranch_execz .LBB103_245
; %bb.236:
	s_and_not1_b32 vcc_lo, exec_lo, s3
	s_cbranch_vccnz .LBB103_238
; %bb.237:
	scratch_load_b64 v[84:85], v59, off
	ds_load_b64 v[86:87], v1
	s_wait_loadcnt_dscnt 0x0
	v_pk_mul_f32 v[88:89], v[86:87], v[84:85] op_sel:[1,1] op_sel_hi:[0,1]
	s_delay_alu instid0(VALU_DEP_1) | instskip(SKIP_1) | instid1(VALU_DEP_2)
	v_pk_fma_f32 v[90:91], v[86:87], v[84:85], v[88:89] op_sel_hi:[1,0,1]
	v_pk_fma_f32 v[84:85], v[86:87], v[84:85], v[88:89] neg_lo:[0,0,1] neg_hi:[0,0,1]
	v_mov_b32_e32 v85, v91
	s_cbranch_execz .LBB103_239
	s_branch .LBB103_240
.LBB103_238:
                                        ; implicit-def: $vgpr84_vgpr85
.LBB103_239:
	ds_load_b64 v[84:85], v1
.LBB103_240:
	s_and_saveexec_b32 s22, s0
	s_cbranch_execz .LBB103_244
; %bb.241:
	v_add_nc_u32_e32 v86, -16, v0
	s_movk_i32 s23, 0x1c0
	s_mov_b32 s0, 0
.LBB103_242:                            ; =>This Inner Loop Header: Depth=1
	scratch_load_b64 v[88:89], off, s20
	v_dual_mov_b32 v87, s23 :: v_dual_add_nc_u32 v86, -1, v86
	s_add_co_i32 s23, s23, 8
	s_wait_xcnt 0x0
	s_add_co_i32 s20, s20, 8
	ds_load_b64 v[90:91], v87
	v_cmp_eq_u32_e32 vcc_lo, 0, v86
	s_or_b32 s0, vcc_lo, s0
	s_wait_loadcnt_dscnt 0x0
	v_pk_mul_f32 v[92:93], v[90:91], v[88:89] op_sel:[1,1] op_sel_hi:[0,1]
	s_delay_alu instid0(VALU_DEP_1) | instskip(SKIP_1) | instid1(VALU_DEP_2)
	v_pk_fma_f32 v[94:95], v[90:91], v[88:89], v[92:93] op_sel_hi:[1,0,1]
	v_pk_fma_f32 v[88:89], v[90:91], v[88:89], v[92:93] neg_lo:[0,0,1] neg_hi:[0,0,1]
	v_mov_b32_e32 v89, v95
	s_delay_alu instid0(VALU_DEP_1)
	v_pk_add_f32 v[84:85], v[84:85], v[88:89]
	s_and_not1_b32 exec_lo, exec_lo, s0
	s_cbranch_execnz .LBB103_242
; %bb.243:
	s_or_b32 exec_lo, exec_lo, s0
.LBB103_244:
	s_delay_alu instid0(SALU_CYCLE_1) | instskip(SKIP_4) | instid1(VALU_DEP_1)
	s_or_b32 exec_lo, exec_lo, s22
	v_mov_b32_e32 v86, 0
	ds_load_b64 v[86:87], v86 offset:120
	s_wait_dscnt 0x0
	v_pk_mul_f32 v[88:89], v[84:85], v[86:87] op_sel:[1,1] op_sel_hi:[0,1]
	v_pk_fma_f32 v[90:91], v[84:85], v[86:87], v[88:89] op_sel_hi:[1,0,1]
	v_pk_fma_f32 v[84:85], v[84:85], v[86:87], v[88:89] neg_lo:[0,0,1] neg_hi:[0,0,1]
	s_delay_alu instid0(VALU_DEP_2)
	v_mov_b32_e32 v85, v91
	scratch_store_b64 off, v[84:85], off offset:120
.LBB103_245:
	s_wait_xcnt 0x0
	s_or_b32 exec_lo, exec_lo, s21
	scratch_load_b64 v[84:85], off, off offset:112
	v_cmp_lt_u32_e64 s0, 14, v0
	s_wait_loadcnt 0x0
	ds_store_b64 v1, v[84:85]
	s_wait_storecnt_dscnt 0x0
	s_barrier_signal -1
	s_barrier_wait -1
	s_wait_xcnt 0x0
	s_and_saveexec_b32 s20, s0
	s_cbranch_execz .LBB103_255
; %bb.246:
	s_and_not1_b32 vcc_lo, exec_lo, s3
	s_cbranch_vccnz .LBB103_248
; %bb.247:
	scratch_load_b64 v[84:85], v59, off
	ds_load_b64 v[86:87], v1
	s_wait_loadcnt_dscnt 0x0
	v_pk_mul_f32 v[88:89], v[86:87], v[84:85] op_sel:[1,1] op_sel_hi:[0,1]
	s_delay_alu instid0(VALU_DEP_1) | instskip(SKIP_1) | instid1(VALU_DEP_2)
	v_pk_fma_f32 v[90:91], v[86:87], v[84:85], v[88:89] op_sel_hi:[1,0,1]
	v_pk_fma_f32 v[84:85], v[86:87], v[84:85], v[88:89] neg_lo:[0,0,1] neg_hi:[0,0,1]
	v_mov_b32_e32 v85, v91
	s_cbranch_execz .LBB103_249
	s_branch .LBB103_250
.LBB103_248:
                                        ; implicit-def: $vgpr84_vgpr85
.LBB103_249:
	ds_load_b64 v[84:85], v1
.LBB103_250:
	s_and_saveexec_b32 s21, s1
	s_cbranch_execz .LBB103_254
; %bb.251:
	v_add_nc_u32_e32 v86, -15, v0
	s_movk_i32 s22, 0x1b8
	s_mov_b32 s1, 0
.LBB103_252:                            ; =>This Inner Loop Header: Depth=1
	scratch_load_b64 v[88:89], off, s19
	v_dual_mov_b32 v87, s22 :: v_dual_add_nc_u32 v86, -1, v86
	s_add_co_i32 s22, s22, 8
	s_wait_xcnt 0x0
	s_add_co_i32 s19, s19, 8
	ds_load_b64 v[90:91], v87
	v_cmp_eq_u32_e32 vcc_lo, 0, v86
	s_or_b32 s1, vcc_lo, s1
	s_wait_loadcnt_dscnt 0x0
	v_pk_mul_f32 v[92:93], v[90:91], v[88:89] op_sel:[1,1] op_sel_hi:[0,1]
	s_delay_alu instid0(VALU_DEP_1) | instskip(SKIP_1) | instid1(VALU_DEP_2)
	v_pk_fma_f32 v[94:95], v[90:91], v[88:89], v[92:93] op_sel_hi:[1,0,1]
	v_pk_fma_f32 v[88:89], v[90:91], v[88:89], v[92:93] neg_lo:[0,0,1] neg_hi:[0,0,1]
	v_mov_b32_e32 v89, v95
	s_delay_alu instid0(VALU_DEP_1)
	v_pk_add_f32 v[84:85], v[84:85], v[88:89]
	s_and_not1_b32 exec_lo, exec_lo, s1
	s_cbranch_execnz .LBB103_252
; %bb.253:
	s_or_b32 exec_lo, exec_lo, s1
.LBB103_254:
	s_delay_alu instid0(SALU_CYCLE_1) | instskip(SKIP_4) | instid1(VALU_DEP_1)
	s_or_b32 exec_lo, exec_lo, s21
	v_mov_b32_e32 v86, 0
	ds_load_b64 v[86:87], v86 offset:112
	s_wait_dscnt 0x0
	v_pk_mul_f32 v[88:89], v[84:85], v[86:87] op_sel:[1,1] op_sel_hi:[0,1]
	v_pk_fma_f32 v[90:91], v[84:85], v[86:87], v[88:89] op_sel_hi:[1,0,1]
	v_pk_fma_f32 v[84:85], v[84:85], v[86:87], v[88:89] neg_lo:[0,0,1] neg_hi:[0,0,1]
	s_delay_alu instid0(VALU_DEP_2)
	v_mov_b32_e32 v85, v91
	scratch_store_b64 off, v[84:85], off offset:112
.LBB103_255:
	s_wait_xcnt 0x0
	s_or_b32 exec_lo, exec_lo, s20
	scratch_load_b64 v[84:85], off, off offset:104
	v_cmp_lt_u32_e64 s1, 13, v0
	s_wait_loadcnt 0x0
	ds_store_b64 v1, v[84:85]
	s_wait_storecnt_dscnt 0x0
	s_barrier_signal -1
	s_barrier_wait -1
	s_wait_xcnt 0x0
	s_and_saveexec_b32 s19, s1
	s_cbranch_execz .LBB103_265
; %bb.256:
	s_and_not1_b32 vcc_lo, exec_lo, s3
	s_cbranch_vccnz .LBB103_258
; %bb.257:
	scratch_load_b64 v[84:85], v59, off
	ds_load_b64 v[86:87], v1
	s_wait_loadcnt_dscnt 0x0
	v_pk_mul_f32 v[88:89], v[86:87], v[84:85] op_sel:[1,1] op_sel_hi:[0,1]
	s_delay_alu instid0(VALU_DEP_1) | instskip(SKIP_1) | instid1(VALU_DEP_2)
	v_pk_fma_f32 v[90:91], v[86:87], v[84:85], v[88:89] op_sel_hi:[1,0,1]
	v_pk_fma_f32 v[84:85], v[86:87], v[84:85], v[88:89] neg_lo:[0,0,1] neg_hi:[0,0,1]
	v_mov_b32_e32 v85, v91
	s_cbranch_execz .LBB103_259
	s_branch .LBB103_260
.LBB103_258:
                                        ; implicit-def: $vgpr84_vgpr85
.LBB103_259:
	ds_load_b64 v[84:85], v1
.LBB103_260:
	s_and_saveexec_b32 s20, s0
	s_cbranch_execz .LBB103_264
; %bb.261:
	v_add_nc_u32_e32 v86, -14, v0
	s_movk_i32 s21, 0x1b0
	s_mov_b32 s0, 0
.LBB103_262:                            ; =>This Inner Loop Header: Depth=1
	scratch_load_b64 v[88:89], off, s18
	v_dual_mov_b32 v87, s21 :: v_dual_add_nc_u32 v86, -1, v86
	s_add_co_i32 s21, s21, 8
	s_wait_xcnt 0x0
	s_add_co_i32 s18, s18, 8
	ds_load_b64 v[90:91], v87
	v_cmp_eq_u32_e32 vcc_lo, 0, v86
	s_or_b32 s0, vcc_lo, s0
	s_wait_loadcnt_dscnt 0x0
	v_pk_mul_f32 v[92:93], v[90:91], v[88:89] op_sel:[1,1] op_sel_hi:[0,1]
	s_delay_alu instid0(VALU_DEP_1) | instskip(SKIP_1) | instid1(VALU_DEP_2)
	v_pk_fma_f32 v[94:95], v[90:91], v[88:89], v[92:93] op_sel_hi:[1,0,1]
	v_pk_fma_f32 v[88:89], v[90:91], v[88:89], v[92:93] neg_lo:[0,0,1] neg_hi:[0,0,1]
	v_mov_b32_e32 v89, v95
	s_delay_alu instid0(VALU_DEP_1)
	v_pk_add_f32 v[84:85], v[84:85], v[88:89]
	s_and_not1_b32 exec_lo, exec_lo, s0
	s_cbranch_execnz .LBB103_262
; %bb.263:
	s_or_b32 exec_lo, exec_lo, s0
.LBB103_264:
	s_delay_alu instid0(SALU_CYCLE_1) | instskip(SKIP_4) | instid1(VALU_DEP_1)
	s_or_b32 exec_lo, exec_lo, s20
	v_mov_b32_e32 v86, 0
	ds_load_b64 v[86:87], v86 offset:104
	s_wait_dscnt 0x0
	v_pk_mul_f32 v[88:89], v[84:85], v[86:87] op_sel:[1,1] op_sel_hi:[0,1]
	v_pk_fma_f32 v[90:91], v[84:85], v[86:87], v[88:89] op_sel_hi:[1,0,1]
	v_pk_fma_f32 v[84:85], v[84:85], v[86:87], v[88:89] neg_lo:[0,0,1] neg_hi:[0,0,1]
	s_delay_alu instid0(VALU_DEP_2)
	v_mov_b32_e32 v85, v91
	scratch_store_b64 off, v[84:85], off offset:104
.LBB103_265:
	s_wait_xcnt 0x0
	s_or_b32 exec_lo, exec_lo, s19
	scratch_load_b64 v[84:85], off, off offset:96
	v_cmp_lt_u32_e64 s0, 12, v0
	s_wait_loadcnt 0x0
	ds_store_b64 v1, v[84:85]
	s_wait_storecnt_dscnt 0x0
	s_barrier_signal -1
	s_barrier_wait -1
	s_wait_xcnt 0x0
	s_and_saveexec_b32 s18, s0
	s_cbranch_execz .LBB103_275
; %bb.266:
	s_and_not1_b32 vcc_lo, exec_lo, s3
	s_cbranch_vccnz .LBB103_268
; %bb.267:
	scratch_load_b64 v[84:85], v59, off
	ds_load_b64 v[86:87], v1
	s_wait_loadcnt_dscnt 0x0
	v_pk_mul_f32 v[88:89], v[86:87], v[84:85] op_sel:[1,1] op_sel_hi:[0,1]
	s_delay_alu instid0(VALU_DEP_1) | instskip(SKIP_1) | instid1(VALU_DEP_2)
	v_pk_fma_f32 v[90:91], v[86:87], v[84:85], v[88:89] op_sel_hi:[1,0,1]
	v_pk_fma_f32 v[84:85], v[86:87], v[84:85], v[88:89] neg_lo:[0,0,1] neg_hi:[0,0,1]
	v_mov_b32_e32 v85, v91
	s_cbranch_execz .LBB103_269
	s_branch .LBB103_270
.LBB103_268:
                                        ; implicit-def: $vgpr84_vgpr85
.LBB103_269:
	ds_load_b64 v[84:85], v1
.LBB103_270:
	s_and_saveexec_b32 s19, s1
	s_cbranch_execz .LBB103_274
; %bb.271:
	v_add_nc_u32_e32 v86, -13, v0
	s_movk_i32 s20, 0x1a8
	s_mov_b32 s1, 0
.LBB103_272:                            ; =>This Inner Loop Header: Depth=1
	scratch_load_b64 v[88:89], off, s17
	v_dual_mov_b32 v87, s20 :: v_dual_add_nc_u32 v86, -1, v86
	s_add_co_i32 s20, s20, 8
	s_wait_xcnt 0x0
	s_add_co_i32 s17, s17, 8
	ds_load_b64 v[90:91], v87
	v_cmp_eq_u32_e32 vcc_lo, 0, v86
	s_or_b32 s1, vcc_lo, s1
	s_wait_loadcnt_dscnt 0x0
	v_pk_mul_f32 v[92:93], v[90:91], v[88:89] op_sel:[1,1] op_sel_hi:[0,1]
	s_delay_alu instid0(VALU_DEP_1) | instskip(SKIP_1) | instid1(VALU_DEP_2)
	v_pk_fma_f32 v[94:95], v[90:91], v[88:89], v[92:93] op_sel_hi:[1,0,1]
	v_pk_fma_f32 v[88:89], v[90:91], v[88:89], v[92:93] neg_lo:[0,0,1] neg_hi:[0,0,1]
	v_mov_b32_e32 v89, v95
	s_delay_alu instid0(VALU_DEP_1)
	v_pk_add_f32 v[84:85], v[84:85], v[88:89]
	s_and_not1_b32 exec_lo, exec_lo, s1
	s_cbranch_execnz .LBB103_272
; %bb.273:
	s_or_b32 exec_lo, exec_lo, s1
.LBB103_274:
	s_delay_alu instid0(SALU_CYCLE_1) | instskip(SKIP_4) | instid1(VALU_DEP_1)
	s_or_b32 exec_lo, exec_lo, s19
	v_mov_b32_e32 v86, 0
	ds_load_b64 v[86:87], v86 offset:96
	s_wait_dscnt 0x0
	v_pk_mul_f32 v[88:89], v[84:85], v[86:87] op_sel:[1,1] op_sel_hi:[0,1]
	v_pk_fma_f32 v[90:91], v[84:85], v[86:87], v[88:89] op_sel_hi:[1,0,1]
	v_pk_fma_f32 v[84:85], v[84:85], v[86:87], v[88:89] neg_lo:[0,0,1] neg_hi:[0,0,1]
	s_delay_alu instid0(VALU_DEP_2)
	v_mov_b32_e32 v85, v91
	scratch_store_b64 off, v[84:85], off offset:96
.LBB103_275:
	s_wait_xcnt 0x0
	s_or_b32 exec_lo, exec_lo, s18
	scratch_load_b64 v[84:85], off, off offset:88
	v_cmp_lt_u32_e64 s1, 11, v0
	s_wait_loadcnt 0x0
	ds_store_b64 v1, v[84:85]
	s_wait_storecnt_dscnt 0x0
	s_barrier_signal -1
	s_barrier_wait -1
	s_wait_xcnt 0x0
	s_and_saveexec_b32 s17, s1
	s_cbranch_execz .LBB103_285
; %bb.276:
	s_and_not1_b32 vcc_lo, exec_lo, s3
	s_cbranch_vccnz .LBB103_278
; %bb.277:
	scratch_load_b64 v[84:85], v59, off
	ds_load_b64 v[86:87], v1
	s_wait_loadcnt_dscnt 0x0
	v_pk_mul_f32 v[88:89], v[86:87], v[84:85] op_sel:[1,1] op_sel_hi:[0,1]
	s_delay_alu instid0(VALU_DEP_1) | instskip(SKIP_1) | instid1(VALU_DEP_2)
	v_pk_fma_f32 v[90:91], v[86:87], v[84:85], v[88:89] op_sel_hi:[1,0,1]
	v_pk_fma_f32 v[84:85], v[86:87], v[84:85], v[88:89] neg_lo:[0,0,1] neg_hi:[0,0,1]
	v_mov_b32_e32 v85, v91
	s_cbranch_execz .LBB103_279
	s_branch .LBB103_280
.LBB103_278:
                                        ; implicit-def: $vgpr84_vgpr85
.LBB103_279:
	ds_load_b64 v[84:85], v1
.LBB103_280:
	s_and_saveexec_b32 s18, s0
	s_cbranch_execz .LBB103_284
; %bb.281:
	v_add_nc_u32_e32 v86, -12, v0
	s_movk_i32 s19, 0x1a0
	s_mov_b32 s0, 0
.LBB103_282:                            ; =>This Inner Loop Header: Depth=1
	scratch_load_b64 v[88:89], off, s16
	v_dual_mov_b32 v87, s19 :: v_dual_add_nc_u32 v86, -1, v86
	s_add_co_i32 s19, s19, 8
	s_wait_xcnt 0x0
	s_add_co_i32 s16, s16, 8
	ds_load_b64 v[90:91], v87
	v_cmp_eq_u32_e32 vcc_lo, 0, v86
	s_or_b32 s0, vcc_lo, s0
	s_wait_loadcnt_dscnt 0x0
	v_pk_mul_f32 v[92:93], v[90:91], v[88:89] op_sel:[1,1] op_sel_hi:[0,1]
	s_delay_alu instid0(VALU_DEP_1) | instskip(SKIP_1) | instid1(VALU_DEP_2)
	v_pk_fma_f32 v[94:95], v[90:91], v[88:89], v[92:93] op_sel_hi:[1,0,1]
	v_pk_fma_f32 v[88:89], v[90:91], v[88:89], v[92:93] neg_lo:[0,0,1] neg_hi:[0,0,1]
	v_mov_b32_e32 v89, v95
	s_delay_alu instid0(VALU_DEP_1)
	v_pk_add_f32 v[84:85], v[84:85], v[88:89]
	s_and_not1_b32 exec_lo, exec_lo, s0
	s_cbranch_execnz .LBB103_282
; %bb.283:
	s_or_b32 exec_lo, exec_lo, s0
.LBB103_284:
	s_delay_alu instid0(SALU_CYCLE_1) | instskip(SKIP_4) | instid1(VALU_DEP_1)
	s_or_b32 exec_lo, exec_lo, s18
	v_mov_b32_e32 v86, 0
	ds_load_b64 v[86:87], v86 offset:88
	s_wait_dscnt 0x0
	v_pk_mul_f32 v[88:89], v[84:85], v[86:87] op_sel:[1,1] op_sel_hi:[0,1]
	v_pk_fma_f32 v[90:91], v[84:85], v[86:87], v[88:89] op_sel_hi:[1,0,1]
	v_pk_fma_f32 v[84:85], v[84:85], v[86:87], v[88:89] neg_lo:[0,0,1] neg_hi:[0,0,1]
	s_delay_alu instid0(VALU_DEP_2)
	v_mov_b32_e32 v85, v91
	scratch_store_b64 off, v[84:85], off offset:88
.LBB103_285:
	s_wait_xcnt 0x0
	s_or_b32 exec_lo, exec_lo, s17
	scratch_load_b64 v[84:85], off, off offset:80
	v_cmp_lt_u32_e64 s0, 10, v0
	s_wait_loadcnt 0x0
	ds_store_b64 v1, v[84:85]
	s_wait_storecnt_dscnt 0x0
	s_barrier_signal -1
	s_barrier_wait -1
	s_wait_xcnt 0x0
	s_and_saveexec_b32 s16, s0
	s_cbranch_execz .LBB103_295
; %bb.286:
	s_and_not1_b32 vcc_lo, exec_lo, s3
	s_cbranch_vccnz .LBB103_288
; %bb.287:
	scratch_load_b64 v[84:85], v59, off
	ds_load_b64 v[86:87], v1
	s_wait_loadcnt_dscnt 0x0
	v_pk_mul_f32 v[88:89], v[86:87], v[84:85] op_sel:[1,1] op_sel_hi:[0,1]
	s_delay_alu instid0(VALU_DEP_1) | instskip(SKIP_1) | instid1(VALU_DEP_2)
	v_pk_fma_f32 v[90:91], v[86:87], v[84:85], v[88:89] op_sel_hi:[1,0,1]
	v_pk_fma_f32 v[84:85], v[86:87], v[84:85], v[88:89] neg_lo:[0,0,1] neg_hi:[0,0,1]
	v_mov_b32_e32 v85, v91
	s_cbranch_execz .LBB103_289
	s_branch .LBB103_290
.LBB103_288:
                                        ; implicit-def: $vgpr84_vgpr85
.LBB103_289:
	ds_load_b64 v[84:85], v1
.LBB103_290:
	s_and_saveexec_b32 s17, s1
	s_cbranch_execz .LBB103_294
; %bb.291:
	v_add_nc_u32_e32 v86, -11, v0
	s_movk_i32 s18, 0x198
	s_mov_b32 s1, 0
.LBB103_292:                            ; =>This Inner Loop Header: Depth=1
	scratch_load_b64 v[88:89], off, s15
	v_dual_mov_b32 v87, s18 :: v_dual_add_nc_u32 v86, -1, v86
	s_add_co_i32 s18, s18, 8
	s_wait_xcnt 0x0
	s_add_co_i32 s15, s15, 8
	ds_load_b64 v[90:91], v87
	v_cmp_eq_u32_e32 vcc_lo, 0, v86
	s_or_b32 s1, vcc_lo, s1
	s_wait_loadcnt_dscnt 0x0
	v_pk_mul_f32 v[92:93], v[90:91], v[88:89] op_sel:[1,1] op_sel_hi:[0,1]
	s_delay_alu instid0(VALU_DEP_1) | instskip(SKIP_1) | instid1(VALU_DEP_2)
	v_pk_fma_f32 v[94:95], v[90:91], v[88:89], v[92:93] op_sel_hi:[1,0,1]
	v_pk_fma_f32 v[88:89], v[90:91], v[88:89], v[92:93] neg_lo:[0,0,1] neg_hi:[0,0,1]
	v_mov_b32_e32 v89, v95
	s_delay_alu instid0(VALU_DEP_1)
	v_pk_add_f32 v[84:85], v[84:85], v[88:89]
	s_and_not1_b32 exec_lo, exec_lo, s1
	s_cbranch_execnz .LBB103_292
; %bb.293:
	s_or_b32 exec_lo, exec_lo, s1
.LBB103_294:
	s_delay_alu instid0(SALU_CYCLE_1) | instskip(SKIP_4) | instid1(VALU_DEP_1)
	s_or_b32 exec_lo, exec_lo, s17
	v_mov_b32_e32 v86, 0
	ds_load_b64 v[86:87], v86 offset:80
	s_wait_dscnt 0x0
	v_pk_mul_f32 v[88:89], v[84:85], v[86:87] op_sel:[1,1] op_sel_hi:[0,1]
	v_pk_fma_f32 v[90:91], v[84:85], v[86:87], v[88:89] op_sel_hi:[1,0,1]
	v_pk_fma_f32 v[84:85], v[84:85], v[86:87], v[88:89] neg_lo:[0,0,1] neg_hi:[0,0,1]
	s_delay_alu instid0(VALU_DEP_2)
	v_mov_b32_e32 v85, v91
	scratch_store_b64 off, v[84:85], off offset:80
.LBB103_295:
	s_wait_xcnt 0x0
	s_or_b32 exec_lo, exec_lo, s16
	scratch_load_b64 v[84:85], off, off offset:72
	v_cmp_lt_u32_e64 s1, 9, v0
	s_wait_loadcnt 0x0
	ds_store_b64 v1, v[84:85]
	s_wait_storecnt_dscnt 0x0
	s_barrier_signal -1
	s_barrier_wait -1
	s_wait_xcnt 0x0
	s_and_saveexec_b32 s15, s1
	s_cbranch_execz .LBB103_305
; %bb.296:
	s_and_not1_b32 vcc_lo, exec_lo, s3
	s_cbranch_vccnz .LBB103_298
; %bb.297:
	scratch_load_b64 v[84:85], v59, off
	ds_load_b64 v[86:87], v1
	s_wait_loadcnt_dscnt 0x0
	v_pk_mul_f32 v[88:89], v[86:87], v[84:85] op_sel:[1,1] op_sel_hi:[0,1]
	s_delay_alu instid0(VALU_DEP_1) | instskip(SKIP_1) | instid1(VALU_DEP_2)
	v_pk_fma_f32 v[90:91], v[86:87], v[84:85], v[88:89] op_sel_hi:[1,0,1]
	v_pk_fma_f32 v[84:85], v[86:87], v[84:85], v[88:89] neg_lo:[0,0,1] neg_hi:[0,0,1]
	v_mov_b32_e32 v85, v91
	s_cbranch_execz .LBB103_299
	s_branch .LBB103_300
.LBB103_298:
                                        ; implicit-def: $vgpr84_vgpr85
.LBB103_299:
	ds_load_b64 v[84:85], v1
.LBB103_300:
	s_and_saveexec_b32 s16, s0
	s_cbranch_execz .LBB103_304
; %bb.301:
	v_add_nc_u32_e32 v86, -10, v0
	s_movk_i32 s17, 0x190
	s_mov_b32 s0, 0
.LBB103_302:                            ; =>This Inner Loop Header: Depth=1
	scratch_load_b64 v[88:89], off, s14
	v_dual_mov_b32 v87, s17 :: v_dual_add_nc_u32 v86, -1, v86
	s_add_co_i32 s17, s17, 8
	s_wait_xcnt 0x0
	s_add_co_i32 s14, s14, 8
	ds_load_b64 v[90:91], v87
	v_cmp_eq_u32_e32 vcc_lo, 0, v86
	s_or_b32 s0, vcc_lo, s0
	s_wait_loadcnt_dscnt 0x0
	v_pk_mul_f32 v[92:93], v[90:91], v[88:89] op_sel:[1,1] op_sel_hi:[0,1]
	s_delay_alu instid0(VALU_DEP_1) | instskip(SKIP_1) | instid1(VALU_DEP_2)
	v_pk_fma_f32 v[94:95], v[90:91], v[88:89], v[92:93] op_sel_hi:[1,0,1]
	v_pk_fma_f32 v[88:89], v[90:91], v[88:89], v[92:93] neg_lo:[0,0,1] neg_hi:[0,0,1]
	v_mov_b32_e32 v89, v95
	s_delay_alu instid0(VALU_DEP_1)
	v_pk_add_f32 v[84:85], v[84:85], v[88:89]
	s_and_not1_b32 exec_lo, exec_lo, s0
	s_cbranch_execnz .LBB103_302
; %bb.303:
	s_or_b32 exec_lo, exec_lo, s0
.LBB103_304:
	s_delay_alu instid0(SALU_CYCLE_1) | instskip(SKIP_4) | instid1(VALU_DEP_1)
	s_or_b32 exec_lo, exec_lo, s16
	v_mov_b32_e32 v86, 0
	ds_load_b64 v[86:87], v86 offset:72
	s_wait_dscnt 0x0
	v_pk_mul_f32 v[88:89], v[84:85], v[86:87] op_sel:[1,1] op_sel_hi:[0,1]
	v_pk_fma_f32 v[90:91], v[84:85], v[86:87], v[88:89] op_sel_hi:[1,0,1]
	v_pk_fma_f32 v[84:85], v[84:85], v[86:87], v[88:89] neg_lo:[0,0,1] neg_hi:[0,0,1]
	s_delay_alu instid0(VALU_DEP_2)
	v_mov_b32_e32 v85, v91
	scratch_store_b64 off, v[84:85], off offset:72
.LBB103_305:
	s_wait_xcnt 0x0
	s_or_b32 exec_lo, exec_lo, s15
	scratch_load_b64 v[84:85], off, off offset:64
	v_cmp_lt_u32_e64 s0, 8, v0
	s_wait_loadcnt 0x0
	ds_store_b64 v1, v[84:85]
	s_wait_storecnt_dscnt 0x0
	s_barrier_signal -1
	s_barrier_wait -1
	s_wait_xcnt 0x0
	s_and_saveexec_b32 s14, s0
	s_cbranch_execz .LBB103_315
; %bb.306:
	s_and_not1_b32 vcc_lo, exec_lo, s3
	s_cbranch_vccnz .LBB103_308
; %bb.307:
	scratch_load_b64 v[84:85], v59, off
	ds_load_b64 v[86:87], v1
	s_wait_loadcnt_dscnt 0x0
	v_pk_mul_f32 v[88:89], v[86:87], v[84:85] op_sel:[1,1] op_sel_hi:[0,1]
	s_delay_alu instid0(VALU_DEP_1) | instskip(SKIP_1) | instid1(VALU_DEP_2)
	v_pk_fma_f32 v[90:91], v[86:87], v[84:85], v[88:89] op_sel_hi:[1,0,1]
	v_pk_fma_f32 v[84:85], v[86:87], v[84:85], v[88:89] neg_lo:[0,0,1] neg_hi:[0,0,1]
	v_mov_b32_e32 v85, v91
	s_cbranch_execz .LBB103_309
	s_branch .LBB103_310
.LBB103_308:
                                        ; implicit-def: $vgpr84_vgpr85
.LBB103_309:
	ds_load_b64 v[84:85], v1
.LBB103_310:
	s_and_saveexec_b32 s15, s1
	s_cbranch_execz .LBB103_314
; %bb.311:
	v_add_nc_u32_e32 v86, -9, v0
	s_movk_i32 s16, 0x188
	s_mov_b32 s1, 0
.LBB103_312:                            ; =>This Inner Loop Header: Depth=1
	scratch_load_b64 v[88:89], off, s13
	v_dual_mov_b32 v87, s16 :: v_dual_add_nc_u32 v86, -1, v86
	s_add_co_i32 s16, s16, 8
	s_wait_xcnt 0x0
	s_add_co_i32 s13, s13, 8
	ds_load_b64 v[90:91], v87
	v_cmp_eq_u32_e32 vcc_lo, 0, v86
	s_or_b32 s1, vcc_lo, s1
	s_wait_loadcnt_dscnt 0x0
	v_pk_mul_f32 v[92:93], v[90:91], v[88:89] op_sel:[1,1] op_sel_hi:[0,1]
	s_delay_alu instid0(VALU_DEP_1) | instskip(SKIP_1) | instid1(VALU_DEP_2)
	v_pk_fma_f32 v[94:95], v[90:91], v[88:89], v[92:93] op_sel_hi:[1,0,1]
	v_pk_fma_f32 v[88:89], v[90:91], v[88:89], v[92:93] neg_lo:[0,0,1] neg_hi:[0,0,1]
	v_mov_b32_e32 v89, v95
	s_delay_alu instid0(VALU_DEP_1)
	v_pk_add_f32 v[84:85], v[84:85], v[88:89]
	s_and_not1_b32 exec_lo, exec_lo, s1
	s_cbranch_execnz .LBB103_312
; %bb.313:
	s_or_b32 exec_lo, exec_lo, s1
.LBB103_314:
	s_delay_alu instid0(SALU_CYCLE_1) | instskip(SKIP_4) | instid1(VALU_DEP_1)
	s_or_b32 exec_lo, exec_lo, s15
	v_mov_b32_e32 v86, 0
	ds_load_b64 v[86:87], v86 offset:64
	s_wait_dscnt 0x0
	v_pk_mul_f32 v[88:89], v[84:85], v[86:87] op_sel:[1,1] op_sel_hi:[0,1]
	v_pk_fma_f32 v[90:91], v[84:85], v[86:87], v[88:89] op_sel_hi:[1,0,1]
	v_pk_fma_f32 v[84:85], v[84:85], v[86:87], v[88:89] neg_lo:[0,0,1] neg_hi:[0,0,1]
	s_delay_alu instid0(VALU_DEP_2)
	v_mov_b32_e32 v85, v91
	scratch_store_b64 off, v[84:85], off offset:64
.LBB103_315:
	s_wait_xcnt 0x0
	s_or_b32 exec_lo, exec_lo, s14
	scratch_load_b64 v[84:85], off, off offset:56
	v_cmp_lt_u32_e64 s1, 7, v0
	s_wait_loadcnt 0x0
	ds_store_b64 v1, v[84:85]
	s_wait_storecnt_dscnt 0x0
	s_barrier_signal -1
	s_barrier_wait -1
	s_wait_xcnt 0x0
	s_and_saveexec_b32 s13, s1
	s_cbranch_execz .LBB103_325
; %bb.316:
	s_and_not1_b32 vcc_lo, exec_lo, s3
	s_cbranch_vccnz .LBB103_318
; %bb.317:
	scratch_load_b64 v[84:85], v59, off
	ds_load_b64 v[86:87], v1
	s_wait_loadcnt_dscnt 0x0
	v_pk_mul_f32 v[88:89], v[86:87], v[84:85] op_sel:[1,1] op_sel_hi:[0,1]
	s_delay_alu instid0(VALU_DEP_1) | instskip(SKIP_1) | instid1(VALU_DEP_2)
	v_pk_fma_f32 v[90:91], v[86:87], v[84:85], v[88:89] op_sel_hi:[1,0,1]
	v_pk_fma_f32 v[84:85], v[86:87], v[84:85], v[88:89] neg_lo:[0,0,1] neg_hi:[0,0,1]
	v_mov_b32_e32 v85, v91
	s_cbranch_execz .LBB103_319
	s_branch .LBB103_320
.LBB103_318:
                                        ; implicit-def: $vgpr84_vgpr85
.LBB103_319:
	ds_load_b64 v[84:85], v1
.LBB103_320:
	s_and_saveexec_b32 s14, s0
	s_cbranch_execz .LBB103_324
; %bb.321:
	v_add_nc_u32_e32 v86, -8, v0
	s_movk_i32 s15, 0x180
	s_mov_b32 s0, 0
.LBB103_322:                            ; =>This Inner Loop Header: Depth=1
	scratch_load_b64 v[88:89], off, s12
	v_dual_mov_b32 v87, s15 :: v_dual_add_nc_u32 v86, -1, v86
	s_add_co_i32 s15, s15, 8
	s_wait_xcnt 0x0
	s_add_co_i32 s12, s12, 8
	ds_load_b64 v[90:91], v87
	v_cmp_eq_u32_e32 vcc_lo, 0, v86
	s_or_b32 s0, vcc_lo, s0
	s_wait_loadcnt_dscnt 0x0
	v_pk_mul_f32 v[92:93], v[90:91], v[88:89] op_sel:[1,1] op_sel_hi:[0,1]
	s_delay_alu instid0(VALU_DEP_1) | instskip(SKIP_1) | instid1(VALU_DEP_2)
	v_pk_fma_f32 v[94:95], v[90:91], v[88:89], v[92:93] op_sel_hi:[1,0,1]
	v_pk_fma_f32 v[88:89], v[90:91], v[88:89], v[92:93] neg_lo:[0,0,1] neg_hi:[0,0,1]
	v_mov_b32_e32 v89, v95
	s_delay_alu instid0(VALU_DEP_1)
	v_pk_add_f32 v[84:85], v[84:85], v[88:89]
	s_and_not1_b32 exec_lo, exec_lo, s0
	s_cbranch_execnz .LBB103_322
; %bb.323:
	s_or_b32 exec_lo, exec_lo, s0
.LBB103_324:
	s_delay_alu instid0(SALU_CYCLE_1) | instskip(SKIP_4) | instid1(VALU_DEP_1)
	s_or_b32 exec_lo, exec_lo, s14
	v_mov_b32_e32 v86, 0
	ds_load_b64 v[86:87], v86 offset:56
	s_wait_dscnt 0x0
	v_pk_mul_f32 v[88:89], v[84:85], v[86:87] op_sel:[1,1] op_sel_hi:[0,1]
	v_pk_fma_f32 v[90:91], v[84:85], v[86:87], v[88:89] op_sel_hi:[1,0,1]
	v_pk_fma_f32 v[84:85], v[84:85], v[86:87], v[88:89] neg_lo:[0,0,1] neg_hi:[0,0,1]
	s_delay_alu instid0(VALU_DEP_2)
	v_mov_b32_e32 v85, v91
	scratch_store_b64 off, v[84:85], off offset:56
.LBB103_325:
	s_wait_xcnt 0x0
	s_or_b32 exec_lo, exec_lo, s13
	scratch_load_b64 v[84:85], off, off offset:48
	v_cmp_lt_u32_e64 s0, 6, v0
	s_wait_loadcnt 0x0
	ds_store_b64 v1, v[84:85]
	s_wait_storecnt_dscnt 0x0
	s_barrier_signal -1
	s_barrier_wait -1
	s_wait_xcnt 0x0
	s_and_saveexec_b32 s12, s0
	s_cbranch_execz .LBB103_335
; %bb.326:
	s_and_not1_b32 vcc_lo, exec_lo, s3
	s_cbranch_vccnz .LBB103_328
; %bb.327:
	scratch_load_b64 v[84:85], v59, off
	ds_load_b64 v[86:87], v1
	s_wait_loadcnt_dscnt 0x0
	v_pk_mul_f32 v[88:89], v[86:87], v[84:85] op_sel:[1,1] op_sel_hi:[0,1]
	s_delay_alu instid0(VALU_DEP_1) | instskip(SKIP_1) | instid1(VALU_DEP_2)
	v_pk_fma_f32 v[90:91], v[86:87], v[84:85], v[88:89] op_sel_hi:[1,0,1]
	v_pk_fma_f32 v[84:85], v[86:87], v[84:85], v[88:89] neg_lo:[0,0,1] neg_hi:[0,0,1]
	v_mov_b32_e32 v85, v91
	s_cbranch_execz .LBB103_329
	s_branch .LBB103_330
.LBB103_328:
                                        ; implicit-def: $vgpr84_vgpr85
.LBB103_329:
	ds_load_b64 v[84:85], v1
.LBB103_330:
	s_and_saveexec_b32 s13, s1
	s_cbranch_execz .LBB103_334
; %bb.331:
	v_add_nc_u32_e32 v86, -7, v0
	s_movk_i32 s14, 0x178
	s_mov_b32 s1, 0
.LBB103_332:                            ; =>This Inner Loop Header: Depth=1
	scratch_load_b64 v[88:89], off, s11
	v_dual_mov_b32 v87, s14 :: v_dual_add_nc_u32 v86, -1, v86
	s_add_co_i32 s14, s14, 8
	s_wait_xcnt 0x0
	s_add_co_i32 s11, s11, 8
	ds_load_b64 v[90:91], v87
	v_cmp_eq_u32_e32 vcc_lo, 0, v86
	s_or_b32 s1, vcc_lo, s1
	s_wait_loadcnt_dscnt 0x0
	v_pk_mul_f32 v[92:93], v[90:91], v[88:89] op_sel:[1,1] op_sel_hi:[0,1]
	s_delay_alu instid0(VALU_DEP_1) | instskip(SKIP_1) | instid1(VALU_DEP_2)
	v_pk_fma_f32 v[94:95], v[90:91], v[88:89], v[92:93] op_sel_hi:[1,0,1]
	v_pk_fma_f32 v[88:89], v[90:91], v[88:89], v[92:93] neg_lo:[0,0,1] neg_hi:[0,0,1]
	v_mov_b32_e32 v89, v95
	s_delay_alu instid0(VALU_DEP_1)
	v_pk_add_f32 v[84:85], v[84:85], v[88:89]
	s_and_not1_b32 exec_lo, exec_lo, s1
	s_cbranch_execnz .LBB103_332
; %bb.333:
	s_or_b32 exec_lo, exec_lo, s1
.LBB103_334:
	s_delay_alu instid0(SALU_CYCLE_1) | instskip(SKIP_4) | instid1(VALU_DEP_1)
	s_or_b32 exec_lo, exec_lo, s13
	v_mov_b32_e32 v86, 0
	ds_load_b64 v[86:87], v86 offset:48
	s_wait_dscnt 0x0
	v_pk_mul_f32 v[88:89], v[84:85], v[86:87] op_sel:[1,1] op_sel_hi:[0,1]
	v_pk_fma_f32 v[90:91], v[84:85], v[86:87], v[88:89] op_sel_hi:[1,0,1]
	v_pk_fma_f32 v[84:85], v[84:85], v[86:87], v[88:89] neg_lo:[0,0,1] neg_hi:[0,0,1]
	s_delay_alu instid0(VALU_DEP_2)
	v_mov_b32_e32 v85, v91
	scratch_store_b64 off, v[84:85], off offset:48
.LBB103_335:
	s_wait_xcnt 0x0
	s_or_b32 exec_lo, exec_lo, s12
	scratch_load_b64 v[84:85], off, off offset:40
	v_cmp_lt_u32_e64 s1, 5, v0
	s_wait_loadcnt 0x0
	ds_store_b64 v1, v[84:85]
	s_wait_storecnt_dscnt 0x0
	s_barrier_signal -1
	s_barrier_wait -1
	s_wait_xcnt 0x0
	s_and_saveexec_b32 s11, s1
	s_cbranch_execz .LBB103_345
; %bb.336:
	s_and_not1_b32 vcc_lo, exec_lo, s3
	s_cbranch_vccnz .LBB103_338
; %bb.337:
	scratch_load_b64 v[84:85], v59, off
	ds_load_b64 v[86:87], v1
	s_wait_loadcnt_dscnt 0x0
	v_pk_mul_f32 v[88:89], v[86:87], v[84:85] op_sel:[1,1] op_sel_hi:[0,1]
	s_delay_alu instid0(VALU_DEP_1) | instskip(SKIP_1) | instid1(VALU_DEP_2)
	v_pk_fma_f32 v[90:91], v[86:87], v[84:85], v[88:89] op_sel_hi:[1,0,1]
	v_pk_fma_f32 v[84:85], v[86:87], v[84:85], v[88:89] neg_lo:[0,0,1] neg_hi:[0,0,1]
	v_mov_b32_e32 v85, v91
	s_cbranch_execz .LBB103_339
	s_branch .LBB103_340
.LBB103_338:
                                        ; implicit-def: $vgpr84_vgpr85
.LBB103_339:
	ds_load_b64 v[84:85], v1
.LBB103_340:
	s_and_saveexec_b32 s12, s0
	s_cbranch_execz .LBB103_344
; %bb.341:
	v_add_nc_u32_e32 v86, -6, v0
	s_movk_i32 s13, 0x170
	s_mov_b32 s0, 0
.LBB103_342:                            ; =>This Inner Loop Header: Depth=1
	scratch_load_b64 v[88:89], off, s10
	v_dual_mov_b32 v87, s13 :: v_dual_add_nc_u32 v86, -1, v86
	s_add_co_i32 s13, s13, 8
	s_wait_xcnt 0x0
	s_add_co_i32 s10, s10, 8
	ds_load_b64 v[90:91], v87
	v_cmp_eq_u32_e32 vcc_lo, 0, v86
	s_or_b32 s0, vcc_lo, s0
	s_wait_loadcnt_dscnt 0x0
	v_pk_mul_f32 v[92:93], v[90:91], v[88:89] op_sel:[1,1] op_sel_hi:[0,1]
	s_delay_alu instid0(VALU_DEP_1) | instskip(SKIP_1) | instid1(VALU_DEP_2)
	v_pk_fma_f32 v[94:95], v[90:91], v[88:89], v[92:93] op_sel_hi:[1,0,1]
	v_pk_fma_f32 v[88:89], v[90:91], v[88:89], v[92:93] neg_lo:[0,0,1] neg_hi:[0,0,1]
	v_mov_b32_e32 v89, v95
	s_delay_alu instid0(VALU_DEP_1)
	v_pk_add_f32 v[84:85], v[84:85], v[88:89]
	s_and_not1_b32 exec_lo, exec_lo, s0
	s_cbranch_execnz .LBB103_342
; %bb.343:
	s_or_b32 exec_lo, exec_lo, s0
.LBB103_344:
	s_delay_alu instid0(SALU_CYCLE_1) | instskip(SKIP_4) | instid1(VALU_DEP_1)
	s_or_b32 exec_lo, exec_lo, s12
	v_mov_b32_e32 v86, 0
	ds_load_b64 v[86:87], v86 offset:40
	s_wait_dscnt 0x0
	v_pk_mul_f32 v[88:89], v[84:85], v[86:87] op_sel:[1,1] op_sel_hi:[0,1]
	v_pk_fma_f32 v[90:91], v[84:85], v[86:87], v[88:89] op_sel_hi:[1,0,1]
	v_pk_fma_f32 v[84:85], v[84:85], v[86:87], v[88:89] neg_lo:[0,0,1] neg_hi:[0,0,1]
	s_delay_alu instid0(VALU_DEP_2)
	v_mov_b32_e32 v85, v91
	scratch_store_b64 off, v[84:85], off offset:40
.LBB103_345:
	s_wait_xcnt 0x0
	s_or_b32 exec_lo, exec_lo, s11
	scratch_load_b64 v[84:85], off, off offset:32
	v_cmp_lt_u32_e64 s0, 4, v0
	s_wait_loadcnt 0x0
	ds_store_b64 v1, v[84:85]
	s_wait_storecnt_dscnt 0x0
	s_barrier_signal -1
	s_barrier_wait -1
	s_wait_xcnt 0x0
	s_and_saveexec_b32 s10, s0
	s_cbranch_execz .LBB103_355
; %bb.346:
	s_and_not1_b32 vcc_lo, exec_lo, s3
	s_cbranch_vccnz .LBB103_348
; %bb.347:
	scratch_load_b64 v[84:85], v59, off
	ds_load_b64 v[86:87], v1
	s_wait_loadcnt_dscnt 0x0
	v_pk_mul_f32 v[88:89], v[86:87], v[84:85] op_sel:[1,1] op_sel_hi:[0,1]
	s_delay_alu instid0(VALU_DEP_1) | instskip(SKIP_1) | instid1(VALU_DEP_2)
	v_pk_fma_f32 v[90:91], v[86:87], v[84:85], v[88:89] op_sel_hi:[1,0,1]
	v_pk_fma_f32 v[84:85], v[86:87], v[84:85], v[88:89] neg_lo:[0,0,1] neg_hi:[0,0,1]
	v_mov_b32_e32 v85, v91
	s_cbranch_execz .LBB103_349
	s_branch .LBB103_350
.LBB103_348:
                                        ; implicit-def: $vgpr84_vgpr85
.LBB103_349:
	ds_load_b64 v[84:85], v1
.LBB103_350:
	s_and_saveexec_b32 s11, s1
	s_cbranch_execz .LBB103_354
; %bb.351:
	v_add_nc_u32_e32 v86, -5, v0
	s_movk_i32 s12, 0x168
	s_mov_b32 s1, 0
.LBB103_352:                            ; =>This Inner Loop Header: Depth=1
	scratch_load_b64 v[88:89], off, s9
	v_dual_mov_b32 v87, s12 :: v_dual_add_nc_u32 v86, -1, v86
	s_add_co_i32 s12, s12, 8
	s_wait_xcnt 0x0
	s_add_co_i32 s9, s9, 8
	ds_load_b64 v[90:91], v87
	v_cmp_eq_u32_e32 vcc_lo, 0, v86
	s_or_b32 s1, vcc_lo, s1
	s_wait_loadcnt_dscnt 0x0
	v_pk_mul_f32 v[92:93], v[90:91], v[88:89] op_sel:[1,1] op_sel_hi:[0,1]
	s_delay_alu instid0(VALU_DEP_1) | instskip(SKIP_1) | instid1(VALU_DEP_2)
	v_pk_fma_f32 v[94:95], v[90:91], v[88:89], v[92:93] op_sel_hi:[1,0,1]
	v_pk_fma_f32 v[88:89], v[90:91], v[88:89], v[92:93] neg_lo:[0,0,1] neg_hi:[0,0,1]
	v_mov_b32_e32 v89, v95
	s_delay_alu instid0(VALU_DEP_1)
	v_pk_add_f32 v[84:85], v[84:85], v[88:89]
	s_and_not1_b32 exec_lo, exec_lo, s1
	s_cbranch_execnz .LBB103_352
; %bb.353:
	s_or_b32 exec_lo, exec_lo, s1
.LBB103_354:
	s_delay_alu instid0(SALU_CYCLE_1) | instskip(SKIP_4) | instid1(VALU_DEP_1)
	s_or_b32 exec_lo, exec_lo, s11
	v_mov_b32_e32 v86, 0
	ds_load_b64 v[86:87], v86 offset:32
	s_wait_dscnt 0x0
	v_pk_mul_f32 v[88:89], v[84:85], v[86:87] op_sel:[1,1] op_sel_hi:[0,1]
	v_pk_fma_f32 v[90:91], v[84:85], v[86:87], v[88:89] op_sel_hi:[1,0,1]
	v_pk_fma_f32 v[84:85], v[84:85], v[86:87], v[88:89] neg_lo:[0,0,1] neg_hi:[0,0,1]
	s_delay_alu instid0(VALU_DEP_2)
	v_mov_b32_e32 v85, v91
	scratch_store_b64 off, v[84:85], off offset:32
.LBB103_355:
	s_wait_xcnt 0x0
	s_or_b32 exec_lo, exec_lo, s10
	scratch_load_b64 v[84:85], off, off offset:24
	v_cmp_lt_u32_e64 s1, 3, v0
	s_wait_loadcnt 0x0
	ds_store_b64 v1, v[84:85]
	s_wait_storecnt_dscnt 0x0
	s_barrier_signal -1
	s_barrier_wait -1
	s_wait_xcnt 0x0
	s_and_saveexec_b32 s9, s1
	s_cbranch_execz .LBB103_365
; %bb.356:
	s_and_not1_b32 vcc_lo, exec_lo, s3
	s_cbranch_vccnz .LBB103_358
; %bb.357:
	scratch_load_b64 v[84:85], v59, off
	ds_load_b64 v[86:87], v1
	s_wait_loadcnt_dscnt 0x0
	v_pk_mul_f32 v[88:89], v[86:87], v[84:85] op_sel:[1,1] op_sel_hi:[0,1]
	s_delay_alu instid0(VALU_DEP_1) | instskip(SKIP_1) | instid1(VALU_DEP_2)
	v_pk_fma_f32 v[90:91], v[86:87], v[84:85], v[88:89] op_sel_hi:[1,0,1]
	v_pk_fma_f32 v[84:85], v[86:87], v[84:85], v[88:89] neg_lo:[0,0,1] neg_hi:[0,0,1]
	v_mov_b32_e32 v85, v91
	s_cbranch_execz .LBB103_359
	s_branch .LBB103_360
.LBB103_358:
                                        ; implicit-def: $vgpr84_vgpr85
.LBB103_359:
	ds_load_b64 v[84:85], v1
.LBB103_360:
	s_and_saveexec_b32 s10, s0
	s_cbranch_execz .LBB103_364
; %bb.361:
	v_add_nc_u32_e32 v86, -4, v0
	s_movk_i32 s11, 0x160
	s_mov_b32 s0, 0
.LBB103_362:                            ; =>This Inner Loop Header: Depth=1
	scratch_load_b64 v[88:89], off, s2
	v_dual_mov_b32 v87, s11 :: v_dual_add_nc_u32 v86, -1, v86
	s_add_co_i32 s11, s11, 8
	s_wait_xcnt 0x0
	s_add_co_i32 s2, s2, 8
	ds_load_b64 v[90:91], v87
	v_cmp_eq_u32_e32 vcc_lo, 0, v86
	s_or_b32 s0, vcc_lo, s0
	s_wait_loadcnt_dscnt 0x0
	v_pk_mul_f32 v[92:93], v[90:91], v[88:89] op_sel:[1,1] op_sel_hi:[0,1]
	s_delay_alu instid0(VALU_DEP_1) | instskip(SKIP_1) | instid1(VALU_DEP_2)
	v_pk_fma_f32 v[94:95], v[90:91], v[88:89], v[92:93] op_sel_hi:[1,0,1]
	v_pk_fma_f32 v[88:89], v[90:91], v[88:89], v[92:93] neg_lo:[0,0,1] neg_hi:[0,0,1]
	v_mov_b32_e32 v89, v95
	s_delay_alu instid0(VALU_DEP_1)
	v_pk_add_f32 v[84:85], v[84:85], v[88:89]
	s_and_not1_b32 exec_lo, exec_lo, s0
	s_cbranch_execnz .LBB103_362
; %bb.363:
	s_or_b32 exec_lo, exec_lo, s0
.LBB103_364:
	s_delay_alu instid0(SALU_CYCLE_1) | instskip(SKIP_4) | instid1(VALU_DEP_1)
	s_or_b32 exec_lo, exec_lo, s10
	v_mov_b32_e32 v86, 0
	ds_load_b64 v[86:87], v86 offset:24
	s_wait_dscnt 0x0
	v_pk_mul_f32 v[88:89], v[84:85], v[86:87] op_sel:[1,1] op_sel_hi:[0,1]
	v_pk_fma_f32 v[90:91], v[84:85], v[86:87], v[88:89] op_sel_hi:[1,0,1]
	v_pk_fma_f32 v[84:85], v[84:85], v[86:87], v[88:89] neg_lo:[0,0,1] neg_hi:[0,0,1]
	s_delay_alu instid0(VALU_DEP_2)
	v_mov_b32_e32 v85, v91
	scratch_store_b64 off, v[84:85], off offset:24
.LBB103_365:
	s_wait_xcnt 0x0
	s_or_b32 exec_lo, exec_lo, s9
	scratch_load_b64 v[84:85], off, off offset:16
	v_cmp_lt_u32_e64 s2, 2, v0
	s_wait_loadcnt 0x0
	ds_store_b64 v1, v[84:85]
	s_wait_storecnt_dscnt 0x0
	s_barrier_signal -1
	s_barrier_wait -1
	s_wait_xcnt 0x0
	s_and_saveexec_b32 s0, s2
	s_cbranch_execz .LBB103_375
; %bb.366:
	s_and_not1_b32 vcc_lo, exec_lo, s3
	s_cbranch_vccnz .LBB103_368
; %bb.367:
	scratch_load_b64 v[84:85], v59, off
	ds_load_b64 v[86:87], v1
	s_wait_loadcnt_dscnt 0x0
	v_pk_mul_f32 v[88:89], v[86:87], v[84:85] op_sel:[1,1] op_sel_hi:[0,1]
	s_delay_alu instid0(VALU_DEP_1) | instskip(SKIP_1) | instid1(VALU_DEP_2)
	v_pk_fma_f32 v[90:91], v[86:87], v[84:85], v[88:89] op_sel_hi:[1,0,1]
	v_pk_fma_f32 v[84:85], v[86:87], v[84:85], v[88:89] neg_lo:[0,0,1] neg_hi:[0,0,1]
	v_mov_b32_e32 v85, v91
	s_cbranch_execz .LBB103_369
	s_branch .LBB103_370
.LBB103_368:
                                        ; implicit-def: $vgpr84_vgpr85
.LBB103_369:
	ds_load_b64 v[84:85], v1
.LBB103_370:
	s_and_saveexec_b32 s9, s1
	s_cbranch_execz .LBB103_374
; %bb.371:
	v_add_nc_u32_e32 v86, -3, v0
	s_movk_i32 s10, 0x158
	s_mov_b32 s1, 0
.LBB103_372:                            ; =>This Inner Loop Header: Depth=1
	scratch_load_b64 v[88:89], off, s8
	v_dual_mov_b32 v87, s10 :: v_dual_add_nc_u32 v86, -1, v86
	s_add_co_i32 s10, s10, 8
	s_wait_xcnt 0x0
	s_add_co_i32 s8, s8, 8
	ds_load_b64 v[90:91], v87
	v_cmp_eq_u32_e32 vcc_lo, 0, v86
	s_or_b32 s1, vcc_lo, s1
	s_wait_loadcnt_dscnt 0x0
	v_pk_mul_f32 v[92:93], v[90:91], v[88:89] op_sel:[1,1] op_sel_hi:[0,1]
	s_delay_alu instid0(VALU_DEP_1) | instskip(SKIP_1) | instid1(VALU_DEP_2)
	v_pk_fma_f32 v[94:95], v[90:91], v[88:89], v[92:93] op_sel_hi:[1,0,1]
	v_pk_fma_f32 v[88:89], v[90:91], v[88:89], v[92:93] neg_lo:[0,0,1] neg_hi:[0,0,1]
	v_mov_b32_e32 v89, v95
	s_delay_alu instid0(VALU_DEP_1)
	v_pk_add_f32 v[84:85], v[84:85], v[88:89]
	s_and_not1_b32 exec_lo, exec_lo, s1
	s_cbranch_execnz .LBB103_372
; %bb.373:
	s_or_b32 exec_lo, exec_lo, s1
.LBB103_374:
	s_delay_alu instid0(SALU_CYCLE_1) | instskip(SKIP_4) | instid1(VALU_DEP_1)
	s_or_b32 exec_lo, exec_lo, s9
	v_mov_b32_e32 v86, 0
	ds_load_b64 v[86:87], v86 offset:16
	s_wait_dscnt 0x0
	v_pk_mul_f32 v[88:89], v[84:85], v[86:87] op_sel:[1,1] op_sel_hi:[0,1]
	v_pk_fma_f32 v[90:91], v[84:85], v[86:87], v[88:89] op_sel_hi:[1,0,1]
	v_pk_fma_f32 v[84:85], v[84:85], v[86:87], v[88:89] neg_lo:[0,0,1] neg_hi:[0,0,1]
	s_delay_alu instid0(VALU_DEP_2)
	v_mov_b32_e32 v85, v91
	scratch_store_b64 off, v[84:85], off offset:16
.LBB103_375:
	s_wait_xcnt 0x0
	s_or_b32 exec_lo, exec_lo, s0
	scratch_load_b64 v[84:85], off, off offset:8
	v_cmp_lt_u32_e64 s0, 1, v0
	s_wait_loadcnt 0x0
	ds_store_b64 v1, v[84:85]
	s_wait_storecnt_dscnt 0x0
	s_barrier_signal -1
	s_barrier_wait -1
	s_wait_xcnt 0x0
	s_and_saveexec_b32 s1, s0
	s_cbranch_execz .LBB103_385
; %bb.376:
	s_and_not1_b32 vcc_lo, exec_lo, s3
	s_cbranch_vccnz .LBB103_378
; %bb.377:
	scratch_load_b64 v[84:85], v59, off
	ds_load_b64 v[86:87], v1
	s_wait_loadcnt_dscnt 0x0
	v_pk_mul_f32 v[88:89], v[86:87], v[84:85] op_sel:[1,1] op_sel_hi:[0,1]
	s_delay_alu instid0(VALU_DEP_1) | instskip(SKIP_1) | instid1(VALU_DEP_2)
	v_pk_fma_f32 v[90:91], v[86:87], v[84:85], v[88:89] op_sel_hi:[1,0,1]
	v_pk_fma_f32 v[84:85], v[86:87], v[84:85], v[88:89] neg_lo:[0,0,1] neg_hi:[0,0,1]
	v_mov_b32_e32 v85, v91
	s_cbranch_execz .LBB103_379
	s_branch .LBB103_380
.LBB103_378:
                                        ; implicit-def: $vgpr84_vgpr85
.LBB103_379:
	ds_load_b64 v[84:85], v1
.LBB103_380:
	s_and_saveexec_b32 s8, s2
	s_cbranch_execz .LBB103_384
; %bb.381:
	v_add_nc_u32_e32 v86, -2, v0
	s_movk_i32 s9, 0x150
	s_mov_b32 s2, 0
.LBB103_382:                            ; =>This Inner Loop Header: Depth=1
	scratch_load_b64 v[88:89], off, s5
	v_dual_mov_b32 v87, s9 :: v_dual_add_nc_u32 v86, -1, v86
	s_add_co_i32 s9, s9, 8
	s_wait_xcnt 0x0
	s_add_co_i32 s5, s5, 8
	ds_load_b64 v[90:91], v87
	v_cmp_eq_u32_e32 vcc_lo, 0, v86
	s_or_b32 s2, vcc_lo, s2
	s_wait_loadcnt_dscnt 0x0
	v_pk_mul_f32 v[92:93], v[90:91], v[88:89] op_sel:[1,1] op_sel_hi:[0,1]
	s_delay_alu instid0(VALU_DEP_1) | instskip(SKIP_1) | instid1(VALU_DEP_2)
	v_pk_fma_f32 v[94:95], v[90:91], v[88:89], v[92:93] op_sel_hi:[1,0,1]
	v_pk_fma_f32 v[88:89], v[90:91], v[88:89], v[92:93] neg_lo:[0,0,1] neg_hi:[0,0,1]
	v_mov_b32_e32 v89, v95
	s_delay_alu instid0(VALU_DEP_1)
	v_pk_add_f32 v[84:85], v[84:85], v[88:89]
	s_and_not1_b32 exec_lo, exec_lo, s2
	s_cbranch_execnz .LBB103_382
; %bb.383:
	s_or_b32 exec_lo, exec_lo, s2
.LBB103_384:
	s_delay_alu instid0(SALU_CYCLE_1) | instskip(SKIP_4) | instid1(VALU_DEP_1)
	s_or_b32 exec_lo, exec_lo, s8
	v_mov_b32_e32 v86, 0
	ds_load_b64 v[86:87], v86 offset:8
	s_wait_dscnt 0x0
	v_pk_mul_f32 v[88:89], v[84:85], v[86:87] op_sel:[1,1] op_sel_hi:[0,1]
	v_pk_fma_f32 v[90:91], v[84:85], v[86:87], v[88:89] op_sel_hi:[1,0,1]
	v_pk_fma_f32 v[84:85], v[84:85], v[86:87], v[88:89] neg_lo:[0,0,1] neg_hi:[0,0,1]
	s_delay_alu instid0(VALU_DEP_2)
	v_mov_b32_e32 v85, v91
	scratch_store_b64 off, v[84:85], off offset:8
.LBB103_385:
	s_wait_xcnt 0x0
	s_or_b32 exec_lo, exec_lo, s1
	scratch_load_b64 v[84:85], off, off
	s_mov_b32 s2, 0
	s_mov_b32 s1, 0
	s_mov_b32 s8, exec_lo
                                        ; implicit-def: $vgpr118
                                        ; implicit-def: $sgpr5
	s_wait_loadcnt 0x0
	ds_store_b64 v1, v[84:85]
	s_wait_storecnt_dscnt 0x0
	s_barrier_signal -1
	s_barrier_wait -1
	s_wait_xcnt 0x0
	v_cmpx_ne_u32_e32 0, v0
	s_cbranch_execz .LBB103_395
; %bb.386:
	s_and_not1_b32 vcc_lo, exec_lo, s3
	s_cbranch_vccnz .LBB103_388
; %bb.387:
	scratch_load_b64 v[86:87], v59, off
	ds_load_b64 v[88:89], v1
	s_wait_loadcnt_dscnt 0x0
	v_dual_mul_f32 v84, v89, v87 :: v_dual_mul_f32 v85, v88, v87
	s_delay_alu instid0(VALU_DEP_1)
	v_dual_fma_f32 v84, v88, v86, -v84 :: v_dual_fmac_f32 v85, v89, v86
	s_and_not1_b32 vcc_lo, exec_lo, s1
	s_cbranch_vccz .LBB103_389
	s_branch .LBB103_390
.LBB103_388:
                                        ; implicit-def: $vgpr84
.LBB103_389:
	ds_load_b64 v[84:85], v1
.LBB103_390:
	s_and_saveexec_b32 s1, s0
	s_cbranch_execz .LBB103_394
; %bb.391:
	v_add_nc_u32_e32 v86, -1, v0
	s_movk_i32 s5, 0x148
	s_mov_b32 s0, 0
.LBB103_392:                            ; =>This Inner Loop Header: Depth=1
	scratch_load_b64 v[88:89], off, s4
	v_mov_b32_e32 v87, s5
	s_add_co_i32 s5, s5, 8
	s_wait_xcnt 0x0
	s_add_co_i32 s4, s4, 8
	v_add_nc_u32_e32 v86, -1, v86
	ds_load_b64 v[90:91], v87
	v_cmp_eq_u32_e32 vcc_lo, 0, v86
	s_or_b32 s0, vcc_lo, s0
	s_wait_loadcnt_dscnt 0x0
	v_dual_mul_f32 v87, v91, v89 :: v_dual_mul_f32 v89, v90, v89
	s_delay_alu instid0(VALU_DEP_1) | instskip(NEXT) | instid1(VALU_DEP_1)
	v_dual_fma_f32 v87, v90, v88, -v87 :: v_dual_fmac_f32 v89, v91, v88
	v_dual_add_f32 v84, v84, v87 :: v_dual_add_f32 v85, v85, v89
	s_and_not1_b32 exec_lo, exec_lo, s0
	s_cbranch_execnz .LBB103_392
; %bb.393:
	s_or_b32 exec_lo, exec_lo, s0
.LBB103_394:
	s_delay_alu instid0(SALU_CYCLE_1)
	s_or_b32 exec_lo, exec_lo, s1
	v_mov_b32_e32 v86, 0
	s_mov_b32 s1, exec_lo
	s_or_b32 s5, 0, 4
	ds_load_b64 v[86:87], v86
	s_wait_dscnt 0x0
	v_dual_mul_f32 v88, v85, v87 :: v_dual_mul_f32 v118, v84, v87
	s_delay_alu instid0(VALU_DEP_1)
	v_dual_fma_f32 v84, v84, v86, -v88 :: v_dual_fmac_f32 v118, v85, v86
	scratch_store_b32 off, v84, off
.LBB103_395:
	s_wait_xcnt 0x0
	s_or_b32 exec_lo, exec_lo, s8
	s_delay_alu instid0(SALU_CYCLE_1)
	s_and_b32 vcc_lo, exec_lo, s2
	s_cbranch_vccz .LBB103_781
.LBB103_396:
	scratch_load_b64 v[84:85], off, off offset:8
	v_cmp_eq_u32_e64 s0, 0, v0
	s_wait_loadcnt 0x0
	ds_store_b64 v1, v[84:85]
	s_wait_storecnt_dscnt 0x0
	s_barrier_signal -1
	s_barrier_wait -1
	s_wait_xcnt 0x0
	s_and_saveexec_b32 s2, s0
	s_cbranch_execz .LBB103_402
; %bb.397:
	s_and_b32 vcc_lo, exec_lo, s3
	s_cbranch_vccz .LBB103_399
; %bb.398:
	scratch_load_b64 v[84:85], v59, off
	ds_load_b64 v[86:87], v1
	s_wait_loadcnt_dscnt 0x0
	v_pk_mul_f32 v[88:89], v[86:87], v[84:85] op_sel:[1,1] op_sel_hi:[0,1]
	v_pk_mul_f32 v[90:91], v[86:87], v[84:85] op_sel_hi:[1,0]
	s_delay_alu instid0(VALU_DEP_2) | instskip(NEXT) | instid1(VALU_DEP_2)
	v_pk_fma_f32 v[84:85], v[86:87], v[84:85], v[88:89] op_sel_hi:[1,0,1]
	v_sub_f32_e32 v84, v90, v88
	s_cbranch_execz .LBB103_400
	s_branch .LBB103_401
.LBB103_399:
                                        ; implicit-def: $vgpr85
.LBB103_400:
	ds_load_b64 v[84:85], v1
.LBB103_401:
	s_wait_dscnt 0x0
	v_dual_mov_b32 v86, 0 :: v_dual_mov_b32 v88, v85
	v_mov_b32_e32 v89, v84
	ds_load_b64 v[86:87], v86 offset:8
	s_wait_dscnt 0x0
	v_pk_mul_f32 v[88:89], v[88:89], v[86:87] op_sel:[0,1]
	s_delay_alu instid0(VALU_DEP_1) | instskip(SKIP_1) | instid1(VALU_DEP_2)
	v_pk_fma_f32 v[90:91], v[84:85], v[86:87], v[88:89] op_sel_hi:[1,0,1]
	v_pk_fma_f32 v[84:85], v[84:85], v[86:87], v[88:89] neg_lo:[0,0,1] neg_hi:[0,0,1]
	v_mov_b32_e32 v85, v91
	scratch_store_b64 off, v[84:85], off offset:8
.LBB103_402:
	s_wait_xcnt 0x0
	s_or_b32 exec_lo, exec_lo, s2
	scratch_load_b64 v[84:85], off, off offset:16
	v_cndmask_b32_e64 v86, 0, 1, s3
	s_mov_b32 s2, exec_lo
	s_wait_loadcnt 0x0
	ds_store_b64 v1, v[84:85]
	s_wait_storecnt_dscnt 0x0
	s_barrier_signal -1
	s_barrier_wait -1
	s_wait_xcnt 0x0
	v_cmpx_gt_u32_e32 2, v0
	s_cbranch_execz .LBB103_410
; %bb.403:
	s_and_not1_b32 vcc_lo, exec_lo, s3
	s_cbranch_vccnz .LBB103_405
; %bb.404:
	scratch_load_b64 v[84:85], v59, off
	ds_load_b64 v[88:89], v1
	s_wait_loadcnt_dscnt 0x0
	v_pk_mul_f32 v[90:91], v[88:89], v[84:85] op_sel:[1,1] op_sel_hi:[0,1]
	s_delay_alu instid0(VALU_DEP_1) | instskip(SKIP_1) | instid1(VALU_DEP_2)
	v_pk_fma_f32 v[92:93], v[88:89], v[84:85], v[90:91] op_sel_hi:[1,0,1]
	v_pk_fma_f32 v[84:85], v[88:89], v[84:85], v[90:91] neg_lo:[0,0,1] neg_hi:[0,0,1]
	v_mov_b32_e32 v85, v93
	s_cbranch_execz .LBB103_406
	s_branch .LBB103_407
.LBB103_405:
                                        ; implicit-def: $vgpr84_vgpr85
.LBB103_406:
	ds_load_b64 v[84:85], v1
.LBB103_407:
	s_and_saveexec_b32 s3, s0
	s_cbranch_execz .LBB103_409
; %bb.408:
	scratch_load_b64 v[88:89], off, off offset:8
	v_mov_b32_e32 v87, 0
	ds_load_b64 v[90:91], v87 offset:328
	s_wait_loadcnt_dscnt 0x0
	v_pk_mul_f32 v[92:93], v[90:91], v[88:89] op_sel:[1,1] op_sel_hi:[0,1]
	s_delay_alu instid0(VALU_DEP_1) | instskip(SKIP_1) | instid1(VALU_DEP_2)
	v_pk_fma_f32 v[94:95], v[90:91], v[88:89], v[92:93] op_sel_hi:[1,0,1]
	v_pk_fma_f32 v[88:89], v[90:91], v[88:89], v[92:93] neg_lo:[0,0,1] neg_hi:[0,0,1]
	v_mov_b32_e32 v89, v95
	s_delay_alu instid0(VALU_DEP_1)
	v_pk_add_f32 v[84:85], v[84:85], v[88:89]
.LBB103_409:
	s_or_b32 exec_lo, exec_lo, s3
	v_mov_b32_e32 v87, 0
	ds_load_b64 v[88:89], v87 offset:16
	s_wait_dscnt 0x0
	v_pk_mul_f32 v[90:91], v[84:85], v[88:89] op_sel:[1,1] op_sel_hi:[0,1]
	s_delay_alu instid0(VALU_DEP_1) | instskip(SKIP_1) | instid1(VALU_DEP_2)
	v_pk_fma_f32 v[92:93], v[84:85], v[88:89], v[90:91] op_sel_hi:[1,0,1]
	v_pk_fma_f32 v[84:85], v[84:85], v[88:89], v[90:91] neg_lo:[0,0,1] neg_hi:[0,0,1]
	v_mov_b32_e32 v85, v93
	scratch_store_b64 off, v[84:85], off offset:16
.LBB103_410:
	s_wait_xcnt 0x0
	s_or_b32 exec_lo, exec_lo, s2
	scratch_load_b64 v[84:85], off, off offset:24
	s_mov_b32 s2, exec_lo
	s_wait_loadcnt 0x0
	ds_store_b64 v1, v[84:85]
	s_wait_storecnt_dscnt 0x0
	s_barrier_signal -1
	s_barrier_wait -1
	s_wait_xcnt 0x0
	v_cmpx_gt_u32_e32 3, v0
	s_cbranch_execz .LBB103_420
; %bb.411:
	v_cmp_ne_u32_e32 vcc_lo, 1, v86
	s_cbranch_vccnz .LBB103_413
; %bb.412:
	scratch_load_b64 v[84:85], v59, off
	ds_load_b64 v[88:89], v1
	s_wait_loadcnt_dscnt 0x0
	v_pk_mul_f32 v[90:91], v[88:89], v[84:85] op_sel:[1,1] op_sel_hi:[0,1]
	s_delay_alu instid0(VALU_DEP_1) | instskip(SKIP_1) | instid1(VALU_DEP_2)
	v_pk_fma_f32 v[92:93], v[88:89], v[84:85], v[90:91] op_sel_hi:[1,0,1]
	v_pk_fma_f32 v[84:85], v[88:89], v[84:85], v[90:91] neg_lo:[0,0,1] neg_hi:[0,0,1]
	v_mov_b32_e32 v85, v93
	s_cbranch_execz .LBB103_414
	s_branch .LBB103_415
.LBB103_413:
                                        ; implicit-def: $vgpr84_vgpr85
.LBB103_414:
	ds_load_b64 v[84:85], v1
.LBB103_415:
	s_mov_b32 s3, exec_lo
	v_cmpx_ne_u32_e32 2, v0
	s_cbranch_execz .LBB103_419
; %bb.416:
	scratch_load_b64 v[88:89], v59, off offset:8
	ds_load_b64 v[90:91], v1 offset:8
	s_wait_loadcnt_dscnt 0x0
	v_pk_mul_f32 v[92:93], v[90:91], v[88:89] op_sel:[1,1] op_sel_hi:[0,1]
	s_delay_alu instid0(VALU_DEP_1) | instskip(SKIP_1) | instid1(VALU_DEP_2)
	v_pk_fma_f32 v[94:95], v[90:91], v[88:89], v[92:93] op_sel_hi:[1,0,1]
	v_pk_fma_f32 v[88:89], v[90:91], v[88:89], v[92:93] neg_lo:[0,0,1] neg_hi:[0,0,1]
	v_mov_b32_e32 v89, v95
	s_delay_alu instid0(VALU_DEP_1)
	v_pk_add_f32 v[84:85], v[84:85], v[88:89]
	s_and_saveexec_b32 s4, s0
	s_cbranch_execz .LBB103_418
; %bb.417:
	scratch_load_b64 v[88:89], off, off offset:16
	v_mov_b32_e32 v87, 0
	ds_load_b64 v[90:91], v87 offset:336
	s_wait_loadcnt_dscnt 0x0
	v_pk_mul_f32 v[92:93], v[90:91], v[88:89] op_sel:[1,1] op_sel_hi:[0,1]
	s_delay_alu instid0(VALU_DEP_1) | instskip(SKIP_1) | instid1(VALU_DEP_2)
	v_pk_fma_f32 v[94:95], v[90:91], v[88:89], v[92:93] op_sel_hi:[1,0,1]
	v_pk_fma_f32 v[88:89], v[90:91], v[88:89], v[92:93] neg_lo:[0,0,1] neg_hi:[0,0,1]
	v_mov_b32_e32 v89, v95
	s_delay_alu instid0(VALU_DEP_1)
	v_pk_add_f32 v[84:85], v[84:85], v[88:89]
.LBB103_418:
	s_or_b32 exec_lo, exec_lo, s4
.LBB103_419:
	s_delay_alu instid0(SALU_CYCLE_1) | instskip(SKIP_4) | instid1(VALU_DEP_1)
	s_or_b32 exec_lo, exec_lo, s3
	v_mov_b32_e32 v87, 0
	ds_load_b64 v[88:89], v87 offset:24
	s_wait_dscnt 0x0
	v_pk_mul_f32 v[90:91], v[84:85], v[88:89] op_sel:[1,1] op_sel_hi:[0,1]
	v_pk_fma_f32 v[92:93], v[84:85], v[88:89], v[90:91] op_sel_hi:[1,0,1]
	v_pk_fma_f32 v[84:85], v[84:85], v[88:89], v[90:91] neg_lo:[0,0,1] neg_hi:[0,0,1]
	s_delay_alu instid0(VALU_DEP_2)
	v_mov_b32_e32 v85, v93
	scratch_store_b64 off, v[84:85], off offset:24
.LBB103_420:
	s_wait_xcnt 0x0
	s_or_b32 exec_lo, exec_lo, s2
	scratch_load_b64 v[84:85], off, off offset:32
	s_mov_b32 s0, exec_lo
	s_wait_loadcnt 0x0
	ds_store_b64 v1, v[84:85]
	s_wait_storecnt_dscnt 0x0
	s_barrier_signal -1
	s_barrier_wait -1
	s_wait_xcnt 0x0
	v_cmpx_gt_u32_e32 4, v0
	s_cbranch_execz .LBB103_430
; %bb.421:
	v_cmp_ne_u32_e32 vcc_lo, 1, v86
	s_cbranch_vccnz .LBB103_423
; %bb.422:
	scratch_load_b64 v[84:85], v59, off
	ds_load_b64 v[88:89], v1
	s_wait_loadcnt_dscnt 0x0
	v_pk_mul_f32 v[90:91], v[88:89], v[84:85] op_sel:[1,1] op_sel_hi:[0,1]
	s_delay_alu instid0(VALU_DEP_1) | instskip(SKIP_1) | instid1(VALU_DEP_2)
	v_pk_fma_f32 v[92:93], v[88:89], v[84:85], v[90:91] op_sel_hi:[1,0,1]
	v_pk_fma_f32 v[84:85], v[88:89], v[84:85], v[90:91] neg_lo:[0,0,1] neg_hi:[0,0,1]
	v_mov_b32_e32 v85, v93
	s_cbranch_execz .LBB103_424
	s_branch .LBB103_425
.LBB103_423:
                                        ; implicit-def: $vgpr84_vgpr85
.LBB103_424:
	ds_load_b64 v[84:85], v1
.LBB103_425:
	s_mov_b32 s2, exec_lo
	v_cmpx_ne_u32_e32 3, v0
	s_cbranch_execz .LBB103_429
; %bb.426:
	v_add_nc_u32_e32 v87, 0x148, v58
	v_add3_u32 v88, 0, v58, 8
	v_mov_b32_e32 v89, v0
	s_mov_b32 s3, 0
.LBB103_427:                            ; =>This Inner Loop Header: Depth=1
	scratch_load_b64 v[90:91], v88, off
	ds_load_b64 v[92:93], v87
	s_wait_xcnt 0x0
	v_dual_add_nc_u32 v87, 8, v87 :: v_dual_add_nc_u32 v88, 8, v88
	s_wait_loadcnt_dscnt 0x0
	v_pk_mul_f32 v[94:95], v[92:93], v[90:91] op_sel:[1,1] op_sel_hi:[0,1]
	s_delay_alu instid0(VALU_DEP_1) | instskip(SKIP_2) | instid1(VALU_DEP_3)
	v_pk_fma_f32 v[96:97], v[92:93], v[90:91], v[94:95] op_sel_hi:[1,0,1]
	v_add_nc_u32_e32 v89, 1, v89
	v_pk_fma_f32 v[90:91], v[92:93], v[90:91], v[94:95] neg_lo:[0,0,1] neg_hi:[0,0,1]
	v_mov_b32_e32 v91, v97
	s_delay_alu instid0(VALU_DEP_3) | instskip(NEXT) | instid1(VALU_DEP_2)
	v_cmp_lt_u32_e32 vcc_lo, 2, v89
	v_pk_add_f32 v[84:85], v[84:85], v[90:91]
	s_or_b32 s3, vcc_lo, s3
	s_delay_alu instid0(SALU_CYCLE_1)
	s_and_not1_b32 exec_lo, exec_lo, s3
	s_cbranch_execnz .LBB103_427
; %bb.428:
	s_or_b32 exec_lo, exec_lo, s3
.LBB103_429:
	s_delay_alu instid0(SALU_CYCLE_1) | instskip(SKIP_4) | instid1(VALU_DEP_1)
	s_or_b32 exec_lo, exec_lo, s2
	v_mov_b32_e32 v87, 0
	ds_load_b64 v[88:89], v87 offset:32
	s_wait_dscnt 0x0
	v_pk_mul_f32 v[90:91], v[84:85], v[88:89] op_sel:[1,1] op_sel_hi:[0,1]
	v_pk_fma_f32 v[92:93], v[84:85], v[88:89], v[90:91] op_sel_hi:[1,0,1]
	v_pk_fma_f32 v[84:85], v[84:85], v[88:89], v[90:91] neg_lo:[0,0,1] neg_hi:[0,0,1]
	s_delay_alu instid0(VALU_DEP_2)
	v_mov_b32_e32 v85, v93
	scratch_store_b64 off, v[84:85], off offset:32
.LBB103_430:
	s_wait_xcnt 0x0
	s_or_b32 exec_lo, exec_lo, s0
	scratch_load_b64 v[84:85], off, off offset:40
	s_mov_b32 s0, exec_lo
	s_wait_loadcnt 0x0
	ds_store_b64 v1, v[84:85]
	s_wait_storecnt_dscnt 0x0
	s_barrier_signal -1
	s_barrier_wait -1
	s_wait_xcnt 0x0
	v_cmpx_gt_u32_e32 5, v0
	s_cbranch_execz .LBB103_440
; %bb.431:
	v_cmp_ne_u32_e32 vcc_lo, 1, v86
	s_cbranch_vccnz .LBB103_433
; %bb.432:
	scratch_load_b64 v[84:85], v59, off
	ds_load_b64 v[88:89], v1
	s_wait_loadcnt_dscnt 0x0
	v_pk_mul_f32 v[90:91], v[88:89], v[84:85] op_sel:[1,1] op_sel_hi:[0,1]
	s_delay_alu instid0(VALU_DEP_1) | instskip(SKIP_1) | instid1(VALU_DEP_2)
	v_pk_fma_f32 v[92:93], v[88:89], v[84:85], v[90:91] op_sel_hi:[1,0,1]
	v_pk_fma_f32 v[84:85], v[88:89], v[84:85], v[90:91] neg_lo:[0,0,1] neg_hi:[0,0,1]
	v_mov_b32_e32 v85, v93
	s_cbranch_execz .LBB103_434
	s_branch .LBB103_435
.LBB103_433:
                                        ; implicit-def: $vgpr84_vgpr85
.LBB103_434:
	ds_load_b64 v[84:85], v1
.LBB103_435:
	s_mov_b32 s2, exec_lo
	v_cmpx_ne_u32_e32 4, v0
	s_cbranch_execz .LBB103_439
; %bb.436:
	v_add_nc_u32_e32 v87, 0x148, v58
	v_add3_u32 v88, 0, v58, 8
	v_mov_b32_e32 v89, v0
	s_mov_b32 s3, 0
.LBB103_437:                            ; =>This Inner Loop Header: Depth=1
	scratch_load_b64 v[90:91], v88, off
	ds_load_b64 v[92:93], v87
	s_wait_xcnt 0x0
	v_dual_add_nc_u32 v87, 8, v87 :: v_dual_add_nc_u32 v88, 8, v88
	s_wait_loadcnt_dscnt 0x0
	v_pk_mul_f32 v[94:95], v[92:93], v[90:91] op_sel:[1,1] op_sel_hi:[0,1]
	s_delay_alu instid0(VALU_DEP_1) | instskip(SKIP_2) | instid1(VALU_DEP_3)
	v_pk_fma_f32 v[96:97], v[92:93], v[90:91], v[94:95] op_sel_hi:[1,0,1]
	v_add_nc_u32_e32 v89, 1, v89
	v_pk_fma_f32 v[90:91], v[92:93], v[90:91], v[94:95] neg_lo:[0,0,1] neg_hi:[0,0,1]
	v_mov_b32_e32 v91, v97
	s_delay_alu instid0(VALU_DEP_3) | instskip(NEXT) | instid1(VALU_DEP_2)
	v_cmp_lt_u32_e32 vcc_lo, 3, v89
	v_pk_add_f32 v[84:85], v[84:85], v[90:91]
	s_or_b32 s3, vcc_lo, s3
	s_delay_alu instid0(SALU_CYCLE_1)
	s_and_not1_b32 exec_lo, exec_lo, s3
	s_cbranch_execnz .LBB103_437
; %bb.438:
	s_or_b32 exec_lo, exec_lo, s3
.LBB103_439:
	s_delay_alu instid0(SALU_CYCLE_1) | instskip(SKIP_4) | instid1(VALU_DEP_1)
	s_or_b32 exec_lo, exec_lo, s2
	v_mov_b32_e32 v87, 0
	ds_load_b64 v[88:89], v87 offset:40
	s_wait_dscnt 0x0
	v_pk_mul_f32 v[90:91], v[84:85], v[88:89] op_sel:[1,1] op_sel_hi:[0,1]
	v_pk_fma_f32 v[92:93], v[84:85], v[88:89], v[90:91] op_sel_hi:[1,0,1]
	v_pk_fma_f32 v[84:85], v[84:85], v[88:89], v[90:91] neg_lo:[0,0,1] neg_hi:[0,0,1]
	s_delay_alu instid0(VALU_DEP_2)
	v_mov_b32_e32 v85, v93
	scratch_store_b64 off, v[84:85], off offset:40
.LBB103_440:
	s_wait_xcnt 0x0
	s_or_b32 exec_lo, exec_lo, s0
	scratch_load_b64 v[84:85], off, off offset:48
	s_mov_b32 s0, exec_lo
	s_wait_loadcnt 0x0
	ds_store_b64 v1, v[84:85]
	s_wait_storecnt_dscnt 0x0
	s_barrier_signal -1
	s_barrier_wait -1
	s_wait_xcnt 0x0
	v_cmpx_gt_u32_e32 6, v0
	s_cbranch_execz .LBB103_450
; %bb.441:
	v_cmp_ne_u32_e32 vcc_lo, 1, v86
	s_cbranch_vccnz .LBB103_443
; %bb.442:
	scratch_load_b64 v[84:85], v59, off
	ds_load_b64 v[88:89], v1
	s_wait_loadcnt_dscnt 0x0
	v_pk_mul_f32 v[90:91], v[88:89], v[84:85] op_sel:[1,1] op_sel_hi:[0,1]
	s_delay_alu instid0(VALU_DEP_1) | instskip(SKIP_1) | instid1(VALU_DEP_2)
	v_pk_fma_f32 v[92:93], v[88:89], v[84:85], v[90:91] op_sel_hi:[1,0,1]
	v_pk_fma_f32 v[84:85], v[88:89], v[84:85], v[90:91] neg_lo:[0,0,1] neg_hi:[0,0,1]
	v_mov_b32_e32 v85, v93
	s_cbranch_execz .LBB103_444
	s_branch .LBB103_445
.LBB103_443:
                                        ; implicit-def: $vgpr84_vgpr85
.LBB103_444:
	ds_load_b64 v[84:85], v1
.LBB103_445:
	s_mov_b32 s2, exec_lo
	v_cmpx_ne_u32_e32 5, v0
	s_cbranch_execz .LBB103_449
; %bb.446:
	v_add_nc_u32_e32 v87, 0x148, v58
	v_add3_u32 v88, 0, v58, 8
	v_mov_b32_e32 v89, v0
	s_mov_b32 s3, 0
.LBB103_447:                            ; =>This Inner Loop Header: Depth=1
	scratch_load_b64 v[90:91], v88, off
	ds_load_b64 v[92:93], v87
	s_wait_xcnt 0x0
	v_dual_add_nc_u32 v87, 8, v87 :: v_dual_add_nc_u32 v88, 8, v88
	s_wait_loadcnt_dscnt 0x0
	v_pk_mul_f32 v[94:95], v[92:93], v[90:91] op_sel:[1,1] op_sel_hi:[0,1]
	s_delay_alu instid0(VALU_DEP_1) | instskip(SKIP_2) | instid1(VALU_DEP_3)
	v_pk_fma_f32 v[96:97], v[92:93], v[90:91], v[94:95] op_sel_hi:[1,0,1]
	v_add_nc_u32_e32 v89, 1, v89
	v_pk_fma_f32 v[90:91], v[92:93], v[90:91], v[94:95] neg_lo:[0,0,1] neg_hi:[0,0,1]
	v_mov_b32_e32 v91, v97
	s_delay_alu instid0(VALU_DEP_3) | instskip(NEXT) | instid1(VALU_DEP_2)
	v_cmp_lt_u32_e32 vcc_lo, 4, v89
	v_pk_add_f32 v[84:85], v[84:85], v[90:91]
	s_or_b32 s3, vcc_lo, s3
	s_delay_alu instid0(SALU_CYCLE_1)
	s_and_not1_b32 exec_lo, exec_lo, s3
	s_cbranch_execnz .LBB103_447
; %bb.448:
	s_or_b32 exec_lo, exec_lo, s3
.LBB103_449:
	s_delay_alu instid0(SALU_CYCLE_1) | instskip(SKIP_4) | instid1(VALU_DEP_1)
	s_or_b32 exec_lo, exec_lo, s2
	v_mov_b32_e32 v87, 0
	ds_load_b64 v[88:89], v87 offset:48
	s_wait_dscnt 0x0
	v_pk_mul_f32 v[90:91], v[84:85], v[88:89] op_sel:[1,1] op_sel_hi:[0,1]
	v_pk_fma_f32 v[92:93], v[84:85], v[88:89], v[90:91] op_sel_hi:[1,0,1]
	v_pk_fma_f32 v[84:85], v[84:85], v[88:89], v[90:91] neg_lo:[0,0,1] neg_hi:[0,0,1]
	s_delay_alu instid0(VALU_DEP_2)
	v_mov_b32_e32 v85, v93
	scratch_store_b64 off, v[84:85], off offset:48
.LBB103_450:
	s_wait_xcnt 0x0
	s_or_b32 exec_lo, exec_lo, s0
	scratch_load_b64 v[84:85], off, off offset:56
	s_mov_b32 s0, exec_lo
	s_wait_loadcnt 0x0
	ds_store_b64 v1, v[84:85]
	s_wait_storecnt_dscnt 0x0
	s_barrier_signal -1
	s_barrier_wait -1
	s_wait_xcnt 0x0
	v_cmpx_gt_u32_e32 7, v0
	s_cbranch_execz .LBB103_460
; %bb.451:
	v_cmp_ne_u32_e32 vcc_lo, 1, v86
	s_cbranch_vccnz .LBB103_453
; %bb.452:
	scratch_load_b64 v[84:85], v59, off
	ds_load_b64 v[88:89], v1
	s_wait_loadcnt_dscnt 0x0
	v_pk_mul_f32 v[90:91], v[88:89], v[84:85] op_sel:[1,1] op_sel_hi:[0,1]
	s_delay_alu instid0(VALU_DEP_1) | instskip(SKIP_1) | instid1(VALU_DEP_2)
	v_pk_fma_f32 v[92:93], v[88:89], v[84:85], v[90:91] op_sel_hi:[1,0,1]
	v_pk_fma_f32 v[84:85], v[88:89], v[84:85], v[90:91] neg_lo:[0,0,1] neg_hi:[0,0,1]
	v_mov_b32_e32 v85, v93
	s_cbranch_execz .LBB103_454
	s_branch .LBB103_455
.LBB103_453:
                                        ; implicit-def: $vgpr84_vgpr85
.LBB103_454:
	ds_load_b64 v[84:85], v1
.LBB103_455:
	s_mov_b32 s2, exec_lo
	v_cmpx_ne_u32_e32 6, v0
	s_cbranch_execz .LBB103_459
; %bb.456:
	v_add_nc_u32_e32 v87, 0x148, v58
	v_add3_u32 v88, 0, v58, 8
	v_mov_b32_e32 v89, v0
	s_mov_b32 s3, 0
.LBB103_457:                            ; =>This Inner Loop Header: Depth=1
	scratch_load_b64 v[90:91], v88, off
	ds_load_b64 v[92:93], v87
	s_wait_xcnt 0x0
	v_dual_add_nc_u32 v87, 8, v87 :: v_dual_add_nc_u32 v88, 8, v88
	s_wait_loadcnt_dscnt 0x0
	v_pk_mul_f32 v[94:95], v[92:93], v[90:91] op_sel:[1,1] op_sel_hi:[0,1]
	s_delay_alu instid0(VALU_DEP_1) | instskip(SKIP_2) | instid1(VALU_DEP_3)
	v_pk_fma_f32 v[96:97], v[92:93], v[90:91], v[94:95] op_sel_hi:[1,0,1]
	v_add_nc_u32_e32 v89, 1, v89
	v_pk_fma_f32 v[90:91], v[92:93], v[90:91], v[94:95] neg_lo:[0,0,1] neg_hi:[0,0,1]
	v_mov_b32_e32 v91, v97
	s_delay_alu instid0(VALU_DEP_3) | instskip(NEXT) | instid1(VALU_DEP_2)
	v_cmp_lt_u32_e32 vcc_lo, 5, v89
	v_pk_add_f32 v[84:85], v[84:85], v[90:91]
	s_or_b32 s3, vcc_lo, s3
	s_delay_alu instid0(SALU_CYCLE_1)
	s_and_not1_b32 exec_lo, exec_lo, s3
	s_cbranch_execnz .LBB103_457
; %bb.458:
	s_or_b32 exec_lo, exec_lo, s3
.LBB103_459:
	s_delay_alu instid0(SALU_CYCLE_1) | instskip(SKIP_4) | instid1(VALU_DEP_1)
	s_or_b32 exec_lo, exec_lo, s2
	v_mov_b32_e32 v87, 0
	ds_load_b64 v[88:89], v87 offset:56
	s_wait_dscnt 0x0
	v_pk_mul_f32 v[90:91], v[84:85], v[88:89] op_sel:[1,1] op_sel_hi:[0,1]
	v_pk_fma_f32 v[92:93], v[84:85], v[88:89], v[90:91] op_sel_hi:[1,0,1]
	v_pk_fma_f32 v[84:85], v[84:85], v[88:89], v[90:91] neg_lo:[0,0,1] neg_hi:[0,0,1]
	s_delay_alu instid0(VALU_DEP_2)
	v_mov_b32_e32 v85, v93
	scratch_store_b64 off, v[84:85], off offset:56
.LBB103_460:
	s_wait_xcnt 0x0
	s_or_b32 exec_lo, exec_lo, s0
	scratch_load_b64 v[84:85], off, off offset:64
	s_mov_b32 s0, exec_lo
	s_wait_loadcnt 0x0
	ds_store_b64 v1, v[84:85]
	s_wait_storecnt_dscnt 0x0
	s_barrier_signal -1
	s_barrier_wait -1
	s_wait_xcnt 0x0
	v_cmpx_gt_u32_e32 8, v0
	s_cbranch_execz .LBB103_470
; %bb.461:
	v_cmp_ne_u32_e32 vcc_lo, 1, v86
	s_cbranch_vccnz .LBB103_463
; %bb.462:
	scratch_load_b64 v[84:85], v59, off
	ds_load_b64 v[88:89], v1
	s_wait_loadcnt_dscnt 0x0
	v_pk_mul_f32 v[90:91], v[88:89], v[84:85] op_sel:[1,1] op_sel_hi:[0,1]
	s_delay_alu instid0(VALU_DEP_1) | instskip(SKIP_1) | instid1(VALU_DEP_2)
	v_pk_fma_f32 v[92:93], v[88:89], v[84:85], v[90:91] op_sel_hi:[1,0,1]
	v_pk_fma_f32 v[84:85], v[88:89], v[84:85], v[90:91] neg_lo:[0,0,1] neg_hi:[0,0,1]
	v_mov_b32_e32 v85, v93
	s_cbranch_execz .LBB103_464
	s_branch .LBB103_465
.LBB103_463:
                                        ; implicit-def: $vgpr84_vgpr85
.LBB103_464:
	ds_load_b64 v[84:85], v1
.LBB103_465:
	s_mov_b32 s2, exec_lo
	v_cmpx_ne_u32_e32 7, v0
	s_cbranch_execz .LBB103_469
; %bb.466:
	v_add_nc_u32_e32 v87, 0x148, v58
	v_add3_u32 v88, 0, v58, 8
	v_mov_b32_e32 v89, v0
	s_mov_b32 s3, 0
.LBB103_467:                            ; =>This Inner Loop Header: Depth=1
	scratch_load_b64 v[90:91], v88, off
	ds_load_b64 v[92:93], v87
	s_wait_xcnt 0x0
	v_dual_add_nc_u32 v87, 8, v87 :: v_dual_add_nc_u32 v88, 8, v88
	s_wait_loadcnt_dscnt 0x0
	v_pk_mul_f32 v[94:95], v[92:93], v[90:91] op_sel:[1,1] op_sel_hi:[0,1]
	s_delay_alu instid0(VALU_DEP_1) | instskip(SKIP_2) | instid1(VALU_DEP_3)
	v_pk_fma_f32 v[96:97], v[92:93], v[90:91], v[94:95] op_sel_hi:[1,0,1]
	v_add_nc_u32_e32 v89, 1, v89
	v_pk_fma_f32 v[90:91], v[92:93], v[90:91], v[94:95] neg_lo:[0,0,1] neg_hi:[0,0,1]
	v_mov_b32_e32 v91, v97
	s_delay_alu instid0(VALU_DEP_3) | instskip(NEXT) | instid1(VALU_DEP_2)
	v_cmp_lt_u32_e32 vcc_lo, 6, v89
	v_pk_add_f32 v[84:85], v[84:85], v[90:91]
	s_or_b32 s3, vcc_lo, s3
	s_delay_alu instid0(SALU_CYCLE_1)
	s_and_not1_b32 exec_lo, exec_lo, s3
	s_cbranch_execnz .LBB103_467
; %bb.468:
	s_or_b32 exec_lo, exec_lo, s3
.LBB103_469:
	s_delay_alu instid0(SALU_CYCLE_1) | instskip(SKIP_4) | instid1(VALU_DEP_1)
	s_or_b32 exec_lo, exec_lo, s2
	v_mov_b32_e32 v87, 0
	ds_load_b64 v[88:89], v87 offset:64
	s_wait_dscnt 0x0
	v_pk_mul_f32 v[90:91], v[84:85], v[88:89] op_sel:[1,1] op_sel_hi:[0,1]
	v_pk_fma_f32 v[92:93], v[84:85], v[88:89], v[90:91] op_sel_hi:[1,0,1]
	v_pk_fma_f32 v[84:85], v[84:85], v[88:89], v[90:91] neg_lo:[0,0,1] neg_hi:[0,0,1]
	s_delay_alu instid0(VALU_DEP_2)
	v_mov_b32_e32 v85, v93
	scratch_store_b64 off, v[84:85], off offset:64
.LBB103_470:
	s_wait_xcnt 0x0
	s_or_b32 exec_lo, exec_lo, s0
	scratch_load_b64 v[84:85], off, off offset:72
	s_mov_b32 s0, exec_lo
	s_wait_loadcnt 0x0
	ds_store_b64 v1, v[84:85]
	s_wait_storecnt_dscnt 0x0
	s_barrier_signal -1
	s_barrier_wait -1
	s_wait_xcnt 0x0
	v_cmpx_gt_u32_e32 9, v0
	s_cbranch_execz .LBB103_480
; %bb.471:
	v_cmp_ne_u32_e32 vcc_lo, 1, v86
	s_cbranch_vccnz .LBB103_473
; %bb.472:
	scratch_load_b64 v[84:85], v59, off
	ds_load_b64 v[88:89], v1
	s_wait_loadcnt_dscnt 0x0
	v_pk_mul_f32 v[90:91], v[88:89], v[84:85] op_sel:[1,1] op_sel_hi:[0,1]
	s_delay_alu instid0(VALU_DEP_1) | instskip(SKIP_1) | instid1(VALU_DEP_2)
	v_pk_fma_f32 v[92:93], v[88:89], v[84:85], v[90:91] op_sel_hi:[1,0,1]
	v_pk_fma_f32 v[84:85], v[88:89], v[84:85], v[90:91] neg_lo:[0,0,1] neg_hi:[0,0,1]
	v_mov_b32_e32 v85, v93
	s_cbranch_execz .LBB103_474
	s_branch .LBB103_475
.LBB103_473:
                                        ; implicit-def: $vgpr84_vgpr85
.LBB103_474:
	ds_load_b64 v[84:85], v1
.LBB103_475:
	s_mov_b32 s2, exec_lo
	v_cmpx_ne_u32_e32 8, v0
	s_cbranch_execz .LBB103_479
; %bb.476:
	v_add_nc_u32_e32 v87, 0x148, v58
	v_add3_u32 v88, 0, v58, 8
	v_mov_b32_e32 v89, v0
	s_mov_b32 s3, 0
.LBB103_477:                            ; =>This Inner Loop Header: Depth=1
	scratch_load_b64 v[90:91], v88, off
	ds_load_b64 v[92:93], v87
	s_wait_xcnt 0x0
	v_dual_add_nc_u32 v87, 8, v87 :: v_dual_add_nc_u32 v88, 8, v88
	s_wait_loadcnt_dscnt 0x0
	v_pk_mul_f32 v[94:95], v[92:93], v[90:91] op_sel:[1,1] op_sel_hi:[0,1]
	s_delay_alu instid0(VALU_DEP_1) | instskip(SKIP_2) | instid1(VALU_DEP_3)
	v_pk_fma_f32 v[96:97], v[92:93], v[90:91], v[94:95] op_sel_hi:[1,0,1]
	v_add_nc_u32_e32 v89, 1, v89
	v_pk_fma_f32 v[90:91], v[92:93], v[90:91], v[94:95] neg_lo:[0,0,1] neg_hi:[0,0,1]
	v_mov_b32_e32 v91, v97
	s_delay_alu instid0(VALU_DEP_3) | instskip(NEXT) | instid1(VALU_DEP_2)
	v_cmp_lt_u32_e32 vcc_lo, 7, v89
	v_pk_add_f32 v[84:85], v[84:85], v[90:91]
	s_or_b32 s3, vcc_lo, s3
	s_delay_alu instid0(SALU_CYCLE_1)
	s_and_not1_b32 exec_lo, exec_lo, s3
	s_cbranch_execnz .LBB103_477
; %bb.478:
	s_or_b32 exec_lo, exec_lo, s3
.LBB103_479:
	s_delay_alu instid0(SALU_CYCLE_1) | instskip(SKIP_4) | instid1(VALU_DEP_1)
	s_or_b32 exec_lo, exec_lo, s2
	v_mov_b32_e32 v87, 0
	ds_load_b64 v[88:89], v87 offset:72
	s_wait_dscnt 0x0
	v_pk_mul_f32 v[90:91], v[84:85], v[88:89] op_sel:[1,1] op_sel_hi:[0,1]
	v_pk_fma_f32 v[92:93], v[84:85], v[88:89], v[90:91] op_sel_hi:[1,0,1]
	v_pk_fma_f32 v[84:85], v[84:85], v[88:89], v[90:91] neg_lo:[0,0,1] neg_hi:[0,0,1]
	s_delay_alu instid0(VALU_DEP_2)
	v_mov_b32_e32 v85, v93
	scratch_store_b64 off, v[84:85], off offset:72
.LBB103_480:
	s_wait_xcnt 0x0
	s_or_b32 exec_lo, exec_lo, s0
	scratch_load_b64 v[84:85], off, off offset:80
	s_mov_b32 s0, exec_lo
	s_wait_loadcnt 0x0
	ds_store_b64 v1, v[84:85]
	s_wait_storecnt_dscnt 0x0
	s_barrier_signal -1
	s_barrier_wait -1
	s_wait_xcnt 0x0
	v_cmpx_gt_u32_e32 10, v0
	s_cbranch_execz .LBB103_490
; %bb.481:
	v_cmp_ne_u32_e32 vcc_lo, 1, v86
	s_cbranch_vccnz .LBB103_483
; %bb.482:
	scratch_load_b64 v[84:85], v59, off
	ds_load_b64 v[88:89], v1
	s_wait_loadcnt_dscnt 0x0
	v_pk_mul_f32 v[90:91], v[88:89], v[84:85] op_sel:[1,1] op_sel_hi:[0,1]
	s_delay_alu instid0(VALU_DEP_1) | instskip(SKIP_1) | instid1(VALU_DEP_2)
	v_pk_fma_f32 v[92:93], v[88:89], v[84:85], v[90:91] op_sel_hi:[1,0,1]
	v_pk_fma_f32 v[84:85], v[88:89], v[84:85], v[90:91] neg_lo:[0,0,1] neg_hi:[0,0,1]
	v_mov_b32_e32 v85, v93
	s_cbranch_execz .LBB103_484
	s_branch .LBB103_485
.LBB103_483:
                                        ; implicit-def: $vgpr84_vgpr85
.LBB103_484:
	ds_load_b64 v[84:85], v1
.LBB103_485:
	s_mov_b32 s2, exec_lo
	v_cmpx_ne_u32_e32 9, v0
	s_cbranch_execz .LBB103_489
; %bb.486:
	v_add_nc_u32_e32 v87, 0x148, v58
	v_add3_u32 v88, 0, v58, 8
	v_mov_b32_e32 v89, v0
	s_mov_b32 s3, 0
.LBB103_487:                            ; =>This Inner Loop Header: Depth=1
	scratch_load_b64 v[90:91], v88, off
	ds_load_b64 v[92:93], v87
	s_wait_xcnt 0x0
	v_dual_add_nc_u32 v87, 8, v87 :: v_dual_add_nc_u32 v88, 8, v88
	s_wait_loadcnt_dscnt 0x0
	v_pk_mul_f32 v[94:95], v[92:93], v[90:91] op_sel:[1,1] op_sel_hi:[0,1]
	s_delay_alu instid0(VALU_DEP_1) | instskip(SKIP_2) | instid1(VALU_DEP_3)
	v_pk_fma_f32 v[96:97], v[92:93], v[90:91], v[94:95] op_sel_hi:[1,0,1]
	v_add_nc_u32_e32 v89, 1, v89
	v_pk_fma_f32 v[90:91], v[92:93], v[90:91], v[94:95] neg_lo:[0,0,1] neg_hi:[0,0,1]
	v_mov_b32_e32 v91, v97
	s_delay_alu instid0(VALU_DEP_3) | instskip(NEXT) | instid1(VALU_DEP_2)
	v_cmp_lt_u32_e32 vcc_lo, 8, v89
	v_pk_add_f32 v[84:85], v[84:85], v[90:91]
	s_or_b32 s3, vcc_lo, s3
	s_delay_alu instid0(SALU_CYCLE_1)
	s_and_not1_b32 exec_lo, exec_lo, s3
	s_cbranch_execnz .LBB103_487
; %bb.488:
	s_or_b32 exec_lo, exec_lo, s3
.LBB103_489:
	s_delay_alu instid0(SALU_CYCLE_1) | instskip(SKIP_4) | instid1(VALU_DEP_1)
	s_or_b32 exec_lo, exec_lo, s2
	v_mov_b32_e32 v87, 0
	ds_load_b64 v[88:89], v87 offset:80
	s_wait_dscnt 0x0
	v_pk_mul_f32 v[90:91], v[84:85], v[88:89] op_sel:[1,1] op_sel_hi:[0,1]
	v_pk_fma_f32 v[92:93], v[84:85], v[88:89], v[90:91] op_sel_hi:[1,0,1]
	v_pk_fma_f32 v[84:85], v[84:85], v[88:89], v[90:91] neg_lo:[0,0,1] neg_hi:[0,0,1]
	s_delay_alu instid0(VALU_DEP_2)
	v_mov_b32_e32 v85, v93
	scratch_store_b64 off, v[84:85], off offset:80
.LBB103_490:
	s_wait_xcnt 0x0
	s_or_b32 exec_lo, exec_lo, s0
	scratch_load_b64 v[84:85], off, off offset:88
	s_mov_b32 s0, exec_lo
	s_wait_loadcnt 0x0
	ds_store_b64 v1, v[84:85]
	s_wait_storecnt_dscnt 0x0
	s_barrier_signal -1
	s_barrier_wait -1
	s_wait_xcnt 0x0
	v_cmpx_gt_u32_e32 11, v0
	s_cbranch_execz .LBB103_500
; %bb.491:
	v_cmp_ne_u32_e32 vcc_lo, 1, v86
	s_cbranch_vccnz .LBB103_493
; %bb.492:
	scratch_load_b64 v[84:85], v59, off
	ds_load_b64 v[88:89], v1
	s_wait_loadcnt_dscnt 0x0
	v_pk_mul_f32 v[90:91], v[88:89], v[84:85] op_sel:[1,1] op_sel_hi:[0,1]
	s_delay_alu instid0(VALU_DEP_1) | instskip(SKIP_1) | instid1(VALU_DEP_2)
	v_pk_fma_f32 v[92:93], v[88:89], v[84:85], v[90:91] op_sel_hi:[1,0,1]
	v_pk_fma_f32 v[84:85], v[88:89], v[84:85], v[90:91] neg_lo:[0,0,1] neg_hi:[0,0,1]
	v_mov_b32_e32 v85, v93
	s_cbranch_execz .LBB103_494
	s_branch .LBB103_495
.LBB103_493:
                                        ; implicit-def: $vgpr84_vgpr85
.LBB103_494:
	ds_load_b64 v[84:85], v1
.LBB103_495:
	s_mov_b32 s2, exec_lo
	v_cmpx_ne_u32_e32 10, v0
	s_cbranch_execz .LBB103_499
; %bb.496:
	v_add_nc_u32_e32 v87, 0x148, v58
	v_add3_u32 v88, 0, v58, 8
	v_mov_b32_e32 v89, v0
	s_mov_b32 s3, 0
.LBB103_497:                            ; =>This Inner Loop Header: Depth=1
	scratch_load_b64 v[90:91], v88, off
	ds_load_b64 v[92:93], v87
	s_wait_xcnt 0x0
	v_dual_add_nc_u32 v87, 8, v87 :: v_dual_add_nc_u32 v88, 8, v88
	s_wait_loadcnt_dscnt 0x0
	v_pk_mul_f32 v[94:95], v[92:93], v[90:91] op_sel:[1,1] op_sel_hi:[0,1]
	s_delay_alu instid0(VALU_DEP_1) | instskip(SKIP_2) | instid1(VALU_DEP_3)
	v_pk_fma_f32 v[96:97], v[92:93], v[90:91], v[94:95] op_sel_hi:[1,0,1]
	v_add_nc_u32_e32 v89, 1, v89
	v_pk_fma_f32 v[90:91], v[92:93], v[90:91], v[94:95] neg_lo:[0,0,1] neg_hi:[0,0,1]
	v_mov_b32_e32 v91, v97
	s_delay_alu instid0(VALU_DEP_3) | instskip(NEXT) | instid1(VALU_DEP_2)
	v_cmp_lt_u32_e32 vcc_lo, 9, v89
	v_pk_add_f32 v[84:85], v[84:85], v[90:91]
	s_or_b32 s3, vcc_lo, s3
	s_delay_alu instid0(SALU_CYCLE_1)
	s_and_not1_b32 exec_lo, exec_lo, s3
	s_cbranch_execnz .LBB103_497
; %bb.498:
	s_or_b32 exec_lo, exec_lo, s3
.LBB103_499:
	s_delay_alu instid0(SALU_CYCLE_1) | instskip(SKIP_4) | instid1(VALU_DEP_1)
	s_or_b32 exec_lo, exec_lo, s2
	v_mov_b32_e32 v87, 0
	ds_load_b64 v[88:89], v87 offset:88
	s_wait_dscnt 0x0
	v_pk_mul_f32 v[90:91], v[84:85], v[88:89] op_sel:[1,1] op_sel_hi:[0,1]
	v_pk_fma_f32 v[92:93], v[84:85], v[88:89], v[90:91] op_sel_hi:[1,0,1]
	v_pk_fma_f32 v[84:85], v[84:85], v[88:89], v[90:91] neg_lo:[0,0,1] neg_hi:[0,0,1]
	s_delay_alu instid0(VALU_DEP_2)
	v_mov_b32_e32 v85, v93
	scratch_store_b64 off, v[84:85], off offset:88
.LBB103_500:
	s_wait_xcnt 0x0
	s_or_b32 exec_lo, exec_lo, s0
	scratch_load_b64 v[84:85], off, off offset:96
	s_mov_b32 s0, exec_lo
	s_wait_loadcnt 0x0
	ds_store_b64 v1, v[84:85]
	s_wait_storecnt_dscnt 0x0
	s_barrier_signal -1
	s_barrier_wait -1
	s_wait_xcnt 0x0
	v_cmpx_gt_u32_e32 12, v0
	s_cbranch_execz .LBB103_510
; %bb.501:
	v_cmp_ne_u32_e32 vcc_lo, 1, v86
	s_cbranch_vccnz .LBB103_503
; %bb.502:
	scratch_load_b64 v[84:85], v59, off
	ds_load_b64 v[88:89], v1
	s_wait_loadcnt_dscnt 0x0
	v_pk_mul_f32 v[90:91], v[88:89], v[84:85] op_sel:[1,1] op_sel_hi:[0,1]
	s_delay_alu instid0(VALU_DEP_1) | instskip(SKIP_1) | instid1(VALU_DEP_2)
	v_pk_fma_f32 v[92:93], v[88:89], v[84:85], v[90:91] op_sel_hi:[1,0,1]
	v_pk_fma_f32 v[84:85], v[88:89], v[84:85], v[90:91] neg_lo:[0,0,1] neg_hi:[0,0,1]
	v_mov_b32_e32 v85, v93
	s_cbranch_execz .LBB103_504
	s_branch .LBB103_505
.LBB103_503:
                                        ; implicit-def: $vgpr84_vgpr85
.LBB103_504:
	ds_load_b64 v[84:85], v1
.LBB103_505:
	s_mov_b32 s2, exec_lo
	v_cmpx_ne_u32_e32 11, v0
	s_cbranch_execz .LBB103_509
; %bb.506:
	v_add_nc_u32_e32 v87, 0x148, v58
	v_add3_u32 v88, 0, v58, 8
	v_mov_b32_e32 v89, v0
	s_mov_b32 s3, 0
.LBB103_507:                            ; =>This Inner Loop Header: Depth=1
	scratch_load_b64 v[90:91], v88, off
	ds_load_b64 v[92:93], v87
	s_wait_xcnt 0x0
	v_dual_add_nc_u32 v87, 8, v87 :: v_dual_add_nc_u32 v88, 8, v88
	s_wait_loadcnt_dscnt 0x0
	v_pk_mul_f32 v[94:95], v[92:93], v[90:91] op_sel:[1,1] op_sel_hi:[0,1]
	s_delay_alu instid0(VALU_DEP_1) | instskip(SKIP_2) | instid1(VALU_DEP_3)
	v_pk_fma_f32 v[96:97], v[92:93], v[90:91], v[94:95] op_sel_hi:[1,0,1]
	v_add_nc_u32_e32 v89, 1, v89
	v_pk_fma_f32 v[90:91], v[92:93], v[90:91], v[94:95] neg_lo:[0,0,1] neg_hi:[0,0,1]
	v_mov_b32_e32 v91, v97
	s_delay_alu instid0(VALU_DEP_3) | instskip(NEXT) | instid1(VALU_DEP_2)
	v_cmp_lt_u32_e32 vcc_lo, 10, v89
	v_pk_add_f32 v[84:85], v[84:85], v[90:91]
	s_or_b32 s3, vcc_lo, s3
	s_delay_alu instid0(SALU_CYCLE_1)
	s_and_not1_b32 exec_lo, exec_lo, s3
	s_cbranch_execnz .LBB103_507
; %bb.508:
	s_or_b32 exec_lo, exec_lo, s3
.LBB103_509:
	s_delay_alu instid0(SALU_CYCLE_1) | instskip(SKIP_4) | instid1(VALU_DEP_1)
	s_or_b32 exec_lo, exec_lo, s2
	v_mov_b32_e32 v87, 0
	ds_load_b64 v[88:89], v87 offset:96
	s_wait_dscnt 0x0
	v_pk_mul_f32 v[90:91], v[84:85], v[88:89] op_sel:[1,1] op_sel_hi:[0,1]
	v_pk_fma_f32 v[92:93], v[84:85], v[88:89], v[90:91] op_sel_hi:[1,0,1]
	v_pk_fma_f32 v[84:85], v[84:85], v[88:89], v[90:91] neg_lo:[0,0,1] neg_hi:[0,0,1]
	s_delay_alu instid0(VALU_DEP_2)
	v_mov_b32_e32 v85, v93
	scratch_store_b64 off, v[84:85], off offset:96
.LBB103_510:
	s_wait_xcnt 0x0
	s_or_b32 exec_lo, exec_lo, s0
	scratch_load_b64 v[84:85], off, off offset:104
	s_mov_b32 s0, exec_lo
	s_wait_loadcnt 0x0
	ds_store_b64 v1, v[84:85]
	s_wait_storecnt_dscnt 0x0
	s_barrier_signal -1
	s_barrier_wait -1
	s_wait_xcnt 0x0
	v_cmpx_gt_u32_e32 13, v0
	s_cbranch_execz .LBB103_520
; %bb.511:
	v_cmp_ne_u32_e32 vcc_lo, 1, v86
	s_cbranch_vccnz .LBB103_513
; %bb.512:
	scratch_load_b64 v[84:85], v59, off
	ds_load_b64 v[88:89], v1
	s_wait_loadcnt_dscnt 0x0
	v_pk_mul_f32 v[90:91], v[88:89], v[84:85] op_sel:[1,1] op_sel_hi:[0,1]
	s_delay_alu instid0(VALU_DEP_1) | instskip(SKIP_1) | instid1(VALU_DEP_2)
	v_pk_fma_f32 v[92:93], v[88:89], v[84:85], v[90:91] op_sel_hi:[1,0,1]
	v_pk_fma_f32 v[84:85], v[88:89], v[84:85], v[90:91] neg_lo:[0,0,1] neg_hi:[0,0,1]
	v_mov_b32_e32 v85, v93
	s_cbranch_execz .LBB103_514
	s_branch .LBB103_515
.LBB103_513:
                                        ; implicit-def: $vgpr84_vgpr85
.LBB103_514:
	ds_load_b64 v[84:85], v1
.LBB103_515:
	s_mov_b32 s2, exec_lo
	v_cmpx_ne_u32_e32 12, v0
	s_cbranch_execz .LBB103_519
; %bb.516:
	v_add_nc_u32_e32 v87, 0x148, v58
	v_add3_u32 v88, 0, v58, 8
	v_mov_b32_e32 v89, v0
	s_mov_b32 s3, 0
.LBB103_517:                            ; =>This Inner Loop Header: Depth=1
	scratch_load_b64 v[90:91], v88, off
	ds_load_b64 v[92:93], v87
	s_wait_xcnt 0x0
	v_dual_add_nc_u32 v87, 8, v87 :: v_dual_add_nc_u32 v88, 8, v88
	s_wait_loadcnt_dscnt 0x0
	v_pk_mul_f32 v[94:95], v[92:93], v[90:91] op_sel:[1,1] op_sel_hi:[0,1]
	s_delay_alu instid0(VALU_DEP_1) | instskip(SKIP_2) | instid1(VALU_DEP_3)
	v_pk_fma_f32 v[96:97], v[92:93], v[90:91], v[94:95] op_sel_hi:[1,0,1]
	v_add_nc_u32_e32 v89, 1, v89
	v_pk_fma_f32 v[90:91], v[92:93], v[90:91], v[94:95] neg_lo:[0,0,1] neg_hi:[0,0,1]
	v_mov_b32_e32 v91, v97
	s_delay_alu instid0(VALU_DEP_3) | instskip(NEXT) | instid1(VALU_DEP_2)
	v_cmp_lt_u32_e32 vcc_lo, 11, v89
	v_pk_add_f32 v[84:85], v[84:85], v[90:91]
	s_or_b32 s3, vcc_lo, s3
	s_delay_alu instid0(SALU_CYCLE_1)
	s_and_not1_b32 exec_lo, exec_lo, s3
	s_cbranch_execnz .LBB103_517
; %bb.518:
	s_or_b32 exec_lo, exec_lo, s3
.LBB103_519:
	s_delay_alu instid0(SALU_CYCLE_1) | instskip(SKIP_4) | instid1(VALU_DEP_1)
	s_or_b32 exec_lo, exec_lo, s2
	v_mov_b32_e32 v87, 0
	ds_load_b64 v[88:89], v87 offset:104
	s_wait_dscnt 0x0
	v_pk_mul_f32 v[90:91], v[84:85], v[88:89] op_sel:[1,1] op_sel_hi:[0,1]
	v_pk_fma_f32 v[92:93], v[84:85], v[88:89], v[90:91] op_sel_hi:[1,0,1]
	v_pk_fma_f32 v[84:85], v[84:85], v[88:89], v[90:91] neg_lo:[0,0,1] neg_hi:[0,0,1]
	s_delay_alu instid0(VALU_DEP_2)
	v_mov_b32_e32 v85, v93
	scratch_store_b64 off, v[84:85], off offset:104
.LBB103_520:
	s_wait_xcnt 0x0
	s_or_b32 exec_lo, exec_lo, s0
	scratch_load_b64 v[84:85], off, off offset:112
	s_mov_b32 s0, exec_lo
	s_wait_loadcnt 0x0
	ds_store_b64 v1, v[84:85]
	s_wait_storecnt_dscnt 0x0
	s_barrier_signal -1
	s_barrier_wait -1
	s_wait_xcnt 0x0
	v_cmpx_gt_u32_e32 14, v0
	s_cbranch_execz .LBB103_530
; %bb.521:
	v_cmp_ne_u32_e32 vcc_lo, 1, v86
	s_cbranch_vccnz .LBB103_523
; %bb.522:
	scratch_load_b64 v[84:85], v59, off
	ds_load_b64 v[88:89], v1
	s_wait_loadcnt_dscnt 0x0
	v_pk_mul_f32 v[90:91], v[88:89], v[84:85] op_sel:[1,1] op_sel_hi:[0,1]
	s_delay_alu instid0(VALU_DEP_1) | instskip(SKIP_1) | instid1(VALU_DEP_2)
	v_pk_fma_f32 v[92:93], v[88:89], v[84:85], v[90:91] op_sel_hi:[1,0,1]
	v_pk_fma_f32 v[84:85], v[88:89], v[84:85], v[90:91] neg_lo:[0,0,1] neg_hi:[0,0,1]
	v_mov_b32_e32 v85, v93
	s_cbranch_execz .LBB103_524
	s_branch .LBB103_525
.LBB103_523:
                                        ; implicit-def: $vgpr84_vgpr85
.LBB103_524:
	ds_load_b64 v[84:85], v1
.LBB103_525:
	s_mov_b32 s2, exec_lo
	v_cmpx_ne_u32_e32 13, v0
	s_cbranch_execz .LBB103_529
; %bb.526:
	v_add_nc_u32_e32 v87, 0x148, v58
	v_add3_u32 v88, 0, v58, 8
	v_mov_b32_e32 v89, v0
	s_mov_b32 s3, 0
.LBB103_527:                            ; =>This Inner Loop Header: Depth=1
	scratch_load_b64 v[90:91], v88, off
	ds_load_b64 v[92:93], v87
	s_wait_xcnt 0x0
	v_dual_add_nc_u32 v87, 8, v87 :: v_dual_add_nc_u32 v88, 8, v88
	s_wait_loadcnt_dscnt 0x0
	v_pk_mul_f32 v[94:95], v[92:93], v[90:91] op_sel:[1,1] op_sel_hi:[0,1]
	s_delay_alu instid0(VALU_DEP_1) | instskip(SKIP_2) | instid1(VALU_DEP_3)
	v_pk_fma_f32 v[96:97], v[92:93], v[90:91], v[94:95] op_sel_hi:[1,0,1]
	v_add_nc_u32_e32 v89, 1, v89
	v_pk_fma_f32 v[90:91], v[92:93], v[90:91], v[94:95] neg_lo:[0,0,1] neg_hi:[0,0,1]
	v_mov_b32_e32 v91, v97
	s_delay_alu instid0(VALU_DEP_3) | instskip(NEXT) | instid1(VALU_DEP_2)
	v_cmp_lt_u32_e32 vcc_lo, 12, v89
	v_pk_add_f32 v[84:85], v[84:85], v[90:91]
	s_or_b32 s3, vcc_lo, s3
	s_delay_alu instid0(SALU_CYCLE_1)
	s_and_not1_b32 exec_lo, exec_lo, s3
	s_cbranch_execnz .LBB103_527
; %bb.528:
	s_or_b32 exec_lo, exec_lo, s3
.LBB103_529:
	s_delay_alu instid0(SALU_CYCLE_1) | instskip(SKIP_4) | instid1(VALU_DEP_1)
	s_or_b32 exec_lo, exec_lo, s2
	v_mov_b32_e32 v87, 0
	ds_load_b64 v[88:89], v87 offset:112
	s_wait_dscnt 0x0
	v_pk_mul_f32 v[90:91], v[84:85], v[88:89] op_sel:[1,1] op_sel_hi:[0,1]
	v_pk_fma_f32 v[92:93], v[84:85], v[88:89], v[90:91] op_sel_hi:[1,0,1]
	v_pk_fma_f32 v[84:85], v[84:85], v[88:89], v[90:91] neg_lo:[0,0,1] neg_hi:[0,0,1]
	s_delay_alu instid0(VALU_DEP_2)
	v_mov_b32_e32 v85, v93
	scratch_store_b64 off, v[84:85], off offset:112
.LBB103_530:
	s_wait_xcnt 0x0
	s_or_b32 exec_lo, exec_lo, s0
	scratch_load_b64 v[84:85], off, off offset:120
	s_mov_b32 s0, exec_lo
	s_wait_loadcnt 0x0
	ds_store_b64 v1, v[84:85]
	s_wait_storecnt_dscnt 0x0
	s_barrier_signal -1
	s_barrier_wait -1
	s_wait_xcnt 0x0
	v_cmpx_gt_u32_e32 15, v0
	s_cbranch_execz .LBB103_540
; %bb.531:
	v_cmp_ne_u32_e32 vcc_lo, 1, v86
	s_cbranch_vccnz .LBB103_533
; %bb.532:
	scratch_load_b64 v[84:85], v59, off
	ds_load_b64 v[88:89], v1
	s_wait_loadcnt_dscnt 0x0
	v_pk_mul_f32 v[90:91], v[88:89], v[84:85] op_sel:[1,1] op_sel_hi:[0,1]
	s_delay_alu instid0(VALU_DEP_1) | instskip(SKIP_1) | instid1(VALU_DEP_2)
	v_pk_fma_f32 v[92:93], v[88:89], v[84:85], v[90:91] op_sel_hi:[1,0,1]
	v_pk_fma_f32 v[84:85], v[88:89], v[84:85], v[90:91] neg_lo:[0,0,1] neg_hi:[0,0,1]
	v_mov_b32_e32 v85, v93
	s_cbranch_execz .LBB103_534
	s_branch .LBB103_535
.LBB103_533:
                                        ; implicit-def: $vgpr84_vgpr85
.LBB103_534:
	ds_load_b64 v[84:85], v1
.LBB103_535:
	s_mov_b32 s2, exec_lo
	v_cmpx_ne_u32_e32 14, v0
	s_cbranch_execz .LBB103_539
; %bb.536:
	v_add_nc_u32_e32 v87, 0x148, v58
	v_add3_u32 v88, 0, v58, 8
	v_mov_b32_e32 v89, v0
	s_mov_b32 s3, 0
.LBB103_537:                            ; =>This Inner Loop Header: Depth=1
	scratch_load_b64 v[90:91], v88, off
	ds_load_b64 v[92:93], v87
	s_wait_xcnt 0x0
	v_dual_add_nc_u32 v87, 8, v87 :: v_dual_add_nc_u32 v88, 8, v88
	s_wait_loadcnt_dscnt 0x0
	v_pk_mul_f32 v[94:95], v[92:93], v[90:91] op_sel:[1,1] op_sel_hi:[0,1]
	s_delay_alu instid0(VALU_DEP_1) | instskip(SKIP_2) | instid1(VALU_DEP_3)
	v_pk_fma_f32 v[96:97], v[92:93], v[90:91], v[94:95] op_sel_hi:[1,0,1]
	v_add_nc_u32_e32 v89, 1, v89
	v_pk_fma_f32 v[90:91], v[92:93], v[90:91], v[94:95] neg_lo:[0,0,1] neg_hi:[0,0,1]
	v_mov_b32_e32 v91, v97
	s_delay_alu instid0(VALU_DEP_3) | instskip(NEXT) | instid1(VALU_DEP_2)
	v_cmp_lt_u32_e32 vcc_lo, 13, v89
	v_pk_add_f32 v[84:85], v[84:85], v[90:91]
	s_or_b32 s3, vcc_lo, s3
	s_delay_alu instid0(SALU_CYCLE_1)
	s_and_not1_b32 exec_lo, exec_lo, s3
	s_cbranch_execnz .LBB103_537
; %bb.538:
	s_or_b32 exec_lo, exec_lo, s3
.LBB103_539:
	s_delay_alu instid0(SALU_CYCLE_1) | instskip(SKIP_4) | instid1(VALU_DEP_1)
	s_or_b32 exec_lo, exec_lo, s2
	v_mov_b32_e32 v87, 0
	ds_load_b64 v[88:89], v87 offset:120
	s_wait_dscnt 0x0
	v_pk_mul_f32 v[90:91], v[84:85], v[88:89] op_sel:[1,1] op_sel_hi:[0,1]
	v_pk_fma_f32 v[92:93], v[84:85], v[88:89], v[90:91] op_sel_hi:[1,0,1]
	v_pk_fma_f32 v[84:85], v[84:85], v[88:89], v[90:91] neg_lo:[0,0,1] neg_hi:[0,0,1]
	s_delay_alu instid0(VALU_DEP_2)
	v_mov_b32_e32 v85, v93
	scratch_store_b64 off, v[84:85], off offset:120
.LBB103_540:
	s_wait_xcnt 0x0
	s_or_b32 exec_lo, exec_lo, s0
	scratch_load_b64 v[84:85], off, off offset:128
	s_mov_b32 s0, exec_lo
	s_wait_loadcnt 0x0
	ds_store_b64 v1, v[84:85]
	s_wait_storecnt_dscnt 0x0
	s_barrier_signal -1
	s_barrier_wait -1
	s_wait_xcnt 0x0
	v_cmpx_gt_u32_e32 16, v0
	s_cbranch_execz .LBB103_550
; %bb.541:
	v_cmp_ne_u32_e32 vcc_lo, 1, v86
	s_cbranch_vccnz .LBB103_543
; %bb.542:
	scratch_load_b64 v[84:85], v59, off
	ds_load_b64 v[88:89], v1
	s_wait_loadcnt_dscnt 0x0
	v_pk_mul_f32 v[90:91], v[88:89], v[84:85] op_sel:[1,1] op_sel_hi:[0,1]
	s_delay_alu instid0(VALU_DEP_1) | instskip(SKIP_1) | instid1(VALU_DEP_2)
	v_pk_fma_f32 v[92:93], v[88:89], v[84:85], v[90:91] op_sel_hi:[1,0,1]
	v_pk_fma_f32 v[84:85], v[88:89], v[84:85], v[90:91] neg_lo:[0,0,1] neg_hi:[0,0,1]
	v_mov_b32_e32 v85, v93
	s_cbranch_execz .LBB103_544
	s_branch .LBB103_545
.LBB103_543:
                                        ; implicit-def: $vgpr84_vgpr85
.LBB103_544:
	ds_load_b64 v[84:85], v1
.LBB103_545:
	s_mov_b32 s2, exec_lo
	v_cmpx_ne_u32_e32 15, v0
	s_cbranch_execz .LBB103_549
; %bb.546:
	v_add_nc_u32_e32 v87, 0x148, v58
	v_add3_u32 v88, 0, v58, 8
	v_mov_b32_e32 v89, v0
	s_mov_b32 s3, 0
.LBB103_547:                            ; =>This Inner Loop Header: Depth=1
	scratch_load_b64 v[90:91], v88, off
	ds_load_b64 v[92:93], v87
	s_wait_xcnt 0x0
	v_dual_add_nc_u32 v87, 8, v87 :: v_dual_add_nc_u32 v88, 8, v88
	s_wait_loadcnt_dscnt 0x0
	v_pk_mul_f32 v[94:95], v[92:93], v[90:91] op_sel:[1,1] op_sel_hi:[0,1]
	s_delay_alu instid0(VALU_DEP_1) | instskip(SKIP_2) | instid1(VALU_DEP_3)
	v_pk_fma_f32 v[96:97], v[92:93], v[90:91], v[94:95] op_sel_hi:[1,0,1]
	v_add_nc_u32_e32 v89, 1, v89
	v_pk_fma_f32 v[90:91], v[92:93], v[90:91], v[94:95] neg_lo:[0,0,1] neg_hi:[0,0,1]
	v_mov_b32_e32 v91, v97
	s_delay_alu instid0(VALU_DEP_3) | instskip(NEXT) | instid1(VALU_DEP_2)
	v_cmp_lt_u32_e32 vcc_lo, 14, v89
	v_pk_add_f32 v[84:85], v[84:85], v[90:91]
	s_or_b32 s3, vcc_lo, s3
	s_delay_alu instid0(SALU_CYCLE_1)
	s_and_not1_b32 exec_lo, exec_lo, s3
	s_cbranch_execnz .LBB103_547
; %bb.548:
	s_or_b32 exec_lo, exec_lo, s3
.LBB103_549:
	s_delay_alu instid0(SALU_CYCLE_1) | instskip(SKIP_4) | instid1(VALU_DEP_1)
	s_or_b32 exec_lo, exec_lo, s2
	v_mov_b32_e32 v87, 0
	ds_load_b64 v[88:89], v87 offset:128
	s_wait_dscnt 0x0
	v_pk_mul_f32 v[90:91], v[84:85], v[88:89] op_sel:[1,1] op_sel_hi:[0,1]
	v_pk_fma_f32 v[92:93], v[84:85], v[88:89], v[90:91] op_sel_hi:[1,0,1]
	v_pk_fma_f32 v[84:85], v[84:85], v[88:89], v[90:91] neg_lo:[0,0,1] neg_hi:[0,0,1]
	s_delay_alu instid0(VALU_DEP_2)
	v_mov_b32_e32 v85, v93
	scratch_store_b64 off, v[84:85], off offset:128
.LBB103_550:
	s_wait_xcnt 0x0
	s_or_b32 exec_lo, exec_lo, s0
	scratch_load_b64 v[84:85], off, off offset:136
	s_mov_b32 s0, exec_lo
	s_wait_loadcnt 0x0
	ds_store_b64 v1, v[84:85]
	s_wait_storecnt_dscnt 0x0
	s_barrier_signal -1
	s_barrier_wait -1
	s_wait_xcnt 0x0
	v_cmpx_gt_u32_e32 17, v0
	s_cbranch_execz .LBB103_560
; %bb.551:
	v_cmp_ne_u32_e32 vcc_lo, 1, v86
	s_cbranch_vccnz .LBB103_553
; %bb.552:
	scratch_load_b64 v[84:85], v59, off
	ds_load_b64 v[88:89], v1
	s_wait_loadcnt_dscnt 0x0
	v_pk_mul_f32 v[90:91], v[88:89], v[84:85] op_sel:[1,1] op_sel_hi:[0,1]
	s_delay_alu instid0(VALU_DEP_1) | instskip(SKIP_1) | instid1(VALU_DEP_2)
	v_pk_fma_f32 v[92:93], v[88:89], v[84:85], v[90:91] op_sel_hi:[1,0,1]
	v_pk_fma_f32 v[84:85], v[88:89], v[84:85], v[90:91] neg_lo:[0,0,1] neg_hi:[0,0,1]
	v_mov_b32_e32 v85, v93
	s_cbranch_execz .LBB103_554
	s_branch .LBB103_555
.LBB103_553:
                                        ; implicit-def: $vgpr84_vgpr85
.LBB103_554:
	ds_load_b64 v[84:85], v1
.LBB103_555:
	s_mov_b32 s2, exec_lo
	v_cmpx_ne_u32_e32 16, v0
	s_cbranch_execz .LBB103_559
; %bb.556:
	v_add_nc_u32_e32 v87, 0x148, v58
	v_add3_u32 v88, 0, v58, 8
	v_mov_b32_e32 v89, v0
	s_mov_b32 s3, 0
.LBB103_557:                            ; =>This Inner Loop Header: Depth=1
	scratch_load_b64 v[90:91], v88, off
	ds_load_b64 v[92:93], v87
	s_wait_xcnt 0x0
	v_dual_add_nc_u32 v87, 8, v87 :: v_dual_add_nc_u32 v88, 8, v88
	s_wait_loadcnt_dscnt 0x0
	v_pk_mul_f32 v[94:95], v[92:93], v[90:91] op_sel:[1,1] op_sel_hi:[0,1]
	s_delay_alu instid0(VALU_DEP_1) | instskip(SKIP_2) | instid1(VALU_DEP_3)
	v_pk_fma_f32 v[96:97], v[92:93], v[90:91], v[94:95] op_sel_hi:[1,0,1]
	v_add_nc_u32_e32 v89, 1, v89
	v_pk_fma_f32 v[90:91], v[92:93], v[90:91], v[94:95] neg_lo:[0,0,1] neg_hi:[0,0,1]
	v_mov_b32_e32 v91, v97
	s_delay_alu instid0(VALU_DEP_3) | instskip(NEXT) | instid1(VALU_DEP_2)
	v_cmp_lt_u32_e32 vcc_lo, 15, v89
	v_pk_add_f32 v[84:85], v[84:85], v[90:91]
	s_or_b32 s3, vcc_lo, s3
	s_delay_alu instid0(SALU_CYCLE_1)
	s_and_not1_b32 exec_lo, exec_lo, s3
	s_cbranch_execnz .LBB103_557
; %bb.558:
	s_or_b32 exec_lo, exec_lo, s3
.LBB103_559:
	s_delay_alu instid0(SALU_CYCLE_1) | instskip(SKIP_4) | instid1(VALU_DEP_1)
	s_or_b32 exec_lo, exec_lo, s2
	v_mov_b32_e32 v87, 0
	ds_load_b64 v[88:89], v87 offset:136
	s_wait_dscnt 0x0
	v_pk_mul_f32 v[90:91], v[84:85], v[88:89] op_sel:[1,1] op_sel_hi:[0,1]
	v_pk_fma_f32 v[92:93], v[84:85], v[88:89], v[90:91] op_sel_hi:[1,0,1]
	v_pk_fma_f32 v[84:85], v[84:85], v[88:89], v[90:91] neg_lo:[0,0,1] neg_hi:[0,0,1]
	s_delay_alu instid0(VALU_DEP_2)
	v_mov_b32_e32 v85, v93
	scratch_store_b64 off, v[84:85], off offset:136
.LBB103_560:
	s_wait_xcnt 0x0
	s_or_b32 exec_lo, exec_lo, s0
	scratch_load_b64 v[84:85], off, off offset:144
	s_mov_b32 s0, exec_lo
	s_wait_loadcnt 0x0
	ds_store_b64 v1, v[84:85]
	s_wait_storecnt_dscnt 0x0
	s_barrier_signal -1
	s_barrier_wait -1
	s_wait_xcnt 0x0
	v_cmpx_gt_u32_e32 18, v0
	s_cbranch_execz .LBB103_570
; %bb.561:
	v_cmp_ne_u32_e32 vcc_lo, 1, v86
	s_cbranch_vccnz .LBB103_563
; %bb.562:
	scratch_load_b64 v[84:85], v59, off
	ds_load_b64 v[88:89], v1
	s_wait_loadcnt_dscnt 0x0
	v_pk_mul_f32 v[90:91], v[88:89], v[84:85] op_sel:[1,1] op_sel_hi:[0,1]
	s_delay_alu instid0(VALU_DEP_1) | instskip(SKIP_1) | instid1(VALU_DEP_2)
	v_pk_fma_f32 v[92:93], v[88:89], v[84:85], v[90:91] op_sel_hi:[1,0,1]
	v_pk_fma_f32 v[84:85], v[88:89], v[84:85], v[90:91] neg_lo:[0,0,1] neg_hi:[0,0,1]
	v_mov_b32_e32 v85, v93
	s_cbranch_execz .LBB103_564
	s_branch .LBB103_565
.LBB103_563:
                                        ; implicit-def: $vgpr84_vgpr85
.LBB103_564:
	ds_load_b64 v[84:85], v1
.LBB103_565:
	s_mov_b32 s2, exec_lo
	v_cmpx_ne_u32_e32 17, v0
	s_cbranch_execz .LBB103_569
; %bb.566:
	v_add_nc_u32_e32 v87, 0x148, v58
	v_add3_u32 v88, 0, v58, 8
	v_mov_b32_e32 v89, v0
	s_mov_b32 s3, 0
.LBB103_567:                            ; =>This Inner Loop Header: Depth=1
	scratch_load_b64 v[90:91], v88, off
	ds_load_b64 v[92:93], v87
	s_wait_xcnt 0x0
	v_dual_add_nc_u32 v87, 8, v87 :: v_dual_add_nc_u32 v88, 8, v88
	s_wait_loadcnt_dscnt 0x0
	v_pk_mul_f32 v[94:95], v[92:93], v[90:91] op_sel:[1,1] op_sel_hi:[0,1]
	s_delay_alu instid0(VALU_DEP_1) | instskip(SKIP_2) | instid1(VALU_DEP_3)
	v_pk_fma_f32 v[96:97], v[92:93], v[90:91], v[94:95] op_sel_hi:[1,0,1]
	v_add_nc_u32_e32 v89, 1, v89
	v_pk_fma_f32 v[90:91], v[92:93], v[90:91], v[94:95] neg_lo:[0,0,1] neg_hi:[0,0,1]
	v_mov_b32_e32 v91, v97
	s_delay_alu instid0(VALU_DEP_3) | instskip(NEXT) | instid1(VALU_DEP_2)
	v_cmp_lt_u32_e32 vcc_lo, 16, v89
	v_pk_add_f32 v[84:85], v[84:85], v[90:91]
	s_or_b32 s3, vcc_lo, s3
	s_delay_alu instid0(SALU_CYCLE_1)
	s_and_not1_b32 exec_lo, exec_lo, s3
	s_cbranch_execnz .LBB103_567
; %bb.568:
	s_or_b32 exec_lo, exec_lo, s3
.LBB103_569:
	s_delay_alu instid0(SALU_CYCLE_1) | instskip(SKIP_4) | instid1(VALU_DEP_1)
	s_or_b32 exec_lo, exec_lo, s2
	v_mov_b32_e32 v87, 0
	ds_load_b64 v[88:89], v87 offset:144
	s_wait_dscnt 0x0
	v_pk_mul_f32 v[90:91], v[84:85], v[88:89] op_sel:[1,1] op_sel_hi:[0,1]
	v_pk_fma_f32 v[92:93], v[84:85], v[88:89], v[90:91] op_sel_hi:[1,0,1]
	v_pk_fma_f32 v[84:85], v[84:85], v[88:89], v[90:91] neg_lo:[0,0,1] neg_hi:[0,0,1]
	s_delay_alu instid0(VALU_DEP_2)
	v_mov_b32_e32 v85, v93
	scratch_store_b64 off, v[84:85], off offset:144
.LBB103_570:
	s_wait_xcnt 0x0
	s_or_b32 exec_lo, exec_lo, s0
	scratch_load_b64 v[84:85], off, off offset:152
	s_mov_b32 s0, exec_lo
	s_wait_loadcnt 0x0
	ds_store_b64 v1, v[84:85]
	s_wait_storecnt_dscnt 0x0
	s_barrier_signal -1
	s_barrier_wait -1
	s_wait_xcnt 0x0
	v_cmpx_gt_u32_e32 19, v0
	s_cbranch_execz .LBB103_580
; %bb.571:
	v_cmp_ne_u32_e32 vcc_lo, 1, v86
	s_cbranch_vccnz .LBB103_573
; %bb.572:
	scratch_load_b64 v[84:85], v59, off
	ds_load_b64 v[88:89], v1
	s_wait_loadcnt_dscnt 0x0
	v_pk_mul_f32 v[90:91], v[88:89], v[84:85] op_sel:[1,1] op_sel_hi:[0,1]
	s_delay_alu instid0(VALU_DEP_1) | instskip(SKIP_1) | instid1(VALU_DEP_2)
	v_pk_fma_f32 v[92:93], v[88:89], v[84:85], v[90:91] op_sel_hi:[1,0,1]
	v_pk_fma_f32 v[84:85], v[88:89], v[84:85], v[90:91] neg_lo:[0,0,1] neg_hi:[0,0,1]
	v_mov_b32_e32 v85, v93
	s_cbranch_execz .LBB103_574
	s_branch .LBB103_575
.LBB103_573:
                                        ; implicit-def: $vgpr84_vgpr85
.LBB103_574:
	ds_load_b64 v[84:85], v1
.LBB103_575:
	s_mov_b32 s2, exec_lo
	v_cmpx_ne_u32_e32 18, v0
	s_cbranch_execz .LBB103_579
; %bb.576:
	v_add_nc_u32_e32 v87, 0x148, v58
	v_add3_u32 v88, 0, v58, 8
	v_mov_b32_e32 v89, v0
	s_mov_b32 s3, 0
.LBB103_577:                            ; =>This Inner Loop Header: Depth=1
	scratch_load_b64 v[90:91], v88, off
	ds_load_b64 v[92:93], v87
	s_wait_xcnt 0x0
	v_dual_add_nc_u32 v87, 8, v87 :: v_dual_add_nc_u32 v88, 8, v88
	s_wait_loadcnt_dscnt 0x0
	v_pk_mul_f32 v[94:95], v[92:93], v[90:91] op_sel:[1,1] op_sel_hi:[0,1]
	s_delay_alu instid0(VALU_DEP_1) | instskip(SKIP_2) | instid1(VALU_DEP_3)
	v_pk_fma_f32 v[96:97], v[92:93], v[90:91], v[94:95] op_sel_hi:[1,0,1]
	v_add_nc_u32_e32 v89, 1, v89
	v_pk_fma_f32 v[90:91], v[92:93], v[90:91], v[94:95] neg_lo:[0,0,1] neg_hi:[0,0,1]
	v_mov_b32_e32 v91, v97
	s_delay_alu instid0(VALU_DEP_3) | instskip(NEXT) | instid1(VALU_DEP_2)
	v_cmp_lt_u32_e32 vcc_lo, 17, v89
	v_pk_add_f32 v[84:85], v[84:85], v[90:91]
	s_or_b32 s3, vcc_lo, s3
	s_delay_alu instid0(SALU_CYCLE_1)
	s_and_not1_b32 exec_lo, exec_lo, s3
	s_cbranch_execnz .LBB103_577
; %bb.578:
	s_or_b32 exec_lo, exec_lo, s3
.LBB103_579:
	s_delay_alu instid0(SALU_CYCLE_1) | instskip(SKIP_4) | instid1(VALU_DEP_1)
	s_or_b32 exec_lo, exec_lo, s2
	v_mov_b32_e32 v87, 0
	ds_load_b64 v[88:89], v87 offset:152
	s_wait_dscnt 0x0
	v_pk_mul_f32 v[90:91], v[84:85], v[88:89] op_sel:[1,1] op_sel_hi:[0,1]
	v_pk_fma_f32 v[92:93], v[84:85], v[88:89], v[90:91] op_sel_hi:[1,0,1]
	v_pk_fma_f32 v[84:85], v[84:85], v[88:89], v[90:91] neg_lo:[0,0,1] neg_hi:[0,0,1]
	s_delay_alu instid0(VALU_DEP_2)
	v_mov_b32_e32 v85, v93
	scratch_store_b64 off, v[84:85], off offset:152
.LBB103_580:
	s_wait_xcnt 0x0
	s_or_b32 exec_lo, exec_lo, s0
	scratch_load_b64 v[84:85], off, off offset:160
	s_mov_b32 s0, exec_lo
	s_wait_loadcnt 0x0
	ds_store_b64 v1, v[84:85]
	s_wait_storecnt_dscnt 0x0
	s_barrier_signal -1
	s_barrier_wait -1
	s_wait_xcnt 0x0
	v_cmpx_gt_u32_e32 20, v0
	s_cbranch_execz .LBB103_590
; %bb.581:
	v_cmp_ne_u32_e32 vcc_lo, 1, v86
	s_cbranch_vccnz .LBB103_583
; %bb.582:
	scratch_load_b64 v[84:85], v59, off
	ds_load_b64 v[88:89], v1
	s_wait_loadcnt_dscnt 0x0
	v_pk_mul_f32 v[90:91], v[88:89], v[84:85] op_sel:[1,1] op_sel_hi:[0,1]
	s_delay_alu instid0(VALU_DEP_1) | instskip(SKIP_1) | instid1(VALU_DEP_2)
	v_pk_fma_f32 v[92:93], v[88:89], v[84:85], v[90:91] op_sel_hi:[1,0,1]
	v_pk_fma_f32 v[84:85], v[88:89], v[84:85], v[90:91] neg_lo:[0,0,1] neg_hi:[0,0,1]
	v_mov_b32_e32 v85, v93
	s_cbranch_execz .LBB103_584
	s_branch .LBB103_585
.LBB103_583:
                                        ; implicit-def: $vgpr84_vgpr85
.LBB103_584:
	ds_load_b64 v[84:85], v1
.LBB103_585:
	s_mov_b32 s2, exec_lo
	v_cmpx_ne_u32_e32 19, v0
	s_cbranch_execz .LBB103_589
; %bb.586:
	v_add_nc_u32_e32 v87, 0x148, v58
	v_add3_u32 v88, 0, v58, 8
	v_mov_b32_e32 v89, v0
	s_mov_b32 s3, 0
.LBB103_587:                            ; =>This Inner Loop Header: Depth=1
	scratch_load_b64 v[90:91], v88, off
	ds_load_b64 v[92:93], v87
	s_wait_xcnt 0x0
	v_dual_add_nc_u32 v87, 8, v87 :: v_dual_add_nc_u32 v88, 8, v88
	s_wait_loadcnt_dscnt 0x0
	v_pk_mul_f32 v[94:95], v[92:93], v[90:91] op_sel:[1,1] op_sel_hi:[0,1]
	s_delay_alu instid0(VALU_DEP_1) | instskip(SKIP_2) | instid1(VALU_DEP_3)
	v_pk_fma_f32 v[96:97], v[92:93], v[90:91], v[94:95] op_sel_hi:[1,0,1]
	v_add_nc_u32_e32 v89, 1, v89
	v_pk_fma_f32 v[90:91], v[92:93], v[90:91], v[94:95] neg_lo:[0,0,1] neg_hi:[0,0,1]
	v_mov_b32_e32 v91, v97
	s_delay_alu instid0(VALU_DEP_3) | instskip(NEXT) | instid1(VALU_DEP_2)
	v_cmp_lt_u32_e32 vcc_lo, 18, v89
	v_pk_add_f32 v[84:85], v[84:85], v[90:91]
	s_or_b32 s3, vcc_lo, s3
	s_delay_alu instid0(SALU_CYCLE_1)
	s_and_not1_b32 exec_lo, exec_lo, s3
	s_cbranch_execnz .LBB103_587
; %bb.588:
	s_or_b32 exec_lo, exec_lo, s3
.LBB103_589:
	s_delay_alu instid0(SALU_CYCLE_1) | instskip(SKIP_4) | instid1(VALU_DEP_1)
	s_or_b32 exec_lo, exec_lo, s2
	v_mov_b32_e32 v87, 0
	ds_load_b64 v[88:89], v87 offset:160
	s_wait_dscnt 0x0
	v_pk_mul_f32 v[90:91], v[84:85], v[88:89] op_sel:[1,1] op_sel_hi:[0,1]
	v_pk_fma_f32 v[92:93], v[84:85], v[88:89], v[90:91] op_sel_hi:[1,0,1]
	v_pk_fma_f32 v[84:85], v[84:85], v[88:89], v[90:91] neg_lo:[0,0,1] neg_hi:[0,0,1]
	s_delay_alu instid0(VALU_DEP_2)
	v_mov_b32_e32 v85, v93
	scratch_store_b64 off, v[84:85], off offset:160
.LBB103_590:
	s_wait_xcnt 0x0
	s_or_b32 exec_lo, exec_lo, s0
	scratch_load_b64 v[84:85], off, off offset:168
	s_mov_b32 s0, exec_lo
	s_wait_loadcnt 0x0
	ds_store_b64 v1, v[84:85]
	s_wait_storecnt_dscnt 0x0
	s_barrier_signal -1
	s_barrier_wait -1
	s_wait_xcnt 0x0
	v_cmpx_gt_u32_e32 21, v0
	s_cbranch_execz .LBB103_600
; %bb.591:
	v_cmp_ne_u32_e32 vcc_lo, 1, v86
	s_cbranch_vccnz .LBB103_593
; %bb.592:
	scratch_load_b64 v[84:85], v59, off
	ds_load_b64 v[88:89], v1
	s_wait_loadcnt_dscnt 0x0
	v_pk_mul_f32 v[90:91], v[88:89], v[84:85] op_sel:[1,1] op_sel_hi:[0,1]
	s_delay_alu instid0(VALU_DEP_1) | instskip(SKIP_1) | instid1(VALU_DEP_2)
	v_pk_fma_f32 v[92:93], v[88:89], v[84:85], v[90:91] op_sel_hi:[1,0,1]
	v_pk_fma_f32 v[84:85], v[88:89], v[84:85], v[90:91] neg_lo:[0,0,1] neg_hi:[0,0,1]
	v_mov_b32_e32 v85, v93
	s_cbranch_execz .LBB103_594
	s_branch .LBB103_595
.LBB103_593:
                                        ; implicit-def: $vgpr84_vgpr85
.LBB103_594:
	ds_load_b64 v[84:85], v1
.LBB103_595:
	s_mov_b32 s2, exec_lo
	v_cmpx_ne_u32_e32 20, v0
	s_cbranch_execz .LBB103_599
; %bb.596:
	v_add_nc_u32_e32 v87, 0x148, v58
	v_add3_u32 v88, 0, v58, 8
	v_mov_b32_e32 v89, v0
	s_mov_b32 s3, 0
.LBB103_597:                            ; =>This Inner Loop Header: Depth=1
	scratch_load_b64 v[90:91], v88, off
	ds_load_b64 v[92:93], v87
	s_wait_xcnt 0x0
	v_dual_add_nc_u32 v87, 8, v87 :: v_dual_add_nc_u32 v88, 8, v88
	s_wait_loadcnt_dscnt 0x0
	v_pk_mul_f32 v[94:95], v[92:93], v[90:91] op_sel:[1,1] op_sel_hi:[0,1]
	s_delay_alu instid0(VALU_DEP_1) | instskip(SKIP_2) | instid1(VALU_DEP_3)
	v_pk_fma_f32 v[96:97], v[92:93], v[90:91], v[94:95] op_sel_hi:[1,0,1]
	v_add_nc_u32_e32 v89, 1, v89
	v_pk_fma_f32 v[90:91], v[92:93], v[90:91], v[94:95] neg_lo:[0,0,1] neg_hi:[0,0,1]
	v_mov_b32_e32 v91, v97
	s_delay_alu instid0(VALU_DEP_3) | instskip(NEXT) | instid1(VALU_DEP_2)
	v_cmp_lt_u32_e32 vcc_lo, 19, v89
	v_pk_add_f32 v[84:85], v[84:85], v[90:91]
	s_or_b32 s3, vcc_lo, s3
	s_delay_alu instid0(SALU_CYCLE_1)
	s_and_not1_b32 exec_lo, exec_lo, s3
	s_cbranch_execnz .LBB103_597
; %bb.598:
	s_or_b32 exec_lo, exec_lo, s3
.LBB103_599:
	s_delay_alu instid0(SALU_CYCLE_1) | instskip(SKIP_4) | instid1(VALU_DEP_1)
	s_or_b32 exec_lo, exec_lo, s2
	v_mov_b32_e32 v87, 0
	ds_load_b64 v[88:89], v87 offset:168
	s_wait_dscnt 0x0
	v_pk_mul_f32 v[90:91], v[84:85], v[88:89] op_sel:[1,1] op_sel_hi:[0,1]
	v_pk_fma_f32 v[92:93], v[84:85], v[88:89], v[90:91] op_sel_hi:[1,0,1]
	v_pk_fma_f32 v[84:85], v[84:85], v[88:89], v[90:91] neg_lo:[0,0,1] neg_hi:[0,0,1]
	s_delay_alu instid0(VALU_DEP_2)
	v_mov_b32_e32 v85, v93
	scratch_store_b64 off, v[84:85], off offset:168
.LBB103_600:
	s_wait_xcnt 0x0
	s_or_b32 exec_lo, exec_lo, s0
	scratch_load_b64 v[84:85], off, off offset:176
	s_mov_b32 s0, exec_lo
	s_wait_loadcnt 0x0
	ds_store_b64 v1, v[84:85]
	s_wait_storecnt_dscnt 0x0
	s_barrier_signal -1
	s_barrier_wait -1
	s_wait_xcnt 0x0
	v_cmpx_gt_u32_e32 22, v0
	s_cbranch_execz .LBB103_610
; %bb.601:
	v_cmp_ne_u32_e32 vcc_lo, 1, v86
	s_cbranch_vccnz .LBB103_603
; %bb.602:
	scratch_load_b64 v[84:85], v59, off
	ds_load_b64 v[88:89], v1
	s_wait_loadcnt_dscnt 0x0
	v_pk_mul_f32 v[90:91], v[88:89], v[84:85] op_sel:[1,1] op_sel_hi:[0,1]
	s_delay_alu instid0(VALU_DEP_1) | instskip(SKIP_1) | instid1(VALU_DEP_2)
	v_pk_fma_f32 v[92:93], v[88:89], v[84:85], v[90:91] op_sel_hi:[1,0,1]
	v_pk_fma_f32 v[84:85], v[88:89], v[84:85], v[90:91] neg_lo:[0,0,1] neg_hi:[0,0,1]
	v_mov_b32_e32 v85, v93
	s_cbranch_execz .LBB103_604
	s_branch .LBB103_605
.LBB103_603:
                                        ; implicit-def: $vgpr84_vgpr85
.LBB103_604:
	ds_load_b64 v[84:85], v1
.LBB103_605:
	s_mov_b32 s2, exec_lo
	v_cmpx_ne_u32_e32 21, v0
	s_cbranch_execz .LBB103_609
; %bb.606:
	v_add_nc_u32_e32 v87, 0x148, v58
	v_add3_u32 v88, 0, v58, 8
	v_mov_b32_e32 v89, v0
	s_mov_b32 s3, 0
.LBB103_607:                            ; =>This Inner Loop Header: Depth=1
	scratch_load_b64 v[90:91], v88, off
	ds_load_b64 v[92:93], v87
	s_wait_xcnt 0x0
	v_dual_add_nc_u32 v87, 8, v87 :: v_dual_add_nc_u32 v88, 8, v88
	s_wait_loadcnt_dscnt 0x0
	v_pk_mul_f32 v[94:95], v[92:93], v[90:91] op_sel:[1,1] op_sel_hi:[0,1]
	s_delay_alu instid0(VALU_DEP_1) | instskip(SKIP_2) | instid1(VALU_DEP_3)
	v_pk_fma_f32 v[96:97], v[92:93], v[90:91], v[94:95] op_sel_hi:[1,0,1]
	v_add_nc_u32_e32 v89, 1, v89
	v_pk_fma_f32 v[90:91], v[92:93], v[90:91], v[94:95] neg_lo:[0,0,1] neg_hi:[0,0,1]
	v_mov_b32_e32 v91, v97
	s_delay_alu instid0(VALU_DEP_3) | instskip(NEXT) | instid1(VALU_DEP_2)
	v_cmp_lt_u32_e32 vcc_lo, 20, v89
	v_pk_add_f32 v[84:85], v[84:85], v[90:91]
	s_or_b32 s3, vcc_lo, s3
	s_delay_alu instid0(SALU_CYCLE_1)
	s_and_not1_b32 exec_lo, exec_lo, s3
	s_cbranch_execnz .LBB103_607
; %bb.608:
	s_or_b32 exec_lo, exec_lo, s3
.LBB103_609:
	s_delay_alu instid0(SALU_CYCLE_1) | instskip(SKIP_4) | instid1(VALU_DEP_1)
	s_or_b32 exec_lo, exec_lo, s2
	v_mov_b32_e32 v87, 0
	ds_load_b64 v[88:89], v87 offset:176
	s_wait_dscnt 0x0
	v_pk_mul_f32 v[90:91], v[84:85], v[88:89] op_sel:[1,1] op_sel_hi:[0,1]
	v_pk_fma_f32 v[92:93], v[84:85], v[88:89], v[90:91] op_sel_hi:[1,0,1]
	v_pk_fma_f32 v[84:85], v[84:85], v[88:89], v[90:91] neg_lo:[0,0,1] neg_hi:[0,0,1]
	s_delay_alu instid0(VALU_DEP_2)
	v_mov_b32_e32 v85, v93
	scratch_store_b64 off, v[84:85], off offset:176
.LBB103_610:
	s_wait_xcnt 0x0
	s_or_b32 exec_lo, exec_lo, s0
	scratch_load_b64 v[84:85], off, off offset:184
	s_mov_b32 s0, exec_lo
	s_wait_loadcnt 0x0
	ds_store_b64 v1, v[84:85]
	s_wait_storecnt_dscnt 0x0
	s_barrier_signal -1
	s_barrier_wait -1
	s_wait_xcnt 0x0
	v_cmpx_gt_u32_e32 23, v0
	s_cbranch_execz .LBB103_620
; %bb.611:
	v_cmp_ne_u32_e32 vcc_lo, 1, v86
	s_cbranch_vccnz .LBB103_613
; %bb.612:
	scratch_load_b64 v[84:85], v59, off
	ds_load_b64 v[88:89], v1
	s_wait_loadcnt_dscnt 0x0
	v_pk_mul_f32 v[90:91], v[88:89], v[84:85] op_sel:[1,1] op_sel_hi:[0,1]
	s_delay_alu instid0(VALU_DEP_1) | instskip(SKIP_1) | instid1(VALU_DEP_2)
	v_pk_fma_f32 v[92:93], v[88:89], v[84:85], v[90:91] op_sel_hi:[1,0,1]
	v_pk_fma_f32 v[84:85], v[88:89], v[84:85], v[90:91] neg_lo:[0,0,1] neg_hi:[0,0,1]
	v_mov_b32_e32 v85, v93
	s_cbranch_execz .LBB103_614
	s_branch .LBB103_615
.LBB103_613:
                                        ; implicit-def: $vgpr84_vgpr85
.LBB103_614:
	ds_load_b64 v[84:85], v1
.LBB103_615:
	s_mov_b32 s2, exec_lo
	v_cmpx_ne_u32_e32 22, v0
	s_cbranch_execz .LBB103_619
; %bb.616:
	v_add_nc_u32_e32 v87, 0x148, v58
	v_add3_u32 v88, 0, v58, 8
	v_mov_b32_e32 v89, v0
	s_mov_b32 s3, 0
.LBB103_617:                            ; =>This Inner Loop Header: Depth=1
	scratch_load_b64 v[90:91], v88, off
	ds_load_b64 v[92:93], v87
	s_wait_xcnt 0x0
	v_dual_add_nc_u32 v87, 8, v87 :: v_dual_add_nc_u32 v88, 8, v88
	s_wait_loadcnt_dscnt 0x0
	v_pk_mul_f32 v[94:95], v[92:93], v[90:91] op_sel:[1,1] op_sel_hi:[0,1]
	s_delay_alu instid0(VALU_DEP_1) | instskip(SKIP_2) | instid1(VALU_DEP_3)
	v_pk_fma_f32 v[96:97], v[92:93], v[90:91], v[94:95] op_sel_hi:[1,0,1]
	v_add_nc_u32_e32 v89, 1, v89
	v_pk_fma_f32 v[90:91], v[92:93], v[90:91], v[94:95] neg_lo:[0,0,1] neg_hi:[0,0,1]
	v_mov_b32_e32 v91, v97
	s_delay_alu instid0(VALU_DEP_3) | instskip(NEXT) | instid1(VALU_DEP_2)
	v_cmp_lt_u32_e32 vcc_lo, 21, v89
	v_pk_add_f32 v[84:85], v[84:85], v[90:91]
	s_or_b32 s3, vcc_lo, s3
	s_delay_alu instid0(SALU_CYCLE_1)
	s_and_not1_b32 exec_lo, exec_lo, s3
	s_cbranch_execnz .LBB103_617
; %bb.618:
	s_or_b32 exec_lo, exec_lo, s3
.LBB103_619:
	s_delay_alu instid0(SALU_CYCLE_1) | instskip(SKIP_4) | instid1(VALU_DEP_1)
	s_or_b32 exec_lo, exec_lo, s2
	v_mov_b32_e32 v87, 0
	ds_load_b64 v[88:89], v87 offset:184
	s_wait_dscnt 0x0
	v_pk_mul_f32 v[90:91], v[84:85], v[88:89] op_sel:[1,1] op_sel_hi:[0,1]
	v_pk_fma_f32 v[92:93], v[84:85], v[88:89], v[90:91] op_sel_hi:[1,0,1]
	v_pk_fma_f32 v[84:85], v[84:85], v[88:89], v[90:91] neg_lo:[0,0,1] neg_hi:[0,0,1]
	s_delay_alu instid0(VALU_DEP_2)
	v_mov_b32_e32 v85, v93
	scratch_store_b64 off, v[84:85], off offset:184
.LBB103_620:
	s_wait_xcnt 0x0
	s_or_b32 exec_lo, exec_lo, s0
	scratch_load_b64 v[84:85], off, off offset:192
	s_mov_b32 s0, exec_lo
	s_wait_loadcnt 0x0
	ds_store_b64 v1, v[84:85]
	s_wait_storecnt_dscnt 0x0
	s_barrier_signal -1
	s_barrier_wait -1
	s_wait_xcnt 0x0
	v_cmpx_gt_u32_e32 24, v0
	s_cbranch_execz .LBB103_630
; %bb.621:
	v_cmp_ne_u32_e32 vcc_lo, 1, v86
	s_cbranch_vccnz .LBB103_623
; %bb.622:
	scratch_load_b64 v[84:85], v59, off
	ds_load_b64 v[88:89], v1
	s_wait_loadcnt_dscnt 0x0
	v_pk_mul_f32 v[90:91], v[88:89], v[84:85] op_sel:[1,1] op_sel_hi:[0,1]
	s_delay_alu instid0(VALU_DEP_1) | instskip(SKIP_1) | instid1(VALU_DEP_2)
	v_pk_fma_f32 v[92:93], v[88:89], v[84:85], v[90:91] op_sel_hi:[1,0,1]
	v_pk_fma_f32 v[84:85], v[88:89], v[84:85], v[90:91] neg_lo:[0,0,1] neg_hi:[0,0,1]
	v_mov_b32_e32 v85, v93
	s_cbranch_execz .LBB103_624
	s_branch .LBB103_625
.LBB103_623:
                                        ; implicit-def: $vgpr84_vgpr85
.LBB103_624:
	ds_load_b64 v[84:85], v1
.LBB103_625:
	s_mov_b32 s2, exec_lo
	v_cmpx_ne_u32_e32 23, v0
	s_cbranch_execz .LBB103_629
; %bb.626:
	v_add_nc_u32_e32 v87, 0x148, v58
	v_add3_u32 v88, 0, v58, 8
	v_mov_b32_e32 v89, v0
	s_mov_b32 s3, 0
.LBB103_627:                            ; =>This Inner Loop Header: Depth=1
	scratch_load_b64 v[90:91], v88, off
	ds_load_b64 v[92:93], v87
	s_wait_xcnt 0x0
	v_dual_add_nc_u32 v87, 8, v87 :: v_dual_add_nc_u32 v88, 8, v88
	s_wait_loadcnt_dscnt 0x0
	v_pk_mul_f32 v[94:95], v[92:93], v[90:91] op_sel:[1,1] op_sel_hi:[0,1]
	s_delay_alu instid0(VALU_DEP_1) | instskip(SKIP_2) | instid1(VALU_DEP_3)
	v_pk_fma_f32 v[96:97], v[92:93], v[90:91], v[94:95] op_sel_hi:[1,0,1]
	v_add_nc_u32_e32 v89, 1, v89
	v_pk_fma_f32 v[90:91], v[92:93], v[90:91], v[94:95] neg_lo:[0,0,1] neg_hi:[0,0,1]
	v_mov_b32_e32 v91, v97
	s_delay_alu instid0(VALU_DEP_3) | instskip(NEXT) | instid1(VALU_DEP_2)
	v_cmp_lt_u32_e32 vcc_lo, 22, v89
	v_pk_add_f32 v[84:85], v[84:85], v[90:91]
	s_or_b32 s3, vcc_lo, s3
	s_delay_alu instid0(SALU_CYCLE_1)
	s_and_not1_b32 exec_lo, exec_lo, s3
	s_cbranch_execnz .LBB103_627
; %bb.628:
	s_or_b32 exec_lo, exec_lo, s3
.LBB103_629:
	s_delay_alu instid0(SALU_CYCLE_1) | instskip(SKIP_4) | instid1(VALU_DEP_1)
	s_or_b32 exec_lo, exec_lo, s2
	v_mov_b32_e32 v87, 0
	ds_load_b64 v[88:89], v87 offset:192
	s_wait_dscnt 0x0
	v_pk_mul_f32 v[90:91], v[84:85], v[88:89] op_sel:[1,1] op_sel_hi:[0,1]
	v_pk_fma_f32 v[92:93], v[84:85], v[88:89], v[90:91] op_sel_hi:[1,0,1]
	v_pk_fma_f32 v[84:85], v[84:85], v[88:89], v[90:91] neg_lo:[0,0,1] neg_hi:[0,0,1]
	s_delay_alu instid0(VALU_DEP_2)
	v_mov_b32_e32 v85, v93
	scratch_store_b64 off, v[84:85], off offset:192
.LBB103_630:
	s_wait_xcnt 0x0
	s_or_b32 exec_lo, exec_lo, s0
	scratch_load_b64 v[84:85], off, off offset:200
	s_mov_b32 s0, exec_lo
	s_wait_loadcnt 0x0
	ds_store_b64 v1, v[84:85]
	s_wait_storecnt_dscnt 0x0
	s_barrier_signal -1
	s_barrier_wait -1
	s_wait_xcnt 0x0
	v_cmpx_gt_u32_e32 25, v0
	s_cbranch_execz .LBB103_640
; %bb.631:
	v_cmp_ne_u32_e32 vcc_lo, 1, v86
	s_cbranch_vccnz .LBB103_633
; %bb.632:
	scratch_load_b64 v[84:85], v59, off
	ds_load_b64 v[88:89], v1
	s_wait_loadcnt_dscnt 0x0
	v_pk_mul_f32 v[90:91], v[88:89], v[84:85] op_sel:[1,1] op_sel_hi:[0,1]
	s_delay_alu instid0(VALU_DEP_1) | instskip(SKIP_1) | instid1(VALU_DEP_2)
	v_pk_fma_f32 v[92:93], v[88:89], v[84:85], v[90:91] op_sel_hi:[1,0,1]
	v_pk_fma_f32 v[84:85], v[88:89], v[84:85], v[90:91] neg_lo:[0,0,1] neg_hi:[0,0,1]
	v_mov_b32_e32 v85, v93
	s_cbranch_execz .LBB103_634
	s_branch .LBB103_635
.LBB103_633:
                                        ; implicit-def: $vgpr84_vgpr85
.LBB103_634:
	ds_load_b64 v[84:85], v1
.LBB103_635:
	s_mov_b32 s2, exec_lo
	v_cmpx_ne_u32_e32 24, v0
	s_cbranch_execz .LBB103_639
; %bb.636:
	v_add_nc_u32_e32 v87, 0x148, v58
	v_add3_u32 v88, 0, v58, 8
	v_mov_b32_e32 v89, v0
	s_mov_b32 s3, 0
.LBB103_637:                            ; =>This Inner Loop Header: Depth=1
	scratch_load_b64 v[90:91], v88, off
	ds_load_b64 v[92:93], v87
	s_wait_xcnt 0x0
	v_dual_add_nc_u32 v87, 8, v87 :: v_dual_add_nc_u32 v88, 8, v88
	s_wait_loadcnt_dscnt 0x0
	v_pk_mul_f32 v[94:95], v[92:93], v[90:91] op_sel:[1,1] op_sel_hi:[0,1]
	s_delay_alu instid0(VALU_DEP_1) | instskip(SKIP_2) | instid1(VALU_DEP_3)
	v_pk_fma_f32 v[96:97], v[92:93], v[90:91], v[94:95] op_sel_hi:[1,0,1]
	v_add_nc_u32_e32 v89, 1, v89
	v_pk_fma_f32 v[90:91], v[92:93], v[90:91], v[94:95] neg_lo:[0,0,1] neg_hi:[0,0,1]
	v_mov_b32_e32 v91, v97
	s_delay_alu instid0(VALU_DEP_3) | instskip(NEXT) | instid1(VALU_DEP_2)
	v_cmp_lt_u32_e32 vcc_lo, 23, v89
	v_pk_add_f32 v[84:85], v[84:85], v[90:91]
	s_or_b32 s3, vcc_lo, s3
	s_delay_alu instid0(SALU_CYCLE_1)
	s_and_not1_b32 exec_lo, exec_lo, s3
	s_cbranch_execnz .LBB103_637
; %bb.638:
	s_or_b32 exec_lo, exec_lo, s3
.LBB103_639:
	s_delay_alu instid0(SALU_CYCLE_1) | instskip(SKIP_4) | instid1(VALU_DEP_1)
	s_or_b32 exec_lo, exec_lo, s2
	v_mov_b32_e32 v87, 0
	ds_load_b64 v[88:89], v87 offset:200
	s_wait_dscnt 0x0
	v_pk_mul_f32 v[90:91], v[84:85], v[88:89] op_sel:[1,1] op_sel_hi:[0,1]
	v_pk_fma_f32 v[92:93], v[84:85], v[88:89], v[90:91] op_sel_hi:[1,0,1]
	v_pk_fma_f32 v[84:85], v[84:85], v[88:89], v[90:91] neg_lo:[0,0,1] neg_hi:[0,0,1]
	s_delay_alu instid0(VALU_DEP_2)
	v_mov_b32_e32 v85, v93
	scratch_store_b64 off, v[84:85], off offset:200
.LBB103_640:
	s_wait_xcnt 0x0
	s_or_b32 exec_lo, exec_lo, s0
	scratch_load_b64 v[84:85], off, off offset:208
	s_mov_b32 s0, exec_lo
	s_wait_loadcnt 0x0
	ds_store_b64 v1, v[84:85]
	s_wait_storecnt_dscnt 0x0
	s_barrier_signal -1
	s_barrier_wait -1
	s_wait_xcnt 0x0
	v_cmpx_gt_u32_e32 26, v0
	s_cbranch_execz .LBB103_650
; %bb.641:
	v_cmp_ne_u32_e32 vcc_lo, 1, v86
	s_cbranch_vccnz .LBB103_643
; %bb.642:
	scratch_load_b64 v[84:85], v59, off
	ds_load_b64 v[88:89], v1
	s_wait_loadcnt_dscnt 0x0
	v_pk_mul_f32 v[90:91], v[88:89], v[84:85] op_sel:[1,1] op_sel_hi:[0,1]
	s_delay_alu instid0(VALU_DEP_1) | instskip(SKIP_1) | instid1(VALU_DEP_2)
	v_pk_fma_f32 v[92:93], v[88:89], v[84:85], v[90:91] op_sel_hi:[1,0,1]
	v_pk_fma_f32 v[84:85], v[88:89], v[84:85], v[90:91] neg_lo:[0,0,1] neg_hi:[0,0,1]
	v_mov_b32_e32 v85, v93
	s_cbranch_execz .LBB103_644
	s_branch .LBB103_645
.LBB103_643:
                                        ; implicit-def: $vgpr84_vgpr85
.LBB103_644:
	ds_load_b64 v[84:85], v1
.LBB103_645:
	s_mov_b32 s2, exec_lo
	v_cmpx_ne_u32_e32 25, v0
	s_cbranch_execz .LBB103_649
; %bb.646:
	v_add_nc_u32_e32 v87, 0x148, v58
	v_add3_u32 v88, 0, v58, 8
	v_mov_b32_e32 v89, v0
	s_mov_b32 s3, 0
.LBB103_647:                            ; =>This Inner Loop Header: Depth=1
	scratch_load_b64 v[90:91], v88, off
	ds_load_b64 v[92:93], v87
	s_wait_xcnt 0x0
	v_dual_add_nc_u32 v87, 8, v87 :: v_dual_add_nc_u32 v88, 8, v88
	s_wait_loadcnt_dscnt 0x0
	v_pk_mul_f32 v[94:95], v[92:93], v[90:91] op_sel:[1,1] op_sel_hi:[0,1]
	s_delay_alu instid0(VALU_DEP_1) | instskip(SKIP_2) | instid1(VALU_DEP_3)
	v_pk_fma_f32 v[96:97], v[92:93], v[90:91], v[94:95] op_sel_hi:[1,0,1]
	v_add_nc_u32_e32 v89, 1, v89
	v_pk_fma_f32 v[90:91], v[92:93], v[90:91], v[94:95] neg_lo:[0,0,1] neg_hi:[0,0,1]
	v_mov_b32_e32 v91, v97
	s_delay_alu instid0(VALU_DEP_3) | instskip(NEXT) | instid1(VALU_DEP_2)
	v_cmp_lt_u32_e32 vcc_lo, 24, v89
	v_pk_add_f32 v[84:85], v[84:85], v[90:91]
	s_or_b32 s3, vcc_lo, s3
	s_delay_alu instid0(SALU_CYCLE_1)
	s_and_not1_b32 exec_lo, exec_lo, s3
	s_cbranch_execnz .LBB103_647
; %bb.648:
	s_or_b32 exec_lo, exec_lo, s3
.LBB103_649:
	s_delay_alu instid0(SALU_CYCLE_1) | instskip(SKIP_4) | instid1(VALU_DEP_1)
	s_or_b32 exec_lo, exec_lo, s2
	v_mov_b32_e32 v87, 0
	ds_load_b64 v[88:89], v87 offset:208
	s_wait_dscnt 0x0
	v_pk_mul_f32 v[90:91], v[84:85], v[88:89] op_sel:[1,1] op_sel_hi:[0,1]
	v_pk_fma_f32 v[92:93], v[84:85], v[88:89], v[90:91] op_sel_hi:[1,0,1]
	v_pk_fma_f32 v[84:85], v[84:85], v[88:89], v[90:91] neg_lo:[0,0,1] neg_hi:[0,0,1]
	s_delay_alu instid0(VALU_DEP_2)
	v_mov_b32_e32 v85, v93
	scratch_store_b64 off, v[84:85], off offset:208
.LBB103_650:
	s_wait_xcnt 0x0
	s_or_b32 exec_lo, exec_lo, s0
	scratch_load_b64 v[84:85], off, off offset:216
	s_mov_b32 s0, exec_lo
	s_wait_loadcnt 0x0
	ds_store_b64 v1, v[84:85]
	s_wait_storecnt_dscnt 0x0
	s_barrier_signal -1
	s_barrier_wait -1
	s_wait_xcnt 0x0
	v_cmpx_gt_u32_e32 27, v0
	s_cbranch_execz .LBB103_660
; %bb.651:
	v_cmp_ne_u32_e32 vcc_lo, 1, v86
	s_cbranch_vccnz .LBB103_653
; %bb.652:
	scratch_load_b64 v[84:85], v59, off
	ds_load_b64 v[88:89], v1
	s_wait_loadcnt_dscnt 0x0
	v_pk_mul_f32 v[90:91], v[88:89], v[84:85] op_sel:[1,1] op_sel_hi:[0,1]
	s_delay_alu instid0(VALU_DEP_1) | instskip(SKIP_1) | instid1(VALU_DEP_2)
	v_pk_fma_f32 v[92:93], v[88:89], v[84:85], v[90:91] op_sel_hi:[1,0,1]
	v_pk_fma_f32 v[84:85], v[88:89], v[84:85], v[90:91] neg_lo:[0,0,1] neg_hi:[0,0,1]
	v_mov_b32_e32 v85, v93
	s_cbranch_execz .LBB103_654
	s_branch .LBB103_655
.LBB103_653:
                                        ; implicit-def: $vgpr84_vgpr85
.LBB103_654:
	ds_load_b64 v[84:85], v1
.LBB103_655:
	s_mov_b32 s2, exec_lo
	v_cmpx_ne_u32_e32 26, v0
	s_cbranch_execz .LBB103_659
; %bb.656:
	v_add_nc_u32_e32 v87, 0x148, v58
	v_add3_u32 v88, 0, v58, 8
	v_mov_b32_e32 v89, v0
	s_mov_b32 s3, 0
.LBB103_657:                            ; =>This Inner Loop Header: Depth=1
	scratch_load_b64 v[90:91], v88, off
	ds_load_b64 v[92:93], v87
	s_wait_xcnt 0x0
	v_dual_add_nc_u32 v87, 8, v87 :: v_dual_add_nc_u32 v88, 8, v88
	s_wait_loadcnt_dscnt 0x0
	v_pk_mul_f32 v[94:95], v[92:93], v[90:91] op_sel:[1,1] op_sel_hi:[0,1]
	s_delay_alu instid0(VALU_DEP_1) | instskip(SKIP_2) | instid1(VALU_DEP_3)
	v_pk_fma_f32 v[96:97], v[92:93], v[90:91], v[94:95] op_sel_hi:[1,0,1]
	v_add_nc_u32_e32 v89, 1, v89
	v_pk_fma_f32 v[90:91], v[92:93], v[90:91], v[94:95] neg_lo:[0,0,1] neg_hi:[0,0,1]
	v_mov_b32_e32 v91, v97
	s_delay_alu instid0(VALU_DEP_3) | instskip(NEXT) | instid1(VALU_DEP_2)
	v_cmp_lt_u32_e32 vcc_lo, 25, v89
	v_pk_add_f32 v[84:85], v[84:85], v[90:91]
	s_or_b32 s3, vcc_lo, s3
	s_delay_alu instid0(SALU_CYCLE_1)
	s_and_not1_b32 exec_lo, exec_lo, s3
	s_cbranch_execnz .LBB103_657
; %bb.658:
	s_or_b32 exec_lo, exec_lo, s3
.LBB103_659:
	s_delay_alu instid0(SALU_CYCLE_1) | instskip(SKIP_4) | instid1(VALU_DEP_1)
	s_or_b32 exec_lo, exec_lo, s2
	v_mov_b32_e32 v87, 0
	ds_load_b64 v[88:89], v87 offset:216
	s_wait_dscnt 0x0
	v_pk_mul_f32 v[90:91], v[84:85], v[88:89] op_sel:[1,1] op_sel_hi:[0,1]
	v_pk_fma_f32 v[92:93], v[84:85], v[88:89], v[90:91] op_sel_hi:[1,0,1]
	v_pk_fma_f32 v[84:85], v[84:85], v[88:89], v[90:91] neg_lo:[0,0,1] neg_hi:[0,0,1]
	s_delay_alu instid0(VALU_DEP_2)
	v_mov_b32_e32 v85, v93
	scratch_store_b64 off, v[84:85], off offset:216
.LBB103_660:
	s_wait_xcnt 0x0
	s_or_b32 exec_lo, exec_lo, s0
	scratch_load_b64 v[84:85], off, off offset:224
	s_mov_b32 s0, exec_lo
	s_wait_loadcnt 0x0
	ds_store_b64 v1, v[84:85]
	s_wait_storecnt_dscnt 0x0
	s_barrier_signal -1
	s_barrier_wait -1
	s_wait_xcnt 0x0
	v_cmpx_gt_u32_e32 28, v0
	s_cbranch_execz .LBB103_670
; %bb.661:
	v_cmp_ne_u32_e32 vcc_lo, 1, v86
	s_cbranch_vccnz .LBB103_663
; %bb.662:
	scratch_load_b64 v[84:85], v59, off
	ds_load_b64 v[88:89], v1
	s_wait_loadcnt_dscnt 0x0
	v_pk_mul_f32 v[90:91], v[88:89], v[84:85] op_sel:[1,1] op_sel_hi:[0,1]
	s_delay_alu instid0(VALU_DEP_1) | instskip(SKIP_1) | instid1(VALU_DEP_2)
	v_pk_fma_f32 v[92:93], v[88:89], v[84:85], v[90:91] op_sel_hi:[1,0,1]
	v_pk_fma_f32 v[84:85], v[88:89], v[84:85], v[90:91] neg_lo:[0,0,1] neg_hi:[0,0,1]
	v_mov_b32_e32 v85, v93
	s_cbranch_execz .LBB103_664
	s_branch .LBB103_665
.LBB103_663:
                                        ; implicit-def: $vgpr84_vgpr85
.LBB103_664:
	ds_load_b64 v[84:85], v1
.LBB103_665:
	s_mov_b32 s2, exec_lo
	v_cmpx_ne_u32_e32 27, v0
	s_cbranch_execz .LBB103_669
; %bb.666:
	v_add_nc_u32_e32 v87, 0x148, v58
	v_add3_u32 v88, 0, v58, 8
	v_mov_b32_e32 v89, v0
	s_mov_b32 s3, 0
.LBB103_667:                            ; =>This Inner Loop Header: Depth=1
	scratch_load_b64 v[90:91], v88, off
	ds_load_b64 v[92:93], v87
	s_wait_xcnt 0x0
	v_dual_add_nc_u32 v87, 8, v87 :: v_dual_add_nc_u32 v88, 8, v88
	s_wait_loadcnt_dscnt 0x0
	v_pk_mul_f32 v[94:95], v[92:93], v[90:91] op_sel:[1,1] op_sel_hi:[0,1]
	s_delay_alu instid0(VALU_DEP_1) | instskip(SKIP_2) | instid1(VALU_DEP_3)
	v_pk_fma_f32 v[96:97], v[92:93], v[90:91], v[94:95] op_sel_hi:[1,0,1]
	v_add_nc_u32_e32 v89, 1, v89
	v_pk_fma_f32 v[90:91], v[92:93], v[90:91], v[94:95] neg_lo:[0,0,1] neg_hi:[0,0,1]
	v_mov_b32_e32 v91, v97
	s_delay_alu instid0(VALU_DEP_3) | instskip(NEXT) | instid1(VALU_DEP_2)
	v_cmp_lt_u32_e32 vcc_lo, 26, v89
	v_pk_add_f32 v[84:85], v[84:85], v[90:91]
	s_or_b32 s3, vcc_lo, s3
	s_delay_alu instid0(SALU_CYCLE_1)
	s_and_not1_b32 exec_lo, exec_lo, s3
	s_cbranch_execnz .LBB103_667
; %bb.668:
	s_or_b32 exec_lo, exec_lo, s3
.LBB103_669:
	s_delay_alu instid0(SALU_CYCLE_1) | instskip(SKIP_4) | instid1(VALU_DEP_1)
	s_or_b32 exec_lo, exec_lo, s2
	v_mov_b32_e32 v87, 0
	ds_load_b64 v[88:89], v87 offset:224
	s_wait_dscnt 0x0
	v_pk_mul_f32 v[90:91], v[84:85], v[88:89] op_sel:[1,1] op_sel_hi:[0,1]
	v_pk_fma_f32 v[92:93], v[84:85], v[88:89], v[90:91] op_sel_hi:[1,0,1]
	v_pk_fma_f32 v[84:85], v[84:85], v[88:89], v[90:91] neg_lo:[0,0,1] neg_hi:[0,0,1]
	s_delay_alu instid0(VALU_DEP_2)
	v_mov_b32_e32 v85, v93
	scratch_store_b64 off, v[84:85], off offset:224
.LBB103_670:
	s_wait_xcnt 0x0
	s_or_b32 exec_lo, exec_lo, s0
	scratch_load_b64 v[84:85], off, off offset:232
	s_mov_b32 s0, exec_lo
	s_wait_loadcnt 0x0
	ds_store_b64 v1, v[84:85]
	s_wait_storecnt_dscnt 0x0
	s_barrier_signal -1
	s_barrier_wait -1
	s_wait_xcnt 0x0
	v_cmpx_gt_u32_e32 29, v0
	s_cbranch_execz .LBB103_680
; %bb.671:
	v_cmp_ne_u32_e32 vcc_lo, 1, v86
	s_cbranch_vccnz .LBB103_673
; %bb.672:
	scratch_load_b64 v[84:85], v59, off
	ds_load_b64 v[88:89], v1
	s_wait_loadcnt_dscnt 0x0
	v_pk_mul_f32 v[90:91], v[88:89], v[84:85] op_sel:[1,1] op_sel_hi:[0,1]
	s_delay_alu instid0(VALU_DEP_1) | instskip(SKIP_1) | instid1(VALU_DEP_2)
	v_pk_fma_f32 v[92:93], v[88:89], v[84:85], v[90:91] op_sel_hi:[1,0,1]
	v_pk_fma_f32 v[84:85], v[88:89], v[84:85], v[90:91] neg_lo:[0,0,1] neg_hi:[0,0,1]
	v_mov_b32_e32 v85, v93
	s_cbranch_execz .LBB103_674
	s_branch .LBB103_675
.LBB103_673:
                                        ; implicit-def: $vgpr84_vgpr85
.LBB103_674:
	ds_load_b64 v[84:85], v1
.LBB103_675:
	s_mov_b32 s2, exec_lo
	v_cmpx_ne_u32_e32 28, v0
	s_cbranch_execz .LBB103_679
; %bb.676:
	v_add_nc_u32_e32 v87, 0x148, v58
	v_add3_u32 v88, 0, v58, 8
	v_mov_b32_e32 v89, v0
	s_mov_b32 s3, 0
.LBB103_677:                            ; =>This Inner Loop Header: Depth=1
	scratch_load_b64 v[90:91], v88, off
	ds_load_b64 v[92:93], v87
	s_wait_xcnt 0x0
	v_dual_add_nc_u32 v87, 8, v87 :: v_dual_add_nc_u32 v88, 8, v88
	s_wait_loadcnt_dscnt 0x0
	v_pk_mul_f32 v[94:95], v[92:93], v[90:91] op_sel:[1,1] op_sel_hi:[0,1]
	s_delay_alu instid0(VALU_DEP_1) | instskip(SKIP_2) | instid1(VALU_DEP_3)
	v_pk_fma_f32 v[96:97], v[92:93], v[90:91], v[94:95] op_sel_hi:[1,0,1]
	v_add_nc_u32_e32 v89, 1, v89
	v_pk_fma_f32 v[90:91], v[92:93], v[90:91], v[94:95] neg_lo:[0,0,1] neg_hi:[0,0,1]
	v_mov_b32_e32 v91, v97
	s_delay_alu instid0(VALU_DEP_3) | instskip(NEXT) | instid1(VALU_DEP_2)
	v_cmp_lt_u32_e32 vcc_lo, 27, v89
	v_pk_add_f32 v[84:85], v[84:85], v[90:91]
	s_or_b32 s3, vcc_lo, s3
	s_delay_alu instid0(SALU_CYCLE_1)
	s_and_not1_b32 exec_lo, exec_lo, s3
	s_cbranch_execnz .LBB103_677
; %bb.678:
	s_or_b32 exec_lo, exec_lo, s3
.LBB103_679:
	s_delay_alu instid0(SALU_CYCLE_1) | instskip(SKIP_4) | instid1(VALU_DEP_1)
	s_or_b32 exec_lo, exec_lo, s2
	v_mov_b32_e32 v87, 0
	ds_load_b64 v[88:89], v87 offset:232
	s_wait_dscnt 0x0
	v_pk_mul_f32 v[90:91], v[84:85], v[88:89] op_sel:[1,1] op_sel_hi:[0,1]
	v_pk_fma_f32 v[92:93], v[84:85], v[88:89], v[90:91] op_sel_hi:[1,0,1]
	v_pk_fma_f32 v[84:85], v[84:85], v[88:89], v[90:91] neg_lo:[0,0,1] neg_hi:[0,0,1]
	s_delay_alu instid0(VALU_DEP_2)
	v_mov_b32_e32 v85, v93
	scratch_store_b64 off, v[84:85], off offset:232
.LBB103_680:
	s_wait_xcnt 0x0
	s_or_b32 exec_lo, exec_lo, s0
	scratch_load_b64 v[84:85], off, off offset:240
	s_mov_b32 s0, exec_lo
	s_wait_loadcnt 0x0
	ds_store_b64 v1, v[84:85]
	s_wait_storecnt_dscnt 0x0
	s_barrier_signal -1
	s_barrier_wait -1
	s_wait_xcnt 0x0
	v_cmpx_gt_u32_e32 30, v0
	s_cbranch_execz .LBB103_690
; %bb.681:
	v_cmp_ne_u32_e32 vcc_lo, 1, v86
	s_cbranch_vccnz .LBB103_683
; %bb.682:
	scratch_load_b64 v[84:85], v59, off
	ds_load_b64 v[88:89], v1
	s_wait_loadcnt_dscnt 0x0
	v_pk_mul_f32 v[90:91], v[88:89], v[84:85] op_sel:[1,1] op_sel_hi:[0,1]
	s_delay_alu instid0(VALU_DEP_1) | instskip(SKIP_1) | instid1(VALU_DEP_2)
	v_pk_fma_f32 v[92:93], v[88:89], v[84:85], v[90:91] op_sel_hi:[1,0,1]
	v_pk_fma_f32 v[84:85], v[88:89], v[84:85], v[90:91] neg_lo:[0,0,1] neg_hi:[0,0,1]
	v_mov_b32_e32 v85, v93
	s_cbranch_execz .LBB103_684
	s_branch .LBB103_685
.LBB103_683:
                                        ; implicit-def: $vgpr84_vgpr85
.LBB103_684:
	ds_load_b64 v[84:85], v1
.LBB103_685:
	s_mov_b32 s2, exec_lo
	v_cmpx_ne_u32_e32 29, v0
	s_cbranch_execz .LBB103_689
; %bb.686:
	v_add_nc_u32_e32 v87, 0x148, v58
	v_add3_u32 v88, 0, v58, 8
	v_mov_b32_e32 v89, v0
	s_mov_b32 s3, 0
.LBB103_687:                            ; =>This Inner Loop Header: Depth=1
	scratch_load_b64 v[90:91], v88, off
	ds_load_b64 v[92:93], v87
	s_wait_xcnt 0x0
	v_dual_add_nc_u32 v87, 8, v87 :: v_dual_add_nc_u32 v88, 8, v88
	s_wait_loadcnt_dscnt 0x0
	v_pk_mul_f32 v[94:95], v[92:93], v[90:91] op_sel:[1,1] op_sel_hi:[0,1]
	s_delay_alu instid0(VALU_DEP_1) | instskip(SKIP_2) | instid1(VALU_DEP_3)
	v_pk_fma_f32 v[96:97], v[92:93], v[90:91], v[94:95] op_sel_hi:[1,0,1]
	v_add_nc_u32_e32 v89, 1, v89
	v_pk_fma_f32 v[90:91], v[92:93], v[90:91], v[94:95] neg_lo:[0,0,1] neg_hi:[0,0,1]
	v_mov_b32_e32 v91, v97
	s_delay_alu instid0(VALU_DEP_3) | instskip(NEXT) | instid1(VALU_DEP_2)
	v_cmp_lt_u32_e32 vcc_lo, 28, v89
	v_pk_add_f32 v[84:85], v[84:85], v[90:91]
	s_or_b32 s3, vcc_lo, s3
	s_delay_alu instid0(SALU_CYCLE_1)
	s_and_not1_b32 exec_lo, exec_lo, s3
	s_cbranch_execnz .LBB103_687
; %bb.688:
	s_or_b32 exec_lo, exec_lo, s3
.LBB103_689:
	s_delay_alu instid0(SALU_CYCLE_1) | instskip(SKIP_4) | instid1(VALU_DEP_1)
	s_or_b32 exec_lo, exec_lo, s2
	v_mov_b32_e32 v87, 0
	ds_load_b64 v[88:89], v87 offset:240
	s_wait_dscnt 0x0
	v_pk_mul_f32 v[90:91], v[84:85], v[88:89] op_sel:[1,1] op_sel_hi:[0,1]
	v_pk_fma_f32 v[92:93], v[84:85], v[88:89], v[90:91] op_sel_hi:[1,0,1]
	v_pk_fma_f32 v[84:85], v[84:85], v[88:89], v[90:91] neg_lo:[0,0,1] neg_hi:[0,0,1]
	s_delay_alu instid0(VALU_DEP_2)
	v_mov_b32_e32 v85, v93
	scratch_store_b64 off, v[84:85], off offset:240
.LBB103_690:
	s_wait_xcnt 0x0
	s_or_b32 exec_lo, exec_lo, s0
	scratch_load_b64 v[84:85], off, off offset:248
	s_mov_b32 s0, exec_lo
	s_wait_loadcnt 0x0
	ds_store_b64 v1, v[84:85]
	s_wait_storecnt_dscnt 0x0
	s_barrier_signal -1
	s_barrier_wait -1
	s_wait_xcnt 0x0
	v_cmpx_gt_u32_e32 31, v0
	s_cbranch_execz .LBB103_700
; %bb.691:
	v_cmp_ne_u32_e32 vcc_lo, 1, v86
	s_cbranch_vccnz .LBB103_693
; %bb.692:
	scratch_load_b64 v[84:85], v59, off
	ds_load_b64 v[88:89], v1
	s_wait_loadcnt_dscnt 0x0
	v_pk_mul_f32 v[90:91], v[88:89], v[84:85] op_sel:[1,1] op_sel_hi:[0,1]
	s_delay_alu instid0(VALU_DEP_1) | instskip(SKIP_1) | instid1(VALU_DEP_2)
	v_pk_fma_f32 v[92:93], v[88:89], v[84:85], v[90:91] op_sel_hi:[1,0,1]
	v_pk_fma_f32 v[84:85], v[88:89], v[84:85], v[90:91] neg_lo:[0,0,1] neg_hi:[0,0,1]
	v_mov_b32_e32 v85, v93
	s_cbranch_execz .LBB103_694
	s_branch .LBB103_695
.LBB103_693:
                                        ; implicit-def: $vgpr84_vgpr85
.LBB103_694:
	ds_load_b64 v[84:85], v1
.LBB103_695:
	s_mov_b32 s2, exec_lo
	v_cmpx_ne_u32_e32 30, v0
	s_cbranch_execz .LBB103_699
; %bb.696:
	v_add_nc_u32_e32 v87, 0x148, v58
	v_add3_u32 v88, 0, v58, 8
	v_mov_b32_e32 v89, v0
	s_mov_b32 s3, 0
.LBB103_697:                            ; =>This Inner Loop Header: Depth=1
	scratch_load_b64 v[90:91], v88, off
	ds_load_b64 v[92:93], v87
	s_wait_xcnt 0x0
	v_dual_add_nc_u32 v87, 8, v87 :: v_dual_add_nc_u32 v88, 8, v88
	s_wait_loadcnt_dscnt 0x0
	v_pk_mul_f32 v[94:95], v[92:93], v[90:91] op_sel:[1,1] op_sel_hi:[0,1]
	s_delay_alu instid0(VALU_DEP_1) | instskip(SKIP_2) | instid1(VALU_DEP_3)
	v_pk_fma_f32 v[96:97], v[92:93], v[90:91], v[94:95] op_sel_hi:[1,0,1]
	v_add_nc_u32_e32 v89, 1, v89
	v_pk_fma_f32 v[90:91], v[92:93], v[90:91], v[94:95] neg_lo:[0,0,1] neg_hi:[0,0,1]
	v_mov_b32_e32 v91, v97
	s_delay_alu instid0(VALU_DEP_3) | instskip(NEXT) | instid1(VALU_DEP_2)
	v_cmp_lt_u32_e32 vcc_lo, 29, v89
	v_pk_add_f32 v[84:85], v[84:85], v[90:91]
	s_or_b32 s3, vcc_lo, s3
	s_delay_alu instid0(SALU_CYCLE_1)
	s_and_not1_b32 exec_lo, exec_lo, s3
	s_cbranch_execnz .LBB103_697
; %bb.698:
	s_or_b32 exec_lo, exec_lo, s3
.LBB103_699:
	s_delay_alu instid0(SALU_CYCLE_1) | instskip(SKIP_4) | instid1(VALU_DEP_1)
	s_or_b32 exec_lo, exec_lo, s2
	v_mov_b32_e32 v87, 0
	ds_load_b64 v[88:89], v87 offset:248
	s_wait_dscnt 0x0
	v_pk_mul_f32 v[90:91], v[84:85], v[88:89] op_sel:[1,1] op_sel_hi:[0,1]
	v_pk_fma_f32 v[92:93], v[84:85], v[88:89], v[90:91] op_sel_hi:[1,0,1]
	v_pk_fma_f32 v[84:85], v[84:85], v[88:89], v[90:91] neg_lo:[0,0,1] neg_hi:[0,0,1]
	s_delay_alu instid0(VALU_DEP_2)
	v_mov_b32_e32 v85, v93
	scratch_store_b64 off, v[84:85], off offset:248
.LBB103_700:
	s_wait_xcnt 0x0
	s_or_b32 exec_lo, exec_lo, s0
	scratch_load_b64 v[84:85], off, off offset:256
	s_mov_b32 s0, exec_lo
	s_wait_loadcnt 0x0
	ds_store_b64 v1, v[84:85]
	s_wait_storecnt_dscnt 0x0
	s_barrier_signal -1
	s_barrier_wait -1
	s_wait_xcnt 0x0
	v_cmpx_gt_u32_e32 32, v0
	s_cbranch_execz .LBB103_710
; %bb.701:
	v_cmp_ne_u32_e32 vcc_lo, 1, v86
	s_cbranch_vccnz .LBB103_703
; %bb.702:
	scratch_load_b64 v[84:85], v59, off
	ds_load_b64 v[88:89], v1
	s_wait_loadcnt_dscnt 0x0
	v_pk_mul_f32 v[90:91], v[88:89], v[84:85] op_sel:[1,1] op_sel_hi:[0,1]
	s_delay_alu instid0(VALU_DEP_1) | instskip(SKIP_1) | instid1(VALU_DEP_2)
	v_pk_fma_f32 v[92:93], v[88:89], v[84:85], v[90:91] op_sel_hi:[1,0,1]
	v_pk_fma_f32 v[84:85], v[88:89], v[84:85], v[90:91] neg_lo:[0,0,1] neg_hi:[0,0,1]
	v_mov_b32_e32 v85, v93
	s_cbranch_execz .LBB103_704
	s_branch .LBB103_705
.LBB103_703:
                                        ; implicit-def: $vgpr84_vgpr85
.LBB103_704:
	ds_load_b64 v[84:85], v1
.LBB103_705:
	s_mov_b32 s2, exec_lo
	v_cmpx_ne_u32_e32 31, v0
	s_cbranch_execz .LBB103_709
; %bb.706:
	v_add_nc_u32_e32 v87, 0x148, v58
	v_add3_u32 v88, 0, v58, 8
	v_mov_b32_e32 v89, v0
	s_mov_b32 s3, 0
.LBB103_707:                            ; =>This Inner Loop Header: Depth=1
	scratch_load_b64 v[90:91], v88, off
	ds_load_b64 v[92:93], v87
	s_wait_xcnt 0x0
	v_dual_add_nc_u32 v87, 8, v87 :: v_dual_add_nc_u32 v88, 8, v88
	s_wait_loadcnt_dscnt 0x0
	v_pk_mul_f32 v[94:95], v[92:93], v[90:91] op_sel:[1,1] op_sel_hi:[0,1]
	s_delay_alu instid0(VALU_DEP_1) | instskip(SKIP_2) | instid1(VALU_DEP_3)
	v_pk_fma_f32 v[96:97], v[92:93], v[90:91], v[94:95] op_sel_hi:[1,0,1]
	v_add_nc_u32_e32 v89, 1, v89
	v_pk_fma_f32 v[90:91], v[92:93], v[90:91], v[94:95] neg_lo:[0,0,1] neg_hi:[0,0,1]
	v_mov_b32_e32 v91, v97
	s_delay_alu instid0(VALU_DEP_3) | instskip(NEXT) | instid1(VALU_DEP_2)
	v_cmp_lt_u32_e32 vcc_lo, 30, v89
	v_pk_add_f32 v[84:85], v[84:85], v[90:91]
	s_or_b32 s3, vcc_lo, s3
	s_delay_alu instid0(SALU_CYCLE_1)
	s_and_not1_b32 exec_lo, exec_lo, s3
	s_cbranch_execnz .LBB103_707
; %bb.708:
	s_or_b32 exec_lo, exec_lo, s3
.LBB103_709:
	s_delay_alu instid0(SALU_CYCLE_1) | instskip(SKIP_4) | instid1(VALU_DEP_1)
	s_or_b32 exec_lo, exec_lo, s2
	v_mov_b32_e32 v87, 0
	ds_load_b64 v[88:89], v87 offset:256
	s_wait_dscnt 0x0
	v_pk_mul_f32 v[90:91], v[84:85], v[88:89] op_sel:[1,1] op_sel_hi:[0,1]
	v_pk_fma_f32 v[92:93], v[84:85], v[88:89], v[90:91] op_sel_hi:[1,0,1]
	v_pk_fma_f32 v[84:85], v[84:85], v[88:89], v[90:91] neg_lo:[0,0,1] neg_hi:[0,0,1]
	s_delay_alu instid0(VALU_DEP_2)
	v_mov_b32_e32 v85, v93
	scratch_store_b64 off, v[84:85], off offset:256
.LBB103_710:
	s_wait_xcnt 0x0
	s_or_b32 exec_lo, exec_lo, s0
	scratch_load_b64 v[84:85], off, off offset:264
	s_mov_b32 s0, exec_lo
	s_wait_loadcnt 0x0
	ds_store_b64 v1, v[84:85]
	s_wait_storecnt_dscnt 0x0
	s_barrier_signal -1
	s_barrier_wait -1
	s_wait_xcnt 0x0
	v_cmpx_gt_u32_e32 33, v0
	s_cbranch_execz .LBB103_720
; %bb.711:
	v_cmp_ne_u32_e32 vcc_lo, 1, v86
	s_cbranch_vccnz .LBB103_713
; %bb.712:
	scratch_load_b64 v[84:85], v59, off
	ds_load_b64 v[88:89], v1
	s_wait_loadcnt_dscnt 0x0
	v_pk_mul_f32 v[90:91], v[88:89], v[84:85] op_sel:[1,1] op_sel_hi:[0,1]
	s_delay_alu instid0(VALU_DEP_1) | instskip(SKIP_1) | instid1(VALU_DEP_2)
	v_pk_fma_f32 v[92:93], v[88:89], v[84:85], v[90:91] op_sel_hi:[1,0,1]
	v_pk_fma_f32 v[84:85], v[88:89], v[84:85], v[90:91] neg_lo:[0,0,1] neg_hi:[0,0,1]
	v_mov_b32_e32 v85, v93
	s_cbranch_execz .LBB103_714
	s_branch .LBB103_715
.LBB103_713:
                                        ; implicit-def: $vgpr84_vgpr85
.LBB103_714:
	ds_load_b64 v[84:85], v1
.LBB103_715:
	s_mov_b32 s2, exec_lo
	v_cmpx_ne_u32_e32 32, v0
	s_cbranch_execz .LBB103_719
; %bb.716:
	v_add_nc_u32_e32 v87, 0x148, v58
	v_add3_u32 v88, 0, v58, 8
	v_mov_b32_e32 v89, v0
	s_mov_b32 s3, 0
.LBB103_717:                            ; =>This Inner Loop Header: Depth=1
	scratch_load_b64 v[90:91], v88, off
	ds_load_b64 v[92:93], v87
	s_wait_xcnt 0x0
	v_dual_add_nc_u32 v87, 8, v87 :: v_dual_add_nc_u32 v88, 8, v88
	s_wait_loadcnt_dscnt 0x0
	v_pk_mul_f32 v[94:95], v[92:93], v[90:91] op_sel:[1,1] op_sel_hi:[0,1]
	s_delay_alu instid0(VALU_DEP_1) | instskip(SKIP_2) | instid1(VALU_DEP_3)
	v_pk_fma_f32 v[96:97], v[92:93], v[90:91], v[94:95] op_sel_hi:[1,0,1]
	v_add_nc_u32_e32 v89, 1, v89
	v_pk_fma_f32 v[90:91], v[92:93], v[90:91], v[94:95] neg_lo:[0,0,1] neg_hi:[0,0,1]
	v_mov_b32_e32 v91, v97
	s_delay_alu instid0(VALU_DEP_3) | instskip(NEXT) | instid1(VALU_DEP_2)
	v_cmp_lt_u32_e32 vcc_lo, 31, v89
	v_pk_add_f32 v[84:85], v[84:85], v[90:91]
	s_or_b32 s3, vcc_lo, s3
	s_delay_alu instid0(SALU_CYCLE_1)
	s_and_not1_b32 exec_lo, exec_lo, s3
	s_cbranch_execnz .LBB103_717
; %bb.718:
	s_or_b32 exec_lo, exec_lo, s3
.LBB103_719:
	s_delay_alu instid0(SALU_CYCLE_1) | instskip(SKIP_4) | instid1(VALU_DEP_1)
	s_or_b32 exec_lo, exec_lo, s2
	v_mov_b32_e32 v87, 0
	ds_load_b64 v[88:89], v87 offset:264
	s_wait_dscnt 0x0
	v_pk_mul_f32 v[90:91], v[84:85], v[88:89] op_sel:[1,1] op_sel_hi:[0,1]
	v_pk_fma_f32 v[92:93], v[84:85], v[88:89], v[90:91] op_sel_hi:[1,0,1]
	v_pk_fma_f32 v[84:85], v[84:85], v[88:89], v[90:91] neg_lo:[0,0,1] neg_hi:[0,0,1]
	s_delay_alu instid0(VALU_DEP_2)
	v_mov_b32_e32 v85, v93
	scratch_store_b64 off, v[84:85], off offset:264
.LBB103_720:
	s_wait_xcnt 0x0
	s_or_b32 exec_lo, exec_lo, s0
	scratch_load_b64 v[84:85], off, off offset:272
	s_mov_b32 s0, exec_lo
	s_wait_loadcnt 0x0
	ds_store_b64 v1, v[84:85]
	s_wait_storecnt_dscnt 0x0
	s_barrier_signal -1
	s_barrier_wait -1
	s_wait_xcnt 0x0
	v_cmpx_gt_u32_e32 34, v0
	s_cbranch_execz .LBB103_730
; %bb.721:
	v_cmp_ne_u32_e32 vcc_lo, 1, v86
	s_cbranch_vccnz .LBB103_723
; %bb.722:
	scratch_load_b64 v[84:85], v59, off
	ds_load_b64 v[88:89], v1
	s_wait_loadcnt_dscnt 0x0
	v_pk_mul_f32 v[90:91], v[88:89], v[84:85] op_sel:[1,1] op_sel_hi:[0,1]
	s_delay_alu instid0(VALU_DEP_1) | instskip(SKIP_1) | instid1(VALU_DEP_2)
	v_pk_fma_f32 v[92:93], v[88:89], v[84:85], v[90:91] op_sel_hi:[1,0,1]
	v_pk_fma_f32 v[84:85], v[88:89], v[84:85], v[90:91] neg_lo:[0,0,1] neg_hi:[0,0,1]
	v_mov_b32_e32 v85, v93
	s_cbranch_execz .LBB103_724
	s_branch .LBB103_725
.LBB103_723:
                                        ; implicit-def: $vgpr84_vgpr85
.LBB103_724:
	ds_load_b64 v[84:85], v1
.LBB103_725:
	s_mov_b32 s2, exec_lo
	v_cmpx_ne_u32_e32 33, v0
	s_cbranch_execz .LBB103_729
; %bb.726:
	v_add_nc_u32_e32 v87, 0x148, v58
	v_add3_u32 v88, 0, v58, 8
	v_mov_b32_e32 v89, v0
	s_mov_b32 s3, 0
.LBB103_727:                            ; =>This Inner Loop Header: Depth=1
	scratch_load_b64 v[90:91], v88, off
	ds_load_b64 v[92:93], v87
	s_wait_xcnt 0x0
	v_dual_add_nc_u32 v87, 8, v87 :: v_dual_add_nc_u32 v88, 8, v88
	s_wait_loadcnt_dscnt 0x0
	v_pk_mul_f32 v[94:95], v[92:93], v[90:91] op_sel:[1,1] op_sel_hi:[0,1]
	s_delay_alu instid0(VALU_DEP_1) | instskip(SKIP_2) | instid1(VALU_DEP_3)
	v_pk_fma_f32 v[96:97], v[92:93], v[90:91], v[94:95] op_sel_hi:[1,0,1]
	v_add_nc_u32_e32 v89, 1, v89
	v_pk_fma_f32 v[90:91], v[92:93], v[90:91], v[94:95] neg_lo:[0,0,1] neg_hi:[0,0,1]
	v_mov_b32_e32 v91, v97
	s_delay_alu instid0(VALU_DEP_3) | instskip(NEXT) | instid1(VALU_DEP_2)
	v_cmp_lt_u32_e32 vcc_lo, 32, v89
	v_pk_add_f32 v[84:85], v[84:85], v[90:91]
	s_or_b32 s3, vcc_lo, s3
	s_delay_alu instid0(SALU_CYCLE_1)
	s_and_not1_b32 exec_lo, exec_lo, s3
	s_cbranch_execnz .LBB103_727
; %bb.728:
	s_or_b32 exec_lo, exec_lo, s3
.LBB103_729:
	s_delay_alu instid0(SALU_CYCLE_1) | instskip(SKIP_4) | instid1(VALU_DEP_1)
	s_or_b32 exec_lo, exec_lo, s2
	v_mov_b32_e32 v87, 0
	ds_load_b64 v[88:89], v87 offset:272
	s_wait_dscnt 0x0
	v_pk_mul_f32 v[90:91], v[84:85], v[88:89] op_sel:[1,1] op_sel_hi:[0,1]
	v_pk_fma_f32 v[92:93], v[84:85], v[88:89], v[90:91] op_sel_hi:[1,0,1]
	v_pk_fma_f32 v[84:85], v[84:85], v[88:89], v[90:91] neg_lo:[0,0,1] neg_hi:[0,0,1]
	s_delay_alu instid0(VALU_DEP_2)
	v_mov_b32_e32 v85, v93
	scratch_store_b64 off, v[84:85], off offset:272
.LBB103_730:
	s_wait_xcnt 0x0
	s_or_b32 exec_lo, exec_lo, s0
	scratch_load_b64 v[84:85], off, off offset:280
	s_mov_b32 s0, exec_lo
	s_wait_loadcnt 0x0
	ds_store_b64 v1, v[84:85]
	s_wait_storecnt_dscnt 0x0
	s_barrier_signal -1
	s_barrier_wait -1
	s_wait_xcnt 0x0
	v_cmpx_gt_u32_e32 35, v0
	s_cbranch_execz .LBB103_740
; %bb.731:
	v_cmp_ne_u32_e32 vcc_lo, 1, v86
	s_cbranch_vccnz .LBB103_733
; %bb.732:
	scratch_load_b64 v[84:85], v59, off
	ds_load_b64 v[88:89], v1
	s_wait_loadcnt_dscnt 0x0
	v_pk_mul_f32 v[90:91], v[88:89], v[84:85] op_sel:[1,1] op_sel_hi:[0,1]
	s_delay_alu instid0(VALU_DEP_1) | instskip(SKIP_1) | instid1(VALU_DEP_2)
	v_pk_fma_f32 v[92:93], v[88:89], v[84:85], v[90:91] op_sel_hi:[1,0,1]
	v_pk_fma_f32 v[84:85], v[88:89], v[84:85], v[90:91] neg_lo:[0,0,1] neg_hi:[0,0,1]
	v_mov_b32_e32 v85, v93
	s_cbranch_execz .LBB103_734
	s_branch .LBB103_735
.LBB103_733:
                                        ; implicit-def: $vgpr84_vgpr85
.LBB103_734:
	ds_load_b64 v[84:85], v1
.LBB103_735:
	s_mov_b32 s2, exec_lo
	v_cmpx_ne_u32_e32 34, v0
	s_cbranch_execz .LBB103_739
; %bb.736:
	v_add_nc_u32_e32 v87, 0x148, v58
	v_add3_u32 v88, 0, v58, 8
	v_mov_b32_e32 v89, v0
	s_mov_b32 s3, 0
.LBB103_737:                            ; =>This Inner Loop Header: Depth=1
	scratch_load_b64 v[90:91], v88, off
	ds_load_b64 v[92:93], v87
	s_wait_xcnt 0x0
	v_dual_add_nc_u32 v87, 8, v87 :: v_dual_add_nc_u32 v88, 8, v88
	s_wait_loadcnt_dscnt 0x0
	v_pk_mul_f32 v[94:95], v[92:93], v[90:91] op_sel:[1,1] op_sel_hi:[0,1]
	s_delay_alu instid0(VALU_DEP_1) | instskip(SKIP_2) | instid1(VALU_DEP_3)
	v_pk_fma_f32 v[96:97], v[92:93], v[90:91], v[94:95] op_sel_hi:[1,0,1]
	v_add_nc_u32_e32 v89, 1, v89
	v_pk_fma_f32 v[90:91], v[92:93], v[90:91], v[94:95] neg_lo:[0,0,1] neg_hi:[0,0,1]
	v_mov_b32_e32 v91, v97
	s_delay_alu instid0(VALU_DEP_3) | instskip(NEXT) | instid1(VALU_DEP_2)
	v_cmp_lt_u32_e32 vcc_lo, 33, v89
	v_pk_add_f32 v[84:85], v[84:85], v[90:91]
	s_or_b32 s3, vcc_lo, s3
	s_delay_alu instid0(SALU_CYCLE_1)
	s_and_not1_b32 exec_lo, exec_lo, s3
	s_cbranch_execnz .LBB103_737
; %bb.738:
	s_or_b32 exec_lo, exec_lo, s3
.LBB103_739:
	s_delay_alu instid0(SALU_CYCLE_1) | instskip(SKIP_4) | instid1(VALU_DEP_1)
	s_or_b32 exec_lo, exec_lo, s2
	v_mov_b32_e32 v87, 0
	ds_load_b64 v[88:89], v87 offset:280
	s_wait_dscnt 0x0
	v_pk_mul_f32 v[90:91], v[84:85], v[88:89] op_sel:[1,1] op_sel_hi:[0,1]
	v_pk_fma_f32 v[92:93], v[84:85], v[88:89], v[90:91] op_sel_hi:[1,0,1]
	v_pk_fma_f32 v[84:85], v[84:85], v[88:89], v[90:91] neg_lo:[0,0,1] neg_hi:[0,0,1]
	s_delay_alu instid0(VALU_DEP_2)
	v_mov_b32_e32 v85, v93
	scratch_store_b64 off, v[84:85], off offset:280
.LBB103_740:
	s_wait_xcnt 0x0
	s_or_b32 exec_lo, exec_lo, s0
	scratch_load_b64 v[84:85], off, off offset:288
	s_mov_b32 s0, exec_lo
	s_wait_loadcnt 0x0
	ds_store_b64 v1, v[84:85]
	s_wait_storecnt_dscnt 0x0
	s_barrier_signal -1
	s_barrier_wait -1
	s_wait_xcnt 0x0
	v_cmpx_gt_u32_e32 36, v0
	s_cbranch_execz .LBB103_750
; %bb.741:
	v_cmp_ne_u32_e32 vcc_lo, 1, v86
	s_cbranch_vccnz .LBB103_743
; %bb.742:
	scratch_load_b64 v[84:85], v59, off
	ds_load_b64 v[88:89], v1
	s_wait_loadcnt_dscnt 0x0
	v_pk_mul_f32 v[90:91], v[88:89], v[84:85] op_sel:[1,1] op_sel_hi:[0,1]
	s_delay_alu instid0(VALU_DEP_1) | instskip(SKIP_1) | instid1(VALU_DEP_2)
	v_pk_fma_f32 v[92:93], v[88:89], v[84:85], v[90:91] op_sel_hi:[1,0,1]
	v_pk_fma_f32 v[84:85], v[88:89], v[84:85], v[90:91] neg_lo:[0,0,1] neg_hi:[0,0,1]
	v_mov_b32_e32 v85, v93
	s_cbranch_execz .LBB103_744
	s_branch .LBB103_745
.LBB103_743:
                                        ; implicit-def: $vgpr84_vgpr85
.LBB103_744:
	ds_load_b64 v[84:85], v1
.LBB103_745:
	s_mov_b32 s2, exec_lo
	v_cmpx_ne_u32_e32 35, v0
	s_cbranch_execz .LBB103_749
; %bb.746:
	v_add_nc_u32_e32 v87, 0x148, v58
	v_add3_u32 v88, 0, v58, 8
	v_mov_b32_e32 v89, v0
	s_mov_b32 s3, 0
.LBB103_747:                            ; =>This Inner Loop Header: Depth=1
	scratch_load_b64 v[90:91], v88, off
	ds_load_b64 v[92:93], v87
	s_wait_xcnt 0x0
	v_dual_add_nc_u32 v87, 8, v87 :: v_dual_add_nc_u32 v88, 8, v88
	s_wait_loadcnt_dscnt 0x0
	v_pk_mul_f32 v[94:95], v[92:93], v[90:91] op_sel:[1,1] op_sel_hi:[0,1]
	s_delay_alu instid0(VALU_DEP_1) | instskip(SKIP_2) | instid1(VALU_DEP_3)
	v_pk_fma_f32 v[96:97], v[92:93], v[90:91], v[94:95] op_sel_hi:[1,0,1]
	v_add_nc_u32_e32 v89, 1, v89
	v_pk_fma_f32 v[90:91], v[92:93], v[90:91], v[94:95] neg_lo:[0,0,1] neg_hi:[0,0,1]
	v_mov_b32_e32 v91, v97
	s_delay_alu instid0(VALU_DEP_3) | instskip(NEXT) | instid1(VALU_DEP_2)
	v_cmp_lt_u32_e32 vcc_lo, 34, v89
	v_pk_add_f32 v[84:85], v[84:85], v[90:91]
	s_or_b32 s3, vcc_lo, s3
	s_delay_alu instid0(SALU_CYCLE_1)
	s_and_not1_b32 exec_lo, exec_lo, s3
	s_cbranch_execnz .LBB103_747
; %bb.748:
	s_or_b32 exec_lo, exec_lo, s3
.LBB103_749:
	s_delay_alu instid0(SALU_CYCLE_1) | instskip(SKIP_4) | instid1(VALU_DEP_1)
	s_or_b32 exec_lo, exec_lo, s2
	v_mov_b32_e32 v87, 0
	ds_load_b64 v[88:89], v87 offset:288
	s_wait_dscnt 0x0
	v_pk_mul_f32 v[90:91], v[84:85], v[88:89] op_sel:[1,1] op_sel_hi:[0,1]
	v_pk_fma_f32 v[92:93], v[84:85], v[88:89], v[90:91] op_sel_hi:[1,0,1]
	v_pk_fma_f32 v[84:85], v[84:85], v[88:89], v[90:91] neg_lo:[0,0,1] neg_hi:[0,0,1]
	s_delay_alu instid0(VALU_DEP_2)
	v_mov_b32_e32 v85, v93
	scratch_store_b64 off, v[84:85], off offset:288
.LBB103_750:
	s_wait_xcnt 0x0
	s_or_b32 exec_lo, exec_lo, s0
	scratch_load_b64 v[84:85], off, off offset:296
	s_mov_b32 s0, exec_lo
	s_wait_loadcnt 0x0
	ds_store_b64 v1, v[84:85]
	s_wait_storecnt_dscnt 0x0
	s_barrier_signal -1
	s_barrier_wait -1
	s_wait_xcnt 0x0
	v_cmpx_gt_u32_e32 37, v0
	s_cbranch_execz .LBB103_760
; %bb.751:
	v_cmp_ne_u32_e32 vcc_lo, 1, v86
	s_cbranch_vccnz .LBB103_753
; %bb.752:
	scratch_load_b64 v[84:85], v59, off
	ds_load_b64 v[88:89], v1
	s_wait_loadcnt_dscnt 0x0
	v_pk_mul_f32 v[90:91], v[88:89], v[84:85] op_sel:[1,1] op_sel_hi:[0,1]
	s_delay_alu instid0(VALU_DEP_1) | instskip(SKIP_1) | instid1(VALU_DEP_2)
	v_pk_fma_f32 v[92:93], v[88:89], v[84:85], v[90:91] op_sel_hi:[1,0,1]
	v_pk_fma_f32 v[84:85], v[88:89], v[84:85], v[90:91] neg_lo:[0,0,1] neg_hi:[0,0,1]
	v_mov_b32_e32 v85, v93
	s_cbranch_execz .LBB103_754
	s_branch .LBB103_755
.LBB103_753:
                                        ; implicit-def: $vgpr84_vgpr85
.LBB103_754:
	ds_load_b64 v[84:85], v1
.LBB103_755:
	s_mov_b32 s2, exec_lo
	v_cmpx_ne_u32_e32 36, v0
	s_cbranch_execz .LBB103_759
; %bb.756:
	v_add_nc_u32_e32 v87, 0x148, v58
	v_add3_u32 v88, 0, v58, 8
	v_mov_b32_e32 v89, v0
	s_mov_b32 s3, 0
.LBB103_757:                            ; =>This Inner Loop Header: Depth=1
	scratch_load_b64 v[90:91], v88, off
	ds_load_b64 v[92:93], v87
	s_wait_xcnt 0x0
	v_dual_add_nc_u32 v87, 8, v87 :: v_dual_add_nc_u32 v88, 8, v88
	s_wait_loadcnt_dscnt 0x0
	v_pk_mul_f32 v[94:95], v[92:93], v[90:91] op_sel:[1,1] op_sel_hi:[0,1]
	s_delay_alu instid0(VALU_DEP_1) | instskip(SKIP_2) | instid1(VALU_DEP_3)
	v_pk_fma_f32 v[96:97], v[92:93], v[90:91], v[94:95] op_sel_hi:[1,0,1]
	v_add_nc_u32_e32 v89, 1, v89
	v_pk_fma_f32 v[90:91], v[92:93], v[90:91], v[94:95] neg_lo:[0,0,1] neg_hi:[0,0,1]
	v_mov_b32_e32 v91, v97
	s_delay_alu instid0(VALU_DEP_3) | instskip(NEXT) | instid1(VALU_DEP_2)
	v_cmp_lt_u32_e32 vcc_lo, 35, v89
	v_pk_add_f32 v[84:85], v[84:85], v[90:91]
	s_or_b32 s3, vcc_lo, s3
	s_delay_alu instid0(SALU_CYCLE_1)
	s_and_not1_b32 exec_lo, exec_lo, s3
	s_cbranch_execnz .LBB103_757
; %bb.758:
	s_or_b32 exec_lo, exec_lo, s3
.LBB103_759:
	s_delay_alu instid0(SALU_CYCLE_1) | instskip(SKIP_4) | instid1(VALU_DEP_1)
	s_or_b32 exec_lo, exec_lo, s2
	v_mov_b32_e32 v87, 0
	ds_load_b64 v[88:89], v87 offset:296
	s_wait_dscnt 0x0
	v_pk_mul_f32 v[90:91], v[84:85], v[88:89] op_sel:[1,1] op_sel_hi:[0,1]
	v_pk_fma_f32 v[92:93], v[84:85], v[88:89], v[90:91] op_sel_hi:[1,0,1]
	v_pk_fma_f32 v[84:85], v[84:85], v[88:89], v[90:91] neg_lo:[0,0,1] neg_hi:[0,0,1]
	s_delay_alu instid0(VALU_DEP_2)
	v_mov_b32_e32 v85, v93
	scratch_store_b64 off, v[84:85], off offset:296
.LBB103_760:
	s_wait_xcnt 0x0
	s_or_b32 exec_lo, exec_lo, s0
	scratch_load_b64 v[84:85], off, off offset:304
	v_cmp_gt_u32_e64 s0, 38, v0
	s_wait_loadcnt 0x0
	ds_store_b64 v1, v[84:85]
	s_wait_storecnt_dscnt 0x0
	s_barrier_signal -1
	s_barrier_wait -1
	s_wait_xcnt 0x0
	s_and_saveexec_b32 s2, s0
	s_cbranch_execz .LBB103_770
; %bb.761:
	v_cmp_ne_u32_e32 vcc_lo, 1, v86
	s_cbranch_vccnz .LBB103_763
; %bb.762:
	scratch_load_b64 v[84:85], v59, off
	ds_load_b64 v[88:89], v1
	s_wait_loadcnt_dscnt 0x0
	v_pk_mul_f32 v[90:91], v[88:89], v[84:85] op_sel:[1,1] op_sel_hi:[0,1]
	s_delay_alu instid0(VALU_DEP_1) | instskip(SKIP_1) | instid1(VALU_DEP_2)
	v_pk_fma_f32 v[92:93], v[88:89], v[84:85], v[90:91] op_sel_hi:[1,0,1]
	v_pk_fma_f32 v[84:85], v[88:89], v[84:85], v[90:91] neg_lo:[0,0,1] neg_hi:[0,0,1]
	v_mov_b32_e32 v85, v93
	s_cbranch_execz .LBB103_764
	s_branch .LBB103_765
.LBB103_763:
                                        ; implicit-def: $vgpr84_vgpr85
.LBB103_764:
	ds_load_b64 v[84:85], v1
.LBB103_765:
	s_mov_b32 s3, exec_lo
	v_cmpx_ne_u32_e32 37, v0
	s_cbranch_execz .LBB103_769
; %bb.766:
	v_add_nc_u32_e32 v87, 0x148, v58
	v_add3_u32 v88, 0, v58, 8
	v_mov_b32_e32 v89, v0
	s_mov_b32 s4, 0
.LBB103_767:                            ; =>This Inner Loop Header: Depth=1
	scratch_load_b64 v[90:91], v88, off
	ds_load_b64 v[92:93], v87
	s_wait_xcnt 0x0
	v_dual_add_nc_u32 v87, 8, v87 :: v_dual_add_nc_u32 v88, 8, v88
	s_wait_loadcnt_dscnt 0x0
	v_pk_mul_f32 v[94:95], v[92:93], v[90:91] op_sel:[1,1] op_sel_hi:[0,1]
	s_delay_alu instid0(VALU_DEP_1) | instskip(SKIP_2) | instid1(VALU_DEP_3)
	v_pk_fma_f32 v[96:97], v[92:93], v[90:91], v[94:95] op_sel_hi:[1,0,1]
	v_add_nc_u32_e32 v89, 1, v89
	v_pk_fma_f32 v[90:91], v[92:93], v[90:91], v[94:95] neg_lo:[0,0,1] neg_hi:[0,0,1]
	v_mov_b32_e32 v91, v97
	s_delay_alu instid0(VALU_DEP_3) | instskip(NEXT) | instid1(VALU_DEP_2)
	v_cmp_lt_u32_e32 vcc_lo, 36, v89
	v_pk_add_f32 v[84:85], v[84:85], v[90:91]
	s_or_b32 s4, vcc_lo, s4
	s_delay_alu instid0(SALU_CYCLE_1)
	s_and_not1_b32 exec_lo, exec_lo, s4
	s_cbranch_execnz .LBB103_767
; %bb.768:
	s_or_b32 exec_lo, exec_lo, s4
.LBB103_769:
	s_delay_alu instid0(SALU_CYCLE_1) | instskip(SKIP_4) | instid1(VALU_DEP_1)
	s_or_b32 exec_lo, exec_lo, s3
	v_mov_b32_e32 v87, 0
	ds_load_b64 v[88:89], v87 offset:304
	s_wait_dscnt 0x0
	v_pk_mul_f32 v[90:91], v[84:85], v[88:89] op_sel:[1,1] op_sel_hi:[0,1]
	v_pk_fma_f32 v[92:93], v[84:85], v[88:89], v[90:91] op_sel_hi:[1,0,1]
	v_pk_fma_f32 v[84:85], v[84:85], v[88:89], v[90:91] neg_lo:[0,0,1] neg_hi:[0,0,1]
	s_delay_alu instid0(VALU_DEP_2)
	v_mov_b32_e32 v85, v93
	scratch_store_b64 off, v[84:85], off offset:304
.LBB103_770:
	s_wait_xcnt 0x0
	s_or_b32 exec_lo, exec_lo, s2
	scratch_load_b64 v[84:85], off, off offset:312
	s_mov_b32 s2, exec_lo
                                        ; implicit-def: $vgpr118
                                        ; implicit-def: $sgpr5
	s_wait_loadcnt 0x0
	ds_store_b64 v1, v[84:85]
	s_wait_storecnt_dscnt 0x0
	s_barrier_signal -1
	s_barrier_wait -1
	s_wait_xcnt 0x0
	v_cmpx_ne_u32_e32 39, v0
	s_cbranch_execz .LBB103_780
; %bb.771:
	v_cmp_ne_u32_e32 vcc_lo, 1, v86
	s_cbranch_vccnz .LBB103_773
; %bb.772:
	scratch_load_b64 v[86:87], v59, off
	ds_load_b64 v[88:89], v1
	s_wait_loadcnt_dscnt 0x0
	v_dual_mul_f32 v59, v89, v87 :: v_dual_mul_f32 v85, v88, v87
	s_delay_alu instid0(VALU_DEP_1)
	v_dual_fma_f32 v84, v88, v86, -v59 :: v_dual_fmac_f32 v85, v89, v86
	s_cbranch_execz .LBB103_774
	s_branch .LBB103_775
.LBB103_773:
                                        ; implicit-def: $vgpr85
.LBB103_774:
	ds_load_b64 v[84:85], v1
.LBB103_775:
	s_and_saveexec_b32 s3, s0
	s_cbranch_execz .LBB103_779
; %bb.776:
	v_add_nc_u32_e32 v1, 0x148, v58
	v_add3_u32 v58, 0, v58, 8
	s_mov_b32 s0, 0
.LBB103_777:                            ; =>This Inner Loop Header: Depth=1
	scratch_load_b64 v[86:87], v58, off
	ds_load_b64 v[88:89], v1
	s_wait_loadcnt_dscnt 0x0
	v_dual_add_nc_u32 v1, 8, v1 :: v_dual_mul_f32 v59, v89, v87
	v_dual_mul_f32 v87, v88, v87 :: v_dual_add_nc_u32 v0, 1, v0
	s_delay_alu instid0(VALU_DEP_2) | instskip(NEXT) | instid1(VALU_DEP_2)
	v_fma_f32 v59, v88, v86, -v59
	v_fmac_f32_e32 v87, v89, v86
	s_delay_alu instid0(VALU_DEP_3) | instskip(NEXT) | instid1(VALU_DEP_3)
	v_cmp_lt_u32_e32 vcc_lo, 37, v0
	v_dual_add_nc_u32 v58, 8, v58 :: v_dual_add_f32 v84, v84, v59
	s_delay_alu instid0(VALU_DEP_3) | instskip(SKIP_1) | instid1(SALU_CYCLE_1)
	v_add_f32_e32 v85, v85, v87
	s_or_b32 s0, vcc_lo, s0
	s_and_not1_b32 exec_lo, exec_lo, s0
	s_cbranch_execnz .LBB103_777
; %bb.778:
	s_or_b32 exec_lo, exec_lo, s0
.LBB103_779:
	s_delay_alu instid0(SALU_CYCLE_1)
	s_or_b32 exec_lo, exec_lo, s3
	v_mov_b32_e32 v0, 0
	s_movk_i32 s5, 0x13c
	s_or_b32 s1, s1, exec_lo
	ds_load_b64 v[0:1], v0 offset:312
	s_wait_dscnt 0x0
	v_dual_mul_f32 v58, v85, v1 :: v_dual_mul_f32 v118, v84, v1
	s_delay_alu instid0(VALU_DEP_1) | instskip(NEXT) | instid1(VALU_DEP_2)
	v_fma_f32 v1, v84, v0, -v58
	v_fmac_f32_e32 v118, v85, v0
	scratch_store_b32 off, v1, off offset:312
.LBB103_780:
	s_wait_xcnt 0x0
	s_or_b32 exec_lo, exec_lo, s2
.LBB103_781:
	v_lshl_add_u64 v[116:117], v[6:7], 3, s[6:7]
	v_lshl_add_u64 v[114:115], v[8:9], 3, s[6:7]
	;; [unrolled: 1-line block ×38, first 2 shown]
	s_and_saveexec_b32 s0, s1
	s_cbranch_execz .LBB103_783
; %bb.782:
	scratch_store_b32 off, v118, s5
.LBB103_783:
	s_wait_xcnt 0x0
	s_or_b32 exec_lo, exec_lo, s0
	scratch_load_b64 v[44:45], off, off
	s_wait_loadcnt 0x0
	flat_store_b64 v[2:3], v[44:45]
	scratch_load_b64 v[2:3], off, off offset:8
	s_wait_loadcnt 0x0
	flat_store_b64 v[4:5], v[2:3]
	scratch_load_b64 v[2:3], off, off offset:16
	;; [unrolled: 3-line block ×39, first 2 shown]
	s_wait_loadcnt 0x0
	flat_store_b64 v[0:1], v[2:3]
.LBB103_784:
	s_sendmsg sendmsg(MSG_DEALLOC_VGPRS)
	s_endpgm
	.section	.rodata,"a",@progbits
	.p2align	6, 0x0
	.amdhsa_kernel _ZN9rocsolver6v33100L18trti2_kernel_smallILi40E19rocblas_complex_numIfEPKPS3_EEv13rocblas_fill_17rocblas_diagonal_T1_iil
		.amdhsa_group_segment_fixed_size 640
		.amdhsa_private_segment_fixed_size 336
		.amdhsa_kernarg_size 32
		.amdhsa_user_sgpr_count 2
		.amdhsa_user_sgpr_dispatch_ptr 0
		.amdhsa_user_sgpr_queue_ptr 0
		.amdhsa_user_sgpr_kernarg_segment_ptr 1
		.amdhsa_user_sgpr_dispatch_id 0
		.amdhsa_user_sgpr_kernarg_preload_length 0
		.amdhsa_user_sgpr_kernarg_preload_offset 0
		.amdhsa_user_sgpr_private_segment_size 0
		.amdhsa_wavefront_size32 1
		.amdhsa_uses_dynamic_stack 0
		.amdhsa_enable_private_segment 1
		.amdhsa_system_sgpr_workgroup_id_x 1
		.amdhsa_system_sgpr_workgroup_id_y 0
		.amdhsa_system_sgpr_workgroup_id_z 0
		.amdhsa_system_sgpr_workgroup_info 0
		.amdhsa_system_vgpr_workitem_id 0
		.amdhsa_next_free_vgpr 119
		.amdhsa_next_free_sgpr 46
		.amdhsa_named_barrier_count 0
		.amdhsa_reserve_vcc 1
		.amdhsa_float_round_mode_32 0
		.amdhsa_float_round_mode_16_64 0
		.amdhsa_float_denorm_mode_32 3
		.amdhsa_float_denorm_mode_16_64 3
		.amdhsa_fp16_overflow 0
		.amdhsa_memory_ordered 1
		.amdhsa_forward_progress 1
		.amdhsa_inst_pref_size 241
		.amdhsa_round_robin_scheduling 0
		.amdhsa_exception_fp_ieee_invalid_op 0
		.amdhsa_exception_fp_denorm_src 0
		.amdhsa_exception_fp_ieee_div_zero 0
		.amdhsa_exception_fp_ieee_overflow 0
		.amdhsa_exception_fp_ieee_underflow 0
		.amdhsa_exception_fp_ieee_inexact 0
		.amdhsa_exception_int_div_zero 0
	.end_amdhsa_kernel
	.section	.text._ZN9rocsolver6v33100L18trti2_kernel_smallILi40E19rocblas_complex_numIfEPKPS3_EEv13rocblas_fill_17rocblas_diagonal_T1_iil,"axG",@progbits,_ZN9rocsolver6v33100L18trti2_kernel_smallILi40E19rocblas_complex_numIfEPKPS3_EEv13rocblas_fill_17rocblas_diagonal_T1_iil,comdat
.Lfunc_end103:
	.size	_ZN9rocsolver6v33100L18trti2_kernel_smallILi40E19rocblas_complex_numIfEPKPS3_EEv13rocblas_fill_17rocblas_diagonal_T1_iil, .Lfunc_end103-_ZN9rocsolver6v33100L18trti2_kernel_smallILi40E19rocblas_complex_numIfEPKPS3_EEv13rocblas_fill_17rocblas_diagonal_T1_iil
                                        ; -- End function
	.set _ZN9rocsolver6v33100L18trti2_kernel_smallILi40E19rocblas_complex_numIfEPKPS3_EEv13rocblas_fill_17rocblas_diagonal_T1_iil.num_vgpr, 119
	.set _ZN9rocsolver6v33100L18trti2_kernel_smallILi40E19rocblas_complex_numIfEPKPS3_EEv13rocblas_fill_17rocblas_diagonal_T1_iil.num_agpr, 0
	.set _ZN9rocsolver6v33100L18trti2_kernel_smallILi40E19rocblas_complex_numIfEPKPS3_EEv13rocblas_fill_17rocblas_diagonal_T1_iil.numbered_sgpr, 46
	.set _ZN9rocsolver6v33100L18trti2_kernel_smallILi40E19rocblas_complex_numIfEPKPS3_EEv13rocblas_fill_17rocblas_diagonal_T1_iil.num_named_barrier, 0
	.set _ZN9rocsolver6v33100L18trti2_kernel_smallILi40E19rocblas_complex_numIfEPKPS3_EEv13rocblas_fill_17rocblas_diagonal_T1_iil.private_seg_size, 336
	.set _ZN9rocsolver6v33100L18trti2_kernel_smallILi40E19rocblas_complex_numIfEPKPS3_EEv13rocblas_fill_17rocblas_diagonal_T1_iil.uses_vcc, 1
	.set _ZN9rocsolver6v33100L18trti2_kernel_smallILi40E19rocblas_complex_numIfEPKPS3_EEv13rocblas_fill_17rocblas_diagonal_T1_iil.uses_flat_scratch, 0
	.set _ZN9rocsolver6v33100L18trti2_kernel_smallILi40E19rocblas_complex_numIfEPKPS3_EEv13rocblas_fill_17rocblas_diagonal_T1_iil.has_dyn_sized_stack, 0
	.set _ZN9rocsolver6v33100L18trti2_kernel_smallILi40E19rocblas_complex_numIfEPKPS3_EEv13rocblas_fill_17rocblas_diagonal_T1_iil.has_recursion, 0
	.set _ZN9rocsolver6v33100L18trti2_kernel_smallILi40E19rocblas_complex_numIfEPKPS3_EEv13rocblas_fill_17rocblas_diagonal_T1_iil.has_indirect_call, 0
	.section	.AMDGPU.csdata,"",@progbits
; Kernel info:
; codeLenInByte = 30836
; TotalNumSgprs: 48
; NumVgprs: 119
; ScratchSize: 336
; MemoryBound: 0
; FloatMode: 240
; IeeeMode: 1
; LDSByteSize: 640 bytes/workgroup (compile time only)
; SGPRBlocks: 0
; VGPRBlocks: 7
; NumSGPRsForWavesPerEU: 48
; NumVGPRsForWavesPerEU: 119
; NamedBarCnt: 0
; Occupancy: 8
; WaveLimiterHint : 1
; COMPUTE_PGM_RSRC2:SCRATCH_EN: 1
; COMPUTE_PGM_RSRC2:USER_SGPR: 2
; COMPUTE_PGM_RSRC2:TRAP_HANDLER: 0
; COMPUTE_PGM_RSRC2:TGID_X_EN: 1
; COMPUTE_PGM_RSRC2:TGID_Y_EN: 0
; COMPUTE_PGM_RSRC2:TGID_Z_EN: 0
; COMPUTE_PGM_RSRC2:TIDIG_COMP_CNT: 0
	.section	.text._ZN9rocsolver6v33100L18trti2_kernel_smallILi41E19rocblas_complex_numIfEPKPS3_EEv13rocblas_fill_17rocblas_diagonal_T1_iil,"axG",@progbits,_ZN9rocsolver6v33100L18trti2_kernel_smallILi41E19rocblas_complex_numIfEPKPS3_EEv13rocblas_fill_17rocblas_diagonal_T1_iil,comdat
	.globl	_ZN9rocsolver6v33100L18trti2_kernel_smallILi41E19rocblas_complex_numIfEPKPS3_EEv13rocblas_fill_17rocblas_diagonal_T1_iil ; -- Begin function _ZN9rocsolver6v33100L18trti2_kernel_smallILi41E19rocblas_complex_numIfEPKPS3_EEv13rocblas_fill_17rocblas_diagonal_T1_iil
	.p2align	8
	.type	_ZN9rocsolver6v33100L18trti2_kernel_smallILi41E19rocblas_complex_numIfEPKPS3_EEv13rocblas_fill_17rocblas_diagonal_T1_iil,@function
_ZN9rocsolver6v33100L18trti2_kernel_smallILi41E19rocblas_complex_numIfEPKPS3_EEv13rocblas_fill_17rocblas_diagonal_T1_iil: ; @_ZN9rocsolver6v33100L18trti2_kernel_smallILi41E19rocblas_complex_numIfEPKPS3_EEv13rocblas_fill_17rocblas_diagonal_T1_iil
; %bb.0:
	s_mov_b32 s2, exec_lo
	v_cmpx_gt_u32_e32 41, v0
	s_cbranch_execz .LBB104_804
; %bb.1:
	s_clause 0x1
	s_load_b64 s[8:9], s[0:1], 0x10
	s_load_b128 s[4:7], s[0:1], 0x0
	s_wait_xcnt 0x0
	s_bfe_u32 s0, ttmp6, 0x4000c
	s_and_b32 s1, ttmp6, 15
	s_add_co_i32 s0, s0, 1
	s_getreg_b32 s2, hwreg(HW_REG_IB_STS2, 6, 4)
	s_mul_i32 s0, ttmp9, s0
	v_dual_mov_b32 v59, 0 :: v_dual_lshlrev_b32 v58, 3, v0
	s_add_co_i32 s0, s1, s0
	s_wait_kmcnt 0x0
	s_ashr_i32 s1, s8, 31
	s_cmp_eq_u32 s2, 0
	s_cselect_b32 s2, ttmp9, s0
	s_mov_b32 s0, s8
	s_ashr_i32 s3, s2, 31
	s_lshl_b64 s[0:1], s[0:1], 3
	s_lshl_b64 s[2:3], s[2:3], 3
	s_delay_alu instid0(SALU_CYCLE_1)
	s_add_nc_u64 s[2:3], s[6:7], s[2:3]
	s_load_b64 s[2:3], s[2:3], 0x0
	s_wait_kmcnt 0x0
	s_add_nc_u64 s[2:3], s[2:3], s[0:1]
	s_mov_b32 s0, s9
	flat_load_b64 v[6:7], v0, s[2:3] scale_offset
	v_add_nc_u64_e32 v[2:3], s[2:3], v[58:59]
	s_ashr_i32 s1, s9, 31
	s_cmp_lg_u32 s5, 0x84
	s_cselect_b32 s5, -1, 0
	s_delay_alu instid0(SALU_CYCLE_1) | instskip(NEXT) | instid1(VALU_DEP_1)
	s_and_b32 vcc_lo, exec_lo, s5
	v_lshl_add_u64 v[4:5], s[0:1], 3, v[2:3]
	s_mov_b32 s0, -1
	s_wait_loadcnt_dscnt 0x0
	scratch_store_b64 off, v[6:7], off
	flat_load_b64 v[8:9], v[4:5]
	s_wait_xcnt 0x1
	v_add3_u32 v6, s9, s9, v0
	s_wait_loadcnt_dscnt 0x0
	scratch_store_b64 off, v[8:9], off offset:8
	flat_load_b64 v[10:11], v6, s[2:3] scale_offset
	s_wait_xcnt 0x1
	v_add_nc_u32_e32 v8, s9, v6
	s_wait_loadcnt_dscnt 0x0
	scratch_store_b64 off, v[10:11], off offset:16
	flat_load_b64 v[12:13], v8, s[2:3] scale_offset
	s_wait_xcnt 0x1
	v_add_nc_u32_e32 v10, s9, v8
	;; [unrolled: 5-line block ×38, first 2 shown]
	s_wait_loadcnt_dscnt 0x0
	scratch_store_b64 off, v[86:87], off offset:312
	flat_load_b64 v[86:87], v84, s[2:3] scale_offset
	s_wait_loadcnt_dscnt 0x0
	scratch_store_b64 off, v[86:87], off offset:320
	s_cbranch_vccz .LBB104_7
; %bb.2:
	scratch_load_b64 v[86:87], v0, off scale_offset
                                        ; implicit-def: $vgpr91
                                        ; implicit-def: $vgpr88
	s_wait_loadcnt 0x0
	v_cmp_ngt_f32_e64 s0, |v86|, |v87|
	s_wait_xcnt 0x0
	s_and_saveexec_b32 s1, s0
	s_delay_alu instid0(SALU_CYCLE_1)
	s_xor_b32 s0, exec_lo, s1
	s_cbranch_execz .LBB104_4
; %bb.3:
	v_div_scale_f32 v1, null, v87, v87, v86
	v_div_scale_f32 v11, vcc_lo, v86, v87, v86
	s_delay_alu instid0(VALU_DEP_2) | instskip(SKIP_1) | instid1(TRANS32_DEP_1)
	v_rcp_f32_e32 v7, v1
	v_nop
	v_fma_f32 v9, -v1, v7, 1.0
	s_delay_alu instid0(VALU_DEP_1) | instskip(NEXT) | instid1(VALU_DEP_1)
	v_fmac_f32_e32 v7, v9, v7
	v_mul_f32_e32 v9, v11, v7
	s_delay_alu instid0(VALU_DEP_1) | instskip(NEXT) | instid1(VALU_DEP_1)
	v_fma_f32 v13, -v1, v9, v11
	v_fmac_f32_e32 v9, v13, v7
	s_delay_alu instid0(VALU_DEP_1) | instskip(NEXT) | instid1(VALU_DEP_1)
	v_fma_f32 v1, -v1, v9, v11
	v_div_fmas_f32 v1, v1, v7, v9
	s_delay_alu instid0(VALU_DEP_1) | instskip(NEXT) | instid1(VALU_DEP_1)
	v_div_fixup_f32 v1, v1, v87, v86
	v_fmac_f32_e32 v87, v86, v1
	s_delay_alu instid0(VALU_DEP_1) | instskip(NEXT) | instid1(VALU_DEP_1)
	v_div_scale_f32 v7, null, v87, v87, -1.0
	v_rcp_f32_e32 v9, v7
	v_nop
	s_delay_alu instid0(TRANS32_DEP_1) | instskip(NEXT) | instid1(VALU_DEP_1)
	v_fma_f32 v11, -v7, v9, 1.0
	v_fmac_f32_e32 v9, v11, v9
	v_div_scale_f32 v11, vcc_lo, -1.0, v87, -1.0
	s_delay_alu instid0(VALU_DEP_1) | instskip(NEXT) | instid1(VALU_DEP_1)
	v_mul_f32_e32 v13, v11, v9
	v_fma_f32 v15, -v7, v13, v11
	s_delay_alu instid0(VALU_DEP_1) | instskip(NEXT) | instid1(VALU_DEP_1)
	v_fmac_f32_e32 v13, v15, v9
	v_fma_f32 v7, -v7, v13, v11
	s_delay_alu instid0(VALU_DEP_1) | instskip(NEXT) | instid1(VALU_DEP_1)
	v_div_fmas_f32 v7, v7, v9, v13
	v_div_fixup_f32 v91, v7, v87, -1.0
                                        ; implicit-def: $vgpr86_vgpr87
	s_delay_alu instid0(VALU_DEP_1) | instskip(NEXT) | instid1(VALU_DEP_1)
	v_mul_f32_e32 v88, v1, v91
	v_xor_b32_e32 v90, 0x80000000, v88
.LBB104_4:
	s_or_saveexec_b32 s0, s0
	v_lshl_add_u32 v1, v0, 3, 0
	s_xor_b32 exec_lo, exec_lo, s0
	s_cbranch_execz .LBB104_6
; %bb.5:
	v_div_scale_f32 v7, null, v86, v86, v87
	v_div_scale_f32 v13, vcc_lo, v87, v86, v87
	s_delay_alu instid0(VALU_DEP_2) | instskip(SKIP_1) | instid1(TRANS32_DEP_1)
	v_rcp_f32_e32 v9, v7
	v_nop
	v_fma_f32 v11, -v7, v9, 1.0
	s_delay_alu instid0(VALU_DEP_1) | instskip(NEXT) | instid1(VALU_DEP_1)
	v_fmac_f32_e32 v9, v11, v9
	v_mul_f32_e32 v11, v13, v9
	s_delay_alu instid0(VALU_DEP_1) | instskip(NEXT) | instid1(VALU_DEP_1)
	v_fma_f32 v15, -v7, v11, v13
	v_fmac_f32_e32 v11, v15, v9
	s_delay_alu instid0(VALU_DEP_1) | instskip(NEXT) | instid1(VALU_DEP_1)
	v_fma_f32 v7, -v7, v11, v13
	v_div_fmas_f32 v7, v7, v9, v11
	s_delay_alu instid0(VALU_DEP_1) | instskip(NEXT) | instid1(VALU_DEP_1)
	v_div_fixup_f32 v7, v7, v86, v87
	v_fmac_f32_e32 v86, v87, v7
	s_delay_alu instid0(VALU_DEP_1) | instskip(SKIP_1) | instid1(VALU_DEP_2)
	v_div_scale_f32 v9, null, v86, v86, 1.0
	v_div_scale_f32 v15, vcc_lo, 1.0, v86, 1.0
	v_rcp_f32_e32 v11, v9
	v_nop
	s_delay_alu instid0(TRANS32_DEP_1) | instskip(NEXT) | instid1(VALU_DEP_1)
	v_fma_f32 v13, -v9, v11, 1.0
	v_fmac_f32_e32 v11, v13, v11
	s_delay_alu instid0(VALU_DEP_1) | instskip(NEXT) | instid1(VALU_DEP_1)
	v_mul_f32_e32 v13, v15, v11
	v_fma_f32 v17, -v9, v13, v15
	s_delay_alu instid0(VALU_DEP_1) | instskip(NEXT) | instid1(VALU_DEP_1)
	v_fmac_f32_e32 v13, v17, v11
	v_fma_f32 v9, -v9, v13, v15
	s_delay_alu instid0(VALU_DEP_1) | instskip(NEXT) | instid1(VALU_DEP_1)
	v_div_fmas_f32 v9, v9, v11, v13
	v_div_fixup_f32 v90, v9, v86, 1.0
	s_delay_alu instid0(VALU_DEP_1)
	v_xor_b32_e32 v88, 0x80000000, v90
	v_mul_f32_e64 v91, v7, -v90
.LBB104_6:
	s_or_b32 exec_lo, exec_lo, s0
	s_delay_alu instid0(VALU_DEP_1)
	v_xor_b32_e32 v89, 0x80000000, v91
	s_mov_b32 s0, 0
	scratch_store_b64 v1, v[90:91], off
	ds_store_b64 v58, v[88:89]
.LBB104_7:
	s_and_b32 vcc_lo, exec_lo, s0
	s_cbranch_vccz .LBB104_9
; %bb.8:
	s_mov_b64 s[0:1], 0xbf800000
	s_wait_xcnt 0x0
	v_mov_b64_e32 v[86:87], s[0:1]
	ds_store_b64 v58, v[86:87]
.LBB104_9:
	v_dual_ashrrev_i32 v7, 31, v6 :: v_dual_ashrrev_i32 v9, 31, v8
	v_dual_ashrrev_i32 v11, 31, v10 :: v_dual_ashrrev_i32 v13, 31, v12
	;; [unrolled: 1-line block ×19, first 2 shown]
	v_dual_ashrrev_i32 v85, 31, v84 :: v_dual_mov_b32 v59, v58
	s_wait_xcnt 0x0
	v_add_nc_u32_e32 v1, 0x150, v58
	s_cmp_eq_u32 s4, 0x79
	s_cbranch_scc1 .LBB104_13
; %bb.10:
	scratch_load_b64 v[86:87], off, off offset:312
	v_cmp_eq_u32_e64 s0, 40, v0
	s_movk_i32 s1, 0x48
	s_movk_i32 s14, 0x50
	;; [unrolled: 1-line block ×30, first 2 shown]
	s_wait_loadcnt 0x0
	ds_store_b64 v1, v[86:87]
	s_wait_storecnt_dscnt 0x0
	s_barrier_signal -1
	s_barrier_wait -1
	s_wait_xcnt 0x0
	s_and_saveexec_b32 s4, s0
	s_cbranch_execz .LBB104_17
; %bb.11:
	s_and_b32 vcc_lo, exec_lo, s5
	s_cbranch_vccz .LBB104_14
; %bb.12:
	scratch_load_b64 v[86:87], v59, off
	ds_load_b64 v[88:89], v1
	s_wait_loadcnt_dscnt 0x0
	v_pk_mul_f32 v[90:91], v[88:89], v[86:87] op_sel:[1,1] op_sel_hi:[0,1]
	v_pk_mul_f32 v[92:93], v[88:89], v[86:87] op_sel_hi:[1,0]
	s_delay_alu instid0(VALU_DEP_2) | instskip(NEXT) | instid1(VALU_DEP_2)
	v_pk_fma_f32 v[86:87], v[88:89], v[86:87], v[90:91] op_sel_hi:[1,0,1]
	v_sub_f32_e32 v86, v92, v90
	s_cbranch_execz .LBB104_15
	s_branch .LBB104_16
.LBB104_13:
	s_mov_b32 s1, 0
                                        ; implicit-def: $vgpr122
                                        ; implicit-def: $sgpr7
	s_cbranch_execnz .LBB104_406
	s_branch .LBB104_801
.LBB104_14:
                                        ; implicit-def: $vgpr87
.LBB104_15:
	ds_load_b64 v[86:87], v1
.LBB104_16:
	s_wait_dscnt 0x0
	v_dual_mov_b32 v88, 0 :: v_dual_mov_b32 v90, v87
	v_mov_b32_e32 v91, v86
	ds_load_b64 v[88:89], v88 offset:312
	s_wait_dscnt 0x0
	v_pk_mul_f32 v[90:91], v[90:91], v[88:89] op_sel:[0,1]
	s_delay_alu instid0(VALU_DEP_1) | instskip(SKIP_1) | instid1(VALU_DEP_2)
	v_pk_fma_f32 v[92:93], v[86:87], v[88:89], v[90:91] op_sel_hi:[1,0,1]
	v_pk_fma_f32 v[86:87], v[86:87], v[88:89], v[90:91] neg_lo:[0,0,1] neg_hi:[0,0,1]
	v_mov_b32_e32 v87, v93
	scratch_store_b64 off, v[86:87], off offset:312
.LBB104_17:
	s_wait_xcnt 0x0
	s_or_b32 exec_lo, exec_lo, s4
	scratch_load_b64 v[86:87], off, off offset:304
	s_mov_b32 s13, s1
	v_cmp_lt_u32_e64 s1, 38, v0
	s_or_b32 s4, 0, 8
	s_mov_b32 s6, 16
	s_mov_b32 s7, 24
	;; [unrolled: 1-line block ×7, first 2 shown]
	s_wait_loadcnt 0x0
	ds_store_b64 v1, v[86:87]
	s_wait_storecnt_dscnt 0x0
	s_barrier_signal -1
	s_barrier_wait -1
	s_wait_xcnt 0x0
	s_and_saveexec_b32 s44, s1
	s_cbranch_execz .LBB104_25
; %bb.18:
	s_and_not1_b32 vcc_lo, exec_lo, s5
	s_cbranch_vccnz .LBB104_20
; %bb.19:
	scratch_load_b64 v[86:87], v59, off
	ds_load_b64 v[88:89], v1
	s_wait_loadcnt_dscnt 0x0
	v_pk_mul_f32 v[90:91], v[88:89], v[86:87] op_sel:[1,1] op_sel_hi:[0,1]
	s_delay_alu instid0(VALU_DEP_1) | instskip(SKIP_1) | instid1(VALU_DEP_2)
	v_pk_fma_f32 v[92:93], v[88:89], v[86:87], v[90:91] op_sel_hi:[1,0,1]
	v_pk_fma_f32 v[86:87], v[88:89], v[86:87], v[90:91] neg_lo:[0,0,1] neg_hi:[0,0,1]
	v_mov_b32_e32 v87, v93
	s_cbranch_execz .LBB104_21
	s_branch .LBB104_22
.LBB104_20:
                                        ; implicit-def: $vgpr86_vgpr87
.LBB104_21:
	ds_load_b64 v[86:87], v1
.LBB104_22:
	s_and_saveexec_b32 s45, s0
	s_cbranch_execz .LBB104_24
; %bb.23:
	scratch_load_b64 v[88:89], off, off offset:312
	v_mov_b32_e32 v90, 0
	ds_load_b64 v[90:91], v90 offset:648
	s_wait_loadcnt_dscnt 0x0
	v_pk_mul_f32 v[92:93], v[90:91], v[88:89] op_sel:[1,1] op_sel_hi:[0,1]
	s_delay_alu instid0(VALU_DEP_1) | instskip(SKIP_1) | instid1(VALU_DEP_2)
	v_pk_fma_f32 v[94:95], v[90:91], v[88:89], v[92:93] op_sel_hi:[1,0,1]
	v_pk_fma_f32 v[88:89], v[90:91], v[88:89], v[92:93] neg_lo:[0,0,1] neg_hi:[0,0,1]
	v_mov_b32_e32 v89, v95
	s_delay_alu instid0(VALU_DEP_1)
	v_pk_add_f32 v[86:87], v[86:87], v[88:89]
.LBB104_24:
	s_or_b32 exec_lo, exec_lo, s45
	v_mov_b32_e32 v88, 0
	ds_load_b64 v[88:89], v88 offset:304
	s_wait_dscnt 0x0
	v_pk_mul_f32 v[90:91], v[86:87], v[88:89] op_sel:[1,1] op_sel_hi:[0,1]
	s_delay_alu instid0(VALU_DEP_1) | instskip(SKIP_1) | instid1(VALU_DEP_2)
	v_pk_fma_f32 v[92:93], v[86:87], v[88:89], v[90:91] op_sel_hi:[1,0,1]
	v_pk_fma_f32 v[86:87], v[86:87], v[88:89], v[90:91] neg_lo:[0,0,1] neg_hi:[0,0,1]
	v_mov_b32_e32 v87, v93
	scratch_store_b64 off, v[86:87], off offset:304
.LBB104_25:
	s_wait_xcnt 0x0
	s_or_b32 exec_lo, exec_lo, s44
	scratch_load_b64 v[86:87], off, off offset:296
	v_cmp_lt_u32_e64 s0, 37, v0
	s_wait_loadcnt 0x0
	ds_store_b64 v1, v[86:87]
	s_wait_storecnt_dscnt 0x0
	s_barrier_signal -1
	s_barrier_wait -1
	s_wait_xcnt 0x0
	s_and_saveexec_b32 s44, s0
	s_cbranch_execz .LBB104_35
; %bb.26:
	s_and_not1_b32 vcc_lo, exec_lo, s5
	s_cbranch_vccnz .LBB104_28
; %bb.27:
	scratch_load_b64 v[86:87], v59, off
	ds_load_b64 v[88:89], v1
	s_wait_loadcnt_dscnt 0x0
	v_pk_mul_f32 v[90:91], v[88:89], v[86:87] op_sel:[1,1] op_sel_hi:[0,1]
	s_delay_alu instid0(VALU_DEP_1) | instskip(SKIP_1) | instid1(VALU_DEP_2)
	v_pk_fma_f32 v[92:93], v[88:89], v[86:87], v[90:91] op_sel_hi:[1,0,1]
	v_pk_fma_f32 v[86:87], v[88:89], v[86:87], v[90:91] neg_lo:[0,0,1] neg_hi:[0,0,1]
	v_mov_b32_e32 v87, v93
	s_cbranch_execz .LBB104_29
	s_branch .LBB104_30
.LBB104_28:
                                        ; implicit-def: $vgpr86_vgpr87
.LBB104_29:
	ds_load_b64 v[86:87], v1
.LBB104_30:
	s_and_saveexec_b32 s45, s1
	s_cbranch_execz .LBB104_34
; %bb.31:
	v_subrev_nc_u32_e32 v88, 38, v0
	s_movk_i32 s46, 0x280
	s_mov_b32 s1, 0
.LBB104_32:                             ; =>This Inner Loop Header: Depth=1
	scratch_load_b64 v[90:91], off, s43
	v_dual_mov_b32 v89, s46 :: v_dual_add_nc_u32 v88, -1, v88
	s_add_co_i32 s46, s46, 8
	s_wait_xcnt 0x0
	s_add_co_i32 s43, s43, 8
	ds_load_b64 v[92:93], v89
	v_cmp_eq_u32_e32 vcc_lo, 0, v88
	s_or_b32 s1, vcc_lo, s1
	s_wait_loadcnt_dscnt 0x0
	v_pk_mul_f32 v[94:95], v[92:93], v[90:91] op_sel:[1,1] op_sel_hi:[0,1]
	s_delay_alu instid0(VALU_DEP_1) | instskip(SKIP_1) | instid1(VALU_DEP_2)
	v_pk_fma_f32 v[96:97], v[92:93], v[90:91], v[94:95] op_sel_hi:[1,0,1]
	v_pk_fma_f32 v[90:91], v[92:93], v[90:91], v[94:95] neg_lo:[0,0,1] neg_hi:[0,0,1]
	v_mov_b32_e32 v91, v97
	s_delay_alu instid0(VALU_DEP_1)
	v_pk_add_f32 v[86:87], v[86:87], v[90:91]
	s_and_not1_b32 exec_lo, exec_lo, s1
	s_cbranch_execnz .LBB104_32
; %bb.33:
	s_or_b32 exec_lo, exec_lo, s1
.LBB104_34:
	s_delay_alu instid0(SALU_CYCLE_1) | instskip(SKIP_4) | instid1(VALU_DEP_1)
	s_or_b32 exec_lo, exec_lo, s45
	v_mov_b32_e32 v88, 0
	ds_load_b64 v[88:89], v88 offset:296
	s_wait_dscnt 0x0
	v_pk_mul_f32 v[90:91], v[86:87], v[88:89] op_sel:[1,1] op_sel_hi:[0,1]
	v_pk_fma_f32 v[92:93], v[86:87], v[88:89], v[90:91] op_sel_hi:[1,0,1]
	v_pk_fma_f32 v[86:87], v[86:87], v[88:89], v[90:91] neg_lo:[0,0,1] neg_hi:[0,0,1]
	s_delay_alu instid0(VALU_DEP_2)
	v_mov_b32_e32 v87, v93
	scratch_store_b64 off, v[86:87], off offset:296
.LBB104_35:
	s_wait_xcnt 0x0
	s_or_b32 exec_lo, exec_lo, s44
	scratch_load_b64 v[86:87], off, off offset:288
	v_cmp_lt_u32_e64 s1, 36, v0
	s_wait_loadcnt 0x0
	ds_store_b64 v1, v[86:87]
	s_wait_storecnt_dscnt 0x0
	s_barrier_signal -1
	s_barrier_wait -1
	s_wait_xcnt 0x0
	s_and_saveexec_b32 s43, s1
	s_cbranch_execz .LBB104_45
; %bb.36:
	s_and_not1_b32 vcc_lo, exec_lo, s5
	s_cbranch_vccnz .LBB104_38
; %bb.37:
	scratch_load_b64 v[86:87], v59, off
	ds_load_b64 v[88:89], v1
	s_wait_loadcnt_dscnt 0x0
	v_pk_mul_f32 v[90:91], v[88:89], v[86:87] op_sel:[1,1] op_sel_hi:[0,1]
	s_delay_alu instid0(VALU_DEP_1) | instskip(SKIP_1) | instid1(VALU_DEP_2)
	v_pk_fma_f32 v[92:93], v[88:89], v[86:87], v[90:91] op_sel_hi:[1,0,1]
	v_pk_fma_f32 v[86:87], v[88:89], v[86:87], v[90:91] neg_lo:[0,0,1] neg_hi:[0,0,1]
	v_mov_b32_e32 v87, v93
	s_cbranch_execz .LBB104_39
	s_branch .LBB104_40
.LBB104_38:
                                        ; implicit-def: $vgpr86_vgpr87
.LBB104_39:
	ds_load_b64 v[86:87], v1
.LBB104_40:
	s_and_saveexec_b32 s44, s0
	s_cbranch_execz .LBB104_44
; %bb.41:
	v_subrev_nc_u32_e32 v88, 37, v0
	s_movk_i32 s45, 0x278
	s_mov_b32 s0, 0
.LBB104_42:                             ; =>This Inner Loop Header: Depth=1
	scratch_load_b64 v[90:91], off, s42
	v_dual_mov_b32 v89, s45 :: v_dual_add_nc_u32 v88, -1, v88
	s_add_co_i32 s45, s45, 8
	s_wait_xcnt 0x0
	s_add_co_i32 s42, s42, 8
	ds_load_b64 v[92:93], v89
	v_cmp_eq_u32_e32 vcc_lo, 0, v88
	s_or_b32 s0, vcc_lo, s0
	s_wait_loadcnt_dscnt 0x0
	v_pk_mul_f32 v[94:95], v[92:93], v[90:91] op_sel:[1,1] op_sel_hi:[0,1]
	s_delay_alu instid0(VALU_DEP_1) | instskip(SKIP_1) | instid1(VALU_DEP_2)
	v_pk_fma_f32 v[96:97], v[92:93], v[90:91], v[94:95] op_sel_hi:[1,0,1]
	v_pk_fma_f32 v[90:91], v[92:93], v[90:91], v[94:95] neg_lo:[0,0,1] neg_hi:[0,0,1]
	v_mov_b32_e32 v91, v97
	s_delay_alu instid0(VALU_DEP_1)
	v_pk_add_f32 v[86:87], v[86:87], v[90:91]
	s_and_not1_b32 exec_lo, exec_lo, s0
	s_cbranch_execnz .LBB104_42
; %bb.43:
	s_or_b32 exec_lo, exec_lo, s0
.LBB104_44:
	s_delay_alu instid0(SALU_CYCLE_1) | instskip(SKIP_4) | instid1(VALU_DEP_1)
	s_or_b32 exec_lo, exec_lo, s44
	v_mov_b32_e32 v88, 0
	ds_load_b64 v[88:89], v88 offset:288
	s_wait_dscnt 0x0
	v_pk_mul_f32 v[90:91], v[86:87], v[88:89] op_sel:[1,1] op_sel_hi:[0,1]
	v_pk_fma_f32 v[92:93], v[86:87], v[88:89], v[90:91] op_sel_hi:[1,0,1]
	v_pk_fma_f32 v[86:87], v[86:87], v[88:89], v[90:91] neg_lo:[0,0,1] neg_hi:[0,0,1]
	s_delay_alu instid0(VALU_DEP_2)
	v_mov_b32_e32 v87, v93
	scratch_store_b64 off, v[86:87], off offset:288
.LBB104_45:
	s_wait_xcnt 0x0
	s_or_b32 exec_lo, exec_lo, s43
	scratch_load_b64 v[86:87], off, off offset:280
	v_cmp_lt_u32_e64 s0, 35, v0
	s_wait_loadcnt 0x0
	ds_store_b64 v1, v[86:87]
	s_wait_storecnt_dscnt 0x0
	s_barrier_signal -1
	s_barrier_wait -1
	s_wait_xcnt 0x0
	s_and_saveexec_b32 s42, s0
	s_cbranch_execz .LBB104_55
; %bb.46:
	s_and_not1_b32 vcc_lo, exec_lo, s5
	s_cbranch_vccnz .LBB104_48
; %bb.47:
	scratch_load_b64 v[86:87], v59, off
	ds_load_b64 v[88:89], v1
	s_wait_loadcnt_dscnt 0x0
	v_pk_mul_f32 v[90:91], v[88:89], v[86:87] op_sel:[1,1] op_sel_hi:[0,1]
	s_delay_alu instid0(VALU_DEP_1) | instskip(SKIP_1) | instid1(VALU_DEP_2)
	v_pk_fma_f32 v[92:93], v[88:89], v[86:87], v[90:91] op_sel_hi:[1,0,1]
	v_pk_fma_f32 v[86:87], v[88:89], v[86:87], v[90:91] neg_lo:[0,0,1] neg_hi:[0,0,1]
	v_mov_b32_e32 v87, v93
	s_cbranch_execz .LBB104_49
	s_branch .LBB104_50
.LBB104_48:
                                        ; implicit-def: $vgpr86_vgpr87
.LBB104_49:
	ds_load_b64 v[86:87], v1
.LBB104_50:
	s_and_saveexec_b32 s43, s1
	s_cbranch_execz .LBB104_54
; %bb.51:
	v_subrev_nc_u32_e32 v88, 36, v0
	s_movk_i32 s44, 0x270
	s_mov_b32 s1, 0
.LBB104_52:                             ; =>This Inner Loop Header: Depth=1
	scratch_load_b64 v[90:91], off, s41
	v_dual_mov_b32 v89, s44 :: v_dual_add_nc_u32 v88, -1, v88
	s_add_co_i32 s44, s44, 8
	s_wait_xcnt 0x0
	s_add_co_i32 s41, s41, 8
	ds_load_b64 v[92:93], v89
	v_cmp_eq_u32_e32 vcc_lo, 0, v88
	s_or_b32 s1, vcc_lo, s1
	s_wait_loadcnt_dscnt 0x0
	v_pk_mul_f32 v[94:95], v[92:93], v[90:91] op_sel:[1,1] op_sel_hi:[0,1]
	s_delay_alu instid0(VALU_DEP_1) | instskip(SKIP_1) | instid1(VALU_DEP_2)
	v_pk_fma_f32 v[96:97], v[92:93], v[90:91], v[94:95] op_sel_hi:[1,0,1]
	v_pk_fma_f32 v[90:91], v[92:93], v[90:91], v[94:95] neg_lo:[0,0,1] neg_hi:[0,0,1]
	v_mov_b32_e32 v91, v97
	s_delay_alu instid0(VALU_DEP_1)
	v_pk_add_f32 v[86:87], v[86:87], v[90:91]
	s_and_not1_b32 exec_lo, exec_lo, s1
	s_cbranch_execnz .LBB104_52
; %bb.53:
	s_or_b32 exec_lo, exec_lo, s1
.LBB104_54:
	s_delay_alu instid0(SALU_CYCLE_1) | instskip(SKIP_4) | instid1(VALU_DEP_1)
	s_or_b32 exec_lo, exec_lo, s43
	v_mov_b32_e32 v88, 0
	ds_load_b64 v[88:89], v88 offset:280
	s_wait_dscnt 0x0
	v_pk_mul_f32 v[90:91], v[86:87], v[88:89] op_sel:[1,1] op_sel_hi:[0,1]
	v_pk_fma_f32 v[92:93], v[86:87], v[88:89], v[90:91] op_sel_hi:[1,0,1]
	v_pk_fma_f32 v[86:87], v[86:87], v[88:89], v[90:91] neg_lo:[0,0,1] neg_hi:[0,0,1]
	s_delay_alu instid0(VALU_DEP_2)
	v_mov_b32_e32 v87, v93
	scratch_store_b64 off, v[86:87], off offset:280
.LBB104_55:
	s_wait_xcnt 0x0
	s_or_b32 exec_lo, exec_lo, s42
	scratch_load_b64 v[86:87], off, off offset:272
	v_cmp_lt_u32_e64 s1, 34, v0
	s_wait_loadcnt 0x0
	ds_store_b64 v1, v[86:87]
	s_wait_storecnt_dscnt 0x0
	s_barrier_signal -1
	s_barrier_wait -1
	s_wait_xcnt 0x0
	s_and_saveexec_b32 s41, s1
	s_cbranch_execz .LBB104_65
; %bb.56:
	s_and_not1_b32 vcc_lo, exec_lo, s5
	s_cbranch_vccnz .LBB104_58
; %bb.57:
	scratch_load_b64 v[86:87], v59, off
	ds_load_b64 v[88:89], v1
	s_wait_loadcnt_dscnt 0x0
	v_pk_mul_f32 v[90:91], v[88:89], v[86:87] op_sel:[1,1] op_sel_hi:[0,1]
	s_delay_alu instid0(VALU_DEP_1) | instskip(SKIP_1) | instid1(VALU_DEP_2)
	v_pk_fma_f32 v[92:93], v[88:89], v[86:87], v[90:91] op_sel_hi:[1,0,1]
	v_pk_fma_f32 v[86:87], v[88:89], v[86:87], v[90:91] neg_lo:[0,0,1] neg_hi:[0,0,1]
	v_mov_b32_e32 v87, v93
	s_cbranch_execz .LBB104_59
	s_branch .LBB104_60
.LBB104_58:
                                        ; implicit-def: $vgpr86_vgpr87
.LBB104_59:
	ds_load_b64 v[86:87], v1
.LBB104_60:
	s_and_saveexec_b32 s42, s0
	s_cbranch_execz .LBB104_64
; %bb.61:
	v_subrev_nc_u32_e32 v88, 35, v0
	s_movk_i32 s43, 0x268
	s_mov_b32 s0, 0
.LBB104_62:                             ; =>This Inner Loop Header: Depth=1
	scratch_load_b64 v[90:91], off, s40
	v_dual_mov_b32 v89, s43 :: v_dual_add_nc_u32 v88, -1, v88
	s_add_co_i32 s43, s43, 8
	s_wait_xcnt 0x0
	s_add_co_i32 s40, s40, 8
	ds_load_b64 v[92:93], v89
	v_cmp_eq_u32_e32 vcc_lo, 0, v88
	s_or_b32 s0, vcc_lo, s0
	s_wait_loadcnt_dscnt 0x0
	v_pk_mul_f32 v[94:95], v[92:93], v[90:91] op_sel:[1,1] op_sel_hi:[0,1]
	s_delay_alu instid0(VALU_DEP_1) | instskip(SKIP_1) | instid1(VALU_DEP_2)
	v_pk_fma_f32 v[96:97], v[92:93], v[90:91], v[94:95] op_sel_hi:[1,0,1]
	v_pk_fma_f32 v[90:91], v[92:93], v[90:91], v[94:95] neg_lo:[0,0,1] neg_hi:[0,0,1]
	v_mov_b32_e32 v91, v97
	s_delay_alu instid0(VALU_DEP_1)
	v_pk_add_f32 v[86:87], v[86:87], v[90:91]
	s_and_not1_b32 exec_lo, exec_lo, s0
	s_cbranch_execnz .LBB104_62
; %bb.63:
	s_or_b32 exec_lo, exec_lo, s0
.LBB104_64:
	s_delay_alu instid0(SALU_CYCLE_1) | instskip(SKIP_4) | instid1(VALU_DEP_1)
	s_or_b32 exec_lo, exec_lo, s42
	v_mov_b32_e32 v88, 0
	ds_load_b64 v[88:89], v88 offset:272
	s_wait_dscnt 0x0
	v_pk_mul_f32 v[90:91], v[86:87], v[88:89] op_sel:[1,1] op_sel_hi:[0,1]
	v_pk_fma_f32 v[92:93], v[86:87], v[88:89], v[90:91] op_sel_hi:[1,0,1]
	v_pk_fma_f32 v[86:87], v[86:87], v[88:89], v[90:91] neg_lo:[0,0,1] neg_hi:[0,0,1]
	s_delay_alu instid0(VALU_DEP_2)
	v_mov_b32_e32 v87, v93
	scratch_store_b64 off, v[86:87], off offset:272
.LBB104_65:
	s_wait_xcnt 0x0
	s_or_b32 exec_lo, exec_lo, s41
	scratch_load_b64 v[86:87], off, off offset:264
	v_cmp_lt_u32_e64 s0, 33, v0
	s_wait_loadcnt 0x0
	ds_store_b64 v1, v[86:87]
	s_wait_storecnt_dscnt 0x0
	s_barrier_signal -1
	s_barrier_wait -1
	s_wait_xcnt 0x0
	s_and_saveexec_b32 s40, s0
	s_cbranch_execz .LBB104_75
; %bb.66:
	s_and_not1_b32 vcc_lo, exec_lo, s5
	s_cbranch_vccnz .LBB104_68
; %bb.67:
	scratch_load_b64 v[86:87], v59, off
	ds_load_b64 v[88:89], v1
	s_wait_loadcnt_dscnt 0x0
	v_pk_mul_f32 v[90:91], v[88:89], v[86:87] op_sel:[1,1] op_sel_hi:[0,1]
	s_delay_alu instid0(VALU_DEP_1) | instskip(SKIP_1) | instid1(VALU_DEP_2)
	v_pk_fma_f32 v[92:93], v[88:89], v[86:87], v[90:91] op_sel_hi:[1,0,1]
	v_pk_fma_f32 v[86:87], v[88:89], v[86:87], v[90:91] neg_lo:[0,0,1] neg_hi:[0,0,1]
	v_mov_b32_e32 v87, v93
	s_cbranch_execz .LBB104_69
	s_branch .LBB104_70
.LBB104_68:
                                        ; implicit-def: $vgpr86_vgpr87
.LBB104_69:
	ds_load_b64 v[86:87], v1
.LBB104_70:
	s_and_saveexec_b32 s41, s1
	s_cbranch_execz .LBB104_74
; %bb.71:
	v_subrev_nc_u32_e32 v88, 34, v0
	s_movk_i32 s42, 0x260
	s_mov_b32 s1, 0
.LBB104_72:                             ; =>This Inner Loop Header: Depth=1
	scratch_load_b64 v[90:91], off, s39
	v_dual_mov_b32 v89, s42 :: v_dual_add_nc_u32 v88, -1, v88
	s_add_co_i32 s42, s42, 8
	s_wait_xcnt 0x0
	s_add_co_i32 s39, s39, 8
	ds_load_b64 v[92:93], v89
	v_cmp_eq_u32_e32 vcc_lo, 0, v88
	s_or_b32 s1, vcc_lo, s1
	s_wait_loadcnt_dscnt 0x0
	v_pk_mul_f32 v[94:95], v[92:93], v[90:91] op_sel:[1,1] op_sel_hi:[0,1]
	s_delay_alu instid0(VALU_DEP_1) | instskip(SKIP_1) | instid1(VALU_DEP_2)
	v_pk_fma_f32 v[96:97], v[92:93], v[90:91], v[94:95] op_sel_hi:[1,0,1]
	v_pk_fma_f32 v[90:91], v[92:93], v[90:91], v[94:95] neg_lo:[0,0,1] neg_hi:[0,0,1]
	v_mov_b32_e32 v91, v97
	s_delay_alu instid0(VALU_DEP_1)
	v_pk_add_f32 v[86:87], v[86:87], v[90:91]
	s_and_not1_b32 exec_lo, exec_lo, s1
	s_cbranch_execnz .LBB104_72
; %bb.73:
	s_or_b32 exec_lo, exec_lo, s1
.LBB104_74:
	s_delay_alu instid0(SALU_CYCLE_1) | instskip(SKIP_4) | instid1(VALU_DEP_1)
	s_or_b32 exec_lo, exec_lo, s41
	v_mov_b32_e32 v88, 0
	ds_load_b64 v[88:89], v88 offset:264
	s_wait_dscnt 0x0
	v_pk_mul_f32 v[90:91], v[86:87], v[88:89] op_sel:[1,1] op_sel_hi:[0,1]
	v_pk_fma_f32 v[92:93], v[86:87], v[88:89], v[90:91] op_sel_hi:[1,0,1]
	v_pk_fma_f32 v[86:87], v[86:87], v[88:89], v[90:91] neg_lo:[0,0,1] neg_hi:[0,0,1]
	s_delay_alu instid0(VALU_DEP_2)
	v_mov_b32_e32 v87, v93
	scratch_store_b64 off, v[86:87], off offset:264
.LBB104_75:
	s_wait_xcnt 0x0
	s_or_b32 exec_lo, exec_lo, s40
	scratch_load_b64 v[86:87], off, off offset:256
	v_cmp_lt_u32_e64 s1, 32, v0
	s_wait_loadcnt 0x0
	ds_store_b64 v1, v[86:87]
	s_wait_storecnt_dscnt 0x0
	s_barrier_signal -1
	s_barrier_wait -1
	s_wait_xcnt 0x0
	s_and_saveexec_b32 s39, s1
	s_cbranch_execz .LBB104_85
; %bb.76:
	s_and_not1_b32 vcc_lo, exec_lo, s5
	s_cbranch_vccnz .LBB104_78
; %bb.77:
	scratch_load_b64 v[86:87], v59, off
	ds_load_b64 v[88:89], v1
	s_wait_loadcnt_dscnt 0x0
	v_pk_mul_f32 v[90:91], v[88:89], v[86:87] op_sel:[1,1] op_sel_hi:[0,1]
	s_delay_alu instid0(VALU_DEP_1) | instskip(SKIP_1) | instid1(VALU_DEP_2)
	v_pk_fma_f32 v[92:93], v[88:89], v[86:87], v[90:91] op_sel_hi:[1,0,1]
	v_pk_fma_f32 v[86:87], v[88:89], v[86:87], v[90:91] neg_lo:[0,0,1] neg_hi:[0,0,1]
	v_mov_b32_e32 v87, v93
	s_cbranch_execz .LBB104_79
	s_branch .LBB104_80
.LBB104_78:
                                        ; implicit-def: $vgpr86_vgpr87
.LBB104_79:
	ds_load_b64 v[86:87], v1
.LBB104_80:
	s_and_saveexec_b32 s40, s0
	s_cbranch_execz .LBB104_84
; %bb.81:
	v_subrev_nc_u32_e32 v88, 33, v0
	s_movk_i32 s41, 0x258
	s_mov_b32 s0, 0
.LBB104_82:                             ; =>This Inner Loop Header: Depth=1
	scratch_load_b64 v[90:91], off, s38
	v_dual_mov_b32 v89, s41 :: v_dual_add_nc_u32 v88, -1, v88
	s_add_co_i32 s41, s41, 8
	s_wait_xcnt 0x0
	s_add_co_i32 s38, s38, 8
	ds_load_b64 v[92:93], v89
	v_cmp_eq_u32_e32 vcc_lo, 0, v88
	s_or_b32 s0, vcc_lo, s0
	s_wait_loadcnt_dscnt 0x0
	v_pk_mul_f32 v[94:95], v[92:93], v[90:91] op_sel:[1,1] op_sel_hi:[0,1]
	s_delay_alu instid0(VALU_DEP_1) | instskip(SKIP_1) | instid1(VALU_DEP_2)
	v_pk_fma_f32 v[96:97], v[92:93], v[90:91], v[94:95] op_sel_hi:[1,0,1]
	v_pk_fma_f32 v[90:91], v[92:93], v[90:91], v[94:95] neg_lo:[0,0,1] neg_hi:[0,0,1]
	v_mov_b32_e32 v91, v97
	s_delay_alu instid0(VALU_DEP_1)
	v_pk_add_f32 v[86:87], v[86:87], v[90:91]
	s_and_not1_b32 exec_lo, exec_lo, s0
	s_cbranch_execnz .LBB104_82
; %bb.83:
	s_or_b32 exec_lo, exec_lo, s0
.LBB104_84:
	s_delay_alu instid0(SALU_CYCLE_1) | instskip(SKIP_4) | instid1(VALU_DEP_1)
	s_or_b32 exec_lo, exec_lo, s40
	v_mov_b32_e32 v88, 0
	ds_load_b64 v[88:89], v88 offset:256
	s_wait_dscnt 0x0
	v_pk_mul_f32 v[90:91], v[86:87], v[88:89] op_sel:[1,1] op_sel_hi:[0,1]
	v_pk_fma_f32 v[92:93], v[86:87], v[88:89], v[90:91] op_sel_hi:[1,0,1]
	v_pk_fma_f32 v[86:87], v[86:87], v[88:89], v[90:91] neg_lo:[0,0,1] neg_hi:[0,0,1]
	s_delay_alu instid0(VALU_DEP_2)
	v_mov_b32_e32 v87, v93
	scratch_store_b64 off, v[86:87], off offset:256
.LBB104_85:
	s_wait_xcnt 0x0
	s_or_b32 exec_lo, exec_lo, s39
	scratch_load_b64 v[86:87], off, off offset:248
	v_cmp_lt_u32_e64 s0, 31, v0
	s_wait_loadcnt 0x0
	ds_store_b64 v1, v[86:87]
	s_wait_storecnt_dscnt 0x0
	s_barrier_signal -1
	s_barrier_wait -1
	s_wait_xcnt 0x0
	s_and_saveexec_b32 s38, s0
	s_cbranch_execz .LBB104_95
; %bb.86:
	s_and_not1_b32 vcc_lo, exec_lo, s5
	s_cbranch_vccnz .LBB104_88
; %bb.87:
	scratch_load_b64 v[86:87], v59, off
	ds_load_b64 v[88:89], v1
	s_wait_loadcnt_dscnt 0x0
	v_pk_mul_f32 v[90:91], v[88:89], v[86:87] op_sel:[1,1] op_sel_hi:[0,1]
	s_delay_alu instid0(VALU_DEP_1) | instskip(SKIP_1) | instid1(VALU_DEP_2)
	v_pk_fma_f32 v[92:93], v[88:89], v[86:87], v[90:91] op_sel_hi:[1,0,1]
	v_pk_fma_f32 v[86:87], v[88:89], v[86:87], v[90:91] neg_lo:[0,0,1] neg_hi:[0,0,1]
	v_mov_b32_e32 v87, v93
	s_cbranch_execz .LBB104_89
	s_branch .LBB104_90
.LBB104_88:
                                        ; implicit-def: $vgpr86_vgpr87
.LBB104_89:
	ds_load_b64 v[86:87], v1
.LBB104_90:
	s_and_saveexec_b32 s39, s1
	s_cbranch_execz .LBB104_94
; %bb.91:
	v_subrev_nc_u32_e32 v88, 32, v0
	s_movk_i32 s40, 0x250
	s_mov_b32 s1, 0
.LBB104_92:                             ; =>This Inner Loop Header: Depth=1
	scratch_load_b64 v[90:91], off, s37
	v_dual_mov_b32 v89, s40 :: v_dual_add_nc_u32 v88, -1, v88
	s_add_co_i32 s40, s40, 8
	s_wait_xcnt 0x0
	s_add_co_i32 s37, s37, 8
	ds_load_b64 v[92:93], v89
	v_cmp_eq_u32_e32 vcc_lo, 0, v88
	s_or_b32 s1, vcc_lo, s1
	s_wait_loadcnt_dscnt 0x0
	v_pk_mul_f32 v[94:95], v[92:93], v[90:91] op_sel:[1,1] op_sel_hi:[0,1]
	s_delay_alu instid0(VALU_DEP_1) | instskip(SKIP_1) | instid1(VALU_DEP_2)
	v_pk_fma_f32 v[96:97], v[92:93], v[90:91], v[94:95] op_sel_hi:[1,0,1]
	v_pk_fma_f32 v[90:91], v[92:93], v[90:91], v[94:95] neg_lo:[0,0,1] neg_hi:[0,0,1]
	v_mov_b32_e32 v91, v97
	s_delay_alu instid0(VALU_DEP_1)
	v_pk_add_f32 v[86:87], v[86:87], v[90:91]
	s_and_not1_b32 exec_lo, exec_lo, s1
	s_cbranch_execnz .LBB104_92
; %bb.93:
	s_or_b32 exec_lo, exec_lo, s1
.LBB104_94:
	s_delay_alu instid0(SALU_CYCLE_1) | instskip(SKIP_4) | instid1(VALU_DEP_1)
	s_or_b32 exec_lo, exec_lo, s39
	v_mov_b32_e32 v88, 0
	ds_load_b64 v[88:89], v88 offset:248
	s_wait_dscnt 0x0
	v_pk_mul_f32 v[90:91], v[86:87], v[88:89] op_sel:[1,1] op_sel_hi:[0,1]
	v_pk_fma_f32 v[92:93], v[86:87], v[88:89], v[90:91] op_sel_hi:[1,0,1]
	v_pk_fma_f32 v[86:87], v[86:87], v[88:89], v[90:91] neg_lo:[0,0,1] neg_hi:[0,0,1]
	s_delay_alu instid0(VALU_DEP_2)
	v_mov_b32_e32 v87, v93
	scratch_store_b64 off, v[86:87], off offset:248
.LBB104_95:
	s_wait_xcnt 0x0
	s_or_b32 exec_lo, exec_lo, s38
	scratch_load_b64 v[86:87], off, off offset:240
	v_cmp_lt_u32_e64 s1, 30, v0
	s_wait_loadcnt 0x0
	ds_store_b64 v1, v[86:87]
	s_wait_storecnt_dscnt 0x0
	s_barrier_signal -1
	s_barrier_wait -1
	s_wait_xcnt 0x0
	s_and_saveexec_b32 s37, s1
	s_cbranch_execz .LBB104_105
; %bb.96:
	s_and_not1_b32 vcc_lo, exec_lo, s5
	s_cbranch_vccnz .LBB104_98
; %bb.97:
	scratch_load_b64 v[86:87], v59, off
	ds_load_b64 v[88:89], v1
	s_wait_loadcnt_dscnt 0x0
	v_pk_mul_f32 v[90:91], v[88:89], v[86:87] op_sel:[1,1] op_sel_hi:[0,1]
	s_delay_alu instid0(VALU_DEP_1) | instskip(SKIP_1) | instid1(VALU_DEP_2)
	v_pk_fma_f32 v[92:93], v[88:89], v[86:87], v[90:91] op_sel_hi:[1,0,1]
	v_pk_fma_f32 v[86:87], v[88:89], v[86:87], v[90:91] neg_lo:[0,0,1] neg_hi:[0,0,1]
	v_mov_b32_e32 v87, v93
	s_cbranch_execz .LBB104_99
	s_branch .LBB104_100
.LBB104_98:
                                        ; implicit-def: $vgpr86_vgpr87
.LBB104_99:
	ds_load_b64 v[86:87], v1
.LBB104_100:
	s_and_saveexec_b32 s38, s0
	s_cbranch_execz .LBB104_104
; %bb.101:
	v_subrev_nc_u32_e32 v88, 31, v0
	s_movk_i32 s39, 0x248
	s_mov_b32 s0, 0
.LBB104_102:                            ; =>This Inner Loop Header: Depth=1
	scratch_load_b64 v[90:91], off, s36
	v_dual_mov_b32 v89, s39 :: v_dual_add_nc_u32 v88, -1, v88
	s_add_co_i32 s39, s39, 8
	s_wait_xcnt 0x0
	s_add_co_i32 s36, s36, 8
	ds_load_b64 v[92:93], v89
	v_cmp_eq_u32_e32 vcc_lo, 0, v88
	s_or_b32 s0, vcc_lo, s0
	s_wait_loadcnt_dscnt 0x0
	v_pk_mul_f32 v[94:95], v[92:93], v[90:91] op_sel:[1,1] op_sel_hi:[0,1]
	s_delay_alu instid0(VALU_DEP_1) | instskip(SKIP_1) | instid1(VALU_DEP_2)
	v_pk_fma_f32 v[96:97], v[92:93], v[90:91], v[94:95] op_sel_hi:[1,0,1]
	v_pk_fma_f32 v[90:91], v[92:93], v[90:91], v[94:95] neg_lo:[0,0,1] neg_hi:[0,0,1]
	v_mov_b32_e32 v91, v97
	s_delay_alu instid0(VALU_DEP_1)
	v_pk_add_f32 v[86:87], v[86:87], v[90:91]
	s_and_not1_b32 exec_lo, exec_lo, s0
	s_cbranch_execnz .LBB104_102
; %bb.103:
	s_or_b32 exec_lo, exec_lo, s0
.LBB104_104:
	s_delay_alu instid0(SALU_CYCLE_1) | instskip(SKIP_4) | instid1(VALU_DEP_1)
	s_or_b32 exec_lo, exec_lo, s38
	v_mov_b32_e32 v88, 0
	ds_load_b64 v[88:89], v88 offset:240
	s_wait_dscnt 0x0
	v_pk_mul_f32 v[90:91], v[86:87], v[88:89] op_sel:[1,1] op_sel_hi:[0,1]
	v_pk_fma_f32 v[92:93], v[86:87], v[88:89], v[90:91] op_sel_hi:[1,0,1]
	v_pk_fma_f32 v[86:87], v[86:87], v[88:89], v[90:91] neg_lo:[0,0,1] neg_hi:[0,0,1]
	s_delay_alu instid0(VALU_DEP_2)
	v_mov_b32_e32 v87, v93
	scratch_store_b64 off, v[86:87], off offset:240
.LBB104_105:
	s_wait_xcnt 0x0
	s_or_b32 exec_lo, exec_lo, s37
	scratch_load_b64 v[86:87], off, off offset:232
	v_cmp_lt_u32_e64 s0, 29, v0
	s_wait_loadcnt 0x0
	ds_store_b64 v1, v[86:87]
	s_wait_storecnt_dscnt 0x0
	s_barrier_signal -1
	s_barrier_wait -1
	s_wait_xcnt 0x0
	s_and_saveexec_b32 s36, s0
	s_cbranch_execz .LBB104_115
; %bb.106:
	s_and_not1_b32 vcc_lo, exec_lo, s5
	s_cbranch_vccnz .LBB104_108
; %bb.107:
	scratch_load_b64 v[86:87], v59, off
	ds_load_b64 v[88:89], v1
	s_wait_loadcnt_dscnt 0x0
	v_pk_mul_f32 v[90:91], v[88:89], v[86:87] op_sel:[1,1] op_sel_hi:[0,1]
	s_delay_alu instid0(VALU_DEP_1) | instskip(SKIP_1) | instid1(VALU_DEP_2)
	v_pk_fma_f32 v[92:93], v[88:89], v[86:87], v[90:91] op_sel_hi:[1,0,1]
	v_pk_fma_f32 v[86:87], v[88:89], v[86:87], v[90:91] neg_lo:[0,0,1] neg_hi:[0,0,1]
	v_mov_b32_e32 v87, v93
	s_cbranch_execz .LBB104_109
	s_branch .LBB104_110
.LBB104_108:
                                        ; implicit-def: $vgpr86_vgpr87
.LBB104_109:
	ds_load_b64 v[86:87], v1
.LBB104_110:
	s_and_saveexec_b32 s37, s1
	s_cbranch_execz .LBB104_114
; %bb.111:
	v_subrev_nc_u32_e32 v88, 30, v0
	s_movk_i32 s38, 0x240
	s_mov_b32 s1, 0
.LBB104_112:                            ; =>This Inner Loop Header: Depth=1
	scratch_load_b64 v[90:91], off, s35
	v_dual_mov_b32 v89, s38 :: v_dual_add_nc_u32 v88, -1, v88
	s_add_co_i32 s38, s38, 8
	s_wait_xcnt 0x0
	s_add_co_i32 s35, s35, 8
	ds_load_b64 v[92:93], v89
	v_cmp_eq_u32_e32 vcc_lo, 0, v88
	s_or_b32 s1, vcc_lo, s1
	s_wait_loadcnt_dscnt 0x0
	v_pk_mul_f32 v[94:95], v[92:93], v[90:91] op_sel:[1,1] op_sel_hi:[0,1]
	s_delay_alu instid0(VALU_DEP_1) | instskip(SKIP_1) | instid1(VALU_DEP_2)
	v_pk_fma_f32 v[96:97], v[92:93], v[90:91], v[94:95] op_sel_hi:[1,0,1]
	v_pk_fma_f32 v[90:91], v[92:93], v[90:91], v[94:95] neg_lo:[0,0,1] neg_hi:[0,0,1]
	v_mov_b32_e32 v91, v97
	s_delay_alu instid0(VALU_DEP_1)
	v_pk_add_f32 v[86:87], v[86:87], v[90:91]
	s_and_not1_b32 exec_lo, exec_lo, s1
	s_cbranch_execnz .LBB104_112
; %bb.113:
	s_or_b32 exec_lo, exec_lo, s1
.LBB104_114:
	s_delay_alu instid0(SALU_CYCLE_1) | instskip(SKIP_4) | instid1(VALU_DEP_1)
	s_or_b32 exec_lo, exec_lo, s37
	v_mov_b32_e32 v88, 0
	ds_load_b64 v[88:89], v88 offset:232
	s_wait_dscnt 0x0
	v_pk_mul_f32 v[90:91], v[86:87], v[88:89] op_sel:[1,1] op_sel_hi:[0,1]
	v_pk_fma_f32 v[92:93], v[86:87], v[88:89], v[90:91] op_sel_hi:[1,0,1]
	v_pk_fma_f32 v[86:87], v[86:87], v[88:89], v[90:91] neg_lo:[0,0,1] neg_hi:[0,0,1]
	s_delay_alu instid0(VALU_DEP_2)
	v_mov_b32_e32 v87, v93
	scratch_store_b64 off, v[86:87], off offset:232
.LBB104_115:
	s_wait_xcnt 0x0
	s_or_b32 exec_lo, exec_lo, s36
	scratch_load_b64 v[86:87], off, off offset:224
	v_cmp_lt_u32_e64 s1, 28, v0
	s_wait_loadcnt 0x0
	ds_store_b64 v1, v[86:87]
	s_wait_storecnt_dscnt 0x0
	s_barrier_signal -1
	s_barrier_wait -1
	s_wait_xcnt 0x0
	s_and_saveexec_b32 s35, s1
	s_cbranch_execz .LBB104_125
; %bb.116:
	s_and_not1_b32 vcc_lo, exec_lo, s5
	s_cbranch_vccnz .LBB104_118
; %bb.117:
	scratch_load_b64 v[86:87], v59, off
	ds_load_b64 v[88:89], v1
	s_wait_loadcnt_dscnt 0x0
	v_pk_mul_f32 v[90:91], v[88:89], v[86:87] op_sel:[1,1] op_sel_hi:[0,1]
	s_delay_alu instid0(VALU_DEP_1) | instskip(SKIP_1) | instid1(VALU_DEP_2)
	v_pk_fma_f32 v[92:93], v[88:89], v[86:87], v[90:91] op_sel_hi:[1,0,1]
	v_pk_fma_f32 v[86:87], v[88:89], v[86:87], v[90:91] neg_lo:[0,0,1] neg_hi:[0,0,1]
	v_mov_b32_e32 v87, v93
	s_cbranch_execz .LBB104_119
	s_branch .LBB104_120
.LBB104_118:
                                        ; implicit-def: $vgpr86_vgpr87
.LBB104_119:
	ds_load_b64 v[86:87], v1
.LBB104_120:
	s_and_saveexec_b32 s36, s0
	s_cbranch_execz .LBB104_124
; %bb.121:
	v_subrev_nc_u32_e32 v88, 29, v0
	s_movk_i32 s37, 0x238
	s_mov_b32 s0, 0
.LBB104_122:                            ; =>This Inner Loop Header: Depth=1
	scratch_load_b64 v[90:91], off, s34
	v_dual_mov_b32 v89, s37 :: v_dual_add_nc_u32 v88, -1, v88
	s_add_co_i32 s37, s37, 8
	s_wait_xcnt 0x0
	s_add_co_i32 s34, s34, 8
	ds_load_b64 v[92:93], v89
	v_cmp_eq_u32_e32 vcc_lo, 0, v88
	s_or_b32 s0, vcc_lo, s0
	s_wait_loadcnt_dscnt 0x0
	v_pk_mul_f32 v[94:95], v[92:93], v[90:91] op_sel:[1,1] op_sel_hi:[0,1]
	s_delay_alu instid0(VALU_DEP_1) | instskip(SKIP_1) | instid1(VALU_DEP_2)
	v_pk_fma_f32 v[96:97], v[92:93], v[90:91], v[94:95] op_sel_hi:[1,0,1]
	v_pk_fma_f32 v[90:91], v[92:93], v[90:91], v[94:95] neg_lo:[0,0,1] neg_hi:[0,0,1]
	v_mov_b32_e32 v91, v97
	s_delay_alu instid0(VALU_DEP_1)
	v_pk_add_f32 v[86:87], v[86:87], v[90:91]
	s_and_not1_b32 exec_lo, exec_lo, s0
	s_cbranch_execnz .LBB104_122
; %bb.123:
	s_or_b32 exec_lo, exec_lo, s0
.LBB104_124:
	s_delay_alu instid0(SALU_CYCLE_1) | instskip(SKIP_4) | instid1(VALU_DEP_1)
	s_or_b32 exec_lo, exec_lo, s36
	v_mov_b32_e32 v88, 0
	ds_load_b64 v[88:89], v88 offset:224
	s_wait_dscnt 0x0
	v_pk_mul_f32 v[90:91], v[86:87], v[88:89] op_sel:[1,1] op_sel_hi:[0,1]
	v_pk_fma_f32 v[92:93], v[86:87], v[88:89], v[90:91] op_sel_hi:[1,0,1]
	v_pk_fma_f32 v[86:87], v[86:87], v[88:89], v[90:91] neg_lo:[0,0,1] neg_hi:[0,0,1]
	s_delay_alu instid0(VALU_DEP_2)
	v_mov_b32_e32 v87, v93
	scratch_store_b64 off, v[86:87], off offset:224
.LBB104_125:
	s_wait_xcnt 0x0
	s_or_b32 exec_lo, exec_lo, s35
	scratch_load_b64 v[86:87], off, off offset:216
	v_cmp_lt_u32_e64 s0, 27, v0
	s_wait_loadcnt 0x0
	ds_store_b64 v1, v[86:87]
	s_wait_storecnt_dscnt 0x0
	s_barrier_signal -1
	s_barrier_wait -1
	s_wait_xcnt 0x0
	s_and_saveexec_b32 s34, s0
	s_cbranch_execz .LBB104_135
; %bb.126:
	s_and_not1_b32 vcc_lo, exec_lo, s5
	s_cbranch_vccnz .LBB104_128
; %bb.127:
	scratch_load_b64 v[86:87], v59, off
	ds_load_b64 v[88:89], v1
	s_wait_loadcnt_dscnt 0x0
	v_pk_mul_f32 v[90:91], v[88:89], v[86:87] op_sel:[1,1] op_sel_hi:[0,1]
	s_delay_alu instid0(VALU_DEP_1) | instskip(SKIP_1) | instid1(VALU_DEP_2)
	v_pk_fma_f32 v[92:93], v[88:89], v[86:87], v[90:91] op_sel_hi:[1,0,1]
	v_pk_fma_f32 v[86:87], v[88:89], v[86:87], v[90:91] neg_lo:[0,0,1] neg_hi:[0,0,1]
	v_mov_b32_e32 v87, v93
	s_cbranch_execz .LBB104_129
	s_branch .LBB104_130
.LBB104_128:
                                        ; implicit-def: $vgpr86_vgpr87
.LBB104_129:
	ds_load_b64 v[86:87], v1
.LBB104_130:
	s_and_saveexec_b32 s35, s1
	s_cbranch_execz .LBB104_134
; %bb.131:
	v_subrev_nc_u32_e32 v88, 28, v0
	s_movk_i32 s36, 0x230
	s_mov_b32 s1, 0
.LBB104_132:                            ; =>This Inner Loop Header: Depth=1
	scratch_load_b64 v[90:91], off, s33
	v_dual_mov_b32 v89, s36 :: v_dual_add_nc_u32 v88, -1, v88
	s_add_co_i32 s36, s36, 8
	s_wait_xcnt 0x0
	s_add_co_i32 s33, s33, 8
	ds_load_b64 v[92:93], v89
	v_cmp_eq_u32_e32 vcc_lo, 0, v88
	s_or_b32 s1, vcc_lo, s1
	s_wait_loadcnt_dscnt 0x0
	v_pk_mul_f32 v[94:95], v[92:93], v[90:91] op_sel:[1,1] op_sel_hi:[0,1]
	s_delay_alu instid0(VALU_DEP_1) | instskip(SKIP_1) | instid1(VALU_DEP_2)
	v_pk_fma_f32 v[96:97], v[92:93], v[90:91], v[94:95] op_sel_hi:[1,0,1]
	v_pk_fma_f32 v[90:91], v[92:93], v[90:91], v[94:95] neg_lo:[0,0,1] neg_hi:[0,0,1]
	v_mov_b32_e32 v91, v97
	s_delay_alu instid0(VALU_DEP_1)
	v_pk_add_f32 v[86:87], v[86:87], v[90:91]
	s_and_not1_b32 exec_lo, exec_lo, s1
	s_cbranch_execnz .LBB104_132
; %bb.133:
	s_or_b32 exec_lo, exec_lo, s1
.LBB104_134:
	s_delay_alu instid0(SALU_CYCLE_1) | instskip(SKIP_4) | instid1(VALU_DEP_1)
	s_or_b32 exec_lo, exec_lo, s35
	v_mov_b32_e32 v88, 0
	ds_load_b64 v[88:89], v88 offset:216
	s_wait_dscnt 0x0
	v_pk_mul_f32 v[90:91], v[86:87], v[88:89] op_sel:[1,1] op_sel_hi:[0,1]
	v_pk_fma_f32 v[92:93], v[86:87], v[88:89], v[90:91] op_sel_hi:[1,0,1]
	v_pk_fma_f32 v[86:87], v[86:87], v[88:89], v[90:91] neg_lo:[0,0,1] neg_hi:[0,0,1]
	s_delay_alu instid0(VALU_DEP_2)
	v_mov_b32_e32 v87, v93
	scratch_store_b64 off, v[86:87], off offset:216
.LBB104_135:
	s_wait_xcnt 0x0
	s_or_b32 exec_lo, exec_lo, s34
	scratch_load_b64 v[86:87], off, off offset:208
	v_cmp_lt_u32_e64 s1, 26, v0
	s_wait_loadcnt 0x0
	ds_store_b64 v1, v[86:87]
	s_wait_storecnt_dscnt 0x0
	s_barrier_signal -1
	s_barrier_wait -1
	s_wait_xcnt 0x0
	s_and_saveexec_b32 s33, s1
	s_cbranch_execz .LBB104_145
; %bb.136:
	s_and_not1_b32 vcc_lo, exec_lo, s5
	s_cbranch_vccnz .LBB104_138
; %bb.137:
	scratch_load_b64 v[86:87], v59, off
	ds_load_b64 v[88:89], v1
	s_wait_loadcnt_dscnt 0x0
	v_pk_mul_f32 v[90:91], v[88:89], v[86:87] op_sel:[1,1] op_sel_hi:[0,1]
	s_delay_alu instid0(VALU_DEP_1) | instskip(SKIP_1) | instid1(VALU_DEP_2)
	v_pk_fma_f32 v[92:93], v[88:89], v[86:87], v[90:91] op_sel_hi:[1,0,1]
	v_pk_fma_f32 v[86:87], v[88:89], v[86:87], v[90:91] neg_lo:[0,0,1] neg_hi:[0,0,1]
	v_mov_b32_e32 v87, v93
	s_cbranch_execz .LBB104_139
	s_branch .LBB104_140
.LBB104_138:
                                        ; implicit-def: $vgpr86_vgpr87
.LBB104_139:
	ds_load_b64 v[86:87], v1
.LBB104_140:
	s_and_saveexec_b32 s34, s0
	s_cbranch_execz .LBB104_144
; %bb.141:
	v_subrev_nc_u32_e32 v88, 27, v0
	s_movk_i32 s35, 0x228
	s_mov_b32 s0, 0
.LBB104_142:                            ; =>This Inner Loop Header: Depth=1
	scratch_load_b64 v[90:91], off, s31
	v_dual_mov_b32 v89, s35 :: v_dual_add_nc_u32 v88, -1, v88
	s_add_co_i32 s35, s35, 8
	s_wait_xcnt 0x0
	s_add_co_i32 s31, s31, 8
	ds_load_b64 v[92:93], v89
	v_cmp_eq_u32_e32 vcc_lo, 0, v88
	s_or_b32 s0, vcc_lo, s0
	s_wait_loadcnt_dscnt 0x0
	v_pk_mul_f32 v[94:95], v[92:93], v[90:91] op_sel:[1,1] op_sel_hi:[0,1]
	s_delay_alu instid0(VALU_DEP_1) | instskip(SKIP_1) | instid1(VALU_DEP_2)
	v_pk_fma_f32 v[96:97], v[92:93], v[90:91], v[94:95] op_sel_hi:[1,0,1]
	v_pk_fma_f32 v[90:91], v[92:93], v[90:91], v[94:95] neg_lo:[0,0,1] neg_hi:[0,0,1]
	v_mov_b32_e32 v91, v97
	s_delay_alu instid0(VALU_DEP_1)
	v_pk_add_f32 v[86:87], v[86:87], v[90:91]
	s_and_not1_b32 exec_lo, exec_lo, s0
	s_cbranch_execnz .LBB104_142
; %bb.143:
	s_or_b32 exec_lo, exec_lo, s0
.LBB104_144:
	s_delay_alu instid0(SALU_CYCLE_1) | instskip(SKIP_4) | instid1(VALU_DEP_1)
	s_or_b32 exec_lo, exec_lo, s34
	v_mov_b32_e32 v88, 0
	ds_load_b64 v[88:89], v88 offset:208
	s_wait_dscnt 0x0
	v_pk_mul_f32 v[90:91], v[86:87], v[88:89] op_sel:[1,1] op_sel_hi:[0,1]
	v_pk_fma_f32 v[92:93], v[86:87], v[88:89], v[90:91] op_sel_hi:[1,0,1]
	v_pk_fma_f32 v[86:87], v[86:87], v[88:89], v[90:91] neg_lo:[0,0,1] neg_hi:[0,0,1]
	s_delay_alu instid0(VALU_DEP_2)
	v_mov_b32_e32 v87, v93
	scratch_store_b64 off, v[86:87], off offset:208
.LBB104_145:
	s_wait_xcnt 0x0
	s_or_b32 exec_lo, exec_lo, s33
	scratch_load_b64 v[86:87], off, off offset:200
	v_cmp_lt_u32_e64 s0, 25, v0
	s_wait_loadcnt 0x0
	ds_store_b64 v1, v[86:87]
	s_wait_storecnt_dscnt 0x0
	s_barrier_signal -1
	s_barrier_wait -1
	s_wait_xcnt 0x0
	s_and_saveexec_b32 s31, s0
	s_cbranch_execz .LBB104_155
; %bb.146:
	s_and_not1_b32 vcc_lo, exec_lo, s5
	s_cbranch_vccnz .LBB104_148
; %bb.147:
	scratch_load_b64 v[86:87], v59, off
	ds_load_b64 v[88:89], v1
	s_wait_loadcnt_dscnt 0x0
	v_pk_mul_f32 v[90:91], v[88:89], v[86:87] op_sel:[1,1] op_sel_hi:[0,1]
	s_delay_alu instid0(VALU_DEP_1) | instskip(SKIP_1) | instid1(VALU_DEP_2)
	v_pk_fma_f32 v[92:93], v[88:89], v[86:87], v[90:91] op_sel_hi:[1,0,1]
	v_pk_fma_f32 v[86:87], v[88:89], v[86:87], v[90:91] neg_lo:[0,0,1] neg_hi:[0,0,1]
	v_mov_b32_e32 v87, v93
	s_cbranch_execz .LBB104_149
	s_branch .LBB104_150
.LBB104_148:
                                        ; implicit-def: $vgpr86_vgpr87
.LBB104_149:
	ds_load_b64 v[86:87], v1
.LBB104_150:
	s_and_saveexec_b32 s33, s1
	s_cbranch_execz .LBB104_154
; %bb.151:
	v_subrev_nc_u32_e32 v88, 26, v0
	s_movk_i32 s34, 0x220
	s_mov_b32 s1, 0
.LBB104_152:                            ; =>This Inner Loop Header: Depth=1
	scratch_load_b64 v[90:91], off, s30
	v_dual_mov_b32 v89, s34 :: v_dual_add_nc_u32 v88, -1, v88
	s_add_co_i32 s34, s34, 8
	s_wait_xcnt 0x0
	s_add_co_i32 s30, s30, 8
	ds_load_b64 v[92:93], v89
	v_cmp_eq_u32_e32 vcc_lo, 0, v88
	s_or_b32 s1, vcc_lo, s1
	s_wait_loadcnt_dscnt 0x0
	v_pk_mul_f32 v[94:95], v[92:93], v[90:91] op_sel:[1,1] op_sel_hi:[0,1]
	s_delay_alu instid0(VALU_DEP_1) | instskip(SKIP_1) | instid1(VALU_DEP_2)
	v_pk_fma_f32 v[96:97], v[92:93], v[90:91], v[94:95] op_sel_hi:[1,0,1]
	v_pk_fma_f32 v[90:91], v[92:93], v[90:91], v[94:95] neg_lo:[0,0,1] neg_hi:[0,0,1]
	v_mov_b32_e32 v91, v97
	s_delay_alu instid0(VALU_DEP_1)
	v_pk_add_f32 v[86:87], v[86:87], v[90:91]
	s_and_not1_b32 exec_lo, exec_lo, s1
	s_cbranch_execnz .LBB104_152
; %bb.153:
	s_or_b32 exec_lo, exec_lo, s1
.LBB104_154:
	s_delay_alu instid0(SALU_CYCLE_1) | instskip(SKIP_4) | instid1(VALU_DEP_1)
	s_or_b32 exec_lo, exec_lo, s33
	v_mov_b32_e32 v88, 0
	ds_load_b64 v[88:89], v88 offset:200
	s_wait_dscnt 0x0
	v_pk_mul_f32 v[90:91], v[86:87], v[88:89] op_sel:[1,1] op_sel_hi:[0,1]
	v_pk_fma_f32 v[92:93], v[86:87], v[88:89], v[90:91] op_sel_hi:[1,0,1]
	v_pk_fma_f32 v[86:87], v[86:87], v[88:89], v[90:91] neg_lo:[0,0,1] neg_hi:[0,0,1]
	s_delay_alu instid0(VALU_DEP_2)
	v_mov_b32_e32 v87, v93
	scratch_store_b64 off, v[86:87], off offset:200
.LBB104_155:
	s_wait_xcnt 0x0
	s_or_b32 exec_lo, exec_lo, s31
	scratch_load_b64 v[86:87], off, off offset:192
	v_cmp_lt_u32_e64 s1, 24, v0
	s_wait_loadcnt 0x0
	ds_store_b64 v1, v[86:87]
	s_wait_storecnt_dscnt 0x0
	s_barrier_signal -1
	s_barrier_wait -1
	s_wait_xcnt 0x0
	s_and_saveexec_b32 s30, s1
	s_cbranch_execz .LBB104_165
; %bb.156:
	s_and_not1_b32 vcc_lo, exec_lo, s5
	s_cbranch_vccnz .LBB104_158
; %bb.157:
	scratch_load_b64 v[86:87], v59, off
	ds_load_b64 v[88:89], v1
	s_wait_loadcnt_dscnt 0x0
	v_pk_mul_f32 v[90:91], v[88:89], v[86:87] op_sel:[1,1] op_sel_hi:[0,1]
	s_delay_alu instid0(VALU_DEP_1) | instskip(SKIP_1) | instid1(VALU_DEP_2)
	v_pk_fma_f32 v[92:93], v[88:89], v[86:87], v[90:91] op_sel_hi:[1,0,1]
	v_pk_fma_f32 v[86:87], v[88:89], v[86:87], v[90:91] neg_lo:[0,0,1] neg_hi:[0,0,1]
	v_mov_b32_e32 v87, v93
	s_cbranch_execz .LBB104_159
	s_branch .LBB104_160
.LBB104_158:
                                        ; implicit-def: $vgpr86_vgpr87
.LBB104_159:
	ds_load_b64 v[86:87], v1
.LBB104_160:
	s_and_saveexec_b32 s31, s0
	s_cbranch_execz .LBB104_164
; %bb.161:
	v_subrev_nc_u32_e32 v88, 25, v0
	s_movk_i32 s33, 0x218
	s_mov_b32 s0, 0
.LBB104_162:                            ; =>This Inner Loop Header: Depth=1
	scratch_load_b64 v[90:91], off, s29
	v_dual_mov_b32 v89, s33 :: v_dual_add_nc_u32 v88, -1, v88
	s_add_co_i32 s33, s33, 8
	s_wait_xcnt 0x0
	s_add_co_i32 s29, s29, 8
	ds_load_b64 v[92:93], v89
	v_cmp_eq_u32_e32 vcc_lo, 0, v88
	s_or_b32 s0, vcc_lo, s0
	s_wait_loadcnt_dscnt 0x0
	v_pk_mul_f32 v[94:95], v[92:93], v[90:91] op_sel:[1,1] op_sel_hi:[0,1]
	s_delay_alu instid0(VALU_DEP_1) | instskip(SKIP_1) | instid1(VALU_DEP_2)
	v_pk_fma_f32 v[96:97], v[92:93], v[90:91], v[94:95] op_sel_hi:[1,0,1]
	v_pk_fma_f32 v[90:91], v[92:93], v[90:91], v[94:95] neg_lo:[0,0,1] neg_hi:[0,0,1]
	v_mov_b32_e32 v91, v97
	s_delay_alu instid0(VALU_DEP_1)
	v_pk_add_f32 v[86:87], v[86:87], v[90:91]
	s_and_not1_b32 exec_lo, exec_lo, s0
	s_cbranch_execnz .LBB104_162
; %bb.163:
	s_or_b32 exec_lo, exec_lo, s0
.LBB104_164:
	s_delay_alu instid0(SALU_CYCLE_1) | instskip(SKIP_4) | instid1(VALU_DEP_1)
	s_or_b32 exec_lo, exec_lo, s31
	v_mov_b32_e32 v88, 0
	ds_load_b64 v[88:89], v88 offset:192
	s_wait_dscnt 0x0
	v_pk_mul_f32 v[90:91], v[86:87], v[88:89] op_sel:[1,1] op_sel_hi:[0,1]
	v_pk_fma_f32 v[92:93], v[86:87], v[88:89], v[90:91] op_sel_hi:[1,0,1]
	v_pk_fma_f32 v[86:87], v[86:87], v[88:89], v[90:91] neg_lo:[0,0,1] neg_hi:[0,0,1]
	s_delay_alu instid0(VALU_DEP_2)
	v_mov_b32_e32 v87, v93
	scratch_store_b64 off, v[86:87], off offset:192
.LBB104_165:
	s_wait_xcnt 0x0
	s_or_b32 exec_lo, exec_lo, s30
	scratch_load_b64 v[86:87], off, off offset:184
	v_cmp_lt_u32_e64 s0, 23, v0
	s_wait_loadcnt 0x0
	ds_store_b64 v1, v[86:87]
	s_wait_storecnt_dscnt 0x0
	s_barrier_signal -1
	s_barrier_wait -1
	s_wait_xcnt 0x0
	s_and_saveexec_b32 s29, s0
	s_cbranch_execz .LBB104_175
; %bb.166:
	s_and_not1_b32 vcc_lo, exec_lo, s5
	s_cbranch_vccnz .LBB104_168
; %bb.167:
	scratch_load_b64 v[86:87], v59, off
	ds_load_b64 v[88:89], v1
	s_wait_loadcnt_dscnt 0x0
	v_pk_mul_f32 v[90:91], v[88:89], v[86:87] op_sel:[1,1] op_sel_hi:[0,1]
	s_delay_alu instid0(VALU_DEP_1) | instskip(SKIP_1) | instid1(VALU_DEP_2)
	v_pk_fma_f32 v[92:93], v[88:89], v[86:87], v[90:91] op_sel_hi:[1,0,1]
	v_pk_fma_f32 v[86:87], v[88:89], v[86:87], v[90:91] neg_lo:[0,0,1] neg_hi:[0,0,1]
	v_mov_b32_e32 v87, v93
	s_cbranch_execz .LBB104_169
	s_branch .LBB104_170
.LBB104_168:
                                        ; implicit-def: $vgpr86_vgpr87
.LBB104_169:
	ds_load_b64 v[86:87], v1
.LBB104_170:
	s_and_saveexec_b32 s30, s1
	s_cbranch_execz .LBB104_174
; %bb.171:
	v_subrev_nc_u32_e32 v88, 24, v0
	s_movk_i32 s31, 0x210
	s_mov_b32 s1, 0
.LBB104_172:                            ; =>This Inner Loop Header: Depth=1
	scratch_load_b64 v[90:91], off, s28
	v_dual_mov_b32 v89, s31 :: v_dual_add_nc_u32 v88, -1, v88
	s_add_co_i32 s31, s31, 8
	s_wait_xcnt 0x0
	s_add_co_i32 s28, s28, 8
	ds_load_b64 v[92:93], v89
	v_cmp_eq_u32_e32 vcc_lo, 0, v88
	s_or_b32 s1, vcc_lo, s1
	s_wait_loadcnt_dscnt 0x0
	v_pk_mul_f32 v[94:95], v[92:93], v[90:91] op_sel:[1,1] op_sel_hi:[0,1]
	s_delay_alu instid0(VALU_DEP_1) | instskip(SKIP_1) | instid1(VALU_DEP_2)
	v_pk_fma_f32 v[96:97], v[92:93], v[90:91], v[94:95] op_sel_hi:[1,0,1]
	v_pk_fma_f32 v[90:91], v[92:93], v[90:91], v[94:95] neg_lo:[0,0,1] neg_hi:[0,0,1]
	v_mov_b32_e32 v91, v97
	s_delay_alu instid0(VALU_DEP_1)
	v_pk_add_f32 v[86:87], v[86:87], v[90:91]
	s_and_not1_b32 exec_lo, exec_lo, s1
	s_cbranch_execnz .LBB104_172
; %bb.173:
	s_or_b32 exec_lo, exec_lo, s1
.LBB104_174:
	s_delay_alu instid0(SALU_CYCLE_1) | instskip(SKIP_4) | instid1(VALU_DEP_1)
	s_or_b32 exec_lo, exec_lo, s30
	v_mov_b32_e32 v88, 0
	ds_load_b64 v[88:89], v88 offset:184
	s_wait_dscnt 0x0
	v_pk_mul_f32 v[90:91], v[86:87], v[88:89] op_sel:[1,1] op_sel_hi:[0,1]
	v_pk_fma_f32 v[92:93], v[86:87], v[88:89], v[90:91] op_sel_hi:[1,0,1]
	v_pk_fma_f32 v[86:87], v[86:87], v[88:89], v[90:91] neg_lo:[0,0,1] neg_hi:[0,0,1]
	s_delay_alu instid0(VALU_DEP_2)
	v_mov_b32_e32 v87, v93
	scratch_store_b64 off, v[86:87], off offset:184
.LBB104_175:
	s_wait_xcnt 0x0
	s_or_b32 exec_lo, exec_lo, s29
	scratch_load_b64 v[86:87], off, off offset:176
	v_cmp_lt_u32_e64 s1, 22, v0
	s_wait_loadcnt 0x0
	ds_store_b64 v1, v[86:87]
	s_wait_storecnt_dscnt 0x0
	s_barrier_signal -1
	s_barrier_wait -1
	s_wait_xcnt 0x0
	s_and_saveexec_b32 s28, s1
	s_cbranch_execz .LBB104_185
; %bb.176:
	s_and_not1_b32 vcc_lo, exec_lo, s5
	s_cbranch_vccnz .LBB104_178
; %bb.177:
	scratch_load_b64 v[86:87], v59, off
	ds_load_b64 v[88:89], v1
	s_wait_loadcnt_dscnt 0x0
	v_pk_mul_f32 v[90:91], v[88:89], v[86:87] op_sel:[1,1] op_sel_hi:[0,1]
	s_delay_alu instid0(VALU_DEP_1) | instskip(SKIP_1) | instid1(VALU_DEP_2)
	v_pk_fma_f32 v[92:93], v[88:89], v[86:87], v[90:91] op_sel_hi:[1,0,1]
	v_pk_fma_f32 v[86:87], v[88:89], v[86:87], v[90:91] neg_lo:[0,0,1] neg_hi:[0,0,1]
	v_mov_b32_e32 v87, v93
	s_cbranch_execz .LBB104_179
	s_branch .LBB104_180
.LBB104_178:
                                        ; implicit-def: $vgpr86_vgpr87
.LBB104_179:
	ds_load_b64 v[86:87], v1
.LBB104_180:
	s_and_saveexec_b32 s29, s0
	s_cbranch_execz .LBB104_184
; %bb.181:
	v_subrev_nc_u32_e32 v88, 23, v0
	s_movk_i32 s30, 0x208
	s_mov_b32 s0, 0
.LBB104_182:                            ; =>This Inner Loop Header: Depth=1
	scratch_load_b64 v[90:91], off, s27
	v_dual_mov_b32 v89, s30 :: v_dual_add_nc_u32 v88, -1, v88
	s_add_co_i32 s30, s30, 8
	s_wait_xcnt 0x0
	s_add_co_i32 s27, s27, 8
	ds_load_b64 v[92:93], v89
	v_cmp_eq_u32_e32 vcc_lo, 0, v88
	s_or_b32 s0, vcc_lo, s0
	s_wait_loadcnt_dscnt 0x0
	v_pk_mul_f32 v[94:95], v[92:93], v[90:91] op_sel:[1,1] op_sel_hi:[0,1]
	s_delay_alu instid0(VALU_DEP_1) | instskip(SKIP_1) | instid1(VALU_DEP_2)
	v_pk_fma_f32 v[96:97], v[92:93], v[90:91], v[94:95] op_sel_hi:[1,0,1]
	v_pk_fma_f32 v[90:91], v[92:93], v[90:91], v[94:95] neg_lo:[0,0,1] neg_hi:[0,0,1]
	v_mov_b32_e32 v91, v97
	s_delay_alu instid0(VALU_DEP_1)
	v_pk_add_f32 v[86:87], v[86:87], v[90:91]
	s_and_not1_b32 exec_lo, exec_lo, s0
	s_cbranch_execnz .LBB104_182
; %bb.183:
	s_or_b32 exec_lo, exec_lo, s0
.LBB104_184:
	s_delay_alu instid0(SALU_CYCLE_1) | instskip(SKIP_4) | instid1(VALU_DEP_1)
	s_or_b32 exec_lo, exec_lo, s29
	v_mov_b32_e32 v88, 0
	ds_load_b64 v[88:89], v88 offset:176
	s_wait_dscnt 0x0
	v_pk_mul_f32 v[90:91], v[86:87], v[88:89] op_sel:[1,1] op_sel_hi:[0,1]
	v_pk_fma_f32 v[92:93], v[86:87], v[88:89], v[90:91] op_sel_hi:[1,0,1]
	v_pk_fma_f32 v[86:87], v[86:87], v[88:89], v[90:91] neg_lo:[0,0,1] neg_hi:[0,0,1]
	s_delay_alu instid0(VALU_DEP_2)
	v_mov_b32_e32 v87, v93
	scratch_store_b64 off, v[86:87], off offset:176
.LBB104_185:
	s_wait_xcnt 0x0
	s_or_b32 exec_lo, exec_lo, s28
	scratch_load_b64 v[86:87], off, off offset:168
	v_cmp_lt_u32_e64 s0, 21, v0
	s_wait_loadcnt 0x0
	ds_store_b64 v1, v[86:87]
	s_wait_storecnt_dscnt 0x0
	s_barrier_signal -1
	s_barrier_wait -1
	s_wait_xcnt 0x0
	s_and_saveexec_b32 s27, s0
	s_cbranch_execz .LBB104_195
; %bb.186:
	s_and_not1_b32 vcc_lo, exec_lo, s5
	s_cbranch_vccnz .LBB104_188
; %bb.187:
	scratch_load_b64 v[86:87], v59, off
	ds_load_b64 v[88:89], v1
	s_wait_loadcnt_dscnt 0x0
	v_pk_mul_f32 v[90:91], v[88:89], v[86:87] op_sel:[1,1] op_sel_hi:[0,1]
	s_delay_alu instid0(VALU_DEP_1) | instskip(SKIP_1) | instid1(VALU_DEP_2)
	v_pk_fma_f32 v[92:93], v[88:89], v[86:87], v[90:91] op_sel_hi:[1,0,1]
	v_pk_fma_f32 v[86:87], v[88:89], v[86:87], v[90:91] neg_lo:[0,0,1] neg_hi:[0,0,1]
	v_mov_b32_e32 v87, v93
	s_cbranch_execz .LBB104_189
	s_branch .LBB104_190
.LBB104_188:
                                        ; implicit-def: $vgpr86_vgpr87
.LBB104_189:
	ds_load_b64 v[86:87], v1
.LBB104_190:
	s_and_saveexec_b32 s28, s1
	s_cbranch_execz .LBB104_194
; %bb.191:
	v_subrev_nc_u32_e32 v88, 22, v0
	s_movk_i32 s29, 0x200
	s_mov_b32 s1, 0
.LBB104_192:                            ; =>This Inner Loop Header: Depth=1
	scratch_load_b64 v[90:91], off, s26
	v_dual_mov_b32 v89, s29 :: v_dual_add_nc_u32 v88, -1, v88
	s_add_co_i32 s29, s29, 8
	s_wait_xcnt 0x0
	s_add_co_i32 s26, s26, 8
	ds_load_b64 v[92:93], v89
	v_cmp_eq_u32_e32 vcc_lo, 0, v88
	s_or_b32 s1, vcc_lo, s1
	s_wait_loadcnt_dscnt 0x0
	v_pk_mul_f32 v[94:95], v[92:93], v[90:91] op_sel:[1,1] op_sel_hi:[0,1]
	s_delay_alu instid0(VALU_DEP_1) | instskip(SKIP_1) | instid1(VALU_DEP_2)
	v_pk_fma_f32 v[96:97], v[92:93], v[90:91], v[94:95] op_sel_hi:[1,0,1]
	v_pk_fma_f32 v[90:91], v[92:93], v[90:91], v[94:95] neg_lo:[0,0,1] neg_hi:[0,0,1]
	v_mov_b32_e32 v91, v97
	s_delay_alu instid0(VALU_DEP_1)
	v_pk_add_f32 v[86:87], v[86:87], v[90:91]
	s_and_not1_b32 exec_lo, exec_lo, s1
	s_cbranch_execnz .LBB104_192
; %bb.193:
	s_or_b32 exec_lo, exec_lo, s1
.LBB104_194:
	s_delay_alu instid0(SALU_CYCLE_1) | instskip(SKIP_4) | instid1(VALU_DEP_1)
	s_or_b32 exec_lo, exec_lo, s28
	v_mov_b32_e32 v88, 0
	ds_load_b64 v[88:89], v88 offset:168
	s_wait_dscnt 0x0
	v_pk_mul_f32 v[90:91], v[86:87], v[88:89] op_sel:[1,1] op_sel_hi:[0,1]
	v_pk_fma_f32 v[92:93], v[86:87], v[88:89], v[90:91] op_sel_hi:[1,0,1]
	v_pk_fma_f32 v[86:87], v[86:87], v[88:89], v[90:91] neg_lo:[0,0,1] neg_hi:[0,0,1]
	s_delay_alu instid0(VALU_DEP_2)
	v_mov_b32_e32 v87, v93
	scratch_store_b64 off, v[86:87], off offset:168
.LBB104_195:
	s_wait_xcnt 0x0
	s_or_b32 exec_lo, exec_lo, s27
	scratch_load_b64 v[86:87], off, off offset:160
	v_cmp_lt_u32_e64 s1, 20, v0
	s_wait_loadcnt 0x0
	ds_store_b64 v1, v[86:87]
	s_wait_storecnt_dscnt 0x0
	s_barrier_signal -1
	s_barrier_wait -1
	s_wait_xcnt 0x0
	s_and_saveexec_b32 s26, s1
	s_cbranch_execz .LBB104_205
; %bb.196:
	s_and_not1_b32 vcc_lo, exec_lo, s5
	s_cbranch_vccnz .LBB104_198
; %bb.197:
	scratch_load_b64 v[86:87], v59, off
	ds_load_b64 v[88:89], v1
	s_wait_loadcnt_dscnt 0x0
	v_pk_mul_f32 v[90:91], v[88:89], v[86:87] op_sel:[1,1] op_sel_hi:[0,1]
	s_delay_alu instid0(VALU_DEP_1) | instskip(SKIP_1) | instid1(VALU_DEP_2)
	v_pk_fma_f32 v[92:93], v[88:89], v[86:87], v[90:91] op_sel_hi:[1,0,1]
	v_pk_fma_f32 v[86:87], v[88:89], v[86:87], v[90:91] neg_lo:[0,0,1] neg_hi:[0,0,1]
	v_mov_b32_e32 v87, v93
	s_cbranch_execz .LBB104_199
	s_branch .LBB104_200
.LBB104_198:
                                        ; implicit-def: $vgpr86_vgpr87
.LBB104_199:
	ds_load_b64 v[86:87], v1
.LBB104_200:
	s_and_saveexec_b32 s27, s0
	s_cbranch_execz .LBB104_204
; %bb.201:
	v_subrev_nc_u32_e32 v88, 21, v0
	s_movk_i32 s28, 0x1f8
	s_mov_b32 s0, 0
.LBB104_202:                            ; =>This Inner Loop Header: Depth=1
	scratch_load_b64 v[90:91], off, s25
	v_dual_mov_b32 v89, s28 :: v_dual_add_nc_u32 v88, -1, v88
	s_add_co_i32 s28, s28, 8
	s_wait_xcnt 0x0
	s_add_co_i32 s25, s25, 8
	ds_load_b64 v[92:93], v89
	v_cmp_eq_u32_e32 vcc_lo, 0, v88
	s_or_b32 s0, vcc_lo, s0
	s_wait_loadcnt_dscnt 0x0
	v_pk_mul_f32 v[94:95], v[92:93], v[90:91] op_sel:[1,1] op_sel_hi:[0,1]
	s_delay_alu instid0(VALU_DEP_1) | instskip(SKIP_1) | instid1(VALU_DEP_2)
	v_pk_fma_f32 v[96:97], v[92:93], v[90:91], v[94:95] op_sel_hi:[1,0,1]
	v_pk_fma_f32 v[90:91], v[92:93], v[90:91], v[94:95] neg_lo:[0,0,1] neg_hi:[0,0,1]
	v_mov_b32_e32 v91, v97
	s_delay_alu instid0(VALU_DEP_1)
	v_pk_add_f32 v[86:87], v[86:87], v[90:91]
	s_and_not1_b32 exec_lo, exec_lo, s0
	s_cbranch_execnz .LBB104_202
; %bb.203:
	s_or_b32 exec_lo, exec_lo, s0
.LBB104_204:
	s_delay_alu instid0(SALU_CYCLE_1) | instskip(SKIP_4) | instid1(VALU_DEP_1)
	s_or_b32 exec_lo, exec_lo, s27
	v_mov_b32_e32 v88, 0
	ds_load_b64 v[88:89], v88 offset:160
	s_wait_dscnt 0x0
	v_pk_mul_f32 v[90:91], v[86:87], v[88:89] op_sel:[1,1] op_sel_hi:[0,1]
	v_pk_fma_f32 v[92:93], v[86:87], v[88:89], v[90:91] op_sel_hi:[1,0,1]
	v_pk_fma_f32 v[86:87], v[86:87], v[88:89], v[90:91] neg_lo:[0,0,1] neg_hi:[0,0,1]
	s_delay_alu instid0(VALU_DEP_2)
	v_mov_b32_e32 v87, v93
	scratch_store_b64 off, v[86:87], off offset:160
.LBB104_205:
	s_wait_xcnt 0x0
	s_or_b32 exec_lo, exec_lo, s26
	scratch_load_b64 v[86:87], off, off offset:152
	v_cmp_lt_u32_e64 s0, 19, v0
	s_wait_loadcnt 0x0
	ds_store_b64 v1, v[86:87]
	s_wait_storecnt_dscnt 0x0
	s_barrier_signal -1
	s_barrier_wait -1
	s_wait_xcnt 0x0
	s_and_saveexec_b32 s25, s0
	s_cbranch_execz .LBB104_215
; %bb.206:
	s_and_not1_b32 vcc_lo, exec_lo, s5
	s_cbranch_vccnz .LBB104_208
; %bb.207:
	scratch_load_b64 v[86:87], v59, off
	ds_load_b64 v[88:89], v1
	s_wait_loadcnt_dscnt 0x0
	v_pk_mul_f32 v[90:91], v[88:89], v[86:87] op_sel:[1,1] op_sel_hi:[0,1]
	s_delay_alu instid0(VALU_DEP_1) | instskip(SKIP_1) | instid1(VALU_DEP_2)
	v_pk_fma_f32 v[92:93], v[88:89], v[86:87], v[90:91] op_sel_hi:[1,0,1]
	v_pk_fma_f32 v[86:87], v[88:89], v[86:87], v[90:91] neg_lo:[0,0,1] neg_hi:[0,0,1]
	v_mov_b32_e32 v87, v93
	s_cbranch_execz .LBB104_209
	s_branch .LBB104_210
.LBB104_208:
                                        ; implicit-def: $vgpr86_vgpr87
.LBB104_209:
	ds_load_b64 v[86:87], v1
.LBB104_210:
	s_and_saveexec_b32 s26, s1
	s_cbranch_execz .LBB104_214
; %bb.211:
	v_subrev_nc_u32_e32 v88, 20, v0
	s_movk_i32 s27, 0x1f0
	s_mov_b32 s1, 0
.LBB104_212:                            ; =>This Inner Loop Header: Depth=1
	scratch_load_b64 v[90:91], off, s24
	v_dual_mov_b32 v89, s27 :: v_dual_add_nc_u32 v88, -1, v88
	s_add_co_i32 s27, s27, 8
	s_wait_xcnt 0x0
	s_add_co_i32 s24, s24, 8
	ds_load_b64 v[92:93], v89
	v_cmp_eq_u32_e32 vcc_lo, 0, v88
	s_or_b32 s1, vcc_lo, s1
	s_wait_loadcnt_dscnt 0x0
	v_pk_mul_f32 v[94:95], v[92:93], v[90:91] op_sel:[1,1] op_sel_hi:[0,1]
	s_delay_alu instid0(VALU_DEP_1) | instskip(SKIP_1) | instid1(VALU_DEP_2)
	v_pk_fma_f32 v[96:97], v[92:93], v[90:91], v[94:95] op_sel_hi:[1,0,1]
	v_pk_fma_f32 v[90:91], v[92:93], v[90:91], v[94:95] neg_lo:[0,0,1] neg_hi:[0,0,1]
	v_mov_b32_e32 v91, v97
	s_delay_alu instid0(VALU_DEP_1)
	v_pk_add_f32 v[86:87], v[86:87], v[90:91]
	s_and_not1_b32 exec_lo, exec_lo, s1
	s_cbranch_execnz .LBB104_212
; %bb.213:
	s_or_b32 exec_lo, exec_lo, s1
.LBB104_214:
	s_delay_alu instid0(SALU_CYCLE_1) | instskip(SKIP_4) | instid1(VALU_DEP_1)
	s_or_b32 exec_lo, exec_lo, s26
	v_mov_b32_e32 v88, 0
	ds_load_b64 v[88:89], v88 offset:152
	s_wait_dscnt 0x0
	v_pk_mul_f32 v[90:91], v[86:87], v[88:89] op_sel:[1,1] op_sel_hi:[0,1]
	v_pk_fma_f32 v[92:93], v[86:87], v[88:89], v[90:91] op_sel_hi:[1,0,1]
	v_pk_fma_f32 v[86:87], v[86:87], v[88:89], v[90:91] neg_lo:[0,0,1] neg_hi:[0,0,1]
	s_delay_alu instid0(VALU_DEP_2)
	v_mov_b32_e32 v87, v93
	scratch_store_b64 off, v[86:87], off offset:152
.LBB104_215:
	s_wait_xcnt 0x0
	s_or_b32 exec_lo, exec_lo, s25
	scratch_load_b64 v[86:87], off, off offset:144
	v_cmp_lt_u32_e64 s1, 18, v0
	s_wait_loadcnt 0x0
	ds_store_b64 v1, v[86:87]
	s_wait_storecnt_dscnt 0x0
	s_barrier_signal -1
	s_barrier_wait -1
	s_wait_xcnt 0x0
	s_and_saveexec_b32 s24, s1
	s_cbranch_execz .LBB104_225
; %bb.216:
	s_and_not1_b32 vcc_lo, exec_lo, s5
	s_cbranch_vccnz .LBB104_218
; %bb.217:
	scratch_load_b64 v[86:87], v59, off
	ds_load_b64 v[88:89], v1
	s_wait_loadcnt_dscnt 0x0
	v_pk_mul_f32 v[90:91], v[88:89], v[86:87] op_sel:[1,1] op_sel_hi:[0,1]
	s_delay_alu instid0(VALU_DEP_1) | instskip(SKIP_1) | instid1(VALU_DEP_2)
	v_pk_fma_f32 v[92:93], v[88:89], v[86:87], v[90:91] op_sel_hi:[1,0,1]
	v_pk_fma_f32 v[86:87], v[88:89], v[86:87], v[90:91] neg_lo:[0,0,1] neg_hi:[0,0,1]
	v_mov_b32_e32 v87, v93
	s_cbranch_execz .LBB104_219
	s_branch .LBB104_220
.LBB104_218:
                                        ; implicit-def: $vgpr86_vgpr87
.LBB104_219:
	ds_load_b64 v[86:87], v1
.LBB104_220:
	s_and_saveexec_b32 s25, s0
	s_cbranch_execz .LBB104_224
; %bb.221:
	v_subrev_nc_u32_e32 v88, 19, v0
	s_movk_i32 s26, 0x1e8
	s_mov_b32 s0, 0
.LBB104_222:                            ; =>This Inner Loop Header: Depth=1
	scratch_load_b64 v[90:91], off, s23
	v_dual_mov_b32 v89, s26 :: v_dual_add_nc_u32 v88, -1, v88
	s_add_co_i32 s26, s26, 8
	s_wait_xcnt 0x0
	s_add_co_i32 s23, s23, 8
	ds_load_b64 v[92:93], v89
	v_cmp_eq_u32_e32 vcc_lo, 0, v88
	s_or_b32 s0, vcc_lo, s0
	s_wait_loadcnt_dscnt 0x0
	v_pk_mul_f32 v[94:95], v[92:93], v[90:91] op_sel:[1,1] op_sel_hi:[0,1]
	s_delay_alu instid0(VALU_DEP_1) | instskip(SKIP_1) | instid1(VALU_DEP_2)
	v_pk_fma_f32 v[96:97], v[92:93], v[90:91], v[94:95] op_sel_hi:[1,0,1]
	v_pk_fma_f32 v[90:91], v[92:93], v[90:91], v[94:95] neg_lo:[0,0,1] neg_hi:[0,0,1]
	v_mov_b32_e32 v91, v97
	s_delay_alu instid0(VALU_DEP_1)
	v_pk_add_f32 v[86:87], v[86:87], v[90:91]
	s_and_not1_b32 exec_lo, exec_lo, s0
	s_cbranch_execnz .LBB104_222
; %bb.223:
	s_or_b32 exec_lo, exec_lo, s0
.LBB104_224:
	s_delay_alu instid0(SALU_CYCLE_1) | instskip(SKIP_4) | instid1(VALU_DEP_1)
	s_or_b32 exec_lo, exec_lo, s25
	v_mov_b32_e32 v88, 0
	ds_load_b64 v[88:89], v88 offset:144
	s_wait_dscnt 0x0
	v_pk_mul_f32 v[90:91], v[86:87], v[88:89] op_sel:[1,1] op_sel_hi:[0,1]
	v_pk_fma_f32 v[92:93], v[86:87], v[88:89], v[90:91] op_sel_hi:[1,0,1]
	v_pk_fma_f32 v[86:87], v[86:87], v[88:89], v[90:91] neg_lo:[0,0,1] neg_hi:[0,0,1]
	s_delay_alu instid0(VALU_DEP_2)
	v_mov_b32_e32 v87, v93
	scratch_store_b64 off, v[86:87], off offset:144
.LBB104_225:
	s_wait_xcnt 0x0
	s_or_b32 exec_lo, exec_lo, s24
	scratch_load_b64 v[86:87], off, off offset:136
	v_cmp_lt_u32_e64 s0, 17, v0
	s_wait_loadcnt 0x0
	ds_store_b64 v1, v[86:87]
	s_wait_storecnt_dscnt 0x0
	s_barrier_signal -1
	s_barrier_wait -1
	s_wait_xcnt 0x0
	s_and_saveexec_b32 s23, s0
	s_cbranch_execz .LBB104_235
; %bb.226:
	s_and_not1_b32 vcc_lo, exec_lo, s5
	s_cbranch_vccnz .LBB104_228
; %bb.227:
	scratch_load_b64 v[86:87], v59, off
	ds_load_b64 v[88:89], v1
	s_wait_loadcnt_dscnt 0x0
	v_pk_mul_f32 v[90:91], v[88:89], v[86:87] op_sel:[1,1] op_sel_hi:[0,1]
	s_delay_alu instid0(VALU_DEP_1) | instskip(SKIP_1) | instid1(VALU_DEP_2)
	v_pk_fma_f32 v[92:93], v[88:89], v[86:87], v[90:91] op_sel_hi:[1,0,1]
	v_pk_fma_f32 v[86:87], v[88:89], v[86:87], v[90:91] neg_lo:[0,0,1] neg_hi:[0,0,1]
	v_mov_b32_e32 v87, v93
	s_cbranch_execz .LBB104_229
	s_branch .LBB104_230
.LBB104_228:
                                        ; implicit-def: $vgpr86_vgpr87
.LBB104_229:
	ds_load_b64 v[86:87], v1
.LBB104_230:
	s_and_saveexec_b32 s24, s1
	s_cbranch_execz .LBB104_234
; %bb.231:
	v_subrev_nc_u32_e32 v88, 18, v0
	s_movk_i32 s25, 0x1e0
	s_mov_b32 s1, 0
.LBB104_232:                            ; =>This Inner Loop Header: Depth=1
	scratch_load_b64 v[90:91], off, s22
	v_dual_mov_b32 v89, s25 :: v_dual_add_nc_u32 v88, -1, v88
	s_add_co_i32 s25, s25, 8
	s_wait_xcnt 0x0
	s_add_co_i32 s22, s22, 8
	ds_load_b64 v[92:93], v89
	v_cmp_eq_u32_e32 vcc_lo, 0, v88
	s_or_b32 s1, vcc_lo, s1
	s_wait_loadcnt_dscnt 0x0
	v_pk_mul_f32 v[94:95], v[92:93], v[90:91] op_sel:[1,1] op_sel_hi:[0,1]
	s_delay_alu instid0(VALU_DEP_1) | instskip(SKIP_1) | instid1(VALU_DEP_2)
	v_pk_fma_f32 v[96:97], v[92:93], v[90:91], v[94:95] op_sel_hi:[1,0,1]
	v_pk_fma_f32 v[90:91], v[92:93], v[90:91], v[94:95] neg_lo:[0,0,1] neg_hi:[0,0,1]
	v_mov_b32_e32 v91, v97
	s_delay_alu instid0(VALU_DEP_1)
	v_pk_add_f32 v[86:87], v[86:87], v[90:91]
	s_and_not1_b32 exec_lo, exec_lo, s1
	s_cbranch_execnz .LBB104_232
; %bb.233:
	s_or_b32 exec_lo, exec_lo, s1
.LBB104_234:
	s_delay_alu instid0(SALU_CYCLE_1) | instskip(SKIP_4) | instid1(VALU_DEP_1)
	s_or_b32 exec_lo, exec_lo, s24
	v_mov_b32_e32 v88, 0
	ds_load_b64 v[88:89], v88 offset:136
	s_wait_dscnt 0x0
	v_pk_mul_f32 v[90:91], v[86:87], v[88:89] op_sel:[1,1] op_sel_hi:[0,1]
	v_pk_fma_f32 v[92:93], v[86:87], v[88:89], v[90:91] op_sel_hi:[1,0,1]
	v_pk_fma_f32 v[86:87], v[86:87], v[88:89], v[90:91] neg_lo:[0,0,1] neg_hi:[0,0,1]
	s_delay_alu instid0(VALU_DEP_2)
	v_mov_b32_e32 v87, v93
	scratch_store_b64 off, v[86:87], off offset:136
.LBB104_235:
	s_wait_xcnt 0x0
	s_or_b32 exec_lo, exec_lo, s23
	scratch_load_b64 v[86:87], off, off offset:128
	v_cmp_lt_u32_e64 s1, 16, v0
	s_wait_loadcnt 0x0
	ds_store_b64 v1, v[86:87]
	s_wait_storecnt_dscnt 0x0
	s_barrier_signal -1
	s_barrier_wait -1
	s_wait_xcnt 0x0
	s_and_saveexec_b32 s22, s1
	s_cbranch_execz .LBB104_245
; %bb.236:
	s_and_not1_b32 vcc_lo, exec_lo, s5
	s_cbranch_vccnz .LBB104_238
; %bb.237:
	scratch_load_b64 v[86:87], v59, off
	ds_load_b64 v[88:89], v1
	s_wait_loadcnt_dscnt 0x0
	v_pk_mul_f32 v[90:91], v[88:89], v[86:87] op_sel:[1,1] op_sel_hi:[0,1]
	s_delay_alu instid0(VALU_DEP_1) | instskip(SKIP_1) | instid1(VALU_DEP_2)
	v_pk_fma_f32 v[92:93], v[88:89], v[86:87], v[90:91] op_sel_hi:[1,0,1]
	v_pk_fma_f32 v[86:87], v[88:89], v[86:87], v[90:91] neg_lo:[0,0,1] neg_hi:[0,0,1]
	v_mov_b32_e32 v87, v93
	s_cbranch_execz .LBB104_239
	s_branch .LBB104_240
.LBB104_238:
                                        ; implicit-def: $vgpr86_vgpr87
.LBB104_239:
	ds_load_b64 v[86:87], v1
.LBB104_240:
	s_and_saveexec_b32 s23, s0
	s_cbranch_execz .LBB104_244
; %bb.241:
	v_subrev_nc_u32_e32 v88, 17, v0
	s_movk_i32 s24, 0x1d8
	s_mov_b32 s0, 0
.LBB104_242:                            ; =>This Inner Loop Header: Depth=1
	scratch_load_b64 v[90:91], off, s21
	v_dual_mov_b32 v89, s24 :: v_dual_add_nc_u32 v88, -1, v88
	s_add_co_i32 s24, s24, 8
	s_wait_xcnt 0x0
	s_add_co_i32 s21, s21, 8
	ds_load_b64 v[92:93], v89
	v_cmp_eq_u32_e32 vcc_lo, 0, v88
	s_or_b32 s0, vcc_lo, s0
	s_wait_loadcnt_dscnt 0x0
	v_pk_mul_f32 v[94:95], v[92:93], v[90:91] op_sel:[1,1] op_sel_hi:[0,1]
	s_delay_alu instid0(VALU_DEP_1) | instskip(SKIP_1) | instid1(VALU_DEP_2)
	v_pk_fma_f32 v[96:97], v[92:93], v[90:91], v[94:95] op_sel_hi:[1,0,1]
	v_pk_fma_f32 v[90:91], v[92:93], v[90:91], v[94:95] neg_lo:[0,0,1] neg_hi:[0,0,1]
	v_mov_b32_e32 v91, v97
	s_delay_alu instid0(VALU_DEP_1)
	v_pk_add_f32 v[86:87], v[86:87], v[90:91]
	s_and_not1_b32 exec_lo, exec_lo, s0
	s_cbranch_execnz .LBB104_242
; %bb.243:
	s_or_b32 exec_lo, exec_lo, s0
.LBB104_244:
	s_delay_alu instid0(SALU_CYCLE_1) | instskip(SKIP_4) | instid1(VALU_DEP_1)
	s_or_b32 exec_lo, exec_lo, s23
	v_mov_b32_e32 v88, 0
	ds_load_b64 v[88:89], v88 offset:128
	s_wait_dscnt 0x0
	v_pk_mul_f32 v[90:91], v[86:87], v[88:89] op_sel:[1,1] op_sel_hi:[0,1]
	v_pk_fma_f32 v[92:93], v[86:87], v[88:89], v[90:91] op_sel_hi:[1,0,1]
	v_pk_fma_f32 v[86:87], v[86:87], v[88:89], v[90:91] neg_lo:[0,0,1] neg_hi:[0,0,1]
	s_delay_alu instid0(VALU_DEP_2)
	v_mov_b32_e32 v87, v93
	scratch_store_b64 off, v[86:87], off offset:128
.LBB104_245:
	s_wait_xcnt 0x0
	s_or_b32 exec_lo, exec_lo, s22
	scratch_load_b64 v[86:87], off, off offset:120
	v_cmp_lt_u32_e64 s0, 15, v0
	s_wait_loadcnt 0x0
	ds_store_b64 v1, v[86:87]
	s_wait_storecnt_dscnt 0x0
	s_barrier_signal -1
	s_barrier_wait -1
	s_wait_xcnt 0x0
	s_and_saveexec_b32 s21, s0
	s_cbranch_execz .LBB104_255
; %bb.246:
	s_and_not1_b32 vcc_lo, exec_lo, s5
	s_cbranch_vccnz .LBB104_248
; %bb.247:
	scratch_load_b64 v[86:87], v59, off
	ds_load_b64 v[88:89], v1
	s_wait_loadcnt_dscnt 0x0
	v_pk_mul_f32 v[90:91], v[88:89], v[86:87] op_sel:[1,1] op_sel_hi:[0,1]
	s_delay_alu instid0(VALU_DEP_1) | instskip(SKIP_1) | instid1(VALU_DEP_2)
	v_pk_fma_f32 v[92:93], v[88:89], v[86:87], v[90:91] op_sel_hi:[1,0,1]
	v_pk_fma_f32 v[86:87], v[88:89], v[86:87], v[90:91] neg_lo:[0,0,1] neg_hi:[0,0,1]
	v_mov_b32_e32 v87, v93
	s_cbranch_execz .LBB104_249
	s_branch .LBB104_250
.LBB104_248:
                                        ; implicit-def: $vgpr86_vgpr87
.LBB104_249:
	ds_load_b64 v[86:87], v1
.LBB104_250:
	s_and_saveexec_b32 s22, s1
	s_cbranch_execz .LBB104_254
; %bb.251:
	v_add_nc_u32_e32 v88, -16, v0
	s_movk_i32 s23, 0x1d0
	s_mov_b32 s1, 0
.LBB104_252:                            ; =>This Inner Loop Header: Depth=1
	scratch_load_b64 v[90:91], off, s20
	v_dual_mov_b32 v89, s23 :: v_dual_add_nc_u32 v88, -1, v88
	s_add_co_i32 s23, s23, 8
	s_wait_xcnt 0x0
	s_add_co_i32 s20, s20, 8
	ds_load_b64 v[92:93], v89
	v_cmp_eq_u32_e32 vcc_lo, 0, v88
	s_or_b32 s1, vcc_lo, s1
	s_wait_loadcnt_dscnt 0x0
	v_pk_mul_f32 v[94:95], v[92:93], v[90:91] op_sel:[1,1] op_sel_hi:[0,1]
	s_delay_alu instid0(VALU_DEP_1) | instskip(SKIP_1) | instid1(VALU_DEP_2)
	v_pk_fma_f32 v[96:97], v[92:93], v[90:91], v[94:95] op_sel_hi:[1,0,1]
	v_pk_fma_f32 v[90:91], v[92:93], v[90:91], v[94:95] neg_lo:[0,0,1] neg_hi:[0,0,1]
	v_mov_b32_e32 v91, v97
	s_delay_alu instid0(VALU_DEP_1)
	v_pk_add_f32 v[86:87], v[86:87], v[90:91]
	s_and_not1_b32 exec_lo, exec_lo, s1
	s_cbranch_execnz .LBB104_252
; %bb.253:
	s_or_b32 exec_lo, exec_lo, s1
.LBB104_254:
	s_delay_alu instid0(SALU_CYCLE_1) | instskip(SKIP_4) | instid1(VALU_DEP_1)
	s_or_b32 exec_lo, exec_lo, s22
	v_mov_b32_e32 v88, 0
	ds_load_b64 v[88:89], v88 offset:120
	s_wait_dscnt 0x0
	v_pk_mul_f32 v[90:91], v[86:87], v[88:89] op_sel:[1,1] op_sel_hi:[0,1]
	v_pk_fma_f32 v[92:93], v[86:87], v[88:89], v[90:91] op_sel_hi:[1,0,1]
	v_pk_fma_f32 v[86:87], v[86:87], v[88:89], v[90:91] neg_lo:[0,0,1] neg_hi:[0,0,1]
	s_delay_alu instid0(VALU_DEP_2)
	v_mov_b32_e32 v87, v93
	scratch_store_b64 off, v[86:87], off offset:120
.LBB104_255:
	s_wait_xcnt 0x0
	s_or_b32 exec_lo, exec_lo, s21
	scratch_load_b64 v[86:87], off, off offset:112
	v_cmp_lt_u32_e64 s1, 14, v0
	s_wait_loadcnt 0x0
	ds_store_b64 v1, v[86:87]
	s_wait_storecnt_dscnt 0x0
	s_barrier_signal -1
	s_barrier_wait -1
	s_wait_xcnt 0x0
	s_and_saveexec_b32 s20, s1
	s_cbranch_execz .LBB104_265
; %bb.256:
	s_and_not1_b32 vcc_lo, exec_lo, s5
	s_cbranch_vccnz .LBB104_258
; %bb.257:
	scratch_load_b64 v[86:87], v59, off
	ds_load_b64 v[88:89], v1
	s_wait_loadcnt_dscnt 0x0
	v_pk_mul_f32 v[90:91], v[88:89], v[86:87] op_sel:[1,1] op_sel_hi:[0,1]
	s_delay_alu instid0(VALU_DEP_1) | instskip(SKIP_1) | instid1(VALU_DEP_2)
	v_pk_fma_f32 v[92:93], v[88:89], v[86:87], v[90:91] op_sel_hi:[1,0,1]
	v_pk_fma_f32 v[86:87], v[88:89], v[86:87], v[90:91] neg_lo:[0,0,1] neg_hi:[0,0,1]
	v_mov_b32_e32 v87, v93
	s_cbranch_execz .LBB104_259
	s_branch .LBB104_260
.LBB104_258:
                                        ; implicit-def: $vgpr86_vgpr87
.LBB104_259:
	ds_load_b64 v[86:87], v1
.LBB104_260:
	s_and_saveexec_b32 s21, s0
	s_cbranch_execz .LBB104_264
; %bb.261:
	v_add_nc_u32_e32 v88, -15, v0
	s_movk_i32 s22, 0x1c8
	s_mov_b32 s0, 0
.LBB104_262:                            ; =>This Inner Loop Header: Depth=1
	scratch_load_b64 v[90:91], off, s19
	v_dual_mov_b32 v89, s22 :: v_dual_add_nc_u32 v88, -1, v88
	s_add_co_i32 s22, s22, 8
	s_wait_xcnt 0x0
	s_add_co_i32 s19, s19, 8
	ds_load_b64 v[92:93], v89
	v_cmp_eq_u32_e32 vcc_lo, 0, v88
	s_or_b32 s0, vcc_lo, s0
	s_wait_loadcnt_dscnt 0x0
	v_pk_mul_f32 v[94:95], v[92:93], v[90:91] op_sel:[1,1] op_sel_hi:[0,1]
	s_delay_alu instid0(VALU_DEP_1) | instskip(SKIP_1) | instid1(VALU_DEP_2)
	v_pk_fma_f32 v[96:97], v[92:93], v[90:91], v[94:95] op_sel_hi:[1,0,1]
	v_pk_fma_f32 v[90:91], v[92:93], v[90:91], v[94:95] neg_lo:[0,0,1] neg_hi:[0,0,1]
	v_mov_b32_e32 v91, v97
	s_delay_alu instid0(VALU_DEP_1)
	v_pk_add_f32 v[86:87], v[86:87], v[90:91]
	s_and_not1_b32 exec_lo, exec_lo, s0
	s_cbranch_execnz .LBB104_262
; %bb.263:
	s_or_b32 exec_lo, exec_lo, s0
.LBB104_264:
	s_delay_alu instid0(SALU_CYCLE_1) | instskip(SKIP_4) | instid1(VALU_DEP_1)
	s_or_b32 exec_lo, exec_lo, s21
	v_mov_b32_e32 v88, 0
	ds_load_b64 v[88:89], v88 offset:112
	s_wait_dscnt 0x0
	v_pk_mul_f32 v[90:91], v[86:87], v[88:89] op_sel:[1,1] op_sel_hi:[0,1]
	v_pk_fma_f32 v[92:93], v[86:87], v[88:89], v[90:91] op_sel_hi:[1,0,1]
	v_pk_fma_f32 v[86:87], v[86:87], v[88:89], v[90:91] neg_lo:[0,0,1] neg_hi:[0,0,1]
	s_delay_alu instid0(VALU_DEP_2)
	v_mov_b32_e32 v87, v93
	scratch_store_b64 off, v[86:87], off offset:112
.LBB104_265:
	s_wait_xcnt 0x0
	s_or_b32 exec_lo, exec_lo, s20
	scratch_load_b64 v[86:87], off, off offset:104
	v_cmp_lt_u32_e64 s0, 13, v0
	s_wait_loadcnt 0x0
	ds_store_b64 v1, v[86:87]
	s_wait_storecnt_dscnt 0x0
	s_barrier_signal -1
	s_barrier_wait -1
	s_wait_xcnt 0x0
	s_and_saveexec_b32 s19, s0
	s_cbranch_execz .LBB104_275
; %bb.266:
	s_and_not1_b32 vcc_lo, exec_lo, s5
	s_cbranch_vccnz .LBB104_268
; %bb.267:
	scratch_load_b64 v[86:87], v59, off
	ds_load_b64 v[88:89], v1
	s_wait_loadcnt_dscnt 0x0
	v_pk_mul_f32 v[90:91], v[88:89], v[86:87] op_sel:[1,1] op_sel_hi:[0,1]
	s_delay_alu instid0(VALU_DEP_1) | instskip(SKIP_1) | instid1(VALU_DEP_2)
	v_pk_fma_f32 v[92:93], v[88:89], v[86:87], v[90:91] op_sel_hi:[1,0,1]
	v_pk_fma_f32 v[86:87], v[88:89], v[86:87], v[90:91] neg_lo:[0,0,1] neg_hi:[0,0,1]
	v_mov_b32_e32 v87, v93
	s_cbranch_execz .LBB104_269
	s_branch .LBB104_270
.LBB104_268:
                                        ; implicit-def: $vgpr86_vgpr87
.LBB104_269:
	ds_load_b64 v[86:87], v1
.LBB104_270:
	s_and_saveexec_b32 s20, s1
	s_cbranch_execz .LBB104_274
; %bb.271:
	v_add_nc_u32_e32 v88, -14, v0
	s_movk_i32 s21, 0x1c0
	s_mov_b32 s1, 0
.LBB104_272:                            ; =>This Inner Loop Header: Depth=1
	scratch_load_b64 v[90:91], off, s18
	v_dual_mov_b32 v89, s21 :: v_dual_add_nc_u32 v88, -1, v88
	s_add_co_i32 s21, s21, 8
	s_wait_xcnt 0x0
	s_add_co_i32 s18, s18, 8
	ds_load_b64 v[92:93], v89
	v_cmp_eq_u32_e32 vcc_lo, 0, v88
	s_or_b32 s1, vcc_lo, s1
	s_wait_loadcnt_dscnt 0x0
	v_pk_mul_f32 v[94:95], v[92:93], v[90:91] op_sel:[1,1] op_sel_hi:[0,1]
	s_delay_alu instid0(VALU_DEP_1) | instskip(SKIP_1) | instid1(VALU_DEP_2)
	v_pk_fma_f32 v[96:97], v[92:93], v[90:91], v[94:95] op_sel_hi:[1,0,1]
	v_pk_fma_f32 v[90:91], v[92:93], v[90:91], v[94:95] neg_lo:[0,0,1] neg_hi:[0,0,1]
	v_mov_b32_e32 v91, v97
	s_delay_alu instid0(VALU_DEP_1)
	v_pk_add_f32 v[86:87], v[86:87], v[90:91]
	s_and_not1_b32 exec_lo, exec_lo, s1
	s_cbranch_execnz .LBB104_272
; %bb.273:
	s_or_b32 exec_lo, exec_lo, s1
.LBB104_274:
	s_delay_alu instid0(SALU_CYCLE_1) | instskip(SKIP_4) | instid1(VALU_DEP_1)
	s_or_b32 exec_lo, exec_lo, s20
	v_mov_b32_e32 v88, 0
	ds_load_b64 v[88:89], v88 offset:104
	s_wait_dscnt 0x0
	v_pk_mul_f32 v[90:91], v[86:87], v[88:89] op_sel:[1,1] op_sel_hi:[0,1]
	v_pk_fma_f32 v[92:93], v[86:87], v[88:89], v[90:91] op_sel_hi:[1,0,1]
	v_pk_fma_f32 v[86:87], v[86:87], v[88:89], v[90:91] neg_lo:[0,0,1] neg_hi:[0,0,1]
	s_delay_alu instid0(VALU_DEP_2)
	v_mov_b32_e32 v87, v93
	scratch_store_b64 off, v[86:87], off offset:104
.LBB104_275:
	s_wait_xcnt 0x0
	s_or_b32 exec_lo, exec_lo, s19
	scratch_load_b64 v[86:87], off, off offset:96
	v_cmp_lt_u32_e64 s1, 12, v0
	s_wait_loadcnt 0x0
	ds_store_b64 v1, v[86:87]
	s_wait_storecnt_dscnt 0x0
	s_barrier_signal -1
	s_barrier_wait -1
	s_wait_xcnt 0x0
	s_and_saveexec_b32 s18, s1
	s_cbranch_execz .LBB104_285
; %bb.276:
	s_and_not1_b32 vcc_lo, exec_lo, s5
	s_cbranch_vccnz .LBB104_278
; %bb.277:
	scratch_load_b64 v[86:87], v59, off
	ds_load_b64 v[88:89], v1
	s_wait_loadcnt_dscnt 0x0
	v_pk_mul_f32 v[90:91], v[88:89], v[86:87] op_sel:[1,1] op_sel_hi:[0,1]
	s_delay_alu instid0(VALU_DEP_1) | instskip(SKIP_1) | instid1(VALU_DEP_2)
	v_pk_fma_f32 v[92:93], v[88:89], v[86:87], v[90:91] op_sel_hi:[1,0,1]
	v_pk_fma_f32 v[86:87], v[88:89], v[86:87], v[90:91] neg_lo:[0,0,1] neg_hi:[0,0,1]
	v_mov_b32_e32 v87, v93
	s_cbranch_execz .LBB104_279
	s_branch .LBB104_280
.LBB104_278:
                                        ; implicit-def: $vgpr86_vgpr87
.LBB104_279:
	ds_load_b64 v[86:87], v1
.LBB104_280:
	s_and_saveexec_b32 s19, s0
	s_cbranch_execz .LBB104_284
; %bb.281:
	v_add_nc_u32_e32 v88, -13, v0
	s_movk_i32 s20, 0x1b8
	s_mov_b32 s0, 0
.LBB104_282:                            ; =>This Inner Loop Header: Depth=1
	scratch_load_b64 v[90:91], off, s17
	v_dual_mov_b32 v89, s20 :: v_dual_add_nc_u32 v88, -1, v88
	s_add_co_i32 s20, s20, 8
	s_wait_xcnt 0x0
	s_add_co_i32 s17, s17, 8
	ds_load_b64 v[92:93], v89
	v_cmp_eq_u32_e32 vcc_lo, 0, v88
	s_or_b32 s0, vcc_lo, s0
	s_wait_loadcnt_dscnt 0x0
	v_pk_mul_f32 v[94:95], v[92:93], v[90:91] op_sel:[1,1] op_sel_hi:[0,1]
	s_delay_alu instid0(VALU_DEP_1) | instskip(SKIP_1) | instid1(VALU_DEP_2)
	v_pk_fma_f32 v[96:97], v[92:93], v[90:91], v[94:95] op_sel_hi:[1,0,1]
	v_pk_fma_f32 v[90:91], v[92:93], v[90:91], v[94:95] neg_lo:[0,0,1] neg_hi:[0,0,1]
	v_mov_b32_e32 v91, v97
	s_delay_alu instid0(VALU_DEP_1)
	v_pk_add_f32 v[86:87], v[86:87], v[90:91]
	s_and_not1_b32 exec_lo, exec_lo, s0
	s_cbranch_execnz .LBB104_282
; %bb.283:
	s_or_b32 exec_lo, exec_lo, s0
.LBB104_284:
	s_delay_alu instid0(SALU_CYCLE_1) | instskip(SKIP_4) | instid1(VALU_DEP_1)
	s_or_b32 exec_lo, exec_lo, s19
	v_mov_b32_e32 v88, 0
	ds_load_b64 v[88:89], v88 offset:96
	s_wait_dscnt 0x0
	v_pk_mul_f32 v[90:91], v[86:87], v[88:89] op_sel:[1,1] op_sel_hi:[0,1]
	v_pk_fma_f32 v[92:93], v[86:87], v[88:89], v[90:91] op_sel_hi:[1,0,1]
	v_pk_fma_f32 v[86:87], v[86:87], v[88:89], v[90:91] neg_lo:[0,0,1] neg_hi:[0,0,1]
	s_delay_alu instid0(VALU_DEP_2)
	v_mov_b32_e32 v87, v93
	scratch_store_b64 off, v[86:87], off offset:96
.LBB104_285:
	s_wait_xcnt 0x0
	s_or_b32 exec_lo, exec_lo, s18
	scratch_load_b64 v[86:87], off, off offset:88
	v_cmp_lt_u32_e64 s0, 11, v0
	s_wait_loadcnt 0x0
	ds_store_b64 v1, v[86:87]
	s_wait_storecnt_dscnt 0x0
	s_barrier_signal -1
	s_barrier_wait -1
	s_wait_xcnt 0x0
	s_and_saveexec_b32 s17, s0
	s_cbranch_execz .LBB104_295
; %bb.286:
	s_and_not1_b32 vcc_lo, exec_lo, s5
	s_cbranch_vccnz .LBB104_288
; %bb.287:
	scratch_load_b64 v[86:87], v59, off
	ds_load_b64 v[88:89], v1
	s_wait_loadcnt_dscnt 0x0
	v_pk_mul_f32 v[90:91], v[88:89], v[86:87] op_sel:[1,1] op_sel_hi:[0,1]
	s_delay_alu instid0(VALU_DEP_1) | instskip(SKIP_1) | instid1(VALU_DEP_2)
	v_pk_fma_f32 v[92:93], v[88:89], v[86:87], v[90:91] op_sel_hi:[1,0,1]
	v_pk_fma_f32 v[86:87], v[88:89], v[86:87], v[90:91] neg_lo:[0,0,1] neg_hi:[0,0,1]
	v_mov_b32_e32 v87, v93
	s_cbranch_execz .LBB104_289
	s_branch .LBB104_290
.LBB104_288:
                                        ; implicit-def: $vgpr86_vgpr87
.LBB104_289:
	ds_load_b64 v[86:87], v1
.LBB104_290:
	s_and_saveexec_b32 s18, s1
	s_cbranch_execz .LBB104_294
; %bb.291:
	v_add_nc_u32_e32 v88, -12, v0
	s_movk_i32 s19, 0x1b0
	s_mov_b32 s1, 0
.LBB104_292:                            ; =>This Inner Loop Header: Depth=1
	scratch_load_b64 v[90:91], off, s16
	v_dual_mov_b32 v89, s19 :: v_dual_add_nc_u32 v88, -1, v88
	s_add_co_i32 s19, s19, 8
	s_wait_xcnt 0x0
	s_add_co_i32 s16, s16, 8
	ds_load_b64 v[92:93], v89
	v_cmp_eq_u32_e32 vcc_lo, 0, v88
	s_or_b32 s1, vcc_lo, s1
	s_wait_loadcnt_dscnt 0x0
	v_pk_mul_f32 v[94:95], v[92:93], v[90:91] op_sel:[1,1] op_sel_hi:[0,1]
	s_delay_alu instid0(VALU_DEP_1) | instskip(SKIP_1) | instid1(VALU_DEP_2)
	v_pk_fma_f32 v[96:97], v[92:93], v[90:91], v[94:95] op_sel_hi:[1,0,1]
	v_pk_fma_f32 v[90:91], v[92:93], v[90:91], v[94:95] neg_lo:[0,0,1] neg_hi:[0,0,1]
	v_mov_b32_e32 v91, v97
	s_delay_alu instid0(VALU_DEP_1)
	v_pk_add_f32 v[86:87], v[86:87], v[90:91]
	s_and_not1_b32 exec_lo, exec_lo, s1
	s_cbranch_execnz .LBB104_292
; %bb.293:
	s_or_b32 exec_lo, exec_lo, s1
.LBB104_294:
	s_delay_alu instid0(SALU_CYCLE_1) | instskip(SKIP_4) | instid1(VALU_DEP_1)
	s_or_b32 exec_lo, exec_lo, s18
	v_mov_b32_e32 v88, 0
	ds_load_b64 v[88:89], v88 offset:88
	s_wait_dscnt 0x0
	v_pk_mul_f32 v[90:91], v[86:87], v[88:89] op_sel:[1,1] op_sel_hi:[0,1]
	v_pk_fma_f32 v[92:93], v[86:87], v[88:89], v[90:91] op_sel_hi:[1,0,1]
	v_pk_fma_f32 v[86:87], v[86:87], v[88:89], v[90:91] neg_lo:[0,0,1] neg_hi:[0,0,1]
	s_delay_alu instid0(VALU_DEP_2)
	v_mov_b32_e32 v87, v93
	scratch_store_b64 off, v[86:87], off offset:88
.LBB104_295:
	s_wait_xcnt 0x0
	s_or_b32 exec_lo, exec_lo, s17
	scratch_load_b64 v[86:87], off, off offset:80
	v_cmp_lt_u32_e64 s1, 10, v0
	s_wait_loadcnt 0x0
	ds_store_b64 v1, v[86:87]
	s_wait_storecnt_dscnt 0x0
	s_barrier_signal -1
	s_barrier_wait -1
	s_wait_xcnt 0x0
	s_and_saveexec_b32 s16, s1
	s_cbranch_execz .LBB104_305
; %bb.296:
	s_and_not1_b32 vcc_lo, exec_lo, s5
	s_cbranch_vccnz .LBB104_298
; %bb.297:
	scratch_load_b64 v[86:87], v59, off
	ds_load_b64 v[88:89], v1
	s_wait_loadcnt_dscnt 0x0
	v_pk_mul_f32 v[90:91], v[88:89], v[86:87] op_sel:[1,1] op_sel_hi:[0,1]
	s_delay_alu instid0(VALU_DEP_1) | instskip(SKIP_1) | instid1(VALU_DEP_2)
	v_pk_fma_f32 v[92:93], v[88:89], v[86:87], v[90:91] op_sel_hi:[1,0,1]
	v_pk_fma_f32 v[86:87], v[88:89], v[86:87], v[90:91] neg_lo:[0,0,1] neg_hi:[0,0,1]
	v_mov_b32_e32 v87, v93
	s_cbranch_execz .LBB104_299
	s_branch .LBB104_300
.LBB104_298:
                                        ; implicit-def: $vgpr86_vgpr87
.LBB104_299:
	ds_load_b64 v[86:87], v1
.LBB104_300:
	s_and_saveexec_b32 s17, s0
	s_cbranch_execz .LBB104_304
; %bb.301:
	v_add_nc_u32_e32 v88, -11, v0
	s_movk_i32 s18, 0x1a8
	s_mov_b32 s0, 0
.LBB104_302:                            ; =>This Inner Loop Header: Depth=1
	scratch_load_b64 v[90:91], off, s15
	v_dual_mov_b32 v89, s18 :: v_dual_add_nc_u32 v88, -1, v88
	s_add_co_i32 s18, s18, 8
	s_wait_xcnt 0x0
	s_add_co_i32 s15, s15, 8
	ds_load_b64 v[92:93], v89
	v_cmp_eq_u32_e32 vcc_lo, 0, v88
	s_or_b32 s0, vcc_lo, s0
	s_wait_loadcnt_dscnt 0x0
	v_pk_mul_f32 v[94:95], v[92:93], v[90:91] op_sel:[1,1] op_sel_hi:[0,1]
	s_delay_alu instid0(VALU_DEP_1) | instskip(SKIP_1) | instid1(VALU_DEP_2)
	v_pk_fma_f32 v[96:97], v[92:93], v[90:91], v[94:95] op_sel_hi:[1,0,1]
	v_pk_fma_f32 v[90:91], v[92:93], v[90:91], v[94:95] neg_lo:[0,0,1] neg_hi:[0,0,1]
	v_mov_b32_e32 v91, v97
	s_delay_alu instid0(VALU_DEP_1)
	v_pk_add_f32 v[86:87], v[86:87], v[90:91]
	s_and_not1_b32 exec_lo, exec_lo, s0
	s_cbranch_execnz .LBB104_302
; %bb.303:
	s_or_b32 exec_lo, exec_lo, s0
.LBB104_304:
	s_delay_alu instid0(SALU_CYCLE_1) | instskip(SKIP_4) | instid1(VALU_DEP_1)
	s_or_b32 exec_lo, exec_lo, s17
	v_mov_b32_e32 v88, 0
	ds_load_b64 v[88:89], v88 offset:80
	s_wait_dscnt 0x0
	v_pk_mul_f32 v[90:91], v[86:87], v[88:89] op_sel:[1,1] op_sel_hi:[0,1]
	v_pk_fma_f32 v[92:93], v[86:87], v[88:89], v[90:91] op_sel_hi:[1,0,1]
	v_pk_fma_f32 v[86:87], v[86:87], v[88:89], v[90:91] neg_lo:[0,0,1] neg_hi:[0,0,1]
	s_delay_alu instid0(VALU_DEP_2)
	v_mov_b32_e32 v87, v93
	scratch_store_b64 off, v[86:87], off offset:80
.LBB104_305:
	s_wait_xcnt 0x0
	s_or_b32 exec_lo, exec_lo, s16
	scratch_load_b64 v[86:87], off, off offset:72
	v_cmp_lt_u32_e64 s0, 9, v0
	s_wait_loadcnt 0x0
	ds_store_b64 v1, v[86:87]
	s_wait_storecnt_dscnt 0x0
	s_barrier_signal -1
	s_barrier_wait -1
	s_wait_xcnt 0x0
	s_and_saveexec_b32 s15, s0
	s_cbranch_execz .LBB104_315
; %bb.306:
	s_and_not1_b32 vcc_lo, exec_lo, s5
	s_cbranch_vccnz .LBB104_308
; %bb.307:
	scratch_load_b64 v[86:87], v59, off
	ds_load_b64 v[88:89], v1
	s_wait_loadcnt_dscnt 0x0
	v_pk_mul_f32 v[90:91], v[88:89], v[86:87] op_sel:[1,1] op_sel_hi:[0,1]
	s_delay_alu instid0(VALU_DEP_1) | instskip(SKIP_1) | instid1(VALU_DEP_2)
	v_pk_fma_f32 v[92:93], v[88:89], v[86:87], v[90:91] op_sel_hi:[1,0,1]
	v_pk_fma_f32 v[86:87], v[88:89], v[86:87], v[90:91] neg_lo:[0,0,1] neg_hi:[0,0,1]
	v_mov_b32_e32 v87, v93
	s_cbranch_execz .LBB104_309
	s_branch .LBB104_310
.LBB104_308:
                                        ; implicit-def: $vgpr86_vgpr87
.LBB104_309:
	ds_load_b64 v[86:87], v1
.LBB104_310:
	s_and_saveexec_b32 s16, s1
	s_cbranch_execz .LBB104_314
; %bb.311:
	v_add_nc_u32_e32 v88, -10, v0
	s_movk_i32 s17, 0x1a0
	s_mov_b32 s1, 0
.LBB104_312:                            ; =>This Inner Loop Header: Depth=1
	scratch_load_b64 v[90:91], off, s14
	v_dual_mov_b32 v89, s17 :: v_dual_add_nc_u32 v88, -1, v88
	s_add_co_i32 s17, s17, 8
	s_wait_xcnt 0x0
	s_add_co_i32 s14, s14, 8
	ds_load_b64 v[92:93], v89
	v_cmp_eq_u32_e32 vcc_lo, 0, v88
	s_or_b32 s1, vcc_lo, s1
	s_wait_loadcnt_dscnt 0x0
	v_pk_mul_f32 v[94:95], v[92:93], v[90:91] op_sel:[1,1] op_sel_hi:[0,1]
	s_delay_alu instid0(VALU_DEP_1) | instskip(SKIP_1) | instid1(VALU_DEP_2)
	v_pk_fma_f32 v[96:97], v[92:93], v[90:91], v[94:95] op_sel_hi:[1,0,1]
	v_pk_fma_f32 v[90:91], v[92:93], v[90:91], v[94:95] neg_lo:[0,0,1] neg_hi:[0,0,1]
	v_mov_b32_e32 v91, v97
	s_delay_alu instid0(VALU_DEP_1)
	v_pk_add_f32 v[86:87], v[86:87], v[90:91]
	s_and_not1_b32 exec_lo, exec_lo, s1
	s_cbranch_execnz .LBB104_312
; %bb.313:
	s_or_b32 exec_lo, exec_lo, s1
.LBB104_314:
	s_delay_alu instid0(SALU_CYCLE_1) | instskip(SKIP_4) | instid1(VALU_DEP_1)
	s_or_b32 exec_lo, exec_lo, s16
	v_mov_b32_e32 v88, 0
	ds_load_b64 v[88:89], v88 offset:72
	s_wait_dscnt 0x0
	v_pk_mul_f32 v[90:91], v[86:87], v[88:89] op_sel:[1,1] op_sel_hi:[0,1]
	v_pk_fma_f32 v[92:93], v[86:87], v[88:89], v[90:91] op_sel_hi:[1,0,1]
	v_pk_fma_f32 v[86:87], v[86:87], v[88:89], v[90:91] neg_lo:[0,0,1] neg_hi:[0,0,1]
	s_delay_alu instid0(VALU_DEP_2)
	v_mov_b32_e32 v87, v93
	scratch_store_b64 off, v[86:87], off offset:72
.LBB104_315:
	s_wait_xcnt 0x0
	s_or_b32 exec_lo, exec_lo, s15
	scratch_load_b64 v[86:87], off, off offset:64
	v_cmp_lt_u32_e64 s1, 8, v0
	s_wait_loadcnt 0x0
	ds_store_b64 v1, v[86:87]
	s_wait_storecnt_dscnt 0x0
	s_barrier_signal -1
	s_barrier_wait -1
	s_wait_xcnt 0x0
	s_and_saveexec_b32 s14, s1
	s_cbranch_execz .LBB104_325
; %bb.316:
	s_and_not1_b32 vcc_lo, exec_lo, s5
	s_cbranch_vccnz .LBB104_318
; %bb.317:
	scratch_load_b64 v[86:87], v59, off
	ds_load_b64 v[88:89], v1
	s_wait_loadcnt_dscnt 0x0
	v_pk_mul_f32 v[90:91], v[88:89], v[86:87] op_sel:[1,1] op_sel_hi:[0,1]
	s_delay_alu instid0(VALU_DEP_1) | instskip(SKIP_1) | instid1(VALU_DEP_2)
	v_pk_fma_f32 v[92:93], v[88:89], v[86:87], v[90:91] op_sel_hi:[1,0,1]
	v_pk_fma_f32 v[86:87], v[88:89], v[86:87], v[90:91] neg_lo:[0,0,1] neg_hi:[0,0,1]
	v_mov_b32_e32 v87, v93
	s_cbranch_execz .LBB104_319
	s_branch .LBB104_320
.LBB104_318:
                                        ; implicit-def: $vgpr86_vgpr87
.LBB104_319:
	ds_load_b64 v[86:87], v1
.LBB104_320:
	s_and_saveexec_b32 s15, s0
	s_cbranch_execz .LBB104_324
; %bb.321:
	v_add_nc_u32_e32 v88, -9, v0
	s_movk_i32 s16, 0x198
	s_mov_b32 s0, 0
.LBB104_322:                            ; =>This Inner Loop Header: Depth=1
	scratch_load_b64 v[90:91], off, s13
	v_dual_mov_b32 v89, s16 :: v_dual_add_nc_u32 v88, -1, v88
	s_add_co_i32 s16, s16, 8
	s_wait_xcnt 0x0
	s_add_co_i32 s13, s13, 8
	ds_load_b64 v[92:93], v89
	v_cmp_eq_u32_e32 vcc_lo, 0, v88
	s_or_b32 s0, vcc_lo, s0
	s_wait_loadcnt_dscnt 0x0
	v_pk_mul_f32 v[94:95], v[92:93], v[90:91] op_sel:[1,1] op_sel_hi:[0,1]
	s_delay_alu instid0(VALU_DEP_1) | instskip(SKIP_1) | instid1(VALU_DEP_2)
	v_pk_fma_f32 v[96:97], v[92:93], v[90:91], v[94:95] op_sel_hi:[1,0,1]
	v_pk_fma_f32 v[90:91], v[92:93], v[90:91], v[94:95] neg_lo:[0,0,1] neg_hi:[0,0,1]
	v_mov_b32_e32 v91, v97
	s_delay_alu instid0(VALU_DEP_1)
	v_pk_add_f32 v[86:87], v[86:87], v[90:91]
	s_and_not1_b32 exec_lo, exec_lo, s0
	s_cbranch_execnz .LBB104_322
; %bb.323:
	s_or_b32 exec_lo, exec_lo, s0
.LBB104_324:
	s_delay_alu instid0(SALU_CYCLE_1) | instskip(SKIP_4) | instid1(VALU_DEP_1)
	s_or_b32 exec_lo, exec_lo, s15
	v_mov_b32_e32 v88, 0
	ds_load_b64 v[88:89], v88 offset:64
	s_wait_dscnt 0x0
	v_pk_mul_f32 v[90:91], v[86:87], v[88:89] op_sel:[1,1] op_sel_hi:[0,1]
	v_pk_fma_f32 v[92:93], v[86:87], v[88:89], v[90:91] op_sel_hi:[1,0,1]
	v_pk_fma_f32 v[86:87], v[86:87], v[88:89], v[90:91] neg_lo:[0,0,1] neg_hi:[0,0,1]
	s_delay_alu instid0(VALU_DEP_2)
	v_mov_b32_e32 v87, v93
	scratch_store_b64 off, v[86:87], off offset:64
.LBB104_325:
	s_wait_xcnt 0x0
	s_or_b32 exec_lo, exec_lo, s14
	scratch_load_b64 v[86:87], off, off offset:56
	v_cmp_lt_u32_e64 s0, 7, v0
	s_wait_loadcnt 0x0
	ds_store_b64 v1, v[86:87]
	s_wait_storecnt_dscnt 0x0
	s_barrier_signal -1
	s_barrier_wait -1
	s_wait_xcnt 0x0
	s_and_saveexec_b32 s13, s0
	s_cbranch_execz .LBB104_335
; %bb.326:
	s_and_not1_b32 vcc_lo, exec_lo, s5
	s_cbranch_vccnz .LBB104_328
; %bb.327:
	scratch_load_b64 v[86:87], v59, off
	ds_load_b64 v[88:89], v1
	s_wait_loadcnt_dscnt 0x0
	v_pk_mul_f32 v[90:91], v[88:89], v[86:87] op_sel:[1,1] op_sel_hi:[0,1]
	s_delay_alu instid0(VALU_DEP_1) | instskip(SKIP_1) | instid1(VALU_DEP_2)
	v_pk_fma_f32 v[92:93], v[88:89], v[86:87], v[90:91] op_sel_hi:[1,0,1]
	v_pk_fma_f32 v[86:87], v[88:89], v[86:87], v[90:91] neg_lo:[0,0,1] neg_hi:[0,0,1]
	v_mov_b32_e32 v87, v93
	s_cbranch_execz .LBB104_329
	s_branch .LBB104_330
.LBB104_328:
                                        ; implicit-def: $vgpr86_vgpr87
.LBB104_329:
	ds_load_b64 v[86:87], v1
.LBB104_330:
	s_and_saveexec_b32 s14, s1
	s_cbranch_execz .LBB104_334
; %bb.331:
	v_add_nc_u32_e32 v88, -8, v0
	s_movk_i32 s15, 0x190
	s_mov_b32 s1, 0
.LBB104_332:                            ; =>This Inner Loop Header: Depth=1
	scratch_load_b64 v[90:91], off, s12
	v_dual_mov_b32 v89, s15 :: v_dual_add_nc_u32 v88, -1, v88
	s_add_co_i32 s15, s15, 8
	s_wait_xcnt 0x0
	s_add_co_i32 s12, s12, 8
	ds_load_b64 v[92:93], v89
	v_cmp_eq_u32_e32 vcc_lo, 0, v88
	s_or_b32 s1, vcc_lo, s1
	s_wait_loadcnt_dscnt 0x0
	v_pk_mul_f32 v[94:95], v[92:93], v[90:91] op_sel:[1,1] op_sel_hi:[0,1]
	s_delay_alu instid0(VALU_DEP_1) | instskip(SKIP_1) | instid1(VALU_DEP_2)
	v_pk_fma_f32 v[96:97], v[92:93], v[90:91], v[94:95] op_sel_hi:[1,0,1]
	v_pk_fma_f32 v[90:91], v[92:93], v[90:91], v[94:95] neg_lo:[0,0,1] neg_hi:[0,0,1]
	v_mov_b32_e32 v91, v97
	s_delay_alu instid0(VALU_DEP_1)
	v_pk_add_f32 v[86:87], v[86:87], v[90:91]
	s_and_not1_b32 exec_lo, exec_lo, s1
	s_cbranch_execnz .LBB104_332
; %bb.333:
	s_or_b32 exec_lo, exec_lo, s1
.LBB104_334:
	s_delay_alu instid0(SALU_CYCLE_1) | instskip(SKIP_4) | instid1(VALU_DEP_1)
	s_or_b32 exec_lo, exec_lo, s14
	v_mov_b32_e32 v88, 0
	ds_load_b64 v[88:89], v88 offset:56
	s_wait_dscnt 0x0
	v_pk_mul_f32 v[90:91], v[86:87], v[88:89] op_sel:[1,1] op_sel_hi:[0,1]
	v_pk_fma_f32 v[92:93], v[86:87], v[88:89], v[90:91] op_sel_hi:[1,0,1]
	v_pk_fma_f32 v[86:87], v[86:87], v[88:89], v[90:91] neg_lo:[0,0,1] neg_hi:[0,0,1]
	s_delay_alu instid0(VALU_DEP_2)
	v_mov_b32_e32 v87, v93
	scratch_store_b64 off, v[86:87], off offset:56
.LBB104_335:
	s_wait_xcnt 0x0
	s_or_b32 exec_lo, exec_lo, s13
	scratch_load_b64 v[86:87], off, off offset:48
	v_cmp_lt_u32_e64 s1, 6, v0
	s_wait_loadcnt 0x0
	ds_store_b64 v1, v[86:87]
	s_wait_storecnt_dscnt 0x0
	s_barrier_signal -1
	s_barrier_wait -1
	s_wait_xcnt 0x0
	s_and_saveexec_b32 s12, s1
	s_cbranch_execz .LBB104_345
; %bb.336:
	s_and_not1_b32 vcc_lo, exec_lo, s5
	s_cbranch_vccnz .LBB104_338
; %bb.337:
	scratch_load_b64 v[86:87], v59, off
	ds_load_b64 v[88:89], v1
	s_wait_loadcnt_dscnt 0x0
	v_pk_mul_f32 v[90:91], v[88:89], v[86:87] op_sel:[1,1] op_sel_hi:[0,1]
	s_delay_alu instid0(VALU_DEP_1) | instskip(SKIP_1) | instid1(VALU_DEP_2)
	v_pk_fma_f32 v[92:93], v[88:89], v[86:87], v[90:91] op_sel_hi:[1,0,1]
	v_pk_fma_f32 v[86:87], v[88:89], v[86:87], v[90:91] neg_lo:[0,0,1] neg_hi:[0,0,1]
	v_mov_b32_e32 v87, v93
	s_cbranch_execz .LBB104_339
	s_branch .LBB104_340
.LBB104_338:
                                        ; implicit-def: $vgpr86_vgpr87
.LBB104_339:
	ds_load_b64 v[86:87], v1
.LBB104_340:
	s_and_saveexec_b32 s13, s0
	s_cbranch_execz .LBB104_344
; %bb.341:
	v_add_nc_u32_e32 v88, -7, v0
	s_movk_i32 s14, 0x188
	s_mov_b32 s0, 0
.LBB104_342:                            ; =>This Inner Loop Header: Depth=1
	scratch_load_b64 v[90:91], off, s11
	v_dual_mov_b32 v89, s14 :: v_dual_add_nc_u32 v88, -1, v88
	s_add_co_i32 s14, s14, 8
	s_wait_xcnt 0x0
	s_add_co_i32 s11, s11, 8
	ds_load_b64 v[92:93], v89
	v_cmp_eq_u32_e32 vcc_lo, 0, v88
	s_or_b32 s0, vcc_lo, s0
	s_wait_loadcnt_dscnt 0x0
	v_pk_mul_f32 v[94:95], v[92:93], v[90:91] op_sel:[1,1] op_sel_hi:[0,1]
	s_delay_alu instid0(VALU_DEP_1) | instskip(SKIP_1) | instid1(VALU_DEP_2)
	v_pk_fma_f32 v[96:97], v[92:93], v[90:91], v[94:95] op_sel_hi:[1,0,1]
	v_pk_fma_f32 v[90:91], v[92:93], v[90:91], v[94:95] neg_lo:[0,0,1] neg_hi:[0,0,1]
	v_mov_b32_e32 v91, v97
	s_delay_alu instid0(VALU_DEP_1)
	v_pk_add_f32 v[86:87], v[86:87], v[90:91]
	s_and_not1_b32 exec_lo, exec_lo, s0
	s_cbranch_execnz .LBB104_342
; %bb.343:
	s_or_b32 exec_lo, exec_lo, s0
.LBB104_344:
	s_delay_alu instid0(SALU_CYCLE_1) | instskip(SKIP_4) | instid1(VALU_DEP_1)
	s_or_b32 exec_lo, exec_lo, s13
	v_mov_b32_e32 v88, 0
	ds_load_b64 v[88:89], v88 offset:48
	s_wait_dscnt 0x0
	v_pk_mul_f32 v[90:91], v[86:87], v[88:89] op_sel:[1,1] op_sel_hi:[0,1]
	v_pk_fma_f32 v[92:93], v[86:87], v[88:89], v[90:91] op_sel_hi:[1,0,1]
	v_pk_fma_f32 v[86:87], v[86:87], v[88:89], v[90:91] neg_lo:[0,0,1] neg_hi:[0,0,1]
	s_delay_alu instid0(VALU_DEP_2)
	v_mov_b32_e32 v87, v93
	scratch_store_b64 off, v[86:87], off offset:48
.LBB104_345:
	s_wait_xcnt 0x0
	s_or_b32 exec_lo, exec_lo, s12
	scratch_load_b64 v[86:87], off, off offset:40
	v_cmp_lt_u32_e64 s0, 5, v0
	s_wait_loadcnt 0x0
	ds_store_b64 v1, v[86:87]
	s_wait_storecnt_dscnt 0x0
	s_barrier_signal -1
	s_barrier_wait -1
	s_wait_xcnt 0x0
	s_and_saveexec_b32 s11, s0
	s_cbranch_execz .LBB104_355
; %bb.346:
	s_and_not1_b32 vcc_lo, exec_lo, s5
	s_cbranch_vccnz .LBB104_348
; %bb.347:
	scratch_load_b64 v[86:87], v59, off
	ds_load_b64 v[88:89], v1
	s_wait_loadcnt_dscnt 0x0
	v_pk_mul_f32 v[90:91], v[88:89], v[86:87] op_sel:[1,1] op_sel_hi:[0,1]
	s_delay_alu instid0(VALU_DEP_1) | instskip(SKIP_1) | instid1(VALU_DEP_2)
	v_pk_fma_f32 v[92:93], v[88:89], v[86:87], v[90:91] op_sel_hi:[1,0,1]
	v_pk_fma_f32 v[86:87], v[88:89], v[86:87], v[90:91] neg_lo:[0,0,1] neg_hi:[0,0,1]
	v_mov_b32_e32 v87, v93
	s_cbranch_execz .LBB104_349
	s_branch .LBB104_350
.LBB104_348:
                                        ; implicit-def: $vgpr86_vgpr87
.LBB104_349:
	ds_load_b64 v[86:87], v1
.LBB104_350:
	s_and_saveexec_b32 s12, s1
	s_cbranch_execz .LBB104_354
; %bb.351:
	v_add_nc_u32_e32 v88, -6, v0
	s_movk_i32 s13, 0x180
	s_mov_b32 s1, 0
.LBB104_352:                            ; =>This Inner Loop Header: Depth=1
	scratch_load_b64 v[90:91], off, s10
	v_dual_mov_b32 v89, s13 :: v_dual_add_nc_u32 v88, -1, v88
	s_add_co_i32 s13, s13, 8
	s_wait_xcnt 0x0
	s_add_co_i32 s10, s10, 8
	ds_load_b64 v[92:93], v89
	v_cmp_eq_u32_e32 vcc_lo, 0, v88
	s_or_b32 s1, vcc_lo, s1
	s_wait_loadcnt_dscnt 0x0
	v_pk_mul_f32 v[94:95], v[92:93], v[90:91] op_sel:[1,1] op_sel_hi:[0,1]
	s_delay_alu instid0(VALU_DEP_1) | instskip(SKIP_1) | instid1(VALU_DEP_2)
	v_pk_fma_f32 v[96:97], v[92:93], v[90:91], v[94:95] op_sel_hi:[1,0,1]
	v_pk_fma_f32 v[90:91], v[92:93], v[90:91], v[94:95] neg_lo:[0,0,1] neg_hi:[0,0,1]
	v_mov_b32_e32 v91, v97
	s_delay_alu instid0(VALU_DEP_1)
	v_pk_add_f32 v[86:87], v[86:87], v[90:91]
	s_and_not1_b32 exec_lo, exec_lo, s1
	s_cbranch_execnz .LBB104_352
; %bb.353:
	s_or_b32 exec_lo, exec_lo, s1
.LBB104_354:
	s_delay_alu instid0(SALU_CYCLE_1) | instskip(SKIP_4) | instid1(VALU_DEP_1)
	s_or_b32 exec_lo, exec_lo, s12
	v_mov_b32_e32 v88, 0
	ds_load_b64 v[88:89], v88 offset:40
	s_wait_dscnt 0x0
	v_pk_mul_f32 v[90:91], v[86:87], v[88:89] op_sel:[1,1] op_sel_hi:[0,1]
	v_pk_fma_f32 v[92:93], v[86:87], v[88:89], v[90:91] op_sel_hi:[1,0,1]
	v_pk_fma_f32 v[86:87], v[86:87], v[88:89], v[90:91] neg_lo:[0,0,1] neg_hi:[0,0,1]
	s_delay_alu instid0(VALU_DEP_2)
	v_mov_b32_e32 v87, v93
	scratch_store_b64 off, v[86:87], off offset:40
.LBB104_355:
	s_wait_xcnt 0x0
	s_or_b32 exec_lo, exec_lo, s11
	scratch_load_b64 v[86:87], off, off offset:32
	v_cmp_lt_u32_e64 s1, 4, v0
	s_wait_loadcnt 0x0
	ds_store_b64 v1, v[86:87]
	s_wait_storecnt_dscnt 0x0
	s_barrier_signal -1
	s_barrier_wait -1
	s_wait_xcnt 0x0
	s_and_saveexec_b32 s10, s1
	s_cbranch_execz .LBB104_365
; %bb.356:
	s_and_not1_b32 vcc_lo, exec_lo, s5
	s_cbranch_vccnz .LBB104_358
; %bb.357:
	scratch_load_b64 v[86:87], v59, off
	ds_load_b64 v[88:89], v1
	s_wait_loadcnt_dscnt 0x0
	v_pk_mul_f32 v[90:91], v[88:89], v[86:87] op_sel:[1,1] op_sel_hi:[0,1]
	s_delay_alu instid0(VALU_DEP_1) | instskip(SKIP_1) | instid1(VALU_DEP_2)
	v_pk_fma_f32 v[92:93], v[88:89], v[86:87], v[90:91] op_sel_hi:[1,0,1]
	v_pk_fma_f32 v[86:87], v[88:89], v[86:87], v[90:91] neg_lo:[0,0,1] neg_hi:[0,0,1]
	v_mov_b32_e32 v87, v93
	s_cbranch_execz .LBB104_359
	s_branch .LBB104_360
.LBB104_358:
                                        ; implicit-def: $vgpr86_vgpr87
.LBB104_359:
	ds_load_b64 v[86:87], v1
.LBB104_360:
	s_and_saveexec_b32 s11, s0
	s_cbranch_execz .LBB104_364
; %bb.361:
	v_add_nc_u32_e32 v88, -5, v0
	s_movk_i32 s12, 0x178
	s_mov_b32 s0, 0
.LBB104_362:                            ; =>This Inner Loop Header: Depth=1
	scratch_load_b64 v[90:91], off, s9
	v_dual_mov_b32 v89, s12 :: v_dual_add_nc_u32 v88, -1, v88
	s_add_co_i32 s12, s12, 8
	s_wait_xcnt 0x0
	s_add_co_i32 s9, s9, 8
	ds_load_b64 v[92:93], v89
	v_cmp_eq_u32_e32 vcc_lo, 0, v88
	s_or_b32 s0, vcc_lo, s0
	s_wait_loadcnt_dscnt 0x0
	v_pk_mul_f32 v[94:95], v[92:93], v[90:91] op_sel:[1,1] op_sel_hi:[0,1]
	s_delay_alu instid0(VALU_DEP_1) | instskip(SKIP_1) | instid1(VALU_DEP_2)
	v_pk_fma_f32 v[96:97], v[92:93], v[90:91], v[94:95] op_sel_hi:[1,0,1]
	v_pk_fma_f32 v[90:91], v[92:93], v[90:91], v[94:95] neg_lo:[0,0,1] neg_hi:[0,0,1]
	v_mov_b32_e32 v91, v97
	s_delay_alu instid0(VALU_DEP_1)
	v_pk_add_f32 v[86:87], v[86:87], v[90:91]
	s_and_not1_b32 exec_lo, exec_lo, s0
	s_cbranch_execnz .LBB104_362
; %bb.363:
	s_or_b32 exec_lo, exec_lo, s0
.LBB104_364:
	s_delay_alu instid0(SALU_CYCLE_1) | instskip(SKIP_4) | instid1(VALU_DEP_1)
	s_or_b32 exec_lo, exec_lo, s11
	v_mov_b32_e32 v88, 0
	ds_load_b64 v[88:89], v88 offset:32
	s_wait_dscnt 0x0
	v_pk_mul_f32 v[90:91], v[86:87], v[88:89] op_sel:[1,1] op_sel_hi:[0,1]
	v_pk_fma_f32 v[92:93], v[86:87], v[88:89], v[90:91] op_sel_hi:[1,0,1]
	v_pk_fma_f32 v[86:87], v[86:87], v[88:89], v[90:91] neg_lo:[0,0,1] neg_hi:[0,0,1]
	s_delay_alu instid0(VALU_DEP_2)
	v_mov_b32_e32 v87, v93
	scratch_store_b64 off, v[86:87], off offset:32
.LBB104_365:
	s_wait_xcnt 0x0
	s_or_b32 exec_lo, exec_lo, s10
	scratch_load_b64 v[86:87], off, off offset:24
	v_cmp_lt_u32_e64 s0, 3, v0
	s_wait_loadcnt 0x0
	ds_store_b64 v1, v[86:87]
	s_wait_storecnt_dscnt 0x0
	s_barrier_signal -1
	s_barrier_wait -1
	s_wait_xcnt 0x0
	s_and_saveexec_b32 s9, s0
	s_cbranch_execz .LBB104_375
; %bb.366:
	s_and_not1_b32 vcc_lo, exec_lo, s5
	s_cbranch_vccnz .LBB104_368
; %bb.367:
	scratch_load_b64 v[86:87], v59, off
	ds_load_b64 v[88:89], v1
	s_wait_loadcnt_dscnt 0x0
	v_pk_mul_f32 v[90:91], v[88:89], v[86:87] op_sel:[1,1] op_sel_hi:[0,1]
	s_delay_alu instid0(VALU_DEP_1) | instskip(SKIP_1) | instid1(VALU_DEP_2)
	v_pk_fma_f32 v[92:93], v[88:89], v[86:87], v[90:91] op_sel_hi:[1,0,1]
	v_pk_fma_f32 v[86:87], v[88:89], v[86:87], v[90:91] neg_lo:[0,0,1] neg_hi:[0,0,1]
	v_mov_b32_e32 v87, v93
	s_cbranch_execz .LBB104_369
	s_branch .LBB104_370
.LBB104_368:
                                        ; implicit-def: $vgpr86_vgpr87
.LBB104_369:
	ds_load_b64 v[86:87], v1
.LBB104_370:
	s_and_saveexec_b32 s10, s1
	s_cbranch_execz .LBB104_374
; %bb.371:
	v_add_nc_u32_e32 v88, -4, v0
	s_movk_i32 s11, 0x170
	s_mov_b32 s1, 0
.LBB104_372:                            ; =>This Inner Loop Header: Depth=1
	scratch_load_b64 v[90:91], off, s8
	v_dual_mov_b32 v89, s11 :: v_dual_add_nc_u32 v88, -1, v88
	s_add_co_i32 s11, s11, 8
	s_wait_xcnt 0x0
	s_add_co_i32 s8, s8, 8
	ds_load_b64 v[92:93], v89
	v_cmp_eq_u32_e32 vcc_lo, 0, v88
	s_or_b32 s1, vcc_lo, s1
	s_wait_loadcnt_dscnt 0x0
	v_pk_mul_f32 v[94:95], v[92:93], v[90:91] op_sel:[1,1] op_sel_hi:[0,1]
	s_delay_alu instid0(VALU_DEP_1) | instskip(SKIP_1) | instid1(VALU_DEP_2)
	v_pk_fma_f32 v[96:97], v[92:93], v[90:91], v[94:95] op_sel_hi:[1,0,1]
	v_pk_fma_f32 v[90:91], v[92:93], v[90:91], v[94:95] neg_lo:[0,0,1] neg_hi:[0,0,1]
	v_mov_b32_e32 v91, v97
	s_delay_alu instid0(VALU_DEP_1)
	v_pk_add_f32 v[86:87], v[86:87], v[90:91]
	s_and_not1_b32 exec_lo, exec_lo, s1
	s_cbranch_execnz .LBB104_372
; %bb.373:
	s_or_b32 exec_lo, exec_lo, s1
.LBB104_374:
	s_delay_alu instid0(SALU_CYCLE_1) | instskip(SKIP_4) | instid1(VALU_DEP_1)
	s_or_b32 exec_lo, exec_lo, s10
	v_mov_b32_e32 v88, 0
	ds_load_b64 v[88:89], v88 offset:24
	s_wait_dscnt 0x0
	v_pk_mul_f32 v[90:91], v[86:87], v[88:89] op_sel:[1,1] op_sel_hi:[0,1]
	v_pk_fma_f32 v[92:93], v[86:87], v[88:89], v[90:91] op_sel_hi:[1,0,1]
	v_pk_fma_f32 v[86:87], v[86:87], v[88:89], v[90:91] neg_lo:[0,0,1] neg_hi:[0,0,1]
	s_delay_alu instid0(VALU_DEP_2)
	v_mov_b32_e32 v87, v93
	scratch_store_b64 off, v[86:87], off offset:24
.LBB104_375:
	s_wait_xcnt 0x0
	s_or_b32 exec_lo, exec_lo, s9
	scratch_load_b64 v[86:87], off, off offset:16
	v_cmp_lt_u32_e64 s1, 2, v0
	s_wait_loadcnt 0x0
	ds_store_b64 v1, v[86:87]
	s_wait_storecnt_dscnt 0x0
	s_barrier_signal -1
	s_barrier_wait -1
	s_wait_xcnt 0x0
	s_and_saveexec_b32 s8, s1
	s_cbranch_execz .LBB104_385
; %bb.376:
	s_and_not1_b32 vcc_lo, exec_lo, s5
	s_cbranch_vccnz .LBB104_378
; %bb.377:
	scratch_load_b64 v[86:87], v59, off
	ds_load_b64 v[88:89], v1
	s_wait_loadcnt_dscnt 0x0
	v_pk_mul_f32 v[90:91], v[88:89], v[86:87] op_sel:[1,1] op_sel_hi:[0,1]
	s_delay_alu instid0(VALU_DEP_1) | instskip(SKIP_1) | instid1(VALU_DEP_2)
	v_pk_fma_f32 v[92:93], v[88:89], v[86:87], v[90:91] op_sel_hi:[1,0,1]
	v_pk_fma_f32 v[86:87], v[88:89], v[86:87], v[90:91] neg_lo:[0,0,1] neg_hi:[0,0,1]
	v_mov_b32_e32 v87, v93
	s_cbranch_execz .LBB104_379
	s_branch .LBB104_380
.LBB104_378:
                                        ; implicit-def: $vgpr86_vgpr87
.LBB104_379:
	ds_load_b64 v[86:87], v1
.LBB104_380:
	s_and_saveexec_b32 s9, s0
	s_cbranch_execz .LBB104_384
; %bb.381:
	v_add_nc_u32_e32 v88, -3, v0
	s_movk_i32 s10, 0x168
	s_mov_b32 s0, 0
.LBB104_382:                            ; =>This Inner Loop Header: Depth=1
	scratch_load_b64 v[90:91], off, s7
	v_dual_mov_b32 v89, s10 :: v_dual_add_nc_u32 v88, -1, v88
	s_add_co_i32 s10, s10, 8
	s_wait_xcnt 0x0
	s_add_co_i32 s7, s7, 8
	ds_load_b64 v[92:93], v89
	v_cmp_eq_u32_e32 vcc_lo, 0, v88
	s_or_b32 s0, vcc_lo, s0
	s_wait_loadcnt_dscnt 0x0
	v_pk_mul_f32 v[94:95], v[92:93], v[90:91] op_sel:[1,1] op_sel_hi:[0,1]
	s_delay_alu instid0(VALU_DEP_1) | instskip(SKIP_1) | instid1(VALU_DEP_2)
	v_pk_fma_f32 v[96:97], v[92:93], v[90:91], v[94:95] op_sel_hi:[1,0,1]
	v_pk_fma_f32 v[90:91], v[92:93], v[90:91], v[94:95] neg_lo:[0,0,1] neg_hi:[0,0,1]
	v_mov_b32_e32 v91, v97
	s_delay_alu instid0(VALU_DEP_1)
	v_pk_add_f32 v[86:87], v[86:87], v[90:91]
	s_and_not1_b32 exec_lo, exec_lo, s0
	s_cbranch_execnz .LBB104_382
; %bb.383:
	s_or_b32 exec_lo, exec_lo, s0
.LBB104_384:
	s_delay_alu instid0(SALU_CYCLE_1) | instskip(SKIP_4) | instid1(VALU_DEP_1)
	s_or_b32 exec_lo, exec_lo, s9
	v_mov_b32_e32 v88, 0
	ds_load_b64 v[88:89], v88 offset:16
	s_wait_dscnt 0x0
	v_pk_mul_f32 v[90:91], v[86:87], v[88:89] op_sel:[1,1] op_sel_hi:[0,1]
	v_pk_fma_f32 v[92:93], v[86:87], v[88:89], v[90:91] op_sel_hi:[1,0,1]
	v_pk_fma_f32 v[86:87], v[86:87], v[88:89], v[90:91] neg_lo:[0,0,1] neg_hi:[0,0,1]
	s_delay_alu instid0(VALU_DEP_2)
	v_mov_b32_e32 v87, v93
	scratch_store_b64 off, v[86:87], off offset:16
.LBB104_385:
	s_wait_xcnt 0x0
	s_or_b32 exec_lo, exec_lo, s8
	scratch_load_b64 v[86:87], off, off offset:8
	v_cmp_lt_u32_e64 s0, 1, v0
	s_wait_loadcnt 0x0
	ds_store_b64 v1, v[86:87]
	s_wait_storecnt_dscnt 0x0
	s_barrier_signal -1
	s_barrier_wait -1
	s_wait_xcnt 0x0
	s_and_saveexec_b32 s7, s0
	s_cbranch_execz .LBB104_395
; %bb.386:
	s_and_not1_b32 vcc_lo, exec_lo, s5
	s_cbranch_vccnz .LBB104_388
; %bb.387:
	scratch_load_b64 v[86:87], v59, off
	ds_load_b64 v[88:89], v1
	s_wait_loadcnt_dscnt 0x0
	v_pk_mul_f32 v[90:91], v[88:89], v[86:87] op_sel:[1,1] op_sel_hi:[0,1]
	s_delay_alu instid0(VALU_DEP_1) | instskip(SKIP_1) | instid1(VALU_DEP_2)
	v_pk_fma_f32 v[92:93], v[88:89], v[86:87], v[90:91] op_sel_hi:[1,0,1]
	v_pk_fma_f32 v[86:87], v[88:89], v[86:87], v[90:91] neg_lo:[0,0,1] neg_hi:[0,0,1]
	v_mov_b32_e32 v87, v93
	s_cbranch_execz .LBB104_389
	s_branch .LBB104_390
.LBB104_388:
                                        ; implicit-def: $vgpr86_vgpr87
.LBB104_389:
	ds_load_b64 v[86:87], v1
.LBB104_390:
	s_and_saveexec_b32 s8, s1
	s_cbranch_execz .LBB104_394
; %bb.391:
	v_add_nc_u32_e32 v88, -2, v0
	s_movk_i32 s9, 0x160
	s_mov_b32 s1, 0
.LBB104_392:                            ; =>This Inner Loop Header: Depth=1
	scratch_load_b64 v[90:91], off, s6
	v_dual_mov_b32 v89, s9 :: v_dual_add_nc_u32 v88, -1, v88
	s_add_co_i32 s9, s9, 8
	s_wait_xcnt 0x0
	s_add_co_i32 s6, s6, 8
	ds_load_b64 v[92:93], v89
	v_cmp_eq_u32_e32 vcc_lo, 0, v88
	s_or_b32 s1, vcc_lo, s1
	s_wait_loadcnt_dscnt 0x0
	v_pk_mul_f32 v[94:95], v[92:93], v[90:91] op_sel:[1,1] op_sel_hi:[0,1]
	s_delay_alu instid0(VALU_DEP_1) | instskip(SKIP_1) | instid1(VALU_DEP_2)
	v_pk_fma_f32 v[96:97], v[92:93], v[90:91], v[94:95] op_sel_hi:[1,0,1]
	v_pk_fma_f32 v[90:91], v[92:93], v[90:91], v[94:95] neg_lo:[0,0,1] neg_hi:[0,0,1]
	v_mov_b32_e32 v91, v97
	s_delay_alu instid0(VALU_DEP_1)
	v_pk_add_f32 v[86:87], v[86:87], v[90:91]
	s_and_not1_b32 exec_lo, exec_lo, s1
	s_cbranch_execnz .LBB104_392
; %bb.393:
	s_or_b32 exec_lo, exec_lo, s1
.LBB104_394:
	s_delay_alu instid0(SALU_CYCLE_1) | instskip(SKIP_4) | instid1(VALU_DEP_1)
	s_or_b32 exec_lo, exec_lo, s8
	v_mov_b32_e32 v88, 0
	ds_load_b64 v[88:89], v88 offset:8
	s_wait_dscnt 0x0
	v_pk_mul_f32 v[90:91], v[86:87], v[88:89] op_sel:[1,1] op_sel_hi:[0,1]
	v_pk_fma_f32 v[92:93], v[86:87], v[88:89], v[90:91] op_sel_hi:[1,0,1]
	v_pk_fma_f32 v[86:87], v[86:87], v[88:89], v[90:91] neg_lo:[0,0,1] neg_hi:[0,0,1]
	s_delay_alu instid0(VALU_DEP_2)
	v_mov_b32_e32 v87, v93
	scratch_store_b64 off, v[86:87], off offset:8
.LBB104_395:
	s_wait_xcnt 0x0
	s_or_b32 exec_lo, exec_lo, s7
	scratch_load_b64 v[86:87], off, off
	s_mov_b32 s6, 0
	s_mov_b32 s1, 0
	s_mov_b32 s8, exec_lo
                                        ; implicit-def: $vgpr122
                                        ; implicit-def: $sgpr7
	s_wait_loadcnt 0x0
	ds_store_b64 v1, v[86:87]
	s_wait_storecnt_dscnt 0x0
	s_barrier_signal -1
	s_barrier_wait -1
	s_wait_xcnt 0x0
	v_cmpx_ne_u32_e32 0, v0
	s_cbranch_execz .LBB104_405
; %bb.396:
	s_and_not1_b32 vcc_lo, exec_lo, s5
	s_cbranch_vccnz .LBB104_398
; %bb.397:
	scratch_load_b64 v[88:89], v59, off
	ds_load_b64 v[90:91], v1
	s_wait_loadcnt_dscnt 0x0
	v_dual_mul_f32 v86, v91, v89 :: v_dual_mul_f32 v87, v90, v89
	s_delay_alu instid0(VALU_DEP_1)
	v_dual_fma_f32 v86, v90, v88, -v86 :: v_dual_fmac_f32 v87, v91, v88
	s_and_not1_b32 vcc_lo, exec_lo, s1
	s_cbranch_vccz .LBB104_399
	s_branch .LBB104_400
.LBB104_398:
                                        ; implicit-def: $vgpr86
.LBB104_399:
	ds_load_b64 v[86:87], v1
.LBB104_400:
	s_and_saveexec_b32 s1, s0
	s_cbranch_execz .LBB104_404
; %bb.401:
	v_add_nc_u32_e32 v88, -1, v0
	s_movk_i32 s7, 0x158
	s_mov_b32 s0, 0
.LBB104_402:                            ; =>This Inner Loop Header: Depth=1
	scratch_load_b64 v[90:91], off, s4
	v_mov_b32_e32 v89, s7
	s_add_co_i32 s7, s7, 8
	s_wait_xcnt 0x0
	s_add_co_i32 s4, s4, 8
	v_add_nc_u32_e32 v88, -1, v88
	ds_load_b64 v[92:93], v89
	v_cmp_eq_u32_e32 vcc_lo, 0, v88
	s_or_b32 s0, vcc_lo, s0
	s_wait_loadcnt_dscnt 0x0
	v_dual_mul_f32 v89, v93, v91 :: v_dual_mul_f32 v91, v92, v91
	s_delay_alu instid0(VALU_DEP_1) | instskip(NEXT) | instid1(VALU_DEP_1)
	v_dual_fma_f32 v89, v92, v90, -v89 :: v_dual_fmac_f32 v91, v93, v90
	v_dual_add_f32 v86, v86, v89 :: v_dual_add_f32 v87, v87, v91
	s_and_not1_b32 exec_lo, exec_lo, s0
	s_cbranch_execnz .LBB104_402
; %bb.403:
	s_or_b32 exec_lo, exec_lo, s0
.LBB104_404:
	s_delay_alu instid0(SALU_CYCLE_1)
	s_or_b32 exec_lo, exec_lo, s1
	v_mov_b32_e32 v88, 0
	s_mov_b32 s1, exec_lo
	s_or_b32 s7, 0, 4
	ds_load_b64 v[88:89], v88
	s_wait_dscnt 0x0
	v_dual_mul_f32 v90, v87, v89 :: v_dual_mul_f32 v122, v86, v89
	s_delay_alu instid0(VALU_DEP_1) | instskip(NEXT) | instid1(VALU_DEP_2)
	v_fma_f32 v86, v86, v88, -v90
	v_fmac_f32_e32 v122, v87, v88
	scratch_store_b32 off, v86, off
.LBB104_405:
	s_wait_xcnt 0x0
	s_or_b32 exec_lo, exec_lo, s8
	s_delay_alu instid0(SALU_CYCLE_1)
	s_and_b32 vcc_lo, exec_lo, s6
	s_cbranch_vccz .LBB104_801
.LBB104_406:
	scratch_load_b64 v[86:87], off, off offset:8
	v_cmp_eq_u32_e64 s0, 0, v0
	s_wait_loadcnt 0x0
	ds_store_b64 v1, v[86:87]
	s_wait_storecnt_dscnt 0x0
	s_barrier_signal -1
	s_barrier_wait -1
	s_wait_xcnt 0x0
	s_and_saveexec_b32 s4, s0
	s_cbranch_execz .LBB104_412
; %bb.407:
	s_and_b32 vcc_lo, exec_lo, s5
	s_cbranch_vccz .LBB104_409
; %bb.408:
	scratch_load_b64 v[86:87], v59, off
	ds_load_b64 v[88:89], v1
	s_wait_loadcnt_dscnt 0x0
	v_pk_mul_f32 v[90:91], v[88:89], v[86:87] op_sel:[1,1] op_sel_hi:[0,1]
	v_pk_mul_f32 v[92:93], v[88:89], v[86:87] op_sel_hi:[1,0]
	s_delay_alu instid0(VALU_DEP_2) | instskip(NEXT) | instid1(VALU_DEP_2)
	v_pk_fma_f32 v[86:87], v[88:89], v[86:87], v[90:91] op_sel_hi:[1,0,1]
	v_sub_f32_e32 v86, v92, v90
	s_cbranch_execz .LBB104_410
	s_branch .LBB104_411
.LBB104_409:
                                        ; implicit-def: $vgpr87
.LBB104_410:
	ds_load_b64 v[86:87], v1
.LBB104_411:
	s_wait_dscnt 0x0
	v_dual_mov_b32 v88, 0 :: v_dual_mov_b32 v90, v87
	v_mov_b32_e32 v91, v86
	ds_load_b64 v[88:89], v88 offset:8
	s_wait_dscnt 0x0
	v_pk_mul_f32 v[90:91], v[90:91], v[88:89] op_sel:[0,1]
	s_delay_alu instid0(VALU_DEP_1) | instskip(SKIP_1) | instid1(VALU_DEP_2)
	v_pk_fma_f32 v[92:93], v[86:87], v[88:89], v[90:91] op_sel_hi:[1,0,1]
	v_pk_fma_f32 v[86:87], v[86:87], v[88:89], v[90:91] neg_lo:[0,0,1] neg_hi:[0,0,1]
	v_mov_b32_e32 v87, v93
	scratch_store_b64 off, v[86:87], off offset:8
.LBB104_412:
	s_wait_xcnt 0x0
	s_or_b32 exec_lo, exec_lo, s4
	scratch_load_b64 v[86:87], off, off offset:16
	v_cndmask_b32_e64 v88, 0, 1, s5
	s_mov_b32 s4, exec_lo
	s_wait_loadcnt 0x0
	ds_store_b64 v1, v[86:87]
	s_wait_storecnt_dscnt 0x0
	s_barrier_signal -1
	s_barrier_wait -1
	s_wait_xcnt 0x0
	v_cmpx_gt_u32_e32 2, v0
	s_cbranch_execz .LBB104_420
; %bb.413:
	s_and_not1_b32 vcc_lo, exec_lo, s5
	s_cbranch_vccnz .LBB104_415
; %bb.414:
	scratch_load_b64 v[86:87], v59, off
	ds_load_b64 v[90:91], v1
	s_wait_loadcnt_dscnt 0x0
	v_pk_mul_f32 v[92:93], v[90:91], v[86:87] op_sel:[1,1] op_sel_hi:[0,1]
	s_delay_alu instid0(VALU_DEP_1) | instskip(SKIP_1) | instid1(VALU_DEP_2)
	v_pk_fma_f32 v[94:95], v[90:91], v[86:87], v[92:93] op_sel_hi:[1,0,1]
	v_pk_fma_f32 v[86:87], v[90:91], v[86:87], v[92:93] neg_lo:[0,0,1] neg_hi:[0,0,1]
	v_mov_b32_e32 v87, v95
	s_cbranch_execz .LBB104_416
	s_branch .LBB104_417
.LBB104_415:
                                        ; implicit-def: $vgpr86_vgpr87
.LBB104_416:
	ds_load_b64 v[86:87], v1
.LBB104_417:
	s_and_saveexec_b32 s5, s0
	s_cbranch_execz .LBB104_419
; %bb.418:
	scratch_load_b64 v[90:91], off, off offset:8
	v_mov_b32_e32 v89, 0
	ds_load_b64 v[92:93], v89 offset:344
	s_wait_loadcnt_dscnt 0x0
	v_pk_mul_f32 v[94:95], v[92:93], v[90:91] op_sel:[1,1] op_sel_hi:[0,1]
	s_delay_alu instid0(VALU_DEP_1) | instskip(SKIP_1) | instid1(VALU_DEP_2)
	v_pk_fma_f32 v[96:97], v[92:93], v[90:91], v[94:95] op_sel_hi:[1,0,1]
	v_pk_fma_f32 v[90:91], v[92:93], v[90:91], v[94:95] neg_lo:[0,0,1] neg_hi:[0,0,1]
	v_mov_b32_e32 v91, v97
	s_delay_alu instid0(VALU_DEP_1)
	v_pk_add_f32 v[86:87], v[86:87], v[90:91]
.LBB104_419:
	s_or_b32 exec_lo, exec_lo, s5
	v_mov_b32_e32 v89, 0
	ds_load_b64 v[90:91], v89 offset:16
	s_wait_dscnt 0x0
	v_pk_mul_f32 v[92:93], v[86:87], v[90:91] op_sel:[1,1] op_sel_hi:[0,1]
	s_delay_alu instid0(VALU_DEP_1) | instskip(SKIP_1) | instid1(VALU_DEP_2)
	v_pk_fma_f32 v[94:95], v[86:87], v[90:91], v[92:93] op_sel_hi:[1,0,1]
	v_pk_fma_f32 v[86:87], v[86:87], v[90:91], v[92:93] neg_lo:[0,0,1] neg_hi:[0,0,1]
	v_mov_b32_e32 v87, v95
	scratch_store_b64 off, v[86:87], off offset:16
.LBB104_420:
	s_wait_xcnt 0x0
	s_or_b32 exec_lo, exec_lo, s4
	scratch_load_b64 v[86:87], off, off offset:24
	s_mov_b32 s4, exec_lo
	s_wait_loadcnt 0x0
	ds_store_b64 v1, v[86:87]
	s_wait_storecnt_dscnt 0x0
	s_barrier_signal -1
	s_barrier_wait -1
	s_wait_xcnt 0x0
	v_cmpx_gt_u32_e32 3, v0
	s_cbranch_execz .LBB104_430
; %bb.421:
	v_cmp_ne_u32_e32 vcc_lo, 1, v88
	s_cbranch_vccnz .LBB104_423
; %bb.422:
	scratch_load_b64 v[86:87], v59, off
	ds_load_b64 v[90:91], v1
	s_wait_loadcnt_dscnt 0x0
	v_pk_mul_f32 v[92:93], v[90:91], v[86:87] op_sel:[1,1] op_sel_hi:[0,1]
	s_delay_alu instid0(VALU_DEP_1) | instskip(SKIP_1) | instid1(VALU_DEP_2)
	v_pk_fma_f32 v[94:95], v[90:91], v[86:87], v[92:93] op_sel_hi:[1,0,1]
	v_pk_fma_f32 v[86:87], v[90:91], v[86:87], v[92:93] neg_lo:[0,0,1] neg_hi:[0,0,1]
	v_mov_b32_e32 v87, v95
	s_cbranch_execz .LBB104_424
	s_branch .LBB104_425
.LBB104_423:
                                        ; implicit-def: $vgpr86_vgpr87
.LBB104_424:
	ds_load_b64 v[86:87], v1
.LBB104_425:
	s_mov_b32 s5, exec_lo
	v_cmpx_ne_u32_e32 2, v0
	s_cbranch_execz .LBB104_429
; %bb.426:
	scratch_load_b64 v[90:91], v59, off offset:8
	ds_load_b64 v[92:93], v1 offset:8
	s_wait_loadcnt_dscnt 0x0
	v_pk_mul_f32 v[94:95], v[92:93], v[90:91] op_sel:[1,1] op_sel_hi:[0,1]
	s_delay_alu instid0(VALU_DEP_1) | instskip(SKIP_1) | instid1(VALU_DEP_2)
	v_pk_fma_f32 v[96:97], v[92:93], v[90:91], v[94:95] op_sel_hi:[1,0,1]
	v_pk_fma_f32 v[90:91], v[92:93], v[90:91], v[94:95] neg_lo:[0,0,1] neg_hi:[0,0,1]
	v_mov_b32_e32 v91, v97
	s_delay_alu instid0(VALU_DEP_1)
	v_pk_add_f32 v[86:87], v[86:87], v[90:91]
	s_and_saveexec_b32 s6, s0
	s_cbranch_execz .LBB104_428
; %bb.427:
	scratch_load_b64 v[90:91], off, off offset:16
	v_mov_b32_e32 v89, 0
	ds_load_b64 v[92:93], v89 offset:352
	s_wait_loadcnt_dscnt 0x0
	v_pk_mul_f32 v[94:95], v[92:93], v[90:91] op_sel:[1,1] op_sel_hi:[0,1]
	s_delay_alu instid0(VALU_DEP_1) | instskip(SKIP_1) | instid1(VALU_DEP_2)
	v_pk_fma_f32 v[96:97], v[92:93], v[90:91], v[94:95] op_sel_hi:[1,0,1]
	v_pk_fma_f32 v[90:91], v[92:93], v[90:91], v[94:95] neg_lo:[0,0,1] neg_hi:[0,0,1]
	v_mov_b32_e32 v91, v97
	s_delay_alu instid0(VALU_DEP_1)
	v_pk_add_f32 v[86:87], v[86:87], v[90:91]
.LBB104_428:
	s_or_b32 exec_lo, exec_lo, s6
.LBB104_429:
	s_delay_alu instid0(SALU_CYCLE_1) | instskip(SKIP_4) | instid1(VALU_DEP_1)
	s_or_b32 exec_lo, exec_lo, s5
	v_mov_b32_e32 v89, 0
	ds_load_b64 v[90:91], v89 offset:24
	s_wait_dscnt 0x0
	v_pk_mul_f32 v[92:93], v[86:87], v[90:91] op_sel:[1,1] op_sel_hi:[0,1]
	v_pk_fma_f32 v[94:95], v[86:87], v[90:91], v[92:93] op_sel_hi:[1,0,1]
	v_pk_fma_f32 v[86:87], v[86:87], v[90:91], v[92:93] neg_lo:[0,0,1] neg_hi:[0,0,1]
	s_delay_alu instid0(VALU_DEP_2)
	v_mov_b32_e32 v87, v95
	scratch_store_b64 off, v[86:87], off offset:24
.LBB104_430:
	s_wait_xcnt 0x0
	s_or_b32 exec_lo, exec_lo, s4
	scratch_load_b64 v[86:87], off, off offset:32
	s_mov_b32 s0, exec_lo
	s_wait_loadcnt 0x0
	ds_store_b64 v1, v[86:87]
	s_wait_storecnt_dscnt 0x0
	s_barrier_signal -1
	s_barrier_wait -1
	s_wait_xcnt 0x0
	v_cmpx_gt_u32_e32 4, v0
	s_cbranch_execz .LBB104_440
; %bb.431:
	v_cmp_ne_u32_e32 vcc_lo, 1, v88
	s_cbranch_vccnz .LBB104_433
; %bb.432:
	scratch_load_b64 v[86:87], v59, off
	ds_load_b64 v[90:91], v1
	s_wait_loadcnt_dscnt 0x0
	v_pk_mul_f32 v[92:93], v[90:91], v[86:87] op_sel:[1,1] op_sel_hi:[0,1]
	s_delay_alu instid0(VALU_DEP_1) | instskip(SKIP_1) | instid1(VALU_DEP_2)
	v_pk_fma_f32 v[94:95], v[90:91], v[86:87], v[92:93] op_sel_hi:[1,0,1]
	v_pk_fma_f32 v[86:87], v[90:91], v[86:87], v[92:93] neg_lo:[0,0,1] neg_hi:[0,0,1]
	v_mov_b32_e32 v87, v95
	s_cbranch_execz .LBB104_434
	s_branch .LBB104_435
.LBB104_433:
                                        ; implicit-def: $vgpr86_vgpr87
.LBB104_434:
	ds_load_b64 v[86:87], v1
.LBB104_435:
	s_mov_b32 s4, exec_lo
	v_cmpx_ne_u32_e32 3, v0
	s_cbranch_execz .LBB104_439
; %bb.436:
	v_add_nc_u32_e32 v89, 0x158, v58
	v_add3_u32 v90, 0, v58, 8
	v_mov_b32_e32 v91, v0
	s_mov_b32 s5, 0
.LBB104_437:                            ; =>This Inner Loop Header: Depth=1
	scratch_load_b64 v[92:93], v90, off
	ds_load_b64 v[94:95], v89
	s_wait_xcnt 0x0
	v_dual_add_nc_u32 v89, 8, v89 :: v_dual_add_nc_u32 v90, 8, v90
	s_wait_loadcnt_dscnt 0x0
	v_pk_mul_f32 v[96:97], v[94:95], v[92:93] op_sel:[1,1] op_sel_hi:[0,1]
	s_delay_alu instid0(VALU_DEP_1) | instskip(SKIP_2) | instid1(VALU_DEP_3)
	v_pk_fma_f32 v[98:99], v[94:95], v[92:93], v[96:97] op_sel_hi:[1,0,1]
	v_add_nc_u32_e32 v91, 1, v91
	v_pk_fma_f32 v[92:93], v[94:95], v[92:93], v[96:97] neg_lo:[0,0,1] neg_hi:[0,0,1]
	v_mov_b32_e32 v93, v99
	s_delay_alu instid0(VALU_DEP_3) | instskip(NEXT) | instid1(VALU_DEP_2)
	v_cmp_lt_u32_e32 vcc_lo, 2, v91
	v_pk_add_f32 v[86:87], v[86:87], v[92:93]
	s_or_b32 s5, vcc_lo, s5
	s_delay_alu instid0(SALU_CYCLE_1)
	s_and_not1_b32 exec_lo, exec_lo, s5
	s_cbranch_execnz .LBB104_437
; %bb.438:
	s_or_b32 exec_lo, exec_lo, s5
.LBB104_439:
	s_delay_alu instid0(SALU_CYCLE_1) | instskip(SKIP_4) | instid1(VALU_DEP_1)
	s_or_b32 exec_lo, exec_lo, s4
	v_mov_b32_e32 v89, 0
	ds_load_b64 v[90:91], v89 offset:32
	s_wait_dscnt 0x0
	v_pk_mul_f32 v[92:93], v[86:87], v[90:91] op_sel:[1,1] op_sel_hi:[0,1]
	v_pk_fma_f32 v[94:95], v[86:87], v[90:91], v[92:93] op_sel_hi:[1,0,1]
	v_pk_fma_f32 v[86:87], v[86:87], v[90:91], v[92:93] neg_lo:[0,0,1] neg_hi:[0,0,1]
	s_delay_alu instid0(VALU_DEP_2)
	v_mov_b32_e32 v87, v95
	scratch_store_b64 off, v[86:87], off offset:32
.LBB104_440:
	s_wait_xcnt 0x0
	s_or_b32 exec_lo, exec_lo, s0
	scratch_load_b64 v[86:87], off, off offset:40
	s_mov_b32 s0, exec_lo
	s_wait_loadcnt 0x0
	ds_store_b64 v1, v[86:87]
	s_wait_storecnt_dscnt 0x0
	s_barrier_signal -1
	s_barrier_wait -1
	s_wait_xcnt 0x0
	v_cmpx_gt_u32_e32 5, v0
	s_cbranch_execz .LBB104_450
; %bb.441:
	v_cmp_ne_u32_e32 vcc_lo, 1, v88
	s_cbranch_vccnz .LBB104_443
; %bb.442:
	scratch_load_b64 v[86:87], v59, off
	ds_load_b64 v[90:91], v1
	s_wait_loadcnt_dscnt 0x0
	v_pk_mul_f32 v[92:93], v[90:91], v[86:87] op_sel:[1,1] op_sel_hi:[0,1]
	s_delay_alu instid0(VALU_DEP_1) | instskip(SKIP_1) | instid1(VALU_DEP_2)
	v_pk_fma_f32 v[94:95], v[90:91], v[86:87], v[92:93] op_sel_hi:[1,0,1]
	v_pk_fma_f32 v[86:87], v[90:91], v[86:87], v[92:93] neg_lo:[0,0,1] neg_hi:[0,0,1]
	v_mov_b32_e32 v87, v95
	s_cbranch_execz .LBB104_444
	s_branch .LBB104_445
.LBB104_443:
                                        ; implicit-def: $vgpr86_vgpr87
.LBB104_444:
	ds_load_b64 v[86:87], v1
.LBB104_445:
	s_mov_b32 s4, exec_lo
	v_cmpx_ne_u32_e32 4, v0
	s_cbranch_execz .LBB104_449
; %bb.446:
	v_add_nc_u32_e32 v89, 0x158, v58
	v_add3_u32 v90, 0, v58, 8
	v_mov_b32_e32 v91, v0
	s_mov_b32 s5, 0
.LBB104_447:                            ; =>This Inner Loop Header: Depth=1
	scratch_load_b64 v[92:93], v90, off
	ds_load_b64 v[94:95], v89
	s_wait_xcnt 0x0
	v_dual_add_nc_u32 v89, 8, v89 :: v_dual_add_nc_u32 v90, 8, v90
	s_wait_loadcnt_dscnt 0x0
	v_pk_mul_f32 v[96:97], v[94:95], v[92:93] op_sel:[1,1] op_sel_hi:[0,1]
	s_delay_alu instid0(VALU_DEP_1) | instskip(SKIP_2) | instid1(VALU_DEP_3)
	v_pk_fma_f32 v[98:99], v[94:95], v[92:93], v[96:97] op_sel_hi:[1,0,1]
	v_add_nc_u32_e32 v91, 1, v91
	v_pk_fma_f32 v[92:93], v[94:95], v[92:93], v[96:97] neg_lo:[0,0,1] neg_hi:[0,0,1]
	v_mov_b32_e32 v93, v99
	s_delay_alu instid0(VALU_DEP_3) | instskip(NEXT) | instid1(VALU_DEP_2)
	v_cmp_lt_u32_e32 vcc_lo, 3, v91
	v_pk_add_f32 v[86:87], v[86:87], v[92:93]
	s_or_b32 s5, vcc_lo, s5
	s_delay_alu instid0(SALU_CYCLE_1)
	s_and_not1_b32 exec_lo, exec_lo, s5
	s_cbranch_execnz .LBB104_447
; %bb.448:
	s_or_b32 exec_lo, exec_lo, s5
.LBB104_449:
	s_delay_alu instid0(SALU_CYCLE_1) | instskip(SKIP_4) | instid1(VALU_DEP_1)
	s_or_b32 exec_lo, exec_lo, s4
	v_mov_b32_e32 v89, 0
	ds_load_b64 v[90:91], v89 offset:40
	s_wait_dscnt 0x0
	v_pk_mul_f32 v[92:93], v[86:87], v[90:91] op_sel:[1,1] op_sel_hi:[0,1]
	v_pk_fma_f32 v[94:95], v[86:87], v[90:91], v[92:93] op_sel_hi:[1,0,1]
	v_pk_fma_f32 v[86:87], v[86:87], v[90:91], v[92:93] neg_lo:[0,0,1] neg_hi:[0,0,1]
	s_delay_alu instid0(VALU_DEP_2)
	v_mov_b32_e32 v87, v95
	scratch_store_b64 off, v[86:87], off offset:40
.LBB104_450:
	s_wait_xcnt 0x0
	s_or_b32 exec_lo, exec_lo, s0
	scratch_load_b64 v[86:87], off, off offset:48
	s_mov_b32 s0, exec_lo
	s_wait_loadcnt 0x0
	ds_store_b64 v1, v[86:87]
	s_wait_storecnt_dscnt 0x0
	s_barrier_signal -1
	s_barrier_wait -1
	s_wait_xcnt 0x0
	v_cmpx_gt_u32_e32 6, v0
	s_cbranch_execz .LBB104_460
; %bb.451:
	v_cmp_ne_u32_e32 vcc_lo, 1, v88
	s_cbranch_vccnz .LBB104_453
; %bb.452:
	scratch_load_b64 v[86:87], v59, off
	ds_load_b64 v[90:91], v1
	s_wait_loadcnt_dscnt 0x0
	v_pk_mul_f32 v[92:93], v[90:91], v[86:87] op_sel:[1,1] op_sel_hi:[0,1]
	s_delay_alu instid0(VALU_DEP_1) | instskip(SKIP_1) | instid1(VALU_DEP_2)
	v_pk_fma_f32 v[94:95], v[90:91], v[86:87], v[92:93] op_sel_hi:[1,0,1]
	v_pk_fma_f32 v[86:87], v[90:91], v[86:87], v[92:93] neg_lo:[0,0,1] neg_hi:[0,0,1]
	v_mov_b32_e32 v87, v95
	s_cbranch_execz .LBB104_454
	s_branch .LBB104_455
.LBB104_453:
                                        ; implicit-def: $vgpr86_vgpr87
.LBB104_454:
	ds_load_b64 v[86:87], v1
.LBB104_455:
	s_mov_b32 s4, exec_lo
	v_cmpx_ne_u32_e32 5, v0
	s_cbranch_execz .LBB104_459
; %bb.456:
	v_add_nc_u32_e32 v89, 0x158, v58
	v_add3_u32 v90, 0, v58, 8
	v_mov_b32_e32 v91, v0
	s_mov_b32 s5, 0
.LBB104_457:                            ; =>This Inner Loop Header: Depth=1
	scratch_load_b64 v[92:93], v90, off
	ds_load_b64 v[94:95], v89
	s_wait_xcnt 0x0
	v_dual_add_nc_u32 v89, 8, v89 :: v_dual_add_nc_u32 v90, 8, v90
	s_wait_loadcnt_dscnt 0x0
	v_pk_mul_f32 v[96:97], v[94:95], v[92:93] op_sel:[1,1] op_sel_hi:[0,1]
	s_delay_alu instid0(VALU_DEP_1) | instskip(SKIP_2) | instid1(VALU_DEP_3)
	v_pk_fma_f32 v[98:99], v[94:95], v[92:93], v[96:97] op_sel_hi:[1,0,1]
	v_add_nc_u32_e32 v91, 1, v91
	v_pk_fma_f32 v[92:93], v[94:95], v[92:93], v[96:97] neg_lo:[0,0,1] neg_hi:[0,0,1]
	v_mov_b32_e32 v93, v99
	s_delay_alu instid0(VALU_DEP_3) | instskip(NEXT) | instid1(VALU_DEP_2)
	v_cmp_lt_u32_e32 vcc_lo, 4, v91
	v_pk_add_f32 v[86:87], v[86:87], v[92:93]
	s_or_b32 s5, vcc_lo, s5
	s_delay_alu instid0(SALU_CYCLE_1)
	s_and_not1_b32 exec_lo, exec_lo, s5
	s_cbranch_execnz .LBB104_457
; %bb.458:
	s_or_b32 exec_lo, exec_lo, s5
.LBB104_459:
	s_delay_alu instid0(SALU_CYCLE_1) | instskip(SKIP_4) | instid1(VALU_DEP_1)
	s_or_b32 exec_lo, exec_lo, s4
	v_mov_b32_e32 v89, 0
	ds_load_b64 v[90:91], v89 offset:48
	s_wait_dscnt 0x0
	v_pk_mul_f32 v[92:93], v[86:87], v[90:91] op_sel:[1,1] op_sel_hi:[0,1]
	v_pk_fma_f32 v[94:95], v[86:87], v[90:91], v[92:93] op_sel_hi:[1,0,1]
	v_pk_fma_f32 v[86:87], v[86:87], v[90:91], v[92:93] neg_lo:[0,0,1] neg_hi:[0,0,1]
	s_delay_alu instid0(VALU_DEP_2)
	v_mov_b32_e32 v87, v95
	scratch_store_b64 off, v[86:87], off offset:48
.LBB104_460:
	s_wait_xcnt 0x0
	s_or_b32 exec_lo, exec_lo, s0
	scratch_load_b64 v[86:87], off, off offset:56
	s_mov_b32 s0, exec_lo
	s_wait_loadcnt 0x0
	ds_store_b64 v1, v[86:87]
	s_wait_storecnt_dscnt 0x0
	s_barrier_signal -1
	s_barrier_wait -1
	s_wait_xcnt 0x0
	v_cmpx_gt_u32_e32 7, v0
	s_cbranch_execz .LBB104_470
; %bb.461:
	v_cmp_ne_u32_e32 vcc_lo, 1, v88
	s_cbranch_vccnz .LBB104_463
; %bb.462:
	scratch_load_b64 v[86:87], v59, off
	ds_load_b64 v[90:91], v1
	s_wait_loadcnt_dscnt 0x0
	v_pk_mul_f32 v[92:93], v[90:91], v[86:87] op_sel:[1,1] op_sel_hi:[0,1]
	s_delay_alu instid0(VALU_DEP_1) | instskip(SKIP_1) | instid1(VALU_DEP_2)
	v_pk_fma_f32 v[94:95], v[90:91], v[86:87], v[92:93] op_sel_hi:[1,0,1]
	v_pk_fma_f32 v[86:87], v[90:91], v[86:87], v[92:93] neg_lo:[0,0,1] neg_hi:[0,0,1]
	v_mov_b32_e32 v87, v95
	s_cbranch_execz .LBB104_464
	s_branch .LBB104_465
.LBB104_463:
                                        ; implicit-def: $vgpr86_vgpr87
.LBB104_464:
	ds_load_b64 v[86:87], v1
.LBB104_465:
	s_mov_b32 s4, exec_lo
	v_cmpx_ne_u32_e32 6, v0
	s_cbranch_execz .LBB104_469
; %bb.466:
	v_add_nc_u32_e32 v89, 0x158, v58
	v_add3_u32 v90, 0, v58, 8
	v_mov_b32_e32 v91, v0
	s_mov_b32 s5, 0
.LBB104_467:                            ; =>This Inner Loop Header: Depth=1
	scratch_load_b64 v[92:93], v90, off
	ds_load_b64 v[94:95], v89
	s_wait_xcnt 0x0
	v_dual_add_nc_u32 v89, 8, v89 :: v_dual_add_nc_u32 v90, 8, v90
	s_wait_loadcnt_dscnt 0x0
	v_pk_mul_f32 v[96:97], v[94:95], v[92:93] op_sel:[1,1] op_sel_hi:[0,1]
	s_delay_alu instid0(VALU_DEP_1) | instskip(SKIP_2) | instid1(VALU_DEP_3)
	v_pk_fma_f32 v[98:99], v[94:95], v[92:93], v[96:97] op_sel_hi:[1,0,1]
	v_add_nc_u32_e32 v91, 1, v91
	v_pk_fma_f32 v[92:93], v[94:95], v[92:93], v[96:97] neg_lo:[0,0,1] neg_hi:[0,0,1]
	v_mov_b32_e32 v93, v99
	s_delay_alu instid0(VALU_DEP_3) | instskip(NEXT) | instid1(VALU_DEP_2)
	v_cmp_lt_u32_e32 vcc_lo, 5, v91
	v_pk_add_f32 v[86:87], v[86:87], v[92:93]
	s_or_b32 s5, vcc_lo, s5
	s_delay_alu instid0(SALU_CYCLE_1)
	s_and_not1_b32 exec_lo, exec_lo, s5
	s_cbranch_execnz .LBB104_467
; %bb.468:
	s_or_b32 exec_lo, exec_lo, s5
.LBB104_469:
	s_delay_alu instid0(SALU_CYCLE_1) | instskip(SKIP_4) | instid1(VALU_DEP_1)
	s_or_b32 exec_lo, exec_lo, s4
	v_mov_b32_e32 v89, 0
	ds_load_b64 v[90:91], v89 offset:56
	s_wait_dscnt 0x0
	v_pk_mul_f32 v[92:93], v[86:87], v[90:91] op_sel:[1,1] op_sel_hi:[0,1]
	v_pk_fma_f32 v[94:95], v[86:87], v[90:91], v[92:93] op_sel_hi:[1,0,1]
	v_pk_fma_f32 v[86:87], v[86:87], v[90:91], v[92:93] neg_lo:[0,0,1] neg_hi:[0,0,1]
	s_delay_alu instid0(VALU_DEP_2)
	v_mov_b32_e32 v87, v95
	scratch_store_b64 off, v[86:87], off offset:56
.LBB104_470:
	s_wait_xcnt 0x0
	s_or_b32 exec_lo, exec_lo, s0
	scratch_load_b64 v[86:87], off, off offset:64
	s_mov_b32 s0, exec_lo
	s_wait_loadcnt 0x0
	ds_store_b64 v1, v[86:87]
	s_wait_storecnt_dscnt 0x0
	s_barrier_signal -1
	s_barrier_wait -1
	s_wait_xcnt 0x0
	v_cmpx_gt_u32_e32 8, v0
	s_cbranch_execz .LBB104_480
; %bb.471:
	v_cmp_ne_u32_e32 vcc_lo, 1, v88
	s_cbranch_vccnz .LBB104_473
; %bb.472:
	scratch_load_b64 v[86:87], v59, off
	ds_load_b64 v[90:91], v1
	s_wait_loadcnt_dscnt 0x0
	v_pk_mul_f32 v[92:93], v[90:91], v[86:87] op_sel:[1,1] op_sel_hi:[0,1]
	s_delay_alu instid0(VALU_DEP_1) | instskip(SKIP_1) | instid1(VALU_DEP_2)
	v_pk_fma_f32 v[94:95], v[90:91], v[86:87], v[92:93] op_sel_hi:[1,0,1]
	v_pk_fma_f32 v[86:87], v[90:91], v[86:87], v[92:93] neg_lo:[0,0,1] neg_hi:[0,0,1]
	v_mov_b32_e32 v87, v95
	s_cbranch_execz .LBB104_474
	s_branch .LBB104_475
.LBB104_473:
                                        ; implicit-def: $vgpr86_vgpr87
.LBB104_474:
	ds_load_b64 v[86:87], v1
.LBB104_475:
	s_mov_b32 s4, exec_lo
	v_cmpx_ne_u32_e32 7, v0
	s_cbranch_execz .LBB104_479
; %bb.476:
	v_add_nc_u32_e32 v89, 0x158, v58
	v_add3_u32 v90, 0, v58, 8
	v_mov_b32_e32 v91, v0
	s_mov_b32 s5, 0
.LBB104_477:                            ; =>This Inner Loop Header: Depth=1
	scratch_load_b64 v[92:93], v90, off
	ds_load_b64 v[94:95], v89
	s_wait_xcnt 0x0
	v_dual_add_nc_u32 v89, 8, v89 :: v_dual_add_nc_u32 v90, 8, v90
	s_wait_loadcnt_dscnt 0x0
	v_pk_mul_f32 v[96:97], v[94:95], v[92:93] op_sel:[1,1] op_sel_hi:[0,1]
	s_delay_alu instid0(VALU_DEP_1) | instskip(SKIP_2) | instid1(VALU_DEP_3)
	v_pk_fma_f32 v[98:99], v[94:95], v[92:93], v[96:97] op_sel_hi:[1,0,1]
	v_add_nc_u32_e32 v91, 1, v91
	v_pk_fma_f32 v[92:93], v[94:95], v[92:93], v[96:97] neg_lo:[0,0,1] neg_hi:[0,0,1]
	v_mov_b32_e32 v93, v99
	s_delay_alu instid0(VALU_DEP_3) | instskip(NEXT) | instid1(VALU_DEP_2)
	v_cmp_lt_u32_e32 vcc_lo, 6, v91
	v_pk_add_f32 v[86:87], v[86:87], v[92:93]
	s_or_b32 s5, vcc_lo, s5
	s_delay_alu instid0(SALU_CYCLE_1)
	s_and_not1_b32 exec_lo, exec_lo, s5
	s_cbranch_execnz .LBB104_477
; %bb.478:
	s_or_b32 exec_lo, exec_lo, s5
.LBB104_479:
	s_delay_alu instid0(SALU_CYCLE_1) | instskip(SKIP_4) | instid1(VALU_DEP_1)
	s_or_b32 exec_lo, exec_lo, s4
	v_mov_b32_e32 v89, 0
	ds_load_b64 v[90:91], v89 offset:64
	s_wait_dscnt 0x0
	v_pk_mul_f32 v[92:93], v[86:87], v[90:91] op_sel:[1,1] op_sel_hi:[0,1]
	v_pk_fma_f32 v[94:95], v[86:87], v[90:91], v[92:93] op_sel_hi:[1,0,1]
	v_pk_fma_f32 v[86:87], v[86:87], v[90:91], v[92:93] neg_lo:[0,0,1] neg_hi:[0,0,1]
	s_delay_alu instid0(VALU_DEP_2)
	v_mov_b32_e32 v87, v95
	scratch_store_b64 off, v[86:87], off offset:64
.LBB104_480:
	s_wait_xcnt 0x0
	s_or_b32 exec_lo, exec_lo, s0
	scratch_load_b64 v[86:87], off, off offset:72
	s_mov_b32 s0, exec_lo
	s_wait_loadcnt 0x0
	ds_store_b64 v1, v[86:87]
	s_wait_storecnt_dscnt 0x0
	s_barrier_signal -1
	s_barrier_wait -1
	s_wait_xcnt 0x0
	v_cmpx_gt_u32_e32 9, v0
	s_cbranch_execz .LBB104_490
; %bb.481:
	v_cmp_ne_u32_e32 vcc_lo, 1, v88
	s_cbranch_vccnz .LBB104_483
; %bb.482:
	scratch_load_b64 v[86:87], v59, off
	ds_load_b64 v[90:91], v1
	s_wait_loadcnt_dscnt 0x0
	v_pk_mul_f32 v[92:93], v[90:91], v[86:87] op_sel:[1,1] op_sel_hi:[0,1]
	s_delay_alu instid0(VALU_DEP_1) | instskip(SKIP_1) | instid1(VALU_DEP_2)
	v_pk_fma_f32 v[94:95], v[90:91], v[86:87], v[92:93] op_sel_hi:[1,0,1]
	v_pk_fma_f32 v[86:87], v[90:91], v[86:87], v[92:93] neg_lo:[0,0,1] neg_hi:[0,0,1]
	v_mov_b32_e32 v87, v95
	s_cbranch_execz .LBB104_484
	s_branch .LBB104_485
.LBB104_483:
                                        ; implicit-def: $vgpr86_vgpr87
.LBB104_484:
	ds_load_b64 v[86:87], v1
.LBB104_485:
	s_mov_b32 s4, exec_lo
	v_cmpx_ne_u32_e32 8, v0
	s_cbranch_execz .LBB104_489
; %bb.486:
	v_add_nc_u32_e32 v89, 0x158, v58
	v_add3_u32 v90, 0, v58, 8
	v_mov_b32_e32 v91, v0
	s_mov_b32 s5, 0
.LBB104_487:                            ; =>This Inner Loop Header: Depth=1
	scratch_load_b64 v[92:93], v90, off
	ds_load_b64 v[94:95], v89
	s_wait_xcnt 0x0
	v_dual_add_nc_u32 v89, 8, v89 :: v_dual_add_nc_u32 v90, 8, v90
	s_wait_loadcnt_dscnt 0x0
	v_pk_mul_f32 v[96:97], v[94:95], v[92:93] op_sel:[1,1] op_sel_hi:[0,1]
	s_delay_alu instid0(VALU_DEP_1) | instskip(SKIP_2) | instid1(VALU_DEP_3)
	v_pk_fma_f32 v[98:99], v[94:95], v[92:93], v[96:97] op_sel_hi:[1,0,1]
	v_add_nc_u32_e32 v91, 1, v91
	v_pk_fma_f32 v[92:93], v[94:95], v[92:93], v[96:97] neg_lo:[0,0,1] neg_hi:[0,0,1]
	v_mov_b32_e32 v93, v99
	s_delay_alu instid0(VALU_DEP_3) | instskip(NEXT) | instid1(VALU_DEP_2)
	v_cmp_lt_u32_e32 vcc_lo, 7, v91
	v_pk_add_f32 v[86:87], v[86:87], v[92:93]
	s_or_b32 s5, vcc_lo, s5
	s_delay_alu instid0(SALU_CYCLE_1)
	s_and_not1_b32 exec_lo, exec_lo, s5
	s_cbranch_execnz .LBB104_487
; %bb.488:
	s_or_b32 exec_lo, exec_lo, s5
.LBB104_489:
	s_delay_alu instid0(SALU_CYCLE_1) | instskip(SKIP_4) | instid1(VALU_DEP_1)
	s_or_b32 exec_lo, exec_lo, s4
	v_mov_b32_e32 v89, 0
	ds_load_b64 v[90:91], v89 offset:72
	s_wait_dscnt 0x0
	v_pk_mul_f32 v[92:93], v[86:87], v[90:91] op_sel:[1,1] op_sel_hi:[0,1]
	v_pk_fma_f32 v[94:95], v[86:87], v[90:91], v[92:93] op_sel_hi:[1,0,1]
	v_pk_fma_f32 v[86:87], v[86:87], v[90:91], v[92:93] neg_lo:[0,0,1] neg_hi:[0,0,1]
	s_delay_alu instid0(VALU_DEP_2)
	v_mov_b32_e32 v87, v95
	scratch_store_b64 off, v[86:87], off offset:72
.LBB104_490:
	s_wait_xcnt 0x0
	s_or_b32 exec_lo, exec_lo, s0
	scratch_load_b64 v[86:87], off, off offset:80
	s_mov_b32 s0, exec_lo
	s_wait_loadcnt 0x0
	ds_store_b64 v1, v[86:87]
	s_wait_storecnt_dscnt 0x0
	s_barrier_signal -1
	s_barrier_wait -1
	s_wait_xcnt 0x0
	v_cmpx_gt_u32_e32 10, v0
	s_cbranch_execz .LBB104_500
; %bb.491:
	v_cmp_ne_u32_e32 vcc_lo, 1, v88
	s_cbranch_vccnz .LBB104_493
; %bb.492:
	scratch_load_b64 v[86:87], v59, off
	ds_load_b64 v[90:91], v1
	s_wait_loadcnt_dscnt 0x0
	v_pk_mul_f32 v[92:93], v[90:91], v[86:87] op_sel:[1,1] op_sel_hi:[0,1]
	s_delay_alu instid0(VALU_DEP_1) | instskip(SKIP_1) | instid1(VALU_DEP_2)
	v_pk_fma_f32 v[94:95], v[90:91], v[86:87], v[92:93] op_sel_hi:[1,0,1]
	v_pk_fma_f32 v[86:87], v[90:91], v[86:87], v[92:93] neg_lo:[0,0,1] neg_hi:[0,0,1]
	v_mov_b32_e32 v87, v95
	s_cbranch_execz .LBB104_494
	s_branch .LBB104_495
.LBB104_493:
                                        ; implicit-def: $vgpr86_vgpr87
.LBB104_494:
	ds_load_b64 v[86:87], v1
.LBB104_495:
	s_mov_b32 s4, exec_lo
	v_cmpx_ne_u32_e32 9, v0
	s_cbranch_execz .LBB104_499
; %bb.496:
	v_add_nc_u32_e32 v89, 0x158, v58
	v_add3_u32 v90, 0, v58, 8
	v_mov_b32_e32 v91, v0
	s_mov_b32 s5, 0
.LBB104_497:                            ; =>This Inner Loop Header: Depth=1
	scratch_load_b64 v[92:93], v90, off
	ds_load_b64 v[94:95], v89
	s_wait_xcnt 0x0
	v_dual_add_nc_u32 v89, 8, v89 :: v_dual_add_nc_u32 v90, 8, v90
	s_wait_loadcnt_dscnt 0x0
	v_pk_mul_f32 v[96:97], v[94:95], v[92:93] op_sel:[1,1] op_sel_hi:[0,1]
	s_delay_alu instid0(VALU_DEP_1) | instskip(SKIP_2) | instid1(VALU_DEP_3)
	v_pk_fma_f32 v[98:99], v[94:95], v[92:93], v[96:97] op_sel_hi:[1,0,1]
	v_add_nc_u32_e32 v91, 1, v91
	v_pk_fma_f32 v[92:93], v[94:95], v[92:93], v[96:97] neg_lo:[0,0,1] neg_hi:[0,0,1]
	v_mov_b32_e32 v93, v99
	s_delay_alu instid0(VALU_DEP_3) | instskip(NEXT) | instid1(VALU_DEP_2)
	v_cmp_lt_u32_e32 vcc_lo, 8, v91
	v_pk_add_f32 v[86:87], v[86:87], v[92:93]
	s_or_b32 s5, vcc_lo, s5
	s_delay_alu instid0(SALU_CYCLE_1)
	s_and_not1_b32 exec_lo, exec_lo, s5
	s_cbranch_execnz .LBB104_497
; %bb.498:
	s_or_b32 exec_lo, exec_lo, s5
.LBB104_499:
	s_delay_alu instid0(SALU_CYCLE_1) | instskip(SKIP_4) | instid1(VALU_DEP_1)
	s_or_b32 exec_lo, exec_lo, s4
	v_mov_b32_e32 v89, 0
	ds_load_b64 v[90:91], v89 offset:80
	s_wait_dscnt 0x0
	v_pk_mul_f32 v[92:93], v[86:87], v[90:91] op_sel:[1,1] op_sel_hi:[0,1]
	v_pk_fma_f32 v[94:95], v[86:87], v[90:91], v[92:93] op_sel_hi:[1,0,1]
	v_pk_fma_f32 v[86:87], v[86:87], v[90:91], v[92:93] neg_lo:[0,0,1] neg_hi:[0,0,1]
	s_delay_alu instid0(VALU_DEP_2)
	v_mov_b32_e32 v87, v95
	scratch_store_b64 off, v[86:87], off offset:80
.LBB104_500:
	s_wait_xcnt 0x0
	s_or_b32 exec_lo, exec_lo, s0
	scratch_load_b64 v[86:87], off, off offset:88
	s_mov_b32 s0, exec_lo
	s_wait_loadcnt 0x0
	ds_store_b64 v1, v[86:87]
	s_wait_storecnt_dscnt 0x0
	s_barrier_signal -1
	s_barrier_wait -1
	s_wait_xcnt 0x0
	v_cmpx_gt_u32_e32 11, v0
	s_cbranch_execz .LBB104_510
; %bb.501:
	v_cmp_ne_u32_e32 vcc_lo, 1, v88
	s_cbranch_vccnz .LBB104_503
; %bb.502:
	scratch_load_b64 v[86:87], v59, off
	ds_load_b64 v[90:91], v1
	s_wait_loadcnt_dscnt 0x0
	v_pk_mul_f32 v[92:93], v[90:91], v[86:87] op_sel:[1,1] op_sel_hi:[0,1]
	s_delay_alu instid0(VALU_DEP_1) | instskip(SKIP_1) | instid1(VALU_DEP_2)
	v_pk_fma_f32 v[94:95], v[90:91], v[86:87], v[92:93] op_sel_hi:[1,0,1]
	v_pk_fma_f32 v[86:87], v[90:91], v[86:87], v[92:93] neg_lo:[0,0,1] neg_hi:[0,0,1]
	v_mov_b32_e32 v87, v95
	s_cbranch_execz .LBB104_504
	s_branch .LBB104_505
.LBB104_503:
                                        ; implicit-def: $vgpr86_vgpr87
.LBB104_504:
	ds_load_b64 v[86:87], v1
.LBB104_505:
	s_mov_b32 s4, exec_lo
	v_cmpx_ne_u32_e32 10, v0
	s_cbranch_execz .LBB104_509
; %bb.506:
	v_add_nc_u32_e32 v89, 0x158, v58
	v_add3_u32 v90, 0, v58, 8
	v_mov_b32_e32 v91, v0
	s_mov_b32 s5, 0
.LBB104_507:                            ; =>This Inner Loop Header: Depth=1
	scratch_load_b64 v[92:93], v90, off
	ds_load_b64 v[94:95], v89
	s_wait_xcnt 0x0
	v_dual_add_nc_u32 v89, 8, v89 :: v_dual_add_nc_u32 v90, 8, v90
	s_wait_loadcnt_dscnt 0x0
	v_pk_mul_f32 v[96:97], v[94:95], v[92:93] op_sel:[1,1] op_sel_hi:[0,1]
	s_delay_alu instid0(VALU_DEP_1) | instskip(SKIP_2) | instid1(VALU_DEP_3)
	v_pk_fma_f32 v[98:99], v[94:95], v[92:93], v[96:97] op_sel_hi:[1,0,1]
	v_add_nc_u32_e32 v91, 1, v91
	v_pk_fma_f32 v[92:93], v[94:95], v[92:93], v[96:97] neg_lo:[0,0,1] neg_hi:[0,0,1]
	v_mov_b32_e32 v93, v99
	s_delay_alu instid0(VALU_DEP_3) | instskip(NEXT) | instid1(VALU_DEP_2)
	v_cmp_lt_u32_e32 vcc_lo, 9, v91
	v_pk_add_f32 v[86:87], v[86:87], v[92:93]
	s_or_b32 s5, vcc_lo, s5
	s_delay_alu instid0(SALU_CYCLE_1)
	s_and_not1_b32 exec_lo, exec_lo, s5
	s_cbranch_execnz .LBB104_507
; %bb.508:
	s_or_b32 exec_lo, exec_lo, s5
.LBB104_509:
	s_delay_alu instid0(SALU_CYCLE_1) | instskip(SKIP_4) | instid1(VALU_DEP_1)
	s_or_b32 exec_lo, exec_lo, s4
	v_mov_b32_e32 v89, 0
	ds_load_b64 v[90:91], v89 offset:88
	s_wait_dscnt 0x0
	v_pk_mul_f32 v[92:93], v[86:87], v[90:91] op_sel:[1,1] op_sel_hi:[0,1]
	v_pk_fma_f32 v[94:95], v[86:87], v[90:91], v[92:93] op_sel_hi:[1,0,1]
	v_pk_fma_f32 v[86:87], v[86:87], v[90:91], v[92:93] neg_lo:[0,0,1] neg_hi:[0,0,1]
	s_delay_alu instid0(VALU_DEP_2)
	v_mov_b32_e32 v87, v95
	scratch_store_b64 off, v[86:87], off offset:88
.LBB104_510:
	s_wait_xcnt 0x0
	s_or_b32 exec_lo, exec_lo, s0
	scratch_load_b64 v[86:87], off, off offset:96
	s_mov_b32 s0, exec_lo
	s_wait_loadcnt 0x0
	ds_store_b64 v1, v[86:87]
	s_wait_storecnt_dscnt 0x0
	s_barrier_signal -1
	s_barrier_wait -1
	s_wait_xcnt 0x0
	v_cmpx_gt_u32_e32 12, v0
	s_cbranch_execz .LBB104_520
; %bb.511:
	v_cmp_ne_u32_e32 vcc_lo, 1, v88
	s_cbranch_vccnz .LBB104_513
; %bb.512:
	scratch_load_b64 v[86:87], v59, off
	ds_load_b64 v[90:91], v1
	s_wait_loadcnt_dscnt 0x0
	v_pk_mul_f32 v[92:93], v[90:91], v[86:87] op_sel:[1,1] op_sel_hi:[0,1]
	s_delay_alu instid0(VALU_DEP_1) | instskip(SKIP_1) | instid1(VALU_DEP_2)
	v_pk_fma_f32 v[94:95], v[90:91], v[86:87], v[92:93] op_sel_hi:[1,0,1]
	v_pk_fma_f32 v[86:87], v[90:91], v[86:87], v[92:93] neg_lo:[0,0,1] neg_hi:[0,0,1]
	v_mov_b32_e32 v87, v95
	s_cbranch_execz .LBB104_514
	s_branch .LBB104_515
.LBB104_513:
                                        ; implicit-def: $vgpr86_vgpr87
.LBB104_514:
	ds_load_b64 v[86:87], v1
.LBB104_515:
	s_mov_b32 s4, exec_lo
	v_cmpx_ne_u32_e32 11, v0
	s_cbranch_execz .LBB104_519
; %bb.516:
	v_add_nc_u32_e32 v89, 0x158, v58
	v_add3_u32 v90, 0, v58, 8
	v_mov_b32_e32 v91, v0
	s_mov_b32 s5, 0
.LBB104_517:                            ; =>This Inner Loop Header: Depth=1
	scratch_load_b64 v[92:93], v90, off
	ds_load_b64 v[94:95], v89
	s_wait_xcnt 0x0
	v_dual_add_nc_u32 v89, 8, v89 :: v_dual_add_nc_u32 v90, 8, v90
	s_wait_loadcnt_dscnt 0x0
	v_pk_mul_f32 v[96:97], v[94:95], v[92:93] op_sel:[1,1] op_sel_hi:[0,1]
	s_delay_alu instid0(VALU_DEP_1) | instskip(SKIP_2) | instid1(VALU_DEP_3)
	v_pk_fma_f32 v[98:99], v[94:95], v[92:93], v[96:97] op_sel_hi:[1,0,1]
	v_add_nc_u32_e32 v91, 1, v91
	v_pk_fma_f32 v[92:93], v[94:95], v[92:93], v[96:97] neg_lo:[0,0,1] neg_hi:[0,0,1]
	v_mov_b32_e32 v93, v99
	s_delay_alu instid0(VALU_DEP_3) | instskip(NEXT) | instid1(VALU_DEP_2)
	v_cmp_lt_u32_e32 vcc_lo, 10, v91
	v_pk_add_f32 v[86:87], v[86:87], v[92:93]
	s_or_b32 s5, vcc_lo, s5
	s_delay_alu instid0(SALU_CYCLE_1)
	s_and_not1_b32 exec_lo, exec_lo, s5
	s_cbranch_execnz .LBB104_517
; %bb.518:
	s_or_b32 exec_lo, exec_lo, s5
.LBB104_519:
	s_delay_alu instid0(SALU_CYCLE_1) | instskip(SKIP_4) | instid1(VALU_DEP_1)
	s_or_b32 exec_lo, exec_lo, s4
	v_mov_b32_e32 v89, 0
	ds_load_b64 v[90:91], v89 offset:96
	s_wait_dscnt 0x0
	v_pk_mul_f32 v[92:93], v[86:87], v[90:91] op_sel:[1,1] op_sel_hi:[0,1]
	v_pk_fma_f32 v[94:95], v[86:87], v[90:91], v[92:93] op_sel_hi:[1,0,1]
	v_pk_fma_f32 v[86:87], v[86:87], v[90:91], v[92:93] neg_lo:[0,0,1] neg_hi:[0,0,1]
	s_delay_alu instid0(VALU_DEP_2)
	v_mov_b32_e32 v87, v95
	scratch_store_b64 off, v[86:87], off offset:96
.LBB104_520:
	s_wait_xcnt 0x0
	s_or_b32 exec_lo, exec_lo, s0
	scratch_load_b64 v[86:87], off, off offset:104
	s_mov_b32 s0, exec_lo
	s_wait_loadcnt 0x0
	ds_store_b64 v1, v[86:87]
	s_wait_storecnt_dscnt 0x0
	s_barrier_signal -1
	s_barrier_wait -1
	s_wait_xcnt 0x0
	v_cmpx_gt_u32_e32 13, v0
	s_cbranch_execz .LBB104_530
; %bb.521:
	v_cmp_ne_u32_e32 vcc_lo, 1, v88
	s_cbranch_vccnz .LBB104_523
; %bb.522:
	scratch_load_b64 v[86:87], v59, off
	ds_load_b64 v[90:91], v1
	s_wait_loadcnt_dscnt 0x0
	v_pk_mul_f32 v[92:93], v[90:91], v[86:87] op_sel:[1,1] op_sel_hi:[0,1]
	s_delay_alu instid0(VALU_DEP_1) | instskip(SKIP_1) | instid1(VALU_DEP_2)
	v_pk_fma_f32 v[94:95], v[90:91], v[86:87], v[92:93] op_sel_hi:[1,0,1]
	v_pk_fma_f32 v[86:87], v[90:91], v[86:87], v[92:93] neg_lo:[0,0,1] neg_hi:[0,0,1]
	v_mov_b32_e32 v87, v95
	s_cbranch_execz .LBB104_524
	s_branch .LBB104_525
.LBB104_523:
                                        ; implicit-def: $vgpr86_vgpr87
.LBB104_524:
	ds_load_b64 v[86:87], v1
.LBB104_525:
	s_mov_b32 s4, exec_lo
	v_cmpx_ne_u32_e32 12, v0
	s_cbranch_execz .LBB104_529
; %bb.526:
	v_add_nc_u32_e32 v89, 0x158, v58
	v_add3_u32 v90, 0, v58, 8
	v_mov_b32_e32 v91, v0
	s_mov_b32 s5, 0
.LBB104_527:                            ; =>This Inner Loop Header: Depth=1
	scratch_load_b64 v[92:93], v90, off
	ds_load_b64 v[94:95], v89
	s_wait_xcnt 0x0
	v_dual_add_nc_u32 v89, 8, v89 :: v_dual_add_nc_u32 v90, 8, v90
	s_wait_loadcnt_dscnt 0x0
	v_pk_mul_f32 v[96:97], v[94:95], v[92:93] op_sel:[1,1] op_sel_hi:[0,1]
	s_delay_alu instid0(VALU_DEP_1) | instskip(SKIP_2) | instid1(VALU_DEP_3)
	v_pk_fma_f32 v[98:99], v[94:95], v[92:93], v[96:97] op_sel_hi:[1,0,1]
	v_add_nc_u32_e32 v91, 1, v91
	v_pk_fma_f32 v[92:93], v[94:95], v[92:93], v[96:97] neg_lo:[0,0,1] neg_hi:[0,0,1]
	v_mov_b32_e32 v93, v99
	s_delay_alu instid0(VALU_DEP_3) | instskip(NEXT) | instid1(VALU_DEP_2)
	v_cmp_lt_u32_e32 vcc_lo, 11, v91
	v_pk_add_f32 v[86:87], v[86:87], v[92:93]
	s_or_b32 s5, vcc_lo, s5
	s_delay_alu instid0(SALU_CYCLE_1)
	s_and_not1_b32 exec_lo, exec_lo, s5
	s_cbranch_execnz .LBB104_527
; %bb.528:
	s_or_b32 exec_lo, exec_lo, s5
.LBB104_529:
	s_delay_alu instid0(SALU_CYCLE_1) | instskip(SKIP_4) | instid1(VALU_DEP_1)
	s_or_b32 exec_lo, exec_lo, s4
	v_mov_b32_e32 v89, 0
	ds_load_b64 v[90:91], v89 offset:104
	s_wait_dscnt 0x0
	v_pk_mul_f32 v[92:93], v[86:87], v[90:91] op_sel:[1,1] op_sel_hi:[0,1]
	v_pk_fma_f32 v[94:95], v[86:87], v[90:91], v[92:93] op_sel_hi:[1,0,1]
	v_pk_fma_f32 v[86:87], v[86:87], v[90:91], v[92:93] neg_lo:[0,0,1] neg_hi:[0,0,1]
	s_delay_alu instid0(VALU_DEP_2)
	v_mov_b32_e32 v87, v95
	scratch_store_b64 off, v[86:87], off offset:104
.LBB104_530:
	s_wait_xcnt 0x0
	s_or_b32 exec_lo, exec_lo, s0
	scratch_load_b64 v[86:87], off, off offset:112
	s_mov_b32 s0, exec_lo
	s_wait_loadcnt 0x0
	ds_store_b64 v1, v[86:87]
	s_wait_storecnt_dscnt 0x0
	s_barrier_signal -1
	s_barrier_wait -1
	s_wait_xcnt 0x0
	v_cmpx_gt_u32_e32 14, v0
	s_cbranch_execz .LBB104_540
; %bb.531:
	v_cmp_ne_u32_e32 vcc_lo, 1, v88
	s_cbranch_vccnz .LBB104_533
; %bb.532:
	scratch_load_b64 v[86:87], v59, off
	ds_load_b64 v[90:91], v1
	s_wait_loadcnt_dscnt 0x0
	v_pk_mul_f32 v[92:93], v[90:91], v[86:87] op_sel:[1,1] op_sel_hi:[0,1]
	s_delay_alu instid0(VALU_DEP_1) | instskip(SKIP_1) | instid1(VALU_DEP_2)
	v_pk_fma_f32 v[94:95], v[90:91], v[86:87], v[92:93] op_sel_hi:[1,0,1]
	v_pk_fma_f32 v[86:87], v[90:91], v[86:87], v[92:93] neg_lo:[0,0,1] neg_hi:[0,0,1]
	v_mov_b32_e32 v87, v95
	s_cbranch_execz .LBB104_534
	s_branch .LBB104_535
.LBB104_533:
                                        ; implicit-def: $vgpr86_vgpr87
.LBB104_534:
	ds_load_b64 v[86:87], v1
.LBB104_535:
	s_mov_b32 s4, exec_lo
	v_cmpx_ne_u32_e32 13, v0
	s_cbranch_execz .LBB104_539
; %bb.536:
	v_add_nc_u32_e32 v89, 0x158, v58
	v_add3_u32 v90, 0, v58, 8
	v_mov_b32_e32 v91, v0
	s_mov_b32 s5, 0
.LBB104_537:                            ; =>This Inner Loop Header: Depth=1
	scratch_load_b64 v[92:93], v90, off
	ds_load_b64 v[94:95], v89
	s_wait_xcnt 0x0
	v_dual_add_nc_u32 v89, 8, v89 :: v_dual_add_nc_u32 v90, 8, v90
	s_wait_loadcnt_dscnt 0x0
	v_pk_mul_f32 v[96:97], v[94:95], v[92:93] op_sel:[1,1] op_sel_hi:[0,1]
	s_delay_alu instid0(VALU_DEP_1) | instskip(SKIP_2) | instid1(VALU_DEP_3)
	v_pk_fma_f32 v[98:99], v[94:95], v[92:93], v[96:97] op_sel_hi:[1,0,1]
	v_add_nc_u32_e32 v91, 1, v91
	v_pk_fma_f32 v[92:93], v[94:95], v[92:93], v[96:97] neg_lo:[0,0,1] neg_hi:[0,0,1]
	v_mov_b32_e32 v93, v99
	s_delay_alu instid0(VALU_DEP_3) | instskip(NEXT) | instid1(VALU_DEP_2)
	v_cmp_lt_u32_e32 vcc_lo, 12, v91
	v_pk_add_f32 v[86:87], v[86:87], v[92:93]
	s_or_b32 s5, vcc_lo, s5
	s_delay_alu instid0(SALU_CYCLE_1)
	s_and_not1_b32 exec_lo, exec_lo, s5
	s_cbranch_execnz .LBB104_537
; %bb.538:
	s_or_b32 exec_lo, exec_lo, s5
.LBB104_539:
	s_delay_alu instid0(SALU_CYCLE_1) | instskip(SKIP_4) | instid1(VALU_DEP_1)
	s_or_b32 exec_lo, exec_lo, s4
	v_mov_b32_e32 v89, 0
	ds_load_b64 v[90:91], v89 offset:112
	s_wait_dscnt 0x0
	v_pk_mul_f32 v[92:93], v[86:87], v[90:91] op_sel:[1,1] op_sel_hi:[0,1]
	v_pk_fma_f32 v[94:95], v[86:87], v[90:91], v[92:93] op_sel_hi:[1,0,1]
	v_pk_fma_f32 v[86:87], v[86:87], v[90:91], v[92:93] neg_lo:[0,0,1] neg_hi:[0,0,1]
	s_delay_alu instid0(VALU_DEP_2)
	v_mov_b32_e32 v87, v95
	scratch_store_b64 off, v[86:87], off offset:112
.LBB104_540:
	s_wait_xcnt 0x0
	s_or_b32 exec_lo, exec_lo, s0
	scratch_load_b64 v[86:87], off, off offset:120
	s_mov_b32 s0, exec_lo
	s_wait_loadcnt 0x0
	ds_store_b64 v1, v[86:87]
	s_wait_storecnt_dscnt 0x0
	s_barrier_signal -1
	s_barrier_wait -1
	s_wait_xcnt 0x0
	v_cmpx_gt_u32_e32 15, v0
	s_cbranch_execz .LBB104_550
; %bb.541:
	v_cmp_ne_u32_e32 vcc_lo, 1, v88
	s_cbranch_vccnz .LBB104_543
; %bb.542:
	scratch_load_b64 v[86:87], v59, off
	ds_load_b64 v[90:91], v1
	s_wait_loadcnt_dscnt 0x0
	v_pk_mul_f32 v[92:93], v[90:91], v[86:87] op_sel:[1,1] op_sel_hi:[0,1]
	s_delay_alu instid0(VALU_DEP_1) | instskip(SKIP_1) | instid1(VALU_DEP_2)
	v_pk_fma_f32 v[94:95], v[90:91], v[86:87], v[92:93] op_sel_hi:[1,0,1]
	v_pk_fma_f32 v[86:87], v[90:91], v[86:87], v[92:93] neg_lo:[0,0,1] neg_hi:[0,0,1]
	v_mov_b32_e32 v87, v95
	s_cbranch_execz .LBB104_544
	s_branch .LBB104_545
.LBB104_543:
                                        ; implicit-def: $vgpr86_vgpr87
.LBB104_544:
	ds_load_b64 v[86:87], v1
.LBB104_545:
	s_mov_b32 s4, exec_lo
	v_cmpx_ne_u32_e32 14, v0
	s_cbranch_execz .LBB104_549
; %bb.546:
	v_add_nc_u32_e32 v89, 0x158, v58
	v_add3_u32 v90, 0, v58, 8
	v_mov_b32_e32 v91, v0
	s_mov_b32 s5, 0
.LBB104_547:                            ; =>This Inner Loop Header: Depth=1
	scratch_load_b64 v[92:93], v90, off
	ds_load_b64 v[94:95], v89
	s_wait_xcnt 0x0
	v_dual_add_nc_u32 v89, 8, v89 :: v_dual_add_nc_u32 v90, 8, v90
	s_wait_loadcnt_dscnt 0x0
	v_pk_mul_f32 v[96:97], v[94:95], v[92:93] op_sel:[1,1] op_sel_hi:[0,1]
	s_delay_alu instid0(VALU_DEP_1) | instskip(SKIP_2) | instid1(VALU_DEP_3)
	v_pk_fma_f32 v[98:99], v[94:95], v[92:93], v[96:97] op_sel_hi:[1,0,1]
	v_add_nc_u32_e32 v91, 1, v91
	v_pk_fma_f32 v[92:93], v[94:95], v[92:93], v[96:97] neg_lo:[0,0,1] neg_hi:[0,0,1]
	v_mov_b32_e32 v93, v99
	s_delay_alu instid0(VALU_DEP_3) | instskip(NEXT) | instid1(VALU_DEP_2)
	v_cmp_lt_u32_e32 vcc_lo, 13, v91
	v_pk_add_f32 v[86:87], v[86:87], v[92:93]
	s_or_b32 s5, vcc_lo, s5
	s_delay_alu instid0(SALU_CYCLE_1)
	s_and_not1_b32 exec_lo, exec_lo, s5
	s_cbranch_execnz .LBB104_547
; %bb.548:
	s_or_b32 exec_lo, exec_lo, s5
.LBB104_549:
	s_delay_alu instid0(SALU_CYCLE_1) | instskip(SKIP_4) | instid1(VALU_DEP_1)
	s_or_b32 exec_lo, exec_lo, s4
	v_mov_b32_e32 v89, 0
	ds_load_b64 v[90:91], v89 offset:120
	s_wait_dscnt 0x0
	v_pk_mul_f32 v[92:93], v[86:87], v[90:91] op_sel:[1,1] op_sel_hi:[0,1]
	v_pk_fma_f32 v[94:95], v[86:87], v[90:91], v[92:93] op_sel_hi:[1,0,1]
	v_pk_fma_f32 v[86:87], v[86:87], v[90:91], v[92:93] neg_lo:[0,0,1] neg_hi:[0,0,1]
	s_delay_alu instid0(VALU_DEP_2)
	v_mov_b32_e32 v87, v95
	scratch_store_b64 off, v[86:87], off offset:120
.LBB104_550:
	s_wait_xcnt 0x0
	s_or_b32 exec_lo, exec_lo, s0
	scratch_load_b64 v[86:87], off, off offset:128
	s_mov_b32 s0, exec_lo
	s_wait_loadcnt 0x0
	ds_store_b64 v1, v[86:87]
	s_wait_storecnt_dscnt 0x0
	s_barrier_signal -1
	s_barrier_wait -1
	s_wait_xcnt 0x0
	v_cmpx_gt_u32_e32 16, v0
	s_cbranch_execz .LBB104_560
; %bb.551:
	v_cmp_ne_u32_e32 vcc_lo, 1, v88
	s_cbranch_vccnz .LBB104_553
; %bb.552:
	scratch_load_b64 v[86:87], v59, off
	ds_load_b64 v[90:91], v1
	s_wait_loadcnt_dscnt 0x0
	v_pk_mul_f32 v[92:93], v[90:91], v[86:87] op_sel:[1,1] op_sel_hi:[0,1]
	s_delay_alu instid0(VALU_DEP_1) | instskip(SKIP_1) | instid1(VALU_DEP_2)
	v_pk_fma_f32 v[94:95], v[90:91], v[86:87], v[92:93] op_sel_hi:[1,0,1]
	v_pk_fma_f32 v[86:87], v[90:91], v[86:87], v[92:93] neg_lo:[0,0,1] neg_hi:[0,0,1]
	v_mov_b32_e32 v87, v95
	s_cbranch_execz .LBB104_554
	s_branch .LBB104_555
.LBB104_553:
                                        ; implicit-def: $vgpr86_vgpr87
.LBB104_554:
	ds_load_b64 v[86:87], v1
.LBB104_555:
	s_mov_b32 s4, exec_lo
	v_cmpx_ne_u32_e32 15, v0
	s_cbranch_execz .LBB104_559
; %bb.556:
	v_add_nc_u32_e32 v89, 0x158, v58
	v_add3_u32 v90, 0, v58, 8
	v_mov_b32_e32 v91, v0
	s_mov_b32 s5, 0
.LBB104_557:                            ; =>This Inner Loop Header: Depth=1
	scratch_load_b64 v[92:93], v90, off
	ds_load_b64 v[94:95], v89
	s_wait_xcnt 0x0
	v_dual_add_nc_u32 v89, 8, v89 :: v_dual_add_nc_u32 v90, 8, v90
	s_wait_loadcnt_dscnt 0x0
	v_pk_mul_f32 v[96:97], v[94:95], v[92:93] op_sel:[1,1] op_sel_hi:[0,1]
	s_delay_alu instid0(VALU_DEP_1) | instskip(SKIP_2) | instid1(VALU_DEP_3)
	v_pk_fma_f32 v[98:99], v[94:95], v[92:93], v[96:97] op_sel_hi:[1,0,1]
	v_add_nc_u32_e32 v91, 1, v91
	v_pk_fma_f32 v[92:93], v[94:95], v[92:93], v[96:97] neg_lo:[0,0,1] neg_hi:[0,0,1]
	v_mov_b32_e32 v93, v99
	s_delay_alu instid0(VALU_DEP_3) | instskip(NEXT) | instid1(VALU_DEP_2)
	v_cmp_lt_u32_e32 vcc_lo, 14, v91
	v_pk_add_f32 v[86:87], v[86:87], v[92:93]
	s_or_b32 s5, vcc_lo, s5
	s_delay_alu instid0(SALU_CYCLE_1)
	s_and_not1_b32 exec_lo, exec_lo, s5
	s_cbranch_execnz .LBB104_557
; %bb.558:
	s_or_b32 exec_lo, exec_lo, s5
.LBB104_559:
	s_delay_alu instid0(SALU_CYCLE_1) | instskip(SKIP_4) | instid1(VALU_DEP_1)
	s_or_b32 exec_lo, exec_lo, s4
	v_mov_b32_e32 v89, 0
	ds_load_b64 v[90:91], v89 offset:128
	s_wait_dscnt 0x0
	v_pk_mul_f32 v[92:93], v[86:87], v[90:91] op_sel:[1,1] op_sel_hi:[0,1]
	v_pk_fma_f32 v[94:95], v[86:87], v[90:91], v[92:93] op_sel_hi:[1,0,1]
	v_pk_fma_f32 v[86:87], v[86:87], v[90:91], v[92:93] neg_lo:[0,0,1] neg_hi:[0,0,1]
	s_delay_alu instid0(VALU_DEP_2)
	v_mov_b32_e32 v87, v95
	scratch_store_b64 off, v[86:87], off offset:128
.LBB104_560:
	s_wait_xcnt 0x0
	s_or_b32 exec_lo, exec_lo, s0
	scratch_load_b64 v[86:87], off, off offset:136
	s_mov_b32 s0, exec_lo
	s_wait_loadcnt 0x0
	ds_store_b64 v1, v[86:87]
	s_wait_storecnt_dscnt 0x0
	s_barrier_signal -1
	s_barrier_wait -1
	s_wait_xcnt 0x0
	v_cmpx_gt_u32_e32 17, v0
	s_cbranch_execz .LBB104_570
; %bb.561:
	v_cmp_ne_u32_e32 vcc_lo, 1, v88
	s_cbranch_vccnz .LBB104_563
; %bb.562:
	scratch_load_b64 v[86:87], v59, off
	ds_load_b64 v[90:91], v1
	s_wait_loadcnt_dscnt 0x0
	v_pk_mul_f32 v[92:93], v[90:91], v[86:87] op_sel:[1,1] op_sel_hi:[0,1]
	s_delay_alu instid0(VALU_DEP_1) | instskip(SKIP_1) | instid1(VALU_DEP_2)
	v_pk_fma_f32 v[94:95], v[90:91], v[86:87], v[92:93] op_sel_hi:[1,0,1]
	v_pk_fma_f32 v[86:87], v[90:91], v[86:87], v[92:93] neg_lo:[0,0,1] neg_hi:[0,0,1]
	v_mov_b32_e32 v87, v95
	s_cbranch_execz .LBB104_564
	s_branch .LBB104_565
.LBB104_563:
                                        ; implicit-def: $vgpr86_vgpr87
.LBB104_564:
	ds_load_b64 v[86:87], v1
.LBB104_565:
	s_mov_b32 s4, exec_lo
	v_cmpx_ne_u32_e32 16, v0
	s_cbranch_execz .LBB104_569
; %bb.566:
	v_add_nc_u32_e32 v89, 0x158, v58
	v_add3_u32 v90, 0, v58, 8
	v_mov_b32_e32 v91, v0
	s_mov_b32 s5, 0
.LBB104_567:                            ; =>This Inner Loop Header: Depth=1
	scratch_load_b64 v[92:93], v90, off
	ds_load_b64 v[94:95], v89
	s_wait_xcnt 0x0
	v_dual_add_nc_u32 v89, 8, v89 :: v_dual_add_nc_u32 v90, 8, v90
	s_wait_loadcnt_dscnt 0x0
	v_pk_mul_f32 v[96:97], v[94:95], v[92:93] op_sel:[1,1] op_sel_hi:[0,1]
	s_delay_alu instid0(VALU_DEP_1) | instskip(SKIP_2) | instid1(VALU_DEP_3)
	v_pk_fma_f32 v[98:99], v[94:95], v[92:93], v[96:97] op_sel_hi:[1,0,1]
	v_add_nc_u32_e32 v91, 1, v91
	v_pk_fma_f32 v[92:93], v[94:95], v[92:93], v[96:97] neg_lo:[0,0,1] neg_hi:[0,0,1]
	v_mov_b32_e32 v93, v99
	s_delay_alu instid0(VALU_DEP_3) | instskip(NEXT) | instid1(VALU_DEP_2)
	v_cmp_lt_u32_e32 vcc_lo, 15, v91
	v_pk_add_f32 v[86:87], v[86:87], v[92:93]
	s_or_b32 s5, vcc_lo, s5
	s_delay_alu instid0(SALU_CYCLE_1)
	s_and_not1_b32 exec_lo, exec_lo, s5
	s_cbranch_execnz .LBB104_567
; %bb.568:
	s_or_b32 exec_lo, exec_lo, s5
.LBB104_569:
	s_delay_alu instid0(SALU_CYCLE_1) | instskip(SKIP_4) | instid1(VALU_DEP_1)
	s_or_b32 exec_lo, exec_lo, s4
	v_mov_b32_e32 v89, 0
	ds_load_b64 v[90:91], v89 offset:136
	s_wait_dscnt 0x0
	v_pk_mul_f32 v[92:93], v[86:87], v[90:91] op_sel:[1,1] op_sel_hi:[0,1]
	v_pk_fma_f32 v[94:95], v[86:87], v[90:91], v[92:93] op_sel_hi:[1,0,1]
	v_pk_fma_f32 v[86:87], v[86:87], v[90:91], v[92:93] neg_lo:[0,0,1] neg_hi:[0,0,1]
	s_delay_alu instid0(VALU_DEP_2)
	v_mov_b32_e32 v87, v95
	scratch_store_b64 off, v[86:87], off offset:136
.LBB104_570:
	s_wait_xcnt 0x0
	s_or_b32 exec_lo, exec_lo, s0
	scratch_load_b64 v[86:87], off, off offset:144
	s_mov_b32 s0, exec_lo
	s_wait_loadcnt 0x0
	ds_store_b64 v1, v[86:87]
	s_wait_storecnt_dscnt 0x0
	s_barrier_signal -1
	s_barrier_wait -1
	s_wait_xcnt 0x0
	v_cmpx_gt_u32_e32 18, v0
	s_cbranch_execz .LBB104_580
; %bb.571:
	v_cmp_ne_u32_e32 vcc_lo, 1, v88
	s_cbranch_vccnz .LBB104_573
; %bb.572:
	scratch_load_b64 v[86:87], v59, off
	ds_load_b64 v[90:91], v1
	s_wait_loadcnt_dscnt 0x0
	v_pk_mul_f32 v[92:93], v[90:91], v[86:87] op_sel:[1,1] op_sel_hi:[0,1]
	s_delay_alu instid0(VALU_DEP_1) | instskip(SKIP_1) | instid1(VALU_DEP_2)
	v_pk_fma_f32 v[94:95], v[90:91], v[86:87], v[92:93] op_sel_hi:[1,0,1]
	v_pk_fma_f32 v[86:87], v[90:91], v[86:87], v[92:93] neg_lo:[0,0,1] neg_hi:[0,0,1]
	v_mov_b32_e32 v87, v95
	s_cbranch_execz .LBB104_574
	s_branch .LBB104_575
.LBB104_573:
                                        ; implicit-def: $vgpr86_vgpr87
.LBB104_574:
	ds_load_b64 v[86:87], v1
.LBB104_575:
	s_mov_b32 s4, exec_lo
	v_cmpx_ne_u32_e32 17, v0
	s_cbranch_execz .LBB104_579
; %bb.576:
	v_add_nc_u32_e32 v89, 0x158, v58
	v_add3_u32 v90, 0, v58, 8
	v_mov_b32_e32 v91, v0
	s_mov_b32 s5, 0
.LBB104_577:                            ; =>This Inner Loop Header: Depth=1
	scratch_load_b64 v[92:93], v90, off
	ds_load_b64 v[94:95], v89
	s_wait_xcnt 0x0
	v_dual_add_nc_u32 v89, 8, v89 :: v_dual_add_nc_u32 v90, 8, v90
	s_wait_loadcnt_dscnt 0x0
	v_pk_mul_f32 v[96:97], v[94:95], v[92:93] op_sel:[1,1] op_sel_hi:[0,1]
	s_delay_alu instid0(VALU_DEP_1) | instskip(SKIP_2) | instid1(VALU_DEP_3)
	v_pk_fma_f32 v[98:99], v[94:95], v[92:93], v[96:97] op_sel_hi:[1,0,1]
	v_add_nc_u32_e32 v91, 1, v91
	v_pk_fma_f32 v[92:93], v[94:95], v[92:93], v[96:97] neg_lo:[0,0,1] neg_hi:[0,0,1]
	v_mov_b32_e32 v93, v99
	s_delay_alu instid0(VALU_DEP_3) | instskip(NEXT) | instid1(VALU_DEP_2)
	v_cmp_lt_u32_e32 vcc_lo, 16, v91
	v_pk_add_f32 v[86:87], v[86:87], v[92:93]
	s_or_b32 s5, vcc_lo, s5
	s_delay_alu instid0(SALU_CYCLE_1)
	s_and_not1_b32 exec_lo, exec_lo, s5
	s_cbranch_execnz .LBB104_577
; %bb.578:
	s_or_b32 exec_lo, exec_lo, s5
.LBB104_579:
	s_delay_alu instid0(SALU_CYCLE_1) | instskip(SKIP_4) | instid1(VALU_DEP_1)
	s_or_b32 exec_lo, exec_lo, s4
	v_mov_b32_e32 v89, 0
	ds_load_b64 v[90:91], v89 offset:144
	s_wait_dscnt 0x0
	v_pk_mul_f32 v[92:93], v[86:87], v[90:91] op_sel:[1,1] op_sel_hi:[0,1]
	v_pk_fma_f32 v[94:95], v[86:87], v[90:91], v[92:93] op_sel_hi:[1,0,1]
	v_pk_fma_f32 v[86:87], v[86:87], v[90:91], v[92:93] neg_lo:[0,0,1] neg_hi:[0,0,1]
	s_delay_alu instid0(VALU_DEP_2)
	v_mov_b32_e32 v87, v95
	scratch_store_b64 off, v[86:87], off offset:144
.LBB104_580:
	s_wait_xcnt 0x0
	s_or_b32 exec_lo, exec_lo, s0
	scratch_load_b64 v[86:87], off, off offset:152
	s_mov_b32 s0, exec_lo
	s_wait_loadcnt 0x0
	ds_store_b64 v1, v[86:87]
	s_wait_storecnt_dscnt 0x0
	s_barrier_signal -1
	s_barrier_wait -1
	s_wait_xcnt 0x0
	v_cmpx_gt_u32_e32 19, v0
	s_cbranch_execz .LBB104_590
; %bb.581:
	v_cmp_ne_u32_e32 vcc_lo, 1, v88
	s_cbranch_vccnz .LBB104_583
; %bb.582:
	scratch_load_b64 v[86:87], v59, off
	ds_load_b64 v[90:91], v1
	s_wait_loadcnt_dscnt 0x0
	v_pk_mul_f32 v[92:93], v[90:91], v[86:87] op_sel:[1,1] op_sel_hi:[0,1]
	s_delay_alu instid0(VALU_DEP_1) | instskip(SKIP_1) | instid1(VALU_DEP_2)
	v_pk_fma_f32 v[94:95], v[90:91], v[86:87], v[92:93] op_sel_hi:[1,0,1]
	v_pk_fma_f32 v[86:87], v[90:91], v[86:87], v[92:93] neg_lo:[0,0,1] neg_hi:[0,0,1]
	v_mov_b32_e32 v87, v95
	s_cbranch_execz .LBB104_584
	s_branch .LBB104_585
.LBB104_583:
                                        ; implicit-def: $vgpr86_vgpr87
.LBB104_584:
	ds_load_b64 v[86:87], v1
.LBB104_585:
	s_mov_b32 s4, exec_lo
	v_cmpx_ne_u32_e32 18, v0
	s_cbranch_execz .LBB104_589
; %bb.586:
	v_add_nc_u32_e32 v89, 0x158, v58
	v_add3_u32 v90, 0, v58, 8
	v_mov_b32_e32 v91, v0
	s_mov_b32 s5, 0
.LBB104_587:                            ; =>This Inner Loop Header: Depth=1
	scratch_load_b64 v[92:93], v90, off
	ds_load_b64 v[94:95], v89
	s_wait_xcnt 0x0
	v_dual_add_nc_u32 v89, 8, v89 :: v_dual_add_nc_u32 v90, 8, v90
	s_wait_loadcnt_dscnt 0x0
	v_pk_mul_f32 v[96:97], v[94:95], v[92:93] op_sel:[1,1] op_sel_hi:[0,1]
	s_delay_alu instid0(VALU_DEP_1) | instskip(SKIP_2) | instid1(VALU_DEP_3)
	v_pk_fma_f32 v[98:99], v[94:95], v[92:93], v[96:97] op_sel_hi:[1,0,1]
	v_add_nc_u32_e32 v91, 1, v91
	v_pk_fma_f32 v[92:93], v[94:95], v[92:93], v[96:97] neg_lo:[0,0,1] neg_hi:[0,0,1]
	v_mov_b32_e32 v93, v99
	s_delay_alu instid0(VALU_DEP_3) | instskip(NEXT) | instid1(VALU_DEP_2)
	v_cmp_lt_u32_e32 vcc_lo, 17, v91
	v_pk_add_f32 v[86:87], v[86:87], v[92:93]
	s_or_b32 s5, vcc_lo, s5
	s_delay_alu instid0(SALU_CYCLE_1)
	s_and_not1_b32 exec_lo, exec_lo, s5
	s_cbranch_execnz .LBB104_587
; %bb.588:
	s_or_b32 exec_lo, exec_lo, s5
.LBB104_589:
	s_delay_alu instid0(SALU_CYCLE_1) | instskip(SKIP_4) | instid1(VALU_DEP_1)
	s_or_b32 exec_lo, exec_lo, s4
	v_mov_b32_e32 v89, 0
	ds_load_b64 v[90:91], v89 offset:152
	s_wait_dscnt 0x0
	v_pk_mul_f32 v[92:93], v[86:87], v[90:91] op_sel:[1,1] op_sel_hi:[0,1]
	v_pk_fma_f32 v[94:95], v[86:87], v[90:91], v[92:93] op_sel_hi:[1,0,1]
	v_pk_fma_f32 v[86:87], v[86:87], v[90:91], v[92:93] neg_lo:[0,0,1] neg_hi:[0,0,1]
	s_delay_alu instid0(VALU_DEP_2)
	v_mov_b32_e32 v87, v95
	scratch_store_b64 off, v[86:87], off offset:152
.LBB104_590:
	s_wait_xcnt 0x0
	s_or_b32 exec_lo, exec_lo, s0
	scratch_load_b64 v[86:87], off, off offset:160
	s_mov_b32 s0, exec_lo
	s_wait_loadcnt 0x0
	ds_store_b64 v1, v[86:87]
	s_wait_storecnt_dscnt 0x0
	s_barrier_signal -1
	s_barrier_wait -1
	s_wait_xcnt 0x0
	v_cmpx_gt_u32_e32 20, v0
	s_cbranch_execz .LBB104_600
; %bb.591:
	v_cmp_ne_u32_e32 vcc_lo, 1, v88
	s_cbranch_vccnz .LBB104_593
; %bb.592:
	scratch_load_b64 v[86:87], v59, off
	ds_load_b64 v[90:91], v1
	s_wait_loadcnt_dscnt 0x0
	v_pk_mul_f32 v[92:93], v[90:91], v[86:87] op_sel:[1,1] op_sel_hi:[0,1]
	s_delay_alu instid0(VALU_DEP_1) | instskip(SKIP_1) | instid1(VALU_DEP_2)
	v_pk_fma_f32 v[94:95], v[90:91], v[86:87], v[92:93] op_sel_hi:[1,0,1]
	v_pk_fma_f32 v[86:87], v[90:91], v[86:87], v[92:93] neg_lo:[0,0,1] neg_hi:[0,0,1]
	v_mov_b32_e32 v87, v95
	s_cbranch_execz .LBB104_594
	s_branch .LBB104_595
.LBB104_593:
                                        ; implicit-def: $vgpr86_vgpr87
.LBB104_594:
	ds_load_b64 v[86:87], v1
.LBB104_595:
	s_mov_b32 s4, exec_lo
	v_cmpx_ne_u32_e32 19, v0
	s_cbranch_execz .LBB104_599
; %bb.596:
	v_add_nc_u32_e32 v89, 0x158, v58
	v_add3_u32 v90, 0, v58, 8
	v_mov_b32_e32 v91, v0
	s_mov_b32 s5, 0
.LBB104_597:                            ; =>This Inner Loop Header: Depth=1
	scratch_load_b64 v[92:93], v90, off
	ds_load_b64 v[94:95], v89
	s_wait_xcnt 0x0
	v_dual_add_nc_u32 v89, 8, v89 :: v_dual_add_nc_u32 v90, 8, v90
	s_wait_loadcnt_dscnt 0x0
	v_pk_mul_f32 v[96:97], v[94:95], v[92:93] op_sel:[1,1] op_sel_hi:[0,1]
	s_delay_alu instid0(VALU_DEP_1) | instskip(SKIP_2) | instid1(VALU_DEP_3)
	v_pk_fma_f32 v[98:99], v[94:95], v[92:93], v[96:97] op_sel_hi:[1,0,1]
	v_add_nc_u32_e32 v91, 1, v91
	v_pk_fma_f32 v[92:93], v[94:95], v[92:93], v[96:97] neg_lo:[0,0,1] neg_hi:[0,0,1]
	v_mov_b32_e32 v93, v99
	s_delay_alu instid0(VALU_DEP_3) | instskip(NEXT) | instid1(VALU_DEP_2)
	v_cmp_lt_u32_e32 vcc_lo, 18, v91
	v_pk_add_f32 v[86:87], v[86:87], v[92:93]
	s_or_b32 s5, vcc_lo, s5
	s_delay_alu instid0(SALU_CYCLE_1)
	s_and_not1_b32 exec_lo, exec_lo, s5
	s_cbranch_execnz .LBB104_597
; %bb.598:
	s_or_b32 exec_lo, exec_lo, s5
.LBB104_599:
	s_delay_alu instid0(SALU_CYCLE_1) | instskip(SKIP_4) | instid1(VALU_DEP_1)
	s_or_b32 exec_lo, exec_lo, s4
	v_mov_b32_e32 v89, 0
	ds_load_b64 v[90:91], v89 offset:160
	s_wait_dscnt 0x0
	v_pk_mul_f32 v[92:93], v[86:87], v[90:91] op_sel:[1,1] op_sel_hi:[0,1]
	v_pk_fma_f32 v[94:95], v[86:87], v[90:91], v[92:93] op_sel_hi:[1,0,1]
	v_pk_fma_f32 v[86:87], v[86:87], v[90:91], v[92:93] neg_lo:[0,0,1] neg_hi:[0,0,1]
	s_delay_alu instid0(VALU_DEP_2)
	v_mov_b32_e32 v87, v95
	scratch_store_b64 off, v[86:87], off offset:160
.LBB104_600:
	s_wait_xcnt 0x0
	s_or_b32 exec_lo, exec_lo, s0
	scratch_load_b64 v[86:87], off, off offset:168
	s_mov_b32 s0, exec_lo
	s_wait_loadcnt 0x0
	ds_store_b64 v1, v[86:87]
	s_wait_storecnt_dscnt 0x0
	s_barrier_signal -1
	s_barrier_wait -1
	s_wait_xcnt 0x0
	v_cmpx_gt_u32_e32 21, v0
	s_cbranch_execz .LBB104_610
; %bb.601:
	v_cmp_ne_u32_e32 vcc_lo, 1, v88
	s_cbranch_vccnz .LBB104_603
; %bb.602:
	scratch_load_b64 v[86:87], v59, off
	ds_load_b64 v[90:91], v1
	s_wait_loadcnt_dscnt 0x0
	v_pk_mul_f32 v[92:93], v[90:91], v[86:87] op_sel:[1,1] op_sel_hi:[0,1]
	s_delay_alu instid0(VALU_DEP_1) | instskip(SKIP_1) | instid1(VALU_DEP_2)
	v_pk_fma_f32 v[94:95], v[90:91], v[86:87], v[92:93] op_sel_hi:[1,0,1]
	v_pk_fma_f32 v[86:87], v[90:91], v[86:87], v[92:93] neg_lo:[0,0,1] neg_hi:[0,0,1]
	v_mov_b32_e32 v87, v95
	s_cbranch_execz .LBB104_604
	s_branch .LBB104_605
.LBB104_603:
                                        ; implicit-def: $vgpr86_vgpr87
.LBB104_604:
	ds_load_b64 v[86:87], v1
.LBB104_605:
	s_mov_b32 s4, exec_lo
	v_cmpx_ne_u32_e32 20, v0
	s_cbranch_execz .LBB104_609
; %bb.606:
	v_add_nc_u32_e32 v89, 0x158, v58
	v_add3_u32 v90, 0, v58, 8
	v_mov_b32_e32 v91, v0
	s_mov_b32 s5, 0
.LBB104_607:                            ; =>This Inner Loop Header: Depth=1
	scratch_load_b64 v[92:93], v90, off
	ds_load_b64 v[94:95], v89
	s_wait_xcnt 0x0
	v_dual_add_nc_u32 v89, 8, v89 :: v_dual_add_nc_u32 v90, 8, v90
	s_wait_loadcnt_dscnt 0x0
	v_pk_mul_f32 v[96:97], v[94:95], v[92:93] op_sel:[1,1] op_sel_hi:[0,1]
	s_delay_alu instid0(VALU_DEP_1) | instskip(SKIP_2) | instid1(VALU_DEP_3)
	v_pk_fma_f32 v[98:99], v[94:95], v[92:93], v[96:97] op_sel_hi:[1,0,1]
	v_add_nc_u32_e32 v91, 1, v91
	v_pk_fma_f32 v[92:93], v[94:95], v[92:93], v[96:97] neg_lo:[0,0,1] neg_hi:[0,0,1]
	v_mov_b32_e32 v93, v99
	s_delay_alu instid0(VALU_DEP_3) | instskip(NEXT) | instid1(VALU_DEP_2)
	v_cmp_lt_u32_e32 vcc_lo, 19, v91
	v_pk_add_f32 v[86:87], v[86:87], v[92:93]
	s_or_b32 s5, vcc_lo, s5
	s_delay_alu instid0(SALU_CYCLE_1)
	s_and_not1_b32 exec_lo, exec_lo, s5
	s_cbranch_execnz .LBB104_607
; %bb.608:
	s_or_b32 exec_lo, exec_lo, s5
.LBB104_609:
	s_delay_alu instid0(SALU_CYCLE_1) | instskip(SKIP_4) | instid1(VALU_DEP_1)
	s_or_b32 exec_lo, exec_lo, s4
	v_mov_b32_e32 v89, 0
	ds_load_b64 v[90:91], v89 offset:168
	s_wait_dscnt 0x0
	v_pk_mul_f32 v[92:93], v[86:87], v[90:91] op_sel:[1,1] op_sel_hi:[0,1]
	v_pk_fma_f32 v[94:95], v[86:87], v[90:91], v[92:93] op_sel_hi:[1,0,1]
	v_pk_fma_f32 v[86:87], v[86:87], v[90:91], v[92:93] neg_lo:[0,0,1] neg_hi:[0,0,1]
	s_delay_alu instid0(VALU_DEP_2)
	v_mov_b32_e32 v87, v95
	scratch_store_b64 off, v[86:87], off offset:168
.LBB104_610:
	s_wait_xcnt 0x0
	s_or_b32 exec_lo, exec_lo, s0
	scratch_load_b64 v[86:87], off, off offset:176
	s_mov_b32 s0, exec_lo
	s_wait_loadcnt 0x0
	ds_store_b64 v1, v[86:87]
	s_wait_storecnt_dscnt 0x0
	s_barrier_signal -1
	s_barrier_wait -1
	s_wait_xcnt 0x0
	v_cmpx_gt_u32_e32 22, v0
	s_cbranch_execz .LBB104_620
; %bb.611:
	v_cmp_ne_u32_e32 vcc_lo, 1, v88
	s_cbranch_vccnz .LBB104_613
; %bb.612:
	scratch_load_b64 v[86:87], v59, off
	ds_load_b64 v[90:91], v1
	s_wait_loadcnt_dscnt 0x0
	v_pk_mul_f32 v[92:93], v[90:91], v[86:87] op_sel:[1,1] op_sel_hi:[0,1]
	s_delay_alu instid0(VALU_DEP_1) | instskip(SKIP_1) | instid1(VALU_DEP_2)
	v_pk_fma_f32 v[94:95], v[90:91], v[86:87], v[92:93] op_sel_hi:[1,0,1]
	v_pk_fma_f32 v[86:87], v[90:91], v[86:87], v[92:93] neg_lo:[0,0,1] neg_hi:[0,0,1]
	v_mov_b32_e32 v87, v95
	s_cbranch_execz .LBB104_614
	s_branch .LBB104_615
.LBB104_613:
                                        ; implicit-def: $vgpr86_vgpr87
.LBB104_614:
	ds_load_b64 v[86:87], v1
.LBB104_615:
	s_mov_b32 s4, exec_lo
	v_cmpx_ne_u32_e32 21, v0
	s_cbranch_execz .LBB104_619
; %bb.616:
	v_add_nc_u32_e32 v89, 0x158, v58
	v_add3_u32 v90, 0, v58, 8
	v_mov_b32_e32 v91, v0
	s_mov_b32 s5, 0
.LBB104_617:                            ; =>This Inner Loop Header: Depth=1
	scratch_load_b64 v[92:93], v90, off
	ds_load_b64 v[94:95], v89
	s_wait_xcnt 0x0
	v_dual_add_nc_u32 v89, 8, v89 :: v_dual_add_nc_u32 v90, 8, v90
	s_wait_loadcnt_dscnt 0x0
	v_pk_mul_f32 v[96:97], v[94:95], v[92:93] op_sel:[1,1] op_sel_hi:[0,1]
	s_delay_alu instid0(VALU_DEP_1) | instskip(SKIP_2) | instid1(VALU_DEP_3)
	v_pk_fma_f32 v[98:99], v[94:95], v[92:93], v[96:97] op_sel_hi:[1,0,1]
	v_add_nc_u32_e32 v91, 1, v91
	v_pk_fma_f32 v[92:93], v[94:95], v[92:93], v[96:97] neg_lo:[0,0,1] neg_hi:[0,0,1]
	v_mov_b32_e32 v93, v99
	s_delay_alu instid0(VALU_DEP_3) | instskip(NEXT) | instid1(VALU_DEP_2)
	v_cmp_lt_u32_e32 vcc_lo, 20, v91
	v_pk_add_f32 v[86:87], v[86:87], v[92:93]
	s_or_b32 s5, vcc_lo, s5
	s_delay_alu instid0(SALU_CYCLE_1)
	s_and_not1_b32 exec_lo, exec_lo, s5
	s_cbranch_execnz .LBB104_617
; %bb.618:
	s_or_b32 exec_lo, exec_lo, s5
.LBB104_619:
	s_delay_alu instid0(SALU_CYCLE_1) | instskip(SKIP_4) | instid1(VALU_DEP_1)
	s_or_b32 exec_lo, exec_lo, s4
	v_mov_b32_e32 v89, 0
	ds_load_b64 v[90:91], v89 offset:176
	s_wait_dscnt 0x0
	v_pk_mul_f32 v[92:93], v[86:87], v[90:91] op_sel:[1,1] op_sel_hi:[0,1]
	v_pk_fma_f32 v[94:95], v[86:87], v[90:91], v[92:93] op_sel_hi:[1,0,1]
	v_pk_fma_f32 v[86:87], v[86:87], v[90:91], v[92:93] neg_lo:[0,0,1] neg_hi:[0,0,1]
	s_delay_alu instid0(VALU_DEP_2)
	v_mov_b32_e32 v87, v95
	scratch_store_b64 off, v[86:87], off offset:176
.LBB104_620:
	s_wait_xcnt 0x0
	s_or_b32 exec_lo, exec_lo, s0
	scratch_load_b64 v[86:87], off, off offset:184
	s_mov_b32 s0, exec_lo
	s_wait_loadcnt 0x0
	ds_store_b64 v1, v[86:87]
	s_wait_storecnt_dscnt 0x0
	s_barrier_signal -1
	s_barrier_wait -1
	s_wait_xcnt 0x0
	v_cmpx_gt_u32_e32 23, v0
	s_cbranch_execz .LBB104_630
; %bb.621:
	v_cmp_ne_u32_e32 vcc_lo, 1, v88
	s_cbranch_vccnz .LBB104_623
; %bb.622:
	scratch_load_b64 v[86:87], v59, off
	ds_load_b64 v[90:91], v1
	s_wait_loadcnt_dscnt 0x0
	v_pk_mul_f32 v[92:93], v[90:91], v[86:87] op_sel:[1,1] op_sel_hi:[0,1]
	s_delay_alu instid0(VALU_DEP_1) | instskip(SKIP_1) | instid1(VALU_DEP_2)
	v_pk_fma_f32 v[94:95], v[90:91], v[86:87], v[92:93] op_sel_hi:[1,0,1]
	v_pk_fma_f32 v[86:87], v[90:91], v[86:87], v[92:93] neg_lo:[0,0,1] neg_hi:[0,0,1]
	v_mov_b32_e32 v87, v95
	s_cbranch_execz .LBB104_624
	s_branch .LBB104_625
.LBB104_623:
                                        ; implicit-def: $vgpr86_vgpr87
.LBB104_624:
	ds_load_b64 v[86:87], v1
.LBB104_625:
	s_mov_b32 s4, exec_lo
	v_cmpx_ne_u32_e32 22, v0
	s_cbranch_execz .LBB104_629
; %bb.626:
	v_add_nc_u32_e32 v89, 0x158, v58
	v_add3_u32 v90, 0, v58, 8
	v_mov_b32_e32 v91, v0
	s_mov_b32 s5, 0
.LBB104_627:                            ; =>This Inner Loop Header: Depth=1
	scratch_load_b64 v[92:93], v90, off
	ds_load_b64 v[94:95], v89
	s_wait_xcnt 0x0
	v_dual_add_nc_u32 v89, 8, v89 :: v_dual_add_nc_u32 v90, 8, v90
	s_wait_loadcnt_dscnt 0x0
	v_pk_mul_f32 v[96:97], v[94:95], v[92:93] op_sel:[1,1] op_sel_hi:[0,1]
	s_delay_alu instid0(VALU_DEP_1) | instskip(SKIP_2) | instid1(VALU_DEP_3)
	v_pk_fma_f32 v[98:99], v[94:95], v[92:93], v[96:97] op_sel_hi:[1,0,1]
	v_add_nc_u32_e32 v91, 1, v91
	v_pk_fma_f32 v[92:93], v[94:95], v[92:93], v[96:97] neg_lo:[0,0,1] neg_hi:[0,0,1]
	v_mov_b32_e32 v93, v99
	s_delay_alu instid0(VALU_DEP_3) | instskip(NEXT) | instid1(VALU_DEP_2)
	v_cmp_lt_u32_e32 vcc_lo, 21, v91
	v_pk_add_f32 v[86:87], v[86:87], v[92:93]
	s_or_b32 s5, vcc_lo, s5
	s_delay_alu instid0(SALU_CYCLE_1)
	s_and_not1_b32 exec_lo, exec_lo, s5
	s_cbranch_execnz .LBB104_627
; %bb.628:
	s_or_b32 exec_lo, exec_lo, s5
.LBB104_629:
	s_delay_alu instid0(SALU_CYCLE_1) | instskip(SKIP_4) | instid1(VALU_DEP_1)
	s_or_b32 exec_lo, exec_lo, s4
	v_mov_b32_e32 v89, 0
	ds_load_b64 v[90:91], v89 offset:184
	s_wait_dscnt 0x0
	v_pk_mul_f32 v[92:93], v[86:87], v[90:91] op_sel:[1,1] op_sel_hi:[0,1]
	v_pk_fma_f32 v[94:95], v[86:87], v[90:91], v[92:93] op_sel_hi:[1,0,1]
	v_pk_fma_f32 v[86:87], v[86:87], v[90:91], v[92:93] neg_lo:[0,0,1] neg_hi:[0,0,1]
	s_delay_alu instid0(VALU_DEP_2)
	v_mov_b32_e32 v87, v95
	scratch_store_b64 off, v[86:87], off offset:184
.LBB104_630:
	s_wait_xcnt 0x0
	s_or_b32 exec_lo, exec_lo, s0
	scratch_load_b64 v[86:87], off, off offset:192
	s_mov_b32 s0, exec_lo
	s_wait_loadcnt 0x0
	ds_store_b64 v1, v[86:87]
	s_wait_storecnt_dscnt 0x0
	s_barrier_signal -1
	s_barrier_wait -1
	s_wait_xcnt 0x0
	v_cmpx_gt_u32_e32 24, v0
	s_cbranch_execz .LBB104_640
; %bb.631:
	v_cmp_ne_u32_e32 vcc_lo, 1, v88
	s_cbranch_vccnz .LBB104_633
; %bb.632:
	scratch_load_b64 v[86:87], v59, off
	ds_load_b64 v[90:91], v1
	s_wait_loadcnt_dscnt 0x0
	v_pk_mul_f32 v[92:93], v[90:91], v[86:87] op_sel:[1,1] op_sel_hi:[0,1]
	s_delay_alu instid0(VALU_DEP_1) | instskip(SKIP_1) | instid1(VALU_DEP_2)
	v_pk_fma_f32 v[94:95], v[90:91], v[86:87], v[92:93] op_sel_hi:[1,0,1]
	v_pk_fma_f32 v[86:87], v[90:91], v[86:87], v[92:93] neg_lo:[0,0,1] neg_hi:[0,0,1]
	v_mov_b32_e32 v87, v95
	s_cbranch_execz .LBB104_634
	s_branch .LBB104_635
.LBB104_633:
                                        ; implicit-def: $vgpr86_vgpr87
.LBB104_634:
	ds_load_b64 v[86:87], v1
.LBB104_635:
	s_mov_b32 s4, exec_lo
	v_cmpx_ne_u32_e32 23, v0
	s_cbranch_execz .LBB104_639
; %bb.636:
	v_add_nc_u32_e32 v89, 0x158, v58
	v_add3_u32 v90, 0, v58, 8
	v_mov_b32_e32 v91, v0
	s_mov_b32 s5, 0
.LBB104_637:                            ; =>This Inner Loop Header: Depth=1
	scratch_load_b64 v[92:93], v90, off
	ds_load_b64 v[94:95], v89
	s_wait_xcnt 0x0
	v_dual_add_nc_u32 v89, 8, v89 :: v_dual_add_nc_u32 v90, 8, v90
	s_wait_loadcnt_dscnt 0x0
	v_pk_mul_f32 v[96:97], v[94:95], v[92:93] op_sel:[1,1] op_sel_hi:[0,1]
	s_delay_alu instid0(VALU_DEP_1) | instskip(SKIP_2) | instid1(VALU_DEP_3)
	v_pk_fma_f32 v[98:99], v[94:95], v[92:93], v[96:97] op_sel_hi:[1,0,1]
	v_add_nc_u32_e32 v91, 1, v91
	v_pk_fma_f32 v[92:93], v[94:95], v[92:93], v[96:97] neg_lo:[0,0,1] neg_hi:[0,0,1]
	v_mov_b32_e32 v93, v99
	s_delay_alu instid0(VALU_DEP_3) | instskip(NEXT) | instid1(VALU_DEP_2)
	v_cmp_lt_u32_e32 vcc_lo, 22, v91
	v_pk_add_f32 v[86:87], v[86:87], v[92:93]
	s_or_b32 s5, vcc_lo, s5
	s_delay_alu instid0(SALU_CYCLE_1)
	s_and_not1_b32 exec_lo, exec_lo, s5
	s_cbranch_execnz .LBB104_637
; %bb.638:
	s_or_b32 exec_lo, exec_lo, s5
.LBB104_639:
	s_delay_alu instid0(SALU_CYCLE_1) | instskip(SKIP_4) | instid1(VALU_DEP_1)
	s_or_b32 exec_lo, exec_lo, s4
	v_mov_b32_e32 v89, 0
	ds_load_b64 v[90:91], v89 offset:192
	s_wait_dscnt 0x0
	v_pk_mul_f32 v[92:93], v[86:87], v[90:91] op_sel:[1,1] op_sel_hi:[0,1]
	v_pk_fma_f32 v[94:95], v[86:87], v[90:91], v[92:93] op_sel_hi:[1,0,1]
	v_pk_fma_f32 v[86:87], v[86:87], v[90:91], v[92:93] neg_lo:[0,0,1] neg_hi:[0,0,1]
	s_delay_alu instid0(VALU_DEP_2)
	v_mov_b32_e32 v87, v95
	scratch_store_b64 off, v[86:87], off offset:192
.LBB104_640:
	s_wait_xcnt 0x0
	s_or_b32 exec_lo, exec_lo, s0
	scratch_load_b64 v[86:87], off, off offset:200
	s_mov_b32 s0, exec_lo
	s_wait_loadcnt 0x0
	ds_store_b64 v1, v[86:87]
	s_wait_storecnt_dscnt 0x0
	s_barrier_signal -1
	s_barrier_wait -1
	s_wait_xcnt 0x0
	v_cmpx_gt_u32_e32 25, v0
	s_cbranch_execz .LBB104_650
; %bb.641:
	v_cmp_ne_u32_e32 vcc_lo, 1, v88
	s_cbranch_vccnz .LBB104_643
; %bb.642:
	scratch_load_b64 v[86:87], v59, off
	ds_load_b64 v[90:91], v1
	s_wait_loadcnt_dscnt 0x0
	v_pk_mul_f32 v[92:93], v[90:91], v[86:87] op_sel:[1,1] op_sel_hi:[0,1]
	s_delay_alu instid0(VALU_DEP_1) | instskip(SKIP_1) | instid1(VALU_DEP_2)
	v_pk_fma_f32 v[94:95], v[90:91], v[86:87], v[92:93] op_sel_hi:[1,0,1]
	v_pk_fma_f32 v[86:87], v[90:91], v[86:87], v[92:93] neg_lo:[0,0,1] neg_hi:[0,0,1]
	v_mov_b32_e32 v87, v95
	s_cbranch_execz .LBB104_644
	s_branch .LBB104_645
.LBB104_643:
                                        ; implicit-def: $vgpr86_vgpr87
.LBB104_644:
	ds_load_b64 v[86:87], v1
.LBB104_645:
	s_mov_b32 s4, exec_lo
	v_cmpx_ne_u32_e32 24, v0
	s_cbranch_execz .LBB104_649
; %bb.646:
	v_add_nc_u32_e32 v89, 0x158, v58
	v_add3_u32 v90, 0, v58, 8
	v_mov_b32_e32 v91, v0
	s_mov_b32 s5, 0
.LBB104_647:                            ; =>This Inner Loop Header: Depth=1
	scratch_load_b64 v[92:93], v90, off
	ds_load_b64 v[94:95], v89
	s_wait_xcnt 0x0
	v_dual_add_nc_u32 v89, 8, v89 :: v_dual_add_nc_u32 v90, 8, v90
	s_wait_loadcnt_dscnt 0x0
	v_pk_mul_f32 v[96:97], v[94:95], v[92:93] op_sel:[1,1] op_sel_hi:[0,1]
	s_delay_alu instid0(VALU_DEP_1) | instskip(SKIP_2) | instid1(VALU_DEP_3)
	v_pk_fma_f32 v[98:99], v[94:95], v[92:93], v[96:97] op_sel_hi:[1,0,1]
	v_add_nc_u32_e32 v91, 1, v91
	v_pk_fma_f32 v[92:93], v[94:95], v[92:93], v[96:97] neg_lo:[0,0,1] neg_hi:[0,0,1]
	v_mov_b32_e32 v93, v99
	s_delay_alu instid0(VALU_DEP_3) | instskip(NEXT) | instid1(VALU_DEP_2)
	v_cmp_lt_u32_e32 vcc_lo, 23, v91
	v_pk_add_f32 v[86:87], v[86:87], v[92:93]
	s_or_b32 s5, vcc_lo, s5
	s_delay_alu instid0(SALU_CYCLE_1)
	s_and_not1_b32 exec_lo, exec_lo, s5
	s_cbranch_execnz .LBB104_647
; %bb.648:
	s_or_b32 exec_lo, exec_lo, s5
.LBB104_649:
	s_delay_alu instid0(SALU_CYCLE_1) | instskip(SKIP_4) | instid1(VALU_DEP_1)
	s_or_b32 exec_lo, exec_lo, s4
	v_mov_b32_e32 v89, 0
	ds_load_b64 v[90:91], v89 offset:200
	s_wait_dscnt 0x0
	v_pk_mul_f32 v[92:93], v[86:87], v[90:91] op_sel:[1,1] op_sel_hi:[0,1]
	v_pk_fma_f32 v[94:95], v[86:87], v[90:91], v[92:93] op_sel_hi:[1,0,1]
	v_pk_fma_f32 v[86:87], v[86:87], v[90:91], v[92:93] neg_lo:[0,0,1] neg_hi:[0,0,1]
	s_delay_alu instid0(VALU_DEP_2)
	v_mov_b32_e32 v87, v95
	scratch_store_b64 off, v[86:87], off offset:200
.LBB104_650:
	s_wait_xcnt 0x0
	s_or_b32 exec_lo, exec_lo, s0
	scratch_load_b64 v[86:87], off, off offset:208
	s_mov_b32 s0, exec_lo
	s_wait_loadcnt 0x0
	ds_store_b64 v1, v[86:87]
	s_wait_storecnt_dscnt 0x0
	s_barrier_signal -1
	s_barrier_wait -1
	s_wait_xcnt 0x0
	v_cmpx_gt_u32_e32 26, v0
	s_cbranch_execz .LBB104_660
; %bb.651:
	v_cmp_ne_u32_e32 vcc_lo, 1, v88
	s_cbranch_vccnz .LBB104_653
; %bb.652:
	scratch_load_b64 v[86:87], v59, off
	ds_load_b64 v[90:91], v1
	s_wait_loadcnt_dscnt 0x0
	v_pk_mul_f32 v[92:93], v[90:91], v[86:87] op_sel:[1,1] op_sel_hi:[0,1]
	s_delay_alu instid0(VALU_DEP_1) | instskip(SKIP_1) | instid1(VALU_DEP_2)
	v_pk_fma_f32 v[94:95], v[90:91], v[86:87], v[92:93] op_sel_hi:[1,0,1]
	v_pk_fma_f32 v[86:87], v[90:91], v[86:87], v[92:93] neg_lo:[0,0,1] neg_hi:[0,0,1]
	v_mov_b32_e32 v87, v95
	s_cbranch_execz .LBB104_654
	s_branch .LBB104_655
.LBB104_653:
                                        ; implicit-def: $vgpr86_vgpr87
.LBB104_654:
	ds_load_b64 v[86:87], v1
.LBB104_655:
	s_mov_b32 s4, exec_lo
	v_cmpx_ne_u32_e32 25, v0
	s_cbranch_execz .LBB104_659
; %bb.656:
	v_add_nc_u32_e32 v89, 0x158, v58
	v_add3_u32 v90, 0, v58, 8
	v_mov_b32_e32 v91, v0
	s_mov_b32 s5, 0
.LBB104_657:                            ; =>This Inner Loop Header: Depth=1
	scratch_load_b64 v[92:93], v90, off
	ds_load_b64 v[94:95], v89
	s_wait_xcnt 0x0
	v_dual_add_nc_u32 v89, 8, v89 :: v_dual_add_nc_u32 v90, 8, v90
	s_wait_loadcnt_dscnt 0x0
	v_pk_mul_f32 v[96:97], v[94:95], v[92:93] op_sel:[1,1] op_sel_hi:[0,1]
	s_delay_alu instid0(VALU_DEP_1) | instskip(SKIP_2) | instid1(VALU_DEP_3)
	v_pk_fma_f32 v[98:99], v[94:95], v[92:93], v[96:97] op_sel_hi:[1,0,1]
	v_add_nc_u32_e32 v91, 1, v91
	v_pk_fma_f32 v[92:93], v[94:95], v[92:93], v[96:97] neg_lo:[0,0,1] neg_hi:[0,0,1]
	v_mov_b32_e32 v93, v99
	s_delay_alu instid0(VALU_DEP_3) | instskip(NEXT) | instid1(VALU_DEP_2)
	v_cmp_lt_u32_e32 vcc_lo, 24, v91
	v_pk_add_f32 v[86:87], v[86:87], v[92:93]
	s_or_b32 s5, vcc_lo, s5
	s_delay_alu instid0(SALU_CYCLE_1)
	s_and_not1_b32 exec_lo, exec_lo, s5
	s_cbranch_execnz .LBB104_657
; %bb.658:
	s_or_b32 exec_lo, exec_lo, s5
.LBB104_659:
	s_delay_alu instid0(SALU_CYCLE_1) | instskip(SKIP_4) | instid1(VALU_DEP_1)
	s_or_b32 exec_lo, exec_lo, s4
	v_mov_b32_e32 v89, 0
	ds_load_b64 v[90:91], v89 offset:208
	s_wait_dscnt 0x0
	v_pk_mul_f32 v[92:93], v[86:87], v[90:91] op_sel:[1,1] op_sel_hi:[0,1]
	v_pk_fma_f32 v[94:95], v[86:87], v[90:91], v[92:93] op_sel_hi:[1,0,1]
	v_pk_fma_f32 v[86:87], v[86:87], v[90:91], v[92:93] neg_lo:[0,0,1] neg_hi:[0,0,1]
	s_delay_alu instid0(VALU_DEP_2)
	v_mov_b32_e32 v87, v95
	scratch_store_b64 off, v[86:87], off offset:208
.LBB104_660:
	s_wait_xcnt 0x0
	s_or_b32 exec_lo, exec_lo, s0
	scratch_load_b64 v[86:87], off, off offset:216
	s_mov_b32 s0, exec_lo
	s_wait_loadcnt 0x0
	ds_store_b64 v1, v[86:87]
	s_wait_storecnt_dscnt 0x0
	s_barrier_signal -1
	s_barrier_wait -1
	s_wait_xcnt 0x0
	v_cmpx_gt_u32_e32 27, v0
	s_cbranch_execz .LBB104_670
; %bb.661:
	v_cmp_ne_u32_e32 vcc_lo, 1, v88
	s_cbranch_vccnz .LBB104_663
; %bb.662:
	scratch_load_b64 v[86:87], v59, off
	ds_load_b64 v[90:91], v1
	s_wait_loadcnt_dscnt 0x0
	v_pk_mul_f32 v[92:93], v[90:91], v[86:87] op_sel:[1,1] op_sel_hi:[0,1]
	s_delay_alu instid0(VALU_DEP_1) | instskip(SKIP_1) | instid1(VALU_DEP_2)
	v_pk_fma_f32 v[94:95], v[90:91], v[86:87], v[92:93] op_sel_hi:[1,0,1]
	v_pk_fma_f32 v[86:87], v[90:91], v[86:87], v[92:93] neg_lo:[0,0,1] neg_hi:[0,0,1]
	v_mov_b32_e32 v87, v95
	s_cbranch_execz .LBB104_664
	s_branch .LBB104_665
.LBB104_663:
                                        ; implicit-def: $vgpr86_vgpr87
.LBB104_664:
	ds_load_b64 v[86:87], v1
.LBB104_665:
	s_mov_b32 s4, exec_lo
	v_cmpx_ne_u32_e32 26, v0
	s_cbranch_execz .LBB104_669
; %bb.666:
	v_add_nc_u32_e32 v89, 0x158, v58
	v_add3_u32 v90, 0, v58, 8
	v_mov_b32_e32 v91, v0
	s_mov_b32 s5, 0
.LBB104_667:                            ; =>This Inner Loop Header: Depth=1
	scratch_load_b64 v[92:93], v90, off
	ds_load_b64 v[94:95], v89
	s_wait_xcnt 0x0
	v_dual_add_nc_u32 v89, 8, v89 :: v_dual_add_nc_u32 v90, 8, v90
	s_wait_loadcnt_dscnt 0x0
	v_pk_mul_f32 v[96:97], v[94:95], v[92:93] op_sel:[1,1] op_sel_hi:[0,1]
	s_delay_alu instid0(VALU_DEP_1) | instskip(SKIP_2) | instid1(VALU_DEP_3)
	v_pk_fma_f32 v[98:99], v[94:95], v[92:93], v[96:97] op_sel_hi:[1,0,1]
	v_add_nc_u32_e32 v91, 1, v91
	v_pk_fma_f32 v[92:93], v[94:95], v[92:93], v[96:97] neg_lo:[0,0,1] neg_hi:[0,0,1]
	v_mov_b32_e32 v93, v99
	s_delay_alu instid0(VALU_DEP_3) | instskip(NEXT) | instid1(VALU_DEP_2)
	v_cmp_lt_u32_e32 vcc_lo, 25, v91
	v_pk_add_f32 v[86:87], v[86:87], v[92:93]
	s_or_b32 s5, vcc_lo, s5
	s_delay_alu instid0(SALU_CYCLE_1)
	s_and_not1_b32 exec_lo, exec_lo, s5
	s_cbranch_execnz .LBB104_667
; %bb.668:
	s_or_b32 exec_lo, exec_lo, s5
.LBB104_669:
	s_delay_alu instid0(SALU_CYCLE_1) | instskip(SKIP_4) | instid1(VALU_DEP_1)
	s_or_b32 exec_lo, exec_lo, s4
	v_mov_b32_e32 v89, 0
	ds_load_b64 v[90:91], v89 offset:216
	s_wait_dscnt 0x0
	v_pk_mul_f32 v[92:93], v[86:87], v[90:91] op_sel:[1,1] op_sel_hi:[0,1]
	v_pk_fma_f32 v[94:95], v[86:87], v[90:91], v[92:93] op_sel_hi:[1,0,1]
	v_pk_fma_f32 v[86:87], v[86:87], v[90:91], v[92:93] neg_lo:[0,0,1] neg_hi:[0,0,1]
	s_delay_alu instid0(VALU_DEP_2)
	v_mov_b32_e32 v87, v95
	scratch_store_b64 off, v[86:87], off offset:216
.LBB104_670:
	s_wait_xcnt 0x0
	s_or_b32 exec_lo, exec_lo, s0
	scratch_load_b64 v[86:87], off, off offset:224
	s_mov_b32 s0, exec_lo
	s_wait_loadcnt 0x0
	ds_store_b64 v1, v[86:87]
	s_wait_storecnt_dscnt 0x0
	s_barrier_signal -1
	s_barrier_wait -1
	s_wait_xcnt 0x0
	v_cmpx_gt_u32_e32 28, v0
	s_cbranch_execz .LBB104_680
; %bb.671:
	v_cmp_ne_u32_e32 vcc_lo, 1, v88
	s_cbranch_vccnz .LBB104_673
; %bb.672:
	scratch_load_b64 v[86:87], v59, off
	ds_load_b64 v[90:91], v1
	s_wait_loadcnt_dscnt 0x0
	v_pk_mul_f32 v[92:93], v[90:91], v[86:87] op_sel:[1,1] op_sel_hi:[0,1]
	s_delay_alu instid0(VALU_DEP_1) | instskip(SKIP_1) | instid1(VALU_DEP_2)
	v_pk_fma_f32 v[94:95], v[90:91], v[86:87], v[92:93] op_sel_hi:[1,0,1]
	v_pk_fma_f32 v[86:87], v[90:91], v[86:87], v[92:93] neg_lo:[0,0,1] neg_hi:[0,0,1]
	v_mov_b32_e32 v87, v95
	s_cbranch_execz .LBB104_674
	s_branch .LBB104_675
.LBB104_673:
                                        ; implicit-def: $vgpr86_vgpr87
.LBB104_674:
	ds_load_b64 v[86:87], v1
.LBB104_675:
	s_mov_b32 s4, exec_lo
	v_cmpx_ne_u32_e32 27, v0
	s_cbranch_execz .LBB104_679
; %bb.676:
	v_add_nc_u32_e32 v89, 0x158, v58
	v_add3_u32 v90, 0, v58, 8
	v_mov_b32_e32 v91, v0
	s_mov_b32 s5, 0
.LBB104_677:                            ; =>This Inner Loop Header: Depth=1
	scratch_load_b64 v[92:93], v90, off
	ds_load_b64 v[94:95], v89
	s_wait_xcnt 0x0
	v_dual_add_nc_u32 v89, 8, v89 :: v_dual_add_nc_u32 v90, 8, v90
	s_wait_loadcnt_dscnt 0x0
	v_pk_mul_f32 v[96:97], v[94:95], v[92:93] op_sel:[1,1] op_sel_hi:[0,1]
	s_delay_alu instid0(VALU_DEP_1) | instskip(SKIP_2) | instid1(VALU_DEP_3)
	v_pk_fma_f32 v[98:99], v[94:95], v[92:93], v[96:97] op_sel_hi:[1,0,1]
	v_add_nc_u32_e32 v91, 1, v91
	v_pk_fma_f32 v[92:93], v[94:95], v[92:93], v[96:97] neg_lo:[0,0,1] neg_hi:[0,0,1]
	v_mov_b32_e32 v93, v99
	s_delay_alu instid0(VALU_DEP_3) | instskip(NEXT) | instid1(VALU_DEP_2)
	v_cmp_lt_u32_e32 vcc_lo, 26, v91
	v_pk_add_f32 v[86:87], v[86:87], v[92:93]
	s_or_b32 s5, vcc_lo, s5
	s_delay_alu instid0(SALU_CYCLE_1)
	s_and_not1_b32 exec_lo, exec_lo, s5
	s_cbranch_execnz .LBB104_677
; %bb.678:
	s_or_b32 exec_lo, exec_lo, s5
.LBB104_679:
	s_delay_alu instid0(SALU_CYCLE_1) | instskip(SKIP_4) | instid1(VALU_DEP_1)
	s_or_b32 exec_lo, exec_lo, s4
	v_mov_b32_e32 v89, 0
	ds_load_b64 v[90:91], v89 offset:224
	s_wait_dscnt 0x0
	v_pk_mul_f32 v[92:93], v[86:87], v[90:91] op_sel:[1,1] op_sel_hi:[0,1]
	v_pk_fma_f32 v[94:95], v[86:87], v[90:91], v[92:93] op_sel_hi:[1,0,1]
	v_pk_fma_f32 v[86:87], v[86:87], v[90:91], v[92:93] neg_lo:[0,0,1] neg_hi:[0,0,1]
	s_delay_alu instid0(VALU_DEP_2)
	v_mov_b32_e32 v87, v95
	scratch_store_b64 off, v[86:87], off offset:224
.LBB104_680:
	s_wait_xcnt 0x0
	s_or_b32 exec_lo, exec_lo, s0
	scratch_load_b64 v[86:87], off, off offset:232
	s_mov_b32 s0, exec_lo
	s_wait_loadcnt 0x0
	ds_store_b64 v1, v[86:87]
	s_wait_storecnt_dscnt 0x0
	s_barrier_signal -1
	s_barrier_wait -1
	s_wait_xcnt 0x0
	v_cmpx_gt_u32_e32 29, v0
	s_cbranch_execz .LBB104_690
; %bb.681:
	v_cmp_ne_u32_e32 vcc_lo, 1, v88
	s_cbranch_vccnz .LBB104_683
; %bb.682:
	scratch_load_b64 v[86:87], v59, off
	ds_load_b64 v[90:91], v1
	s_wait_loadcnt_dscnt 0x0
	v_pk_mul_f32 v[92:93], v[90:91], v[86:87] op_sel:[1,1] op_sel_hi:[0,1]
	s_delay_alu instid0(VALU_DEP_1) | instskip(SKIP_1) | instid1(VALU_DEP_2)
	v_pk_fma_f32 v[94:95], v[90:91], v[86:87], v[92:93] op_sel_hi:[1,0,1]
	v_pk_fma_f32 v[86:87], v[90:91], v[86:87], v[92:93] neg_lo:[0,0,1] neg_hi:[0,0,1]
	v_mov_b32_e32 v87, v95
	s_cbranch_execz .LBB104_684
	s_branch .LBB104_685
.LBB104_683:
                                        ; implicit-def: $vgpr86_vgpr87
.LBB104_684:
	ds_load_b64 v[86:87], v1
.LBB104_685:
	s_mov_b32 s4, exec_lo
	v_cmpx_ne_u32_e32 28, v0
	s_cbranch_execz .LBB104_689
; %bb.686:
	v_add_nc_u32_e32 v89, 0x158, v58
	v_add3_u32 v90, 0, v58, 8
	v_mov_b32_e32 v91, v0
	s_mov_b32 s5, 0
.LBB104_687:                            ; =>This Inner Loop Header: Depth=1
	scratch_load_b64 v[92:93], v90, off
	ds_load_b64 v[94:95], v89
	s_wait_xcnt 0x0
	v_dual_add_nc_u32 v89, 8, v89 :: v_dual_add_nc_u32 v90, 8, v90
	s_wait_loadcnt_dscnt 0x0
	v_pk_mul_f32 v[96:97], v[94:95], v[92:93] op_sel:[1,1] op_sel_hi:[0,1]
	s_delay_alu instid0(VALU_DEP_1) | instskip(SKIP_2) | instid1(VALU_DEP_3)
	v_pk_fma_f32 v[98:99], v[94:95], v[92:93], v[96:97] op_sel_hi:[1,0,1]
	v_add_nc_u32_e32 v91, 1, v91
	v_pk_fma_f32 v[92:93], v[94:95], v[92:93], v[96:97] neg_lo:[0,0,1] neg_hi:[0,0,1]
	v_mov_b32_e32 v93, v99
	s_delay_alu instid0(VALU_DEP_3) | instskip(NEXT) | instid1(VALU_DEP_2)
	v_cmp_lt_u32_e32 vcc_lo, 27, v91
	v_pk_add_f32 v[86:87], v[86:87], v[92:93]
	s_or_b32 s5, vcc_lo, s5
	s_delay_alu instid0(SALU_CYCLE_1)
	s_and_not1_b32 exec_lo, exec_lo, s5
	s_cbranch_execnz .LBB104_687
; %bb.688:
	s_or_b32 exec_lo, exec_lo, s5
.LBB104_689:
	s_delay_alu instid0(SALU_CYCLE_1) | instskip(SKIP_4) | instid1(VALU_DEP_1)
	s_or_b32 exec_lo, exec_lo, s4
	v_mov_b32_e32 v89, 0
	ds_load_b64 v[90:91], v89 offset:232
	s_wait_dscnt 0x0
	v_pk_mul_f32 v[92:93], v[86:87], v[90:91] op_sel:[1,1] op_sel_hi:[0,1]
	v_pk_fma_f32 v[94:95], v[86:87], v[90:91], v[92:93] op_sel_hi:[1,0,1]
	v_pk_fma_f32 v[86:87], v[86:87], v[90:91], v[92:93] neg_lo:[0,0,1] neg_hi:[0,0,1]
	s_delay_alu instid0(VALU_DEP_2)
	v_mov_b32_e32 v87, v95
	scratch_store_b64 off, v[86:87], off offset:232
.LBB104_690:
	s_wait_xcnt 0x0
	s_or_b32 exec_lo, exec_lo, s0
	scratch_load_b64 v[86:87], off, off offset:240
	s_mov_b32 s0, exec_lo
	s_wait_loadcnt 0x0
	ds_store_b64 v1, v[86:87]
	s_wait_storecnt_dscnt 0x0
	s_barrier_signal -1
	s_barrier_wait -1
	s_wait_xcnt 0x0
	v_cmpx_gt_u32_e32 30, v0
	s_cbranch_execz .LBB104_700
; %bb.691:
	v_cmp_ne_u32_e32 vcc_lo, 1, v88
	s_cbranch_vccnz .LBB104_693
; %bb.692:
	scratch_load_b64 v[86:87], v59, off
	ds_load_b64 v[90:91], v1
	s_wait_loadcnt_dscnt 0x0
	v_pk_mul_f32 v[92:93], v[90:91], v[86:87] op_sel:[1,1] op_sel_hi:[0,1]
	s_delay_alu instid0(VALU_DEP_1) | instskip(SKIP_1) | instid1(VALU_DEP_2)
	v_pk_fma_f32 v[94:95], v[90:91], v[86:87], v[92:93] op_sel_hi:[1,0,1]
	v_pk_fma_f32 v[86:87], v[90:91], v[86:87], v[92:93] neg_lo:[0,0,1] neg_hi:[0,0,1]
	v_mov_b32_e32 v87, v95
	s_cbranch_execz .LBB104_694
	s_branch .LBB104_695
.LBB104_693:
                                        ; implicit-def: $vgpr86_vgpr87
.LBB104_694:
	ds_load_b64 v[86:87], v1
.LBB104_695:
	s_mov_b32 s4, exec_lo
	v_cmpx_ne_u32_e32 29, v0
	s_cbranch_execz .LBB104_699
; %bb.696:
	v_add_nc_u32_e32 v89, 0x158, v58
	v_add3_u32 v90, 0, v58, 8
	v_mov_b32_e32 v91, v0
	s_mov_b32 s5, 0
.LBB104_697:                            ; =>This Inner Loop Header: Depth=1
	scratch_load_b64 v[92:93], v90, off
	ds_load_b64 v[94:95], v89
	s_wait_xcnt 0x0
	v_dual_add_nc_u32 v89, 8, v89 :: v_dual_add_nc_u32 v90, 8, v90
	s_wait_loadcnt_dscnt 0x0
	v_pk_mul_f32 v[96:97], v[94:95], v[92:93] op_sel:[1,1] op_sel_hi:[0,1]
	s_delay_alu instid0(VALU_DEP_1) | instskip(SKIP_2) | instid1(VALU_DEP_3)
	v_pk_fma_f32 v[98:99], v[94:95], v[92:93], v[96:97] op_sel_hi:[1,0,1]
	v_add_nc_u32_e32 v91, 1, v91
	v_pk_fma_f32 v[92:93], v[94:95], v[92:93], v[96:97] neg_lo:[0,0,1] neg_hi:[0,0,1]
	v_mov_b32_e32 v93, v99
	s_delay_alu instid0(VALU_DEP_3) | instskip(NEXT) | instid1(VALU_DEP_2)
	v_cmp_lt_u32_e32 vcc_lo, 28, v91
	v_pk_add_f32 v[86:87], v[86:87], v[92:93]
	s_or_b32 s5, vcc_lo, s5
	s_delay_alu instid0(SALU_CYCLE_1)
	s_and_not1_b32 exec_lo, exec_lo, s5
	s_cbranch_execnz .LBB104_697
; %bb.698:
	s_or_b32 exec_lo, exec_lo, s5
.LBB104_699:
	s_delay_alu instid0(SALU_CYCLE_1) | instskip(SKIP_4) | instid1(VALU_DEP_1)
	s_or_b32 exec_lo, exec_lo, s4
	v_mov_b32_e32 v89, 0
	ds_load_b64 v[90:91], v89 offset:240
	s_wait_dscnt 0x0
	v_pk_mul_f32 v[92:93], v[86:87], v[90:91] op_sel:[1,1] op_sel_hi:[0,1]
	v_pk_fma_f32 v[94:95], v[86:87], v[90:91], v[92:93] op_sel_hi:[1,0,1]
	v_pk_fma_f32 v[86:87], v[86:87], v[90:91], v[92:93] neg_lo:[0,0,1] neg_hi:[0,0,1]
	s_delay_alu instid0(VALU_DEP_2)
	v_mov_b32_e32 v87, v95
	scratch_store_b64 off, v[86:87], off offset:240
.LBB104_700:
	s_wait_xcnt 0x0
	s_or_b32 exec_lo, exec_lo, s0
	scratch_load_b64 v[86:87], off, off offset:248
	s_mov_b32 s0, exec_lo
	s_wait_loadcnt 0x0
	ds_store_b64 v1, v[86:87]
	s_wait_storecnt_dscnt 0x0
	s_barrier_signal -1
	s_barrier_wait -1
	s_wait_xcnt 0x0
	v_cmpx_gt_u32_e32 31, v0
	s_cbranch_execz .LBB104_710
; %bb.701:
	v_cmp_ne_u32_e32 vcc_lo, 1, v88
	s_cbranch_vccnz .LBB104_703
; %bb.702:
	scratch_load_b64 v[86:87], v59, off
	ds_load_b64 v[90:91], v1
	s_wait_loadcnt_dscnt 0x0
	v_pk_mul_f32 v[92:93], v[90:91], v[86:87] op_sel:[1,1] op_sel_hi:[0,1]
	s_delay_alu instid0(VALU_DEP_1) | instskip(SKIP_1) | instid1(VALU_DEP_2)
	v_pk_fma_f32 v[94:95], v[90:91], v[86:87], v[92:93] op_sel_hi:[1,0,1]
	v_pk_fma_f32 v[86:87], v[90:91], v[86:87], v[92:93] neg_lo:[0,0,1] neg_hi:[0,0,1]
	v_mov_b32_e32 v87, v95
	s_cbranch_execz .LBB104_704
	s_branch .LBB104_705
.LBB104_703:
                                        ; implicit-def: $vgpr86_vgpr87
.LBB104_704:
	ds_load_b64 v[86:87], v1
.LBB104_705:
	s_mov_b32 s4, exec_lo
	v_cmpx_ne_u32_e32 30, v0
	s_cbranch_execz .LBB104_709
; %bb.706:
	v_add_nc_u32_e32 v89, 0x158, v58
	v_add3_u32 v90, 0, v58, 8
	v_mov_b32_e32 v91, v0
	s_mov_b32 s5, 0
.LBB104_707:                            ; =>This Inner Loop Header: Depth=1
	scratch_load_b64 v[92:93], v90, off
	ds_load_b64 v[94:95], v89
	s_wait_xcnt 0x0
	v_dual_add_nc_u32 v89, 8, v89 :: v_dual_add_nc_u32 v90, 8, v90
	s_wait_loadcnt_dscnt 0x0
	v_pk_mul_f32 v[96:97], v[94:95], v[92:93] op_sel:[1,1] op_sel_hi:[0,1]
	s_delay_alu instid0(VALU_DEP_1) | instskip(SKIP_2) | instid1(VALU_DEP_3)
	v_pk_fma_f32 v[98:99], v[94:95], v[92:93], v[96:97] op_sel_hi:[1,0,1]
	v_add_nc_u32_e32 v91, 1, v91
	v_pk_fma_f32 v[92:93], v[94:95], v[92:93], v[96:97] neg_lo:[0,0,1] neg_hi:[0,0,1]
	v_mov_b32_e32 v93, v99
	s_delay_alu instid0(VALU_DEP_3) | instskip(NEXT) | instid1(VALU_DEP_2)
	v_cmp_lt_u32_e32 vcc_lo, 29, v91
	v_pk_add_f32 v[86:87], v[86:87], v[92:93]
	s_or_b32 s5, vcc_lo, s5
	s_delay_alu instid0(SALU_CYCLE_1)
	s_and_not1_b32 exec_lo, exec_lo, s5
	s_cbranch_execnz .LBB104_707
; %bb.708:
	s_or_b32 exec_lo, exec_lo, s5
.LBB104_709:
	s_delay_alu instid0(SALU_CYCLE_1) | instskip(SKIP_4) | instid1(VALU_DEP_1)
	s_or_b32 exec_lo, exec_lo, s4
	v_mov_b32_e32 v89, 0
	ds_load_b64 v[90:91], v89 offset:248
	s_wait_dscnt 0x0
	v_pk_mul_f32 v[92:93], v[86:87], v[90:91] op_sel:[1,1] op_sel_hi:[0,1]
	v_pk_fma_f32 v[94:95], v[86:87], v[90:91], v[92:93] op_sel_hi:[1,0,1]
	v_pk_fma_f32 v[86:87], v[86:87], v[90:91], v[92:93] neg_lo:[0,0,1] neg_hi:[0,0,1]
	s_delay_alu instid0(VALU_DEP_2)
	v_mov_b32_e32 v87, v95
	scratch_store_b64 off, v[86:87], off offset:248
.LBB104_710:
	s_wait_xcnt 0x0
	s_or_b32 exec_lo, exec_lo, s0
	scratch_load_b64 v[86:87], off, off offset:256
	s_mov_b32 s0, exec_lo
	s_wait_loadcnt 0x0
	ds_store_b64 v1, v[86:87]
	s_wait_storecnt_dscnt 0x0
	s_barrier_signal -1
	s_barrier_wait -1
	s_wait_xcnt 0x0
	v_cmpx_gt_u32_e32 32, v0
	s_cbranch_execz .LBB104_720
; %bb.711:
	v_cmp_ne_u32_e32 vcc_lo, 1, v88
	s_cbranch_vccnz .LBB104_713
; %bb.712:
	scratch_load_b64 v[86:87], v59, off
	ds_load_b64 v[90:91], v1
	s_wait_loadcnt_dscnt 0x0
	v_pk_mul_f32 v[92:93], v[90:91], v[86:87] op_sel:[1,1] op_sel_hi:[0,1]
	s_delay_alu instid0(VALU_DEP_1) | instskip(SKIP_1) | instid1(VALU_DEP_2)
	v_pk_fma_f32 v[94:95], v[90:91], v[86:87], v[92:93] op_sel_hi:[1,0,1]
	v_pk_fma_f32 v[86:87], v[90:91], v[86:87], v[92:93] neg_lo:[0,0,1] neg_hi:[0,0,1]
	v_mov_b32_e32 v87, v95
	s_cbranch_execz .LBB104_714
	s_branch .LBB104_715
.LBB104_713:
                                        ; implicit-def: $vgpr86_vgpr87
.LBB104_714:
	ds_load_b64 v[86:87], v1
.LBB104_715:
	s_mov_b32 s4, exec_lo
	v_cmpx_ne_u32_e32 31, v0
	s_cbranch_execz .LBB104_719
; %bb.716:
	v_add_nc_u32_e32 v89, 0x158, v58
	v_add3_u32 v90, 0, v58, 8
	v_mov_b32_e32 v91, v0
	s_mov_b32 s5, 0
.LBB104_717:                            ; =>This Inner Loop Header: Depth=1
	scratch_load_b64 v[92:93], v90, off
	ds_load_b64 v[94:95], v89
	s_wait_xcnt 0x0
	v_dual_add_nc_u32 v89, 8, v89 :: v_dual_add_nc_u32 v90, 8, v90
	s_wait_loadcnt_dscnt 0x0
	v_pk_mul_f32 v[96:97], v[94:95], v[92:93] op_sel:[1,1] op_sel_hi:[0,1]
	s_delay_alu instid0(VALU_DEP_1) | instskip(SKIP_2) | instid1(VALU_DEP_3)
	v_pk_fma_f32 v[98:99], v[94:95], v[92:93], v[96:97] op_sel_hi:[1,0,1]
	v_add_nc_u32_e32 v91, 1, v91
	v_pk_fma_f32 v[92:93], v[94:95], v[92:93], v[96:97] neg_lo:[0,0,1] neg_hi:[0,0,1]
	v_mov_b32_e32 v93, v99
	s_delay_alu instid0(VALU_DEP_3) | instskip(NEXT) | instid1(VALU_DEP_2)
	v_cmp_lt_u32_e32 vcc_lo, 30, v91
	v_pk_add_f32 v[86:87], v[86:87], v[92:93]
	s_or_b32 s5, vcc_lo, s5
	s_delay_alu instid0(SALU_CYCLE_1)
	s_and_not1_b32 exec_lo, exec_lo, s5
	s_cbranch_execnz .LBB104_717
; %bb.718:
	s_or_b32 exec_lo, exec_lo, s5
.LBB104_719:
	s_delay_alu instid0(SALU_CYCLE_1) | instskip(SKIP_4) | instid1(VALU_DEP_1)
	s_or_b32 exec_lo, exec_lo, s4
	v_mov_b32_e32 v89, 0
	ds_load_b64 v[90:91], v89 offset:256
	s_wait_dscnt 0x0
	v_pk_mul_f32 v[92:93], v[86:87], v[90:91] op_sel:[1,1] op_sel_hi:[0,1]
	v_pk_fma_f32 v[94:95], v[86:87], v[90:91], v[92:93] op_sel_hi:[1,0,1]
	v_pk_fma_f32 v[86:87], v[86:87], v[90:91], v[92:93] neg_lo:[0,0,1] neg_hi:[0,0,1]
	s_delay_alu instid0(VALU_DEP_2)
	v_mov_b32_e32 v87, v95
	scratch_store_b64 off, v[86:87], off offset:256
.LBB104_720:
	s_wait_xcnt 0x0
	s_or_b32 exec_lo, exec_lo, s0
	scratch_load_b64 v[86:87], off, off offset:264
	s_mov_b32 s0, exec_lo
	s_wait_loadcnt 0x0
	ds_store_b64 v1, v[86:87]
	s_wait_storecnt_dscnt 0x0
	s_barrier_signal -1
	s_barrier_wait -1
	s_wait_xcnt 0x0
	v_cmpx_gt_u32_e32 33, v0
	s_cbranch_execz .LBB104_730
; %bb.721:
	v_cmp_ne_u32_e32 vcc_lo, 1, v88
	s_cbranch_vccnz .LBB104_723
; %bb.722:
	scratch_load_b64 v[86:87], v59, off
	ds_load_b64 v[90:91], v1
	s_wait_loadcnt_dscnt 0x0
	v_pk_mul_f32 v[92:93], v[90:91], v[86:87] op_sel:[1,1] op_sel_hi:[0,1]
	s_delay_alu instid0(VALU_DEP_1) | instskip(SKIP_1) | instid1(VALU_DEP_2)
	v_pk_fma_f32 v[94:95], v[90:91], v[86:87], v[92:93] op_sel_hi:[1,0,1]
	v_pk_fma_f32 v[86:87], v[90:91], v[86:87], v[92:93] neg_lo:[0,0,1] neg_hi:[0,0,1]
	v_mov_b32_e32 v87, v95
	s_cbranch_execz .LBB104_724
	s_branch .LBB104_725
.LBB104_723:
                                        ; implicit-def: $vgpr86_vgpr87
.LBB104_724:
	ds_load_b64 v[86:87], v1
.LBB104_725:
	s_mov_b32 s4, exec_lo
	v_cmpx_ne_u32_e32 32, v0
	s_cbranch_execz .LBB104_729
; %bb.726:
	v_add_nc_u32_e32 v89, 0x158, v58
	v_add3_u32 v90, 0, v58, 8
	v_mov_b32_e32 v91, v0
	s_mov_b32 s5, 0
.LBB104_727:                            ; =>This Inner Loop Header: Depth=1
	scratch_load_b64 v[92:93], v90, off
	ds_load_b64 v[94:95], v89
	s_wait_xcnt 0x0
	v_dual_add_nc_u32 v89, 8, v89 :: v_dual_add_nc_u32 v90, 8, v90
	s_wait_loadcnt_dscnt 0x0
	v_pk_mul_f32 v[96:97], v[94:95], v[92:93] op_sel:[1,1] op_sel_hi:[0,1]
	s_delay_alu instid0(VALU_DEP_1) | instskip(SKIP_2) | instid1(VALU_DEP_3)
	v_pk_fma_f32 v[98:99], v[94:95], v[92:93], v[96:97] op_sel_hi:[1,0,1]
	v_add_nc_u32_e32 v91, 1, v91
	v_pk_fma_f32 v[92:93], v[94:95], v[92:93], v[96:97] neg_lo:[0,0,1] neg_hi:[0,0,1]
	v_mov_b32_e32 v93, v99
	s_delay_alu instid0(VALU_DEP_3) | instskip(NEXT) | instid1(VALU_DEP_2)
	v_cmp_lt_u32_e32 vcc_lo, 31, v91
	v_pk_add_f32 v[86:87], v[86:87], v[92:93]
	s_or_b32 s5, vcc_lo, s5
	s_delay_alu instid0(SALU_CYCLE_1)
	s_and_not1_b32 exec_lo, exec_lo, s5
	s_cbranch_execnz .LBB104_727
; %bb.728:
	s_or_b32 exec_lo, exec_lo, s5
.LBB104_729:
	s_delay_alu instid0(SALU_CYCLE_1) | instskip(SKIP_4) | instid1(VALU_DEP_1)
	s_or_b32 exec_lo, exec_lo, s4
	v_mov_b32_e32 v89, 0
	ds_load_b64 v[90:91], v89 offset:264
	s_wait_dscnt 0x0
	v_pk_mul_f32 v[92:93], v[86:87], v[90:91] op_sel:[1,1] op_sel_hi:[0,1]
	v_pk_fma_f32 v[94:95], v[86:87], v[90:91], v[92:93] op_sel_hi:[1,0,1]
	v_pk_fma_f32 v[86:87], v[86:87], v[90:91], v[92:93] neg_lo:[0,0,1] neg_hi:[0,0,1]
	s_delay_alu instid0(VALU_DEP_2)
	v_mov_b32_e32 v87, v95
	scratch_store_b64 off, v[86:87], off offset:264
.LBB104_730:
	s_wait_xcnt 0x0
	s_or_b32 exec_lo, exec_lo, s0
	scratch_load_b64 v[86:87], off, off offset:272
	s_mov_b32 s0, exec_lo
	s_wait_loadcnt 0x0
	ds_store_b64 v1, v[86:87]
	s_wait_storecnt_dscnt 0x0
	s_barrier_signal -1
	s_barrier_wait -1
	s_wait_xcnt 0x0
	v_cmpx_gt_u32_e32 34, v0
	s_cbranch_execz .LBB104_740
; %bb.731:
	v_cmp_ne_u32_e32 vcc_lo, 1, v88
	s_cbranch_vccnz .LBB104_733
; %bb.732:
	scratch_load_b64 v[86:87], v59, off
	ds_load_b64 v[90:91], v1
	s_wait_loadcnt_dscnt 0x0
	v_pk_mul_f32 v[92:93], v[90:91], v[86:87] op_sel:[1,1] op_sel_hi:[0,1]
	s_delay_alu instid0(VALU_DEP_1) | instskip(SKIP_1) | instid1(VALU_DEP_2)
	v_pk_fma_f32 v[94:95], v[90:91], v[86:87], v[92:93] op_sel_hi:[1,0,1]
	v_pk_fma_f32 v[86:87], v[90:91], v[86:87], v[92:93] neg_lo:[0,0,1] neg_hi:[0,0,1]
	v_mov_b32_e32 v87, v95
	s_cbranch_execz .LBB104_734
	s_branch .LBB104_735
.LBB104_733:
                                        ; implicit-def: $vgpr86_vgpr87
.LBB104_734:
	ds_load_b64 v[86:87], v1
.LBB104_735:
	s_mov_b32 s4, exec_lo
	v_cmpx_ne_u32_e32 33, v0
	s_cbranch_execz .LBB104_739
; %bb.736:
	v_add_nc_u32_e32 v89, 0x158, v58
	v_add3_u32 v90, 0, v58, 8
	v_mov_b32_e32 v91, v0
	s_mov_b32 s5, 0
.LBB104_737:                            ; =>This Inner Loop Header: Depth=1
	scratch_load_b64 v[92:93], v90, off
	ds_load_b64 v[94:95], v89
	s_wait_xcnt 0x0
	v_dual_add_nc_u32 v89, 8, v89 :: v_dual_add_nc_u32 v90, 8, v90
	s_wait_loadcnt_dscnt 0x0
	v_pk_mul_f32 v[96:97], v[94:95], v[92:93] op_sel:[1,1] op_sel_hi:[0,1]
	s_delay_alu instid0(VALU_DEP_1) | instskip(SKIP_2) | instid1(VALU_DEP_3)
	v_pk_fma_f32 v[98:99], v[94:95], v[92:93], v[96:97] op_sel_hi:[1,0,1]
	v_add_nc_u32_e32 v91, 1, v91
	v_pk_fma_f32 v[92:93], v[94:95], v[92:93], v[96:97] neg_lo:[0,0,1] neg_hi:[0,0,1]
	v_mov_b32_e32 v93, v99
	s_delay_alu instid0(VALU_DEP_3) | instskip(NEXT) | instid1(VALU_DEP_2)
	v_cmp_lt_u32_e32 vcc_lo, 32, v91
	v_pk_add_f32 v[86:87], v[86:87], v[92:93]
	s_or_b32 s5, vcc_lo, s5
	s_delay_alu instid0(SALU_CYCLE_1)
	s_and_not1_b32 exec_lo, exec_lo, s5
	s_cbranch_execnz .LBB104_737
; %bb.738:
	s_or_b32 exec_lo, exec_lo, s5
.LBB104_739:
	s_delay_alu instid0(SALU_CYCLE_1) | instskip(SKIP_4) | instid1(VALU_DEP_1)
	s_or_b32 exec_lo, exec_lo, s4
	v_mov_b32_e32 v89, 0
	ds_load_b64 v[90:91], v89 offset:272
	s_wait_dscnt 0x0
	v_pk_mul_f32 v[92:93], v[86:87], v[90:91] op_sel:[1,1] op_sel_hi:[0,1]
	v_pk_fma_f32 v[94:95], v[86:87], v[90:91], v[92:93] op_sel_hi:[1,0,1]
	v_pk_fma_f32 v[86:87], v[86:87], v[90:91], v[92:93] neg_lo:[0,0,1] neg_hi:[0,0,1]
	s_delay_alu instid0(VALU_DEP_2)
	v_mov_b32_e32 v87, v95
	scratch_store_b64 off, v[86:87], off offset:272
.LBB104_740:
	s_wait_xcnt 0x0
	s_or_b32 exec_lo, exec_lo, s0
	scratch_load_b64 v[86:87], off, off offset:280
	s_mov_b32 s0, exec_lo
	s_wait_loadcnt 0x0
	ds_store_b64 v1, v[86:87]
	s_wait_storecnt_dscnt 0x0
	s_barrier_signal -1
	s_barrier_wait -1
	s_wait_xcnt 0x0
	v_cmpx_gt_u32_e32 35, v0
	s_cbranch_execz .LBB104_750
; %bb.741:
	v_cmp_ne_u32_e32 vcc_lo, 1, v88
	s_cbranch_vccnz .LBB104_743
; %bb.742:
	scratch_load_b64 v[86:87], v59, off
	ds_load_b64 v[90:91], v1
	s_wait_loadcnt_dscnt 0x0
	v_pk_mul_f32 v[92:93], v[90:91], v[86:87] op_sel:[1,1] op_sel_hi:[0,1]
	s_delay_alu instid0(VALU_DEP_1) | instskip(SKIP_1) | instid1(VALU_DEP_2)
	v_pk_fma_f32 v[94:95], v[90:91], v[86:87], v[92:93] op_sel_hi:[1,0,1]
	v_pk_fma_f32 v[86:87], v[90:91], v[86:87], v[92:93] neg_lo:[0,0,1] neg_hi:[0,0,1]
	v_mov_b32_e32 v87, v95
	s_cbranch_execz .LBB104_744
	s_branch .LBB104_745
.LBB104_743:
                                        ; implicit-def: $vgpr86_vgpr87
.LBB104_744:
	ds_load_b64 v[86:87], v1
.LBB104_745:
	s_mov_b32 s4, exec_lo
	v_cmpx_ne_u32_e32 34, v0
	s_cbranch_execz .LBB104_749
; %bb.746:
	v_add_nc_u32_e32 v89, 0x158, v58
	v_add3_u32 v90, 0, v58, 8
	v_mov_b32_e32 v91, v0
	s_mov_b32 s5, 0
.LBB104_747:                            ; =>This Inner Loop Header: Depth=1
	scratch_load_b64 v[92:93], v90, off
	ds_load_b64 v[94:95], v89
	s_wait_xcnt 0x0
	v_dual_add_nc_u32 v89, 8, v89 :: v_dual_add_nc_u32 v90, 8, v90
	s_wait_loadcnt_dscnt 0x0
	v_pk_mul_f32 v[96:97], v[94:95], v[92:93] op_sel:[1,1] op_sel_hi:[0,1]
	s_delay_alu instid0(VALU_DEP_1) | instskip(SKIP_2) | instid1(VALU_DEP_3)
	v_pk_fma_f32 v[98:99], v[94:95], v[92:93], v[96:97] op_sel_hi:[1,0,1]
	v_add_nc_u32_e32 v91, 1, v91
	v_pk_fma_f32 v[92:93], v[94:95], v[92:93], v[96:97] neg_lo:[0,0,1] neg_hi:[0,0,1]
	v_mov_b32_e32 v93, v99
	s_delay_alu instid0(VALU_DEP_3) | instskip(NEXT) | instid1(VALU_DEP_2)
	v_cmp_lt_u32_e32 vcc_lo, 33, v91
	v_pk_add_f32 v[86:87], v[86:87], v[92:93]
	s_or_b32 s5, vcc_lo, s5
	s_delay_alu instid0(SALU_CYCLE_1)
	s_and_not1_b32 exec_lo, exec_lo, s5
	s_cbranch_execnz .LBB104_747
; %bb.748:
	s_or_b32 exec_lo, exec_lo, s5
.LBB104_749:
	s_delay_alu instid0(SALU_CYCLE_1) | instskip(SKIP_4) | instid1(VALU_DEP_1)
	s_or_b32 exec_lo, exec_lo, s4
	v_mov_b32_e32 v89, 0
	ds_load_b64 v[90:91], v89 offset:280
	s_wait_dscnt 0x0
	v_pk_mul_f32 v[92:93], v[86:87], v[90:91] op_sel:[1,1] op_sel_hi:[0,1]
	v_pk_fma_f32 v[94:95], v[86:87], v[90:91], v[92:93] op_sel_hi:[1,0,1]
	v_pk_fma_f32 v[86:87], v[86:87], v[90:91], v[92:93] neg_lo:[0,0,1] neg_hi:[0,0,1]
	s_delay_alu instid0(VALU_DEP_2)
	v_mov_b32_e32 v87, v95
	scratch_store_b64 off, v[86:87], off offset:280
.LBB104_750:
	s_wait_xcnt 0x0
	s_or_b32 exec_lo, exec_lo, s0
	scratch_load_b64 v[86:87], off, off offset:288
	s_mov_b32 s0, exec_lo
	s_wait_loadcnt 0x0
	ds_store_b64 v1, v[86:87]
	s_wait_storecnt_dscnt 0x0
	s_barrier_signal -1
	s_barrier_wait -1
	s_wait_xcnt 0x0
	v_cmpx_gt_u32_e32 36, v0
	s_cbranch_execz .LBB104_760
; %bb.751:
	v_cmp_ne_u32_e32 vcc_lo, 1, v88
	s_cbranch_vccnz .LBB104_753
; %bb.752:
	scratch_load_b64 v[86:87], v59, off
	ds_load_b64 v[90:91], v1
	s_wait_loadcnt_dscnt 0x0
	v_pk_mul_f32 v[92:93], v[90:91], v[86:87] op_sel:[1,1] op_sel_hi:[0,1]
	s_delay_alu instid0(VALU_DEP_1) | instskip(SKIP_1) | instid1(VALU_DEP_2)
	v_pk_fma_f32 v[94:95], v[90:91], v[86:87], v[92:93] op_sel_hi:[1,0,1]
	v_pk_fma_f32 v[86:87], v[90:91], v[86:87], v[92:93] neg_lo:[0,0,1] neg_hi:[0,0,1]
	v_mov_b32_e32 v87, v95
	s_cbranch_execz .LBB104_754
	s_branch .LBB104_755
.LBB104_753:
                                        ; implicit-def: $vgpr86_vgpr87
.LBB104_754:
	ds_load_b64 v[86:87], v1
.LBB104_755:
	s_mov_b32 s4, exec_lo
	v_cmpx_ne_u32_e32 35, v0
	s_cbranch_execz .LBB104_759
; %bb.756:
	v_add_nc_u32_e32 v89, 0x158, v58
	v_add3_u32 v90, 0, v58, 8
	v_mov_b32_e32 v91, v0
	s_mov_b32 s5, 0
.LBB104_757:                            ; =>This Inner Loop Header: Depth=1
	scratch_load_b64 v[92:93], v90, off
	ds_load_b64 v[94:95], v89
	s_wait_xcnt 0x0
	v_dual_add_nc_u32 v89, 8, v89 :: v_dual_add_nc_u32 v90, 8, v90
	s_wait_loadcnt_dscnt 0x0
	v_pk_mul_f32 v[96:97], v[94:95], v[92:93] op_sel:[1,1] op_sel_hi:[0,1]
	s_delay_alu instid0(VALU_DEP_1) | instskip(SKIP_2) | instid1(VALU_DEP_3)
	v_pk_fma_f32 v[98:99], v[94:95], v[92:93], v[96:97] op_sel_hi:[1,0,1]
	v_add_nc_u32_e32 v91, 1, v91
	v_pk_fma_f32 v[92:93], v[94:95], v[92:93], v[96:97] neg_lo:[0,0,1] neg_hi:[0,0,1]
	v_mov_b32_e32 v93, v99
	s_delay_alu instid0(VALU_DEP_3) | instskip(NEXT) | instid1(VALU_DEP_2)
	v_cmp_lt_u32_e32 vcc_lo, 34, v91
	v_pk_add_f32 v[86:87], v[86:87], v[92:93]
	s_or_b32 s5, vcc_lo, s5
	s_delay_alu instid0(SALU_CYCLE_1)
	s_and_not1_b32 exec_lo, exec_lo, s5
	s_cbranch_execnz .LBB104_757
; %bb.758:
	s_or_b32 exec_lo, exec_lo, s5
.LBB104_759:
	s_delay_alu instid0(SALU_CYCLE_1) | instskip(SKIP_4) | instid1(VALU_DEP_1)
	s_or_b32 exec_lo, exec_lo, s4
	v_mov_b32_e32 v89, 0
	ds_load_b64 v[90:91], v89 offset:288
	s_wait_dscnt 0x0
	v_pk_mul_f32 v[92:93], v[86:87], v[90:91] op_sel:[1,1] op_sel_hi:[0,1]
	v_pk_fma_f32 v[94:95], v[86:87], v[90:91], v[92:93] op_sel_hi:[1,0,1]
	v_pk_fma_f32 v[86:87], v[86:87], v[90:91], v[92:93] neg_lo:[0,0,1] neg_hi:[0,0,1]
	s_delay_alu instid0(VALU_DEP_2)
	v_mov_b32_e32 v87, v95
	scratch_store_b64 off, v[86:87], off offset:288
.LBB104_760:
	s_wait_xcnt 0x0
	s_or_b32 exec_lo, exec_lo, s0
	scratch_load_b64 v[86:87], off, off offset:296
	s_mov_b32 s0, exec_lo
	s_wait_loadcnt 0x0
	ds_store_b64 v1, v[86:87]
	s_wait_storecnt_dscnt 0x0
	s_barrier_signal -1
	s_barrier_wait -1
	s_wait_xcnt 0x0
	v_cmpx_gt_u32_e32 37, v0
	s_cbranch_execz .LBB104_770
; %bb.761:
	v_cmp_ne_u32_e32 vcc_lo, 1, v88
	s_cbranch_vccnz .LBB104_763
; %bb.762:
	scratch_load_b64 v[86:87], v59, off
	ds_load_b64 v[90:91], v1
	s_wait_loadcnt_dscnt 0x0
	v_pk_mul_f32 v[92:93], v[90:91], v[86:87] op_sel:[1,1] op_sel_hi:[0,1]
	s_delay_alu instid0(VALU_DEP_1) | instskip(SKIP_1) | instid1(VALU_DEP_2)
	v_pk_fma_f32 v[94:95], v[90:91], v[86:87], v[92:93] op_sel_hi:[1,0,1]
	v_pk_fma_f32 v[86:87], v[90:91], v[86:87], v[92:93] neg_lo:[0,0,1] neg_hi:[0,0,1]
	v_mov_b32_e32 v87, v95
	s_cbranch_execz .LBB104_764
	s_branch .LBB104_765
.LBB104_763:
                                        ; implicit-def: $vgpr86_vgpr87
.LBB104_764:
	ds_load_b64 v[86:87], v1
.LBB104_765:
	s_mov_b32 s4, exec_lo
	v_cmpx_ne_u32_e32 36, v0
	s_cbranch_execz .LBB104_769
; %bb.766:
	v_add_nc_u32_e32 v89, 0x158, v58
	v_add3_u32 v90, 0, v58, 8
	v_mov_b32_e32 v91, v0
	s_mov_b32 s5, 0
.LBB104_767:                            ; =>This Inner Loop Header: Depth=1
	scratch_load_b64 v[92:93], v90, off
	ds_load_b64 v[94:95], v89
	s_wait_xcnt 0x0
	v_dual_add_nc_u32 v89, 8, v89 :: v_dual_add_nc_u32 v90, 8, v90
	s_wait_loadcnt_dscnt 0x0
	v_pk_mul_f32 v[96:97], v[94:95], v[92:93] op_sel:[1,1] op_sel_hi:[0,1]
	s_delay_alu instid0(VALU_DEP_1) | instskip(SKIP_2) | instid1(VALU_DEP_3)
	v_pk_fma_f32 v[98:99], v[94:95], v[92:93], v[96:97] op_sel_hi:[1,0,1]
	v_add_nc_u32_e32 v91, 1, v91
	v_pk_fma_f32 v[92:93], v[94:95], v[92:93], v[96:97] neg_lo:[0,0,1] neg_hi:[0,0,1]
	v_mov_b32_e32 v93, v99
	s_delay_alu instid0(VALU_DEP_3) | instskip(NEXT) | instid1(VALU_DEP_2)
	v_cmp_lt_u32_e32 vcc_lo, 35, v91
	v_pk_add_f32 v[86:87], v[86:87], v[92:93]
	s_or_b32 s5, vcc_lo, s5
	s_delay_alu instid0(SALU_CYCLE_1)
	s_and_not1_b32 exec_lo, exec_lo, s5
	s_cbranch_execnz .LBB104_767
; %bb.768:
	s_or_b32 exec_lo, exec_lo, s5
.LBB104_769:
	s_delay_alu instid0(SALU_CYCLE_1) | instskip(SKIP_4) | instid1(VALU_DEP_1)
	s_or_b32 exec_lo, exec_lo, s4
	v_mov_b32_e32 v89, 0
	ds_load_b64 v[90:91], v89 offset:296
	s_wait_dscnt 0x0
	v_pk_mul_f32 v[92:93], v[86:87], v[90:91] op_sel:[1,1] op_sel_hi:[0,1]
	v_pk_fma_f32 v[94:95], v[86:87], v[90:91], v[92:93] op_sel_hi:[1,0,1]
	v_pk_fma_f32 v[86:87], v[86:87], v[90:91], v[92:93] neg_lo:[0,0,1] neg_hi:[0,0,1]
	s_delay_alu instid0(VALU_DEP_2)
	v_mov_b32_e32 v87, v95
	scratch_store_b64 off, v[86:87], off offset:296
.LBB104_770:
	s_wait_xcnt 0x0
	s_or_b32 exec_lo, exec_lo, s0
	scratch_load_b64 v[86:87], off, off offset:304
	s_mov_b32 s0, exec_lo
	s_wait_loadcnt 0x0
	ds_store_b64 v1, v[86:87]
	s_wait_storecnt_dscnt 0x0
	s_barrier_signal -1
	s_barrier_wait -1
	s_wait_xcnt 0x0
	v_cmpx_gt_u32_e32 38, v0
	s_cbranch_execz .LBB104_780
; %bb.771:
	v_cmp_ne_u32_e32 vcc_lo, 1, v88
	s_cbranch_vccnz .LBB104_773
; %bb.772:
	scratch_load_b64 v[86:87], v59, off
	ds_load_b64 v[90:91], v1
	s_wait_loadcnt_dscnt 0x0
	v_pk_mul_f32 v[92:93], v[90:91], v[86:87] op_sel:[1,1] op_sel_hi:[0,1]
	s_delay_alu instid0(VALU_DEP_1) | instskip(SKIP_1) | instid1(VALU_DEP_2)
	v_pk_fma_f32 v[94:95], v[90:91], v[86:87], v[92:93] op_sel_hi:[1,0,1]
	v_pk_fma_f32 v[86:87], v[90:91], v[86:87], v[92:93] neg_lo:[0,0,1] neg_hi:[0,0,1]
	v_mov_b32_e32 v87, v95
	s_cbranch_execz .LBB104_774
	s_branch .LBB104_775
.LBB104_773:
                                        ; implicit-def: $vgpr86_vgpr87
.LBB104_774:
	ds_load_b64 v[86:87], v1
.LBB104_775:
	s_mov_b32 s4, exec_lo
	v_cmpx_ne_u32_e32 37, v0
	s_cbranch_execz .LBB104_779
; %bb.776:
	v_add_nc_u32_e32 v89, 0x158, v58
	v_add3_u32 v90, 0, v58, 8
	v_mov_b32_e32 v91, v0
	s_mov_b32 s5, 0
.LBB104_777:                            ; =>This Inner Loop Header: Depth=1
	scratch_load_b64 v[92:93], v90, off
	ds_load_b64 v[94:95], v89
	s_wait_xcnt 0x0
	v_dual_add_nc_u32 v89, 8, v89 :: v_dual_add_nc_u32 v90, 8, v90
	s_wait_loadcnt_dscnt 0x0
	v_pk_mul_f32 v[96:97], v[94:95], v[92:93] op_sel:[1,1] op_sel_hi:[0,1]
	s_delay_alu instid0(VALU_DEP_1) | instskip(SKIP_2) | instid1(VALU_DEP_3)
	v_pk_fma_f32 v[98:99], v[94:95], v[92:93], v[96:97] op_sel_hi:[1,0,1]
	v_add_nc_u32_e32 v91, 1, v91
	v_pk_fma_f32 v[92:93], v[94:95], v[92:93], v[96:97] neg_lo:[0,0,1] neg_hi:[0,0,1]
	v_mov_b32_e32 v93, v99
	s_delay_alu instid0(VALU_DEP_3) | instskip(NEXT) | instid1(VALU_DEP_2)
	v_cmp_lt_u32_e32 vcc_lo, 36, v91
	v_pk_add_f32 v[86:87], v[86:87], v[92:93]
	s_or_b32 s5, vcc_lo, s5
	s_delay_alu instid0(SALU_CYCLE_1)
	s_and_not1_b32 exec_lo, exec_lo, s5
	s_cbranch_execnz .LBB104_777
; %bb.778:
	s_or_b32 exec_lo, exec_lo, s5
.LBB104_779:
	s_delay_alu instid0(SALU_CYCLE_1) | instskip(SKIP_4) | instid1(VALU_DEP_1)
	s_or_b32 exec_lo, exec_lo, s4
	v_mov_b32_e32 v89, 0
	ds_load_b64 v[90:91], v89 offset:304
	s_wait_dscnt 0x0
	v_pk_mul_f32 v[92:93], v[86:87], v[90:91] op_sel:[1,1] op_sel_hi:[0,1]
	v_pk_fma_f32 v[94:95], v[86:87], v[90:91], v[92:93] op_sel_hi:[1,0,1]
	v_pk_fma_f32 v[86:87], v[86:87], v[90:91], v[92:93] neg_lo:[0,0,1] neg_hi:[0,0,1]
	s_delay_alu instid0(VALU_DEP_2)
	v_mov_b32_e32 v87, v95
	scratch_store_b64 off, v[86:87], off offset:304
.LBB104_780:
	s_wait_xcnt 0x0
	s_or_b32 exec_lo, exec_lo, s0
	scratch_load_b64 v[86:87], off, off offset:312
	v_cmp_gt_u32_e64 s0, 39, v0
	s_wait_loadcnt 0x0
	ds_store_b64 v1, v[86:87]
	s_wait_storecnt_dscnt 0x0
	s_barrier_signal -1
	s_barrier_wait -1
	s_wait_xcnt 0x0
	s_and_saveexec_b32 s4, s0
	s_cbranch_execz .LBB104_790
; %bb.781:
	v_cmp_ne_u32_e32 vcc_lo, 1, v88
	s_cbranch_vccnz .LBB104_783
; %bb.782:
	scratch_load_b64 v[86:87], v59, off
	ds_load_b64 v[90:91], v1
	s_wait_loadcnt_dscnt 0x0
	v_pk_mul_f32 v[92:93], v[90:91], v[86:87] op_sel:[1,1] op_sel_hi:[0,1]
	s_delay_alu instid0(VALU_DEP_1) | instskip(SKIP_1) | instid1(VALU_DEP_2)
	v_pk_fma_f32 v[94:95], v[90:91], v[86:87], v[92:93] op_sel_hi:[1,0,1]
	v_pk_fma_f32 v[86:87], v[90:91], v[86:87], v[92:93] neg_lo:[0,0,1] neg_hi:[0,0,1]
	v_mov_b32_e32 v87, v95
	s_cbranch_execz .LBB104_784
	s_branch .LBB104_785
.LBB104_783:
                                        ; implicit-def: $vgpr86_vgpr87
.LBB104_784:
	ds_load_b64 v[86:87], v1
.LBB104_785:
	s_mov_b32 s5, exec_lo
	v_cmpx_ne_u32_e32 38, v0
	s_cbranch_execz .LBB104_789
; %bb.786:
	v_add_nc_u32_e32 v89, 0x158, v58
	v_add3_u32 v90, 0, v58, 8
	v_mov_b32_e32 v91, v0
	s_mov_b32 s6, 0
.LBB104_787:                            ; =>This Inner Loop Header: Depth=1
	scratch_load_b64 v[92:93], v90, off
	ds_load_b64 v[94:95], v89
	s_wait_xcnt 0x0
	v_dual_add_nc_u32 v89, 8, v89 :: v_dual_add_nc_u32 v90, 8, v90
	s_wait_loadcnt_dscnt 0x0
	v_pk_mul_f32 v[96:97], v[94:95], v[92:93] op_sel:[1,1] op_sel_hi:[0,1]
	s_delay_alu instid0(VALU_DEP_1) | instskip(SKIP_2) | instid1(VALU_DEP_3)
	v_pk_fma_f32 v[98:99], v[94:95], v[92:93], v[96:97] op_sel_hi:[1,0,1]
	v_add_nc_u32_e32 v91, 1, v91
	v_pk_fma_f32 v[92:93], v[94:95], v[92:93], v[96:97] neg_lo:[0,0,1] neg_hi:[0,0,1]
	v_mov_b32_e32 v93, v99
	s_delay_alu instid0(VALU_DEP_3) | instskip(NEXT) | instid1(VALU_DEP_2)
	v_cmp_lt_u32_e32 vcc_lo, 37, v91
	v_pk_add_f32 v[86:87], v[86:87], v[92:93]
	s_or_b32 s6, vcc_lo, s6
	s_delay_alu instid0(SALU_CYCLE_1)
	s_and_not1_b32 exec_lo, exec_lo, s6
	s_cbranch_execnz .LBB104_787
; %bb.788:
	s_or_b32 exec_lo, exec_lo, s6
.LBB104_789:
	s_delay_alu instid0(SALU_CYCLE_1) | instskip(SKIP_4) | instid1(VALU_DEP_1)
	s_or_b32 exec_lo, exec_lo, s5
	v_mov_b32_e32 v89, 0
	ds_load_b64 v[90:91], v89 offset:312
	s_wait_dscnt 0x0
	v_pk_mul_f32 v[92:93], v[86:87], v[90:91] op_sel:[1,1] op_sel_hi:[0,1]
	v_pk_fma_f32 v[94:95], v[86:87], v[90:91], v[92:93] op_sel_hi:[1,0,1]
	v_pk_fma_f32 v[86:87], v[86:87], v[90:91], v[92:93] neg_lo:[0,0,1] neg_hi:[0,0,1]
	s_delay_alu instid0(VALU_DEP_2)
	v_mov_b32_e32 v87, v95
	scratch_store_b64 off, v[86:87], off offset:312
.LBB104_790:
	s_wait_xcnt 0x0
	s_or_b32 exec_lo, exec_lo, s4
	scratch_load_b64 v[86:87], off, off offset:320
	s_mov_b32 s4, exec_lo
                                        ; implicit-def: $vgpr122
                                        ; implicit-def: $sgpr7
	s_wait_loadcnt 0x0
	ds_store_b64 v1, v[86:87]
	s_wait_storecnt_dscnt 0x0
	s_barrier_signal -1
	s_barrier_wait -1
	s_wait_xcnt 0x0
	v_cmpx_ne_u32_e32 40, v0
	s_cbranch_execz .LBB104_800
; %bb.791:
	v_cmp_ne_u32_e32 vcc_lo, 1, v88
	s_cbranch_vccnz .LBB104_793
; %bb.792:
	scratch_load_b64 v[88:89], v59, off
	ds_load_b64 v[90:91], v1
	s_wait_loadcnt_dscnt 0x0
	v_dual_mul_f32 v59, v91, v89 :: v_dual_mul_f32 v87, v90, v89
	s_delay_alu instid0(VALU_DEP_1) | instskip(NEXT) | instid1(VALU_DEP_2)
	v_fma_f32 v86, v90, v88, -v59
	v_fmac_f32_e32 v87, v91, v88
	s_cbranch_execz .LBB104_794
	s_branch .LBB104_795
.LBB104_793:
                                        ; implicit-def: $vgpr87
.LBB104_794:
	ds_load_b64 v[86:87], v1
.LBB104_795:
	s_and_saveexec_b32 s5, s0
	s_cbranch_execz .LBB104_799
; %bb.796:
	v_add_nc_u32_e32 v1, 0x158, v58
	v_add3_u32 v58, 0, v58, 8
	s_mov_b32 s0, 0
.LBB104_797:                            ; =>This Inner Loop Header: Depth=1
	scratch_load_b64 v[88:89], v58, off
	ds_load_b64 v[90:91], v1
	v_dual_add_nc_u32 v0, 1, v0 :: v_dual_add_nc_u32 v1, 8, v1
	s_delay_alu instid0(VALU_DEP_1) | instskip(SKIP_3) | instid1(VALU_DEP_1)
	v_cmp_lt_u32_e32 vcc_lo, 38, v0
	s_or_b32 s0, vcc_lo, s0
	s_wait_loadcnt_dscnt 0x0
	v_dual_mul_f32 v59, v91, v89 :: v_dual_mul_f32 v89, v90, v89
	v_dual_fma_f32 v59, v90, v88, -v59 :: v_dual_fmac_f32 v89, v91, v88
	s_delay_alu instid0(VALU_DEP_1) | instskip(NEXT) | instid1(VALU_DEP_2)
	v_dual_add_nc_u32 v58, 8, v58 :: v_dual_add_f32 v86, v86, v59
	v_add_f32_e32 v87, v87, v89
	s_and_not1_b32 exec_lo, exec_lo, s0
	s_cbranch_execnz .LBB104_797
; %bb.798:
	s_or_b32 exec_lo, exec_lo, s0
.LBB104_799:
	s_delay_alu instid0(SALU_CYCLE_1)
	s_or_b32 exec_lo, exec_lo, s5
	v_mov_b32_e32 v0, 0
	s_movk_i32 s7, 0x144
	s_or_b32 s1, s1, exec_lo
	ds_load_b64 v[0:1], v0 offset:320
	s_wait_dscnt 0x0
	v_dual_mul_f32 v58, v87, v1 :: v_dual_mul_f32 v122, v86, v1
	s_delay_alu instid0(VALU_DEP_1) | instskip(NEXT) | instid1(VALU_DEP_2)
	v_fma_f32 v1, v86, v0, -v58
	v_fmac_f32_e32 v122, v87, v0
	scratch_store_b32 off, v1, off offset:320
.LBB104_800:
	s_wait_xcnt 0x0
	s_or_b32 exec_lo, exec_lo, s4
.LBB104_801:
	v_lshl_add_u64 v[120:121], v[6:7], 3, s[2:3]
	v_lshl_add_u64 v[118:119], v[8:9], 3, s[2:3]
	;; [unrolled: 1-line block ×39, first 2 shown]
	s_and_saveexec_b32 s0, s1
	s_cbranch_execz .LBB104_803
; %bb.802:
	scratch_store_b32 off, v122, s7
.LBB104_803:
	s_wait_xcnt 0x0
	s_or_b32 exec_lo, exec_lo, s0
	scratch_load_b64 v[44:45], off, off
	s_wait_loadcnt 0x0
	flat_store_b64 v[2:3], v[44:45]
	scratch_load_b64 v[2:3], off, off offset:8
	s_wait_loadcnt 0x0
	flat_store_b64 v[4:5], v[2:3]
	scratch_load_b64 v[2:3], off, off offset:16
	;; [unrolled: 3-line block ×40, first 2 shown]
	s_wait_loadcnt 0x0
	flat_store_b64 v[0:1], v[2:3]
.LBB104_804:
	s_sendmsg sendmsg(MSG_DEALLOC_VGPRS)
	s_endpgm
	.section	.rodata,"a",@progbits
	.p2align	6, 0x0
	.amdhsa_kernel _ZN9rocsolver6v33100L18trti2_kernel_smallILi41E19rocblas_complex_numIfEPKPS3_EEv13rocblas_fill_17rocblas_diagonal_T1_iil
		.amdhsa_group_segment_fixed_size 664
		.amdhsa_private_segment_fixed_size 336
		.amdhsa_kernarg_size 32
		.amdhsa_user_sgpr_count 2
		.amdhsa_user_sgpr_dispatch_ptr 0
		.amdhsa_user_sgpr_queue_ptr 0
		.amdhsa_user_sgpr_kernarg_segment_ptr 1
		.amdhsa_user_sgpr_dispatch_id 0
		.amdhsa_user_sgpr_kernarg_preload_length 0
		.amdhsa_user_sgpr_kernarg_preload_offset 0
		.amdhsa_user_sgpr_private_segment_size 0
		.amdhsa_wavefront_size32 1
		.amdhsa_uses_dynamic_stack 0
		.amdhsa_enable_private_segment 1
		.amdhsa_system_sgpr_workgroup_id_x 1
		.amdhsa_system_sgpr_workgroup_id_y 0
		.amdhsa_system_sgpr_workgroup_id_z 0
		.amdhsa_system_sgpr_workgroup_info 0
		.amdhsa_system_vgpr_workitem_id 0
		.amdhsa_next_free_vgpr 123
		.amdhsa_next_free_sgpr 47
		.amdhsa_named_barrier_count 0
		.amdhsa_reserve_vcc 1
		.amdhsa_float_round_mode_32 0
		.amdhsa_float_round_mode_16_64 0
		.amdhsa_float_denorm_mode_32 3
		.amdhsa_float_denorm_mode_16_64 3
		.amdhsa_fp16_overflow 0
		.amdhsa_memory_ordered 1
		.amdhsa_forward_progress 1
		.amdhsa_inst_pref_size 247
		.amdhsa_round_robin_scheduling 0
		.amdhsa_exception_fp_ieee_invalid_op 0
		.amdhsa_exception_fp_denorm_src 0
		.amdhsa_exception_fp_ieee_div_zero 0
		.amdhsa_exception_fp_ieee_overflow 0
		.amdhsa_exception_fp_ieee_underflow 0
		.amdhsa_exception_fp_ieee_inexact 0
		.amdhsa_exception_int_div_zero 0
	.end_amdhsa_kernel
	.section	.text._ZN9rocsolver6v33100L18trti2_kernel_smallILi41E19rocblas_complex_numIfEPKPS3_EEv13rocblas_fill_17rocblas_diagonal_T1_iil,"axG",@progbits,_ZN9rocsolver6v33100L18trti2_kernel_smallILi41E19rocblas_complex_numIfEPKPS3_EEv13rocblas_fill_17rocblas_diagonal_T1_iil,comdat
.Lfunc_end104:
	.size	_ZN9rocsolver6v33100L18trti2_kernel_smallILi41E19rocblas_complex_numIfEPKPS3_EEv13rocblas_fill_17rocblas_diagonal_T1_iil, .Lfunc_end104-_ZN9rocsolver6v33100L18trti2_kernel_smallILi41E19rocblas_complex_numIfEPKPS3_EEv13rocblas_fill_17rocblas_diagonal_T1_iil
                                        ; -- End function
	.set _ZN9rocsolver6v33100L18trti2_kernel_smallILi41E19rocblas_complex_numIfEPKPS3_EEv13rocblas_fill_17rocblas_diagonal_T1_iil.num_vgpr, 123
	.set _ZN9rocsolver6v33100L18trti2_kernel_smallILi41E19rocblas_complex_numIfEPKPS3_EEv13rocblas_fill_17rocblas_diagonal_T1_iil.num_agpr, 0
	.set _ZN9rocsolver6v33100L18trti2_kernel_smallILi41E19rocblas_complex_numIfEPKPS3_EEv13rocblas_fill_17rocblas_diagonal_T1_iil.numbered_sgpr, 47
	.set _ZN9rocsolver6v33100L18trti2_kernel_smallILi41E19rocblas_complex_numIfEPKPS3_EEv13rocblas_fill_17rocblas_diagonal_T1_iil.num_named_barrier, 0
	.set _ZN9rocsolver6v33100L18trti2_kernel_smallILi41E19rocblas_complex_numIfEPKPS3_EEv13rocblas_fill_17rocblas_diagonal_T1_iil.private_seg_size, 336
	.set _ZN9rocsolver6v33100L18trti2_kernel_smallILi41E19rocblas_complex_numIfEPKPS3_EEv13rocblas_fill_17rocblas_diagonal_T1_iil.uses_vcc, 1
	.set _ZN9rocsolver6v33100L18trti2_kernel_smallILi41E19rocblas_complex_numIfEPKPS3_EEv13rocblas_fill_17rocblas_diagonal_T1_iil.uses_flat_scratch, 0
	.set _ZN9rocsolver6v33100L18trti2_kernel_smallILi41E19rocblas_complex_numIfEPKPS3_EEv13rocblas_fill_17rocblas_diagonal_T1_iil.has_dyn_sized_stack, 0
	.set _ZN9rocsolver6v33100L18trti2_kernel_smallILi41E19rocblas_complex_numIfEPKPS3_EEv13rocblas_fill_17rocblas_diagonal_T1_iil.has_recursion, 0
	.set _ZN9rocsolver6v33100L18trti2_kernel_smallILi41E19rocblas_complex_numIfEPKPS3_EEv13rocblas_fill_17rocblas_diagonal_T1_iil.has_indirect_call, 0
	.section	.AMDGPU.csdata,"",@progbits
; Kernel info:
; codeLenInByte = 31612
; TotalNumSgprs: 49
; NumVgprs: 123
; ScratchSize: 336
; MemoryBound: 0
; FloatMode: 240
; IeeeMode: 1
; LDSByteSize: 664 bytes/workgroup (compile time only)
; SGPRBlocks: 0
; VGPRBlocks: 7
; NumSGPRsForWavesPerEU: 49
; NumVGPRsForWavesPerEU: 123
; NamedBarCnt: 0
; Occupancy: 8
; WaveLimiterHint : 1
; COMPUTE_PGM_RSRC2:SCRATCH_EN: 1
; COMPUTE_PGM_RSRC2:USER_SGPR: 2
; COMPUTE_PGM_RSRC2:TRAP_HANDLER: 0
; COMPUTE_PGM_RSRC2:TGID_X_EN: 1
; COMPUTE_PGM_RSRC2:TGID_Y_EN: 0
; COMPUTE_PGM_RSRC2:TGID_Z_EN: 0
; COMPUTE_PGM_RSRC2:TIDIG_COMP_CNT: 0
	.section	.text._ZN9rocsolver6v33100L18trti2_kernel_smallILi42E19rocblas_complex_numIfEPKPS3_EEv13rocblas_fill_17rocblas_diagonal_T1_iil,"axG",@progbits,_ZN9rocsolver6v33100L18trti2_kernel_smallILi42E19rocblas_complex_numIfEPKPS3_EEv13rocblas_fill_17rocblas_diagonal_T1_iil,comdat
	.globl	_ZN9rocsolver6v33100L18trti2_kernel_smallILi42E19rocblas_complex_numIfEPKPS3_EEv13rocblas_fill_17rocblas_diagonal_T1_iil ; -- Begin function _ZN9rocsolver6v33100L18trti2_kernel_smallILi42E19rocblas_complex_numIfEPKPS3_EEv13rocblas_fill_17rocblas_diagonal_T1_iil
	.p2align	8
	.type	_ZN9rocsolver6v33100L18trti2_kernel_smallILi42E19rocblas_complex_numIfEPKPS3_EEv13rocblas_fill_17rocblas_diagonal_T1_iil,@function
_ZN9rocsolver6v33100L18trti2_kernel_smallILi42E19rocblas_complex_numIfEPKPS3_EEv13rocblas_fill_17rocblas_diagonal_T1_iil: ; @_ZN9rocsolver6v33100L18trti2_kernel_smallILi42E19rocblas_complex_numIfEPKPS3_EEv13rocblas_fill_17rocblas_diagonal_T1_iil
; %bb.0:
	s_mov_b32 s2, exec_lo
	v_cmpx_gt_u32_e32 42, v0
	s_cbranch_execz .LBB105_824
; %bb.1:
	s_clause 0x1
	s_load_b64 s[2:3], s[0:1], 0x10
	s_load_b128 s[4:7], s[0:1], 0x0
	s_wait_xcnt 0x0
	s_bfe_u32 s0, ttmp6, 0x4000c
	s_and_b32 s1, ttmp6, 15
	s_add_co_i32 s0, s0, 1
	s_getreg_b32 s8, hwreg(HW_REG_IB_STS2, 6, 4)
	s_mul_i32 s0, ttmp9, s0
	v_dual_mov_b32 v59, 0 :: v_dual_lshlrev_b32 v58, 3, v0
	s_add_co_i32 s0, s1, s0
	s_wait_kmcnt 0x0
	s_ashr_i32 s1, s2, 31
	s_cmp_eq_u32 s8, 0
	s_cselect_b32 s8, ttmp9, s0
	s_mov_b32 s0, s2
	s_ashr_i32 s9, s8, 31
	s_lshl_b64 s[0:1], s[0:1], 3
	s_lshl_b64 s[8:9], s[8:9], 3
	s_delay_alu instid0(SALU_CYCLE_1)
	s_add_nc_u64 s[6:7], s[6:7], s[8:9]
	s_load_b64 s[6:7], s[6:7], 0x0
	s_wait_kmcnt 0x0
	s_add_nc_u64 s[6:7], s[6:7], s[0:1]
	s_mov_b32 s0, s3
	flat_load_b64 v[6:7], v0, s[6:7] scale_offset
	v_add_nc_u64_e32 v[2:3], s[6:7], v[58:59]
	s_ashr_i32 s1, s3, 31
	s_cmp_lg_u32 s5, 0x84
	s_delay_alu instid0(VALU_DEP_1)
	v_lshl_add_u64 v[4:5], s[0:1], 3, v[2:3]
	s_mov_b32 s0, -1
	s_wait_loadcnt_dscnt 0x0
	scratch_store_b64 off, v[6:7], off
	flat_load_b64 v[8:9], v[4:5]
	s_wait_xcnt 0x1
	v_add3_u32 v6, s3, s3, v0
	s_wait_loadcnt_dscnt 0x0
	scratch_store_b64 off, v[8:9], off offset:8
	flat_load_b64 v[10:11], v6, s[6:7] scale_offset
	s_wait_xcnt 0x1
	v_add_nc_u32_e32 v8, s3, v6
	s_wait_loadcnt_dscnt 0x0
	scratch_store_b64 off, v[10:11], off offset:16
	flat_load_b64 v[12:13], v8, s[6:7] scale_offset
	s_wait_xcnt 0x1
	v_add_nc_u32_e32 v10, s3, v8
	;; [unrolled: 5-line block ×39, first 2 shown]
	s_cselect_b32 s3, -1, 0
	s_delay_alu instid0(SALU_CYCLE_1)
	s_and_b32 vcc_lo, exec_lo, s3
	s_wait_loadcnt_dscnt 0x0
	scratch_store_b64 off, v[88:89], off offset:320
	flat_load_b64 v[88:89], v86, s[6:7] scale_offset
	s_wait_loadcnt_dscnt 0x0
	scratch_store_b64 off, v[88:89], off offset:328
	s_cbranch_vccz .LBB105_7
; %bb.2:
	scratch_load_b64 v[88:89], v0, off scale_offset
                                        ; implicit-def: $vgpr93
                                        ; implicit-def: $vgpr90
	s_wait_loadcnt 0x0
	v_cmp_ngt_f32_e64 s0, |v88|, |v89|
	s_wait_xcnt 0x0
	s_and_saveexec_b32 s1, s0
	s_delay_alu instid0(SALU_CYCLE_1)
	s_xor_b32 s0, exec_lo, s1
	s_cbranch_execz .LBB105_4
; %bb.3:
	v_div_scale_f32 v1, null, v89, v89, v88
	v_div_scale_f32 v11, vcc_lo, v88, v89, v88
	s_delay_alu instid0(VALU_DEP_2) | instskip(SKIP_1) | instid1(TRANS32_DEP_1)
	v_rcp_f32_e32 v7, v1
	v_nop
	v_fma_f32 v9, -v1, v7, 1.0
	s_delay_alu instid0(VALU_DEP_1) | instskip(NEXT) | instid1(VALU_DEP_1)
	v_fmac_f32_e32 v7, v9, v7
	v_mul_f32_e32 v9, v11, v7
	s_delay_alu instid0(VALU_DEP_1) | instskip(NEXT) | instid1(VALU_DEP_1)
	v_fma_f32 v13, -v1, v9, v11
	v_fmac_f32_e32 v9, v13, v7
	s_delay_alu instid0(VALU_DEP_1) | instskip(NEXT) | instid1(VALU_DEP_1)
	v_fma_f32 v1, -v1, v9, v11
	v_div_fmas_f32 v1, v1, v7, v9
	s_delay_alu instid0(VALU_DEP_1) | instskip(NEXT) | instid1(VALU_DEP_1)
	v_div_fixup_f32 v1, v1, v89, v88
	v_fmac_f32_e32 v89, v88, v1
	s_delay_alu instid0(VALU_DEP_1) | instskip(NEXT) | instid1(VALU_DEP_1)
	v_div_scale_f32 v7, null, v89, v89, -1.0
	v_rcp_f32_e32 v9, v7
	v_nop
	s_delay_alu instid0(TRANS32_DEP_1) | instskip(NEXT) | instid1(VALU_DEP_1)
	v_fma_f32 v11, -v7, v9, 1.0
	v_fmac_f32_e32 v9, v11, v9
	v_div_scale_f32 v11, vcc_lo, -1.0, v89, -1.0
	s_delay_alu instid0(VALU_DEP_1) | instskip(NEXT) | instid1(VALU_DEP_1)
	v_mul_f32_e32 v13, v11, v9
	v_fma_f32 v15, -v7, v13, v11
	s_delay_alu instid0(VALU_DEP_1) | instskip(NEXT) | instid1(VALU_DEP_1)
	v_fmac_f32_e32 v13, v15, v9
	v_fma_f32 v7, -v7, v13, v11
	s_delay_alu instid0(VALU_DEP_1) | instskip(NEXT) | instid1(VALU_DEP_1)
	v_div_fmas_f32 v7, v7, v9, v13
	v_div_fixup_f32 v93, v7, v89, -1.0
                                        ; implicit-def: $vgpr88_vgpr89
	s_delay_alu instid0(VALU_DEP_1) | instskip(NEXT) | instid1(VALU_DEP_1)
	v_mul_f32_e32 v90, v1, v93
	v_xor_b32_e32 v92, 0x80000000, v90
.LBB105_4:
	s_or_saveexec_b32 s0, s0
	v_lshl_add_u32 v1, v0, 3, 0
	s_xor_b32 exec_lo, exec_lo, s0
	s_cbranch_execz .LBB105_6
; %bb.5:
	v_div_scale_f32 v7, null, v88, v88, v89
	v_div_scale_f32 v13, vcc_lo, v89, v88, v89
	s_delay_alu instid0(VALU_DEP_2) | instskip(SKIP_1) | instid1(TRANS32_DEP_1)
	v_rcp_f32_e32 v9, v7
	v_nop
	v_fma_f32 v11, -v7, v9, 1.0
	s_delay_alu instid0(VALU_DEP_1) | instskip(NEXT) | instid1(VALU_DEP_1)
	v_fmac_f32_e32 v9, v11, v9
	v_mul_f32_e32 v11, v13, v9
	s_delay_alu instid0(VALU_DEP_1) | instskip(NEXT) | instid1(VALU_DEP_1)
	v_fma_f32 v15, -v7, v11, v13
	v_fmac_f32_e32 v11, v15, v9
	s_delay_alu instid0(VALU_DEP_1) | instskip(NEXT) | instid1(VALU_DEP_1)
	v_fma_f32 v7, -v7, v11, v13
	v_div_fmas_f32 v7, v7, v9, v11
	s_delay_alu instid0(VALU_DEP_1) | instskip(NEXT) | instid1(VALU_DEP_1)
	v_div_fixup_f32 v7, v7, v88, v89
	v_fmac_f32_e32 v88, v89, v7
	s_delay_alu instid0(VALU_DEP_1) | instskip(SKIP_1) | instid1(VALU_DEP_2)
	v_div_scale_f32 v9, null, v88, v88, 1.0
	v_div_scale_f32 v15, vcc_lo, 1.0, v88, 1.0
	v_rcp_f32_e32 v11, v9
	v_nop
	s_delay_alu instid0(TRANS32_DEP_1) | instskip(NEXT) | instid1(VALU_DEP_1)
	v_fma_f32 v13, -v9, v11, 1.0
	v_fmac_f32_e32 v11, v13, v11
	s_delay_alu instid0(VALU_DEP_1) | instskip(NEXT) | instid1(VALU_DEP_1)
	v_mul_f32_e32 v13, v15, v11
	v_fma_f32 v17, -v9, v13, v15
	s_delay_alu instid0(VALU_DEP_1) | instskip(NEXT) | instid1(VALU_DEP_1)
	v_fmac_f32_e32 v13, v17, v11
	v_fma_f32 v9, -v9, v13, v15
	s_delay_alu instid0(VALU_DEP_1) | instskip(NEXT) | instid1(VALU_DEP_1)
	v_div_fmas_f32 v9, v9, v11, v13
	v_div_fixup_f32 v92, v9, v88, 1.0
	s_delay_alu instid0(VALU_DEP_1)
	v_xor_b32_e32 v90, 0x80000000, v92
	v_mul_f32_e64 v93, v7, -v92
.LBB105_6:
	s_or_b32 exec_lo, exec_lo, s0
	s_delay_alu instid0(VALU_DEP_1)
	v_xor_b32_e32 v91, 0x80000000, v93
	s_mov_b32 s0, 0
	scratch_store_b64 v1, v[92:93], off
	ds_store_b64 v58, v[90:91]
.LBB105_7:
	s_and_b32 vcc_lo, exec_lo, s0
	s_cbranch_vccz .LBB105_9
; %bb.8:
	s_mov_b64 s[0:1], 0xbf800000
	s_wait_xcnt 0x0
	v_mov_b64_e32 v[88:89], s[0:1]
	ds_store_b64 v58, v[88:89]
.LBB105_9:
	v_dual_ashrrev_i32 v7, 31, v6 :: v_dual_ashrrev_i32 v9, 31, v8
	v_dual_ashrrev_i32 v11, 31, v10 :: v_dual_ashrrev_i32 v13, 31, v12
	;; [unrolled: 1-line block ×20, first 2 shown]
	s_wait_xcnt 0x0
	v_add_nc_u32_e32 v1, 0x150, v58
	v_mov_b32_e32 v59, v58
	s_cmp_eq_u32 s4, 0x79
	s_cbranch_scc1 .LBB105_13
; %bb.10:
	scratch_load_b64 v[88:89], off, off offset:320
	v_cmp_eq_u32_e64 s0, 41, v0
	s_movk_i32 s1, 0x48
	s_movk_i32 s14, 0x50
	;; [unrolled: 1-line block ×31, first 2 shown]
	s_wait_loadcnt 0x0
	ds_store_b64 v1, v[88:89]
	s_wait_storecnt_dscnt 0x0
	s_barrier_signal -1
	s_barrier_wait -1
	s_wait_xcnt 0x0
	s_and_saveexec_b32 s2, s0
	s_cbranch_execz .LBB105_17
; %bb.11:
	s_and_b32 vcc_lo, exec_lo, s3
	s_cbranch_vccz .LBB105_14
; %bb.12:
	scratch_load_b64 v[88:89], v59, off
	ds_load_b64 v[90:91], v1
	s_wait_loadcnt_dscnt 0x0
	v_pk_mul_f32 v[92:93], v[90:91], v[88:89] op_sel:[1,1] op_sel_hi:[0,1]
	v_pk_mul_f32 v[94:95], v[90:91], v[88:89] op_sel_hi:[1,0]
	s_delay_alu instid0(VALU_DEP_2) | instskip(NEXT) | instid1(VALU_DEP_2)
	v_pk_fma_f32 v[88:89], v[90:91], v[88:89], v[92:93] op_sel_hi:[1,0,1]
	v_sub_f32_e32 v88, v94, v92
	s_cbranch_execz .LBB105_15
	s_branch .LBB105_16
.LBB105_13:
	s_mov_b32 s1, 0
                                        ; implicit-def: $vgpr124
                                        ; implicit-def: $sgpr5
	s_cbranch_execnz .LBB105_416
	s_branch .LBB105_821
.LBB105_14:
                                        ; implicit-def: $vgpr89
.LBB105_15:
	ds_load_b64 v[88:89], v1
.LBB105_16:
	s_wait_dscnt 0x0
	v_dual_mov_b32 v90, 0 :: v_dual_mov_b32 v92, v89
	v_mov_b32_e32 v93, v88
	ds_load_b64 v[90:91], v90 offset:320
	s_wait_dscnt 0x0
	v_pk_mul_f32 v[92:93], v[92:93], v[90:91] op_sel:[0,1]
	s_delay_alu instid0(VALU_DEP_1) | instskip(SKIP_1) | instid1(VALU_DEP_2)
	v_pk_fma_f32 v[94:95], v[88:89], v[90:91], v[92:93] op_sel_hi:[1,0,1]
	v_pk_fma_f32 v[88:89], v[88:89], v[90:91], v[92:93] neg_lo:[0,0,1] neg_hi:[0,0,1]
	v_mov_b32_e32 v89, v95
	scratch_store_b64 off, v[88:89], off offset:320
.LBB105_17:
	s_wait_xcnt 0x0
	s_or_b32 exec_lo, exec_lo, s2
	scratch_load_b64 v[88:89], off, off offset:312
	s_mov_b32 s13, s1
	v_cmp_lt_u32_e64 s1, 39, v0
	s_or_b32 s4, 0, 8
	s_mov_b32 s5, 16
	s_mov_b32 s8, 24
	;; [unrolled: 1-line block ×7, first 2 shown]
	s_wait_loadcnt 0x0
	ds_store_b64 v1, v[88:89]
	s_wait_storecnt_dscnt 0x0
	s_barrier_signal -1
	s_barrier_wait -1
	s_wait_xcnt 0x0
	s_and_saveexec_b32 s45, s1
	s_cbranch_execz .LBB105_25
; %bb.18:
	s_and_not1_b32 vcc_lo, exec_lo, s3
	s_cbranch_vccnz .LBB105_20
; %bb.19:
	scratch_load_b64 v[88:89], v59, off
	ds_load_b64 v[90:91], v1
	s_wait_loadcnt_dscnt 0x0
	v_pk_mul_f32 v[92:93], v[90:91], v[88:89] op_sel:[1,1] op_sel_hi:[0,1]
	s_delay_alu instid0(VALU_DEP_1) | instskip(SKIP_1) | instid1(VALU_DEP_2)
	v_pk_fma_f32 v[94:95], v[90:91], v[88:89], v[92:93] op_sel_hi:[1,0,1]
	v_pk_fma_f32 v[88:89], v[90:91], v[88:89], v[92:93] neg_lo:[0,0,1] neg_hi:[0,0,1]
	v_mov_b32_e32 v89, v95
	s_cbranch_execz .LBB105_21
	s_branch .LBB105_22
.LBB105_20:
                                        ; implicit-def: $vgpr88_vgpr89
.LBB105_21:
	ds_load_b64 v[88:89], v1
.LBB105_22:
	s_and_saveexec_b32 s46, s0
	s_cbranch_execz .LBB105_24
; %bb.23:
	scratch_load_b64 v[90:91], off, off offset:320
	v_mov_b32_e32 v92, 0
	ds_load_b64 v[92:93], v92 offset:656
	s_wait_loadcnt_dscnt 0x0
	v_pk_mul_f32 v[94:95], v[92:93], v[90:91] op_sel:[1,1] op_sel_hi:[0,1]
	s_delay_alu instid0(VALU_DEP_1) | instskip(SKIP_1) | instid1(VALU_DEP_2)
	v_pk_fma_f32 v[96:97], v[92:93], v[90:91], v[94:95] op_sel_hi:[1,0,1]
	v_pk_fma_f32 v[90:91], v[92:93], v[90:91], v[94:95] neg_lo:[0,0,1] neg_hi:[0,0,1]
	v_mov_b32_e32 v91, v97
	s_delay_alu instid0(VALU_DEP_1)
	v_pk_add_f32 v[88:89], v[88:89], v[90:91]
.LBB105_24:
	s_or_b32 exec_lo, exec_lo, s46
	v_mov_b32_e32 v90, 0
	ds_load_b64 v[90:91], v90 offset:312
	s_wait_dscnt 0x0
	v_pk_mul_f32 v[92:93], v[88:89], v[90:91] op_sel:[1,1] op_sel_hi:[0,1]
	s_delay_alu instid0(VALU_DEP_1) | instskip(SKIP_1) | instid1(VALU_DEP_2)
	v_pk_fma_f32 v[94:95], v[88:89], v[90:91], v[92:93] op_sel_hi:[1,0,1]
	v_pk_fma_f32 v[88:89], v[88:89], v[90:91], v[92:93] neg_lo:[0,0,1] neg_hi:[0,0,1]
	v_mov_b32_e32 v89, v95
	scratch_store_b64 off, v[88:89], off offset:312
.LBB105_25:
	s_wait_xcnt 0x0
	s_or_b32 exec_lo, exec_lo, s45
	scratch_load_b64 v[88:89], off, off offset:304
	v_cmp_lt_u32_e64 s0, 38, v0
	s_wait_loadcnt 0x0
	ds_store_b64 v1, v[88:89]
	s_wait_storecnt_dscnt 0x0
	s_barrier_signal -1
	s_barrier_wait -1
	s_wait_xcnt 0x0
	s_and_saveexec_b32 s45, s0
	s_cbranch_execz .LBB105_35
; %bb.26:
	s_and_not1_b32 vcc_lo, exec_lo, s3
	s_cbranch_vccnz .LBB105_28
; %bb.27:
	scratch_load_b64 v[88:89], v59, off
	ds_load_b64 v[90:91], v1
	s_wait_loadcnt_dscnt 0x0
	v_pk_mul_f32 v[92:93], v[90:91], v[88:89] op_sel:[1,1] op_sel_hi:[0,1]
	s_delay_alu instid0(VALU_DEP_1) | instskip(SKIP_1) | instid1(VALU_DEP_2)
	v_pk_fma_f32 v[94:95], v[90:91], v[88:89], v[92:93] op_sel_hi:[1,0,1]
	v_pk_fma_f32 v[88:89], v[90:91], v[88:89], v[92:93] neg_lo:[0,0,1] neg_hi:[0,0,1]
	v_mov_b32_e32 v89, v95
	s_cbranch_execz .LBB105_29
	s_branch .LBB105_30
.LBB105_28:
                                        ; implicit-def: $vgpr88_vgpr89
.LBB105_29:
	ds_load_b64 v[88:89], v1
.LBB105_30:
	s_and_saveexec_b32 s46, s1
	s_cbranch_execz .LBB105_34
; %bb.31:
	v_subrev_nc_u32_e32 v90, 39, v0
	s_movk_i32 s47, 0x288
	s_mov_b32 s1, 0
.LBB105_32:                             ; =>This Inner Loop Header: Depth=1
	scratch_load_b64 v[92:93], off, s44
	v_dual_mov_b32 v91, s47 :: v_dual_add_nc_u32 v90, -1, v90
	s_add_co_i32 s47, s47, 8
	s_wait_xcnt 0x0
	s_add_co_i32 s44, s44, 8
	ds_load_b64 v[94:95], v91
	v_cmp_eq_u32_e32 vcc_lo, 0, v90
	s_or_b32 s1, vcc_lo, s1
	s_wait_loadcnt_dscnt 0x0
	v_pk_mul_f32 v[96:97], v[94:95], v[92:93] op_sel:[1,1] op_sel_hi:[0,1]
	s_delay_alu instid0(VALU_DEP_1) | instskip(SKIP_1) | instid1(VALU_DEP_2)
	v_pk_fma_f32 v[98:99], v[94:95], v[92:93], v[96:97] op_sel_hi:[1,0,1]
	v_pk_fma_f32 v[92:93], v[94:95], v[92:93], v[96:97] neg_lo:[0,0,1] neg_hi:[0,0,1]
	v_mov_b32_e32 v93, v99
	s_delay_alu instid0(VALU_DEP_1)
	v_pk_add_f32 v[88:89], v[88:89], v[92:93]
	s_and_not1_b32 exec_lo, exec_lo, s1
	s_cbranch_execnz .LBB105_32
; %bb.33:
	s_or_b32 exec_lo, exec_lo, s1
.LBB105_34:
	s_delay_alu instid0(SALU_CYCLE_1) | instskip(SKIP_4) | instid1(VALU_DEP_1)
	s_or_b32 exec_lo, exec_lo, s46
	v_mov_b32_e32 v90, 0
	ds_load_b64 v[90:91], v90 offset:304
	s_wait_dscnt 0x0
	v_pk_mul_f32 v[92:93], v[88:89], v[90:91] op_sel:[1,1] op_sel_hi:[0,1]
	v_pk_fma_f32 v[94:95], v[88:89], v[90:91], v[92:93] op_sel_hi:[1,0,1]
	v_pk_fma_f32 v[88:89], v[88:89], v[90:91], v[92:93] neg_lo:[0,0,1] neg_hi:[0,0,1]
	s_delay_alu instid0(VALU_DEP_2)
	v_mov_b32_e32 v89, v95
	scratch_store_b64 off, v[88:89], off offset:304
.LBB105_35:
	s_wait_xcnt 0x0
	s_or_b32 exec_lo, exec_lo, s45
	scratch_load_b64 v[88:89], off, off offset:296
	v_cmp_lt_u32_e64 s1, 37, v0
	s_wait_loadcnt 0x0
	ds_store_b64 v1, v[88:89]
	s_wait_storecnt_dscnt 0x0
	s_barrier_signal -1
	s_barrier_wait -1
	s_wait_xcnt 0x0
	s_and_saveexec_b32 s44, s1
	s_cbranch_execz .LBB105_45
; %bb.36:
	s_and_not1_b32 vcc_lo, exec_lo, s3
	s_cbranch_vccnz .LBB105_38
; %bb.37:
	scratch_load_b64 v[88:89], v59, off
	ds_load_b64 v[90:91], v1
	s_wait_loadcnt_dscnt 0x0
	v_pk_mul_f32 v[92:93], v[90:91], v[88:89] op_sel:[1,1] op_sel_hi:[0,1]
	s_delay_alu instid0(VALU_DEP_1) | instskip(SKIP_1) | instid1(VALU_DEP_2)
	v_pk_fma_f32 v[94:95], v[90:91], v[88:89], v[92:93] op_sel_hi:[1,0,1]
	v_pk_fma_f32 v[88:89], v[90:91], v[88:89], v[92:93] neg_lo:[0,0,1] neg_hi:[0,0,1]
	v_mov_b32_e32 v89, v95
	s_cbranch_execz .LBB105_39
	s_branch .LBB105_40
.LBB105_38:
                                        ; implicit-def: $vgpr88_vgpr89
.LBB105_39:
	ds_load_b64 v[88:89], v1
.LBB105_40:
	s_and_saveexec_b32 s45, s0
	s_cbranch_execz .LBB105_44
; %bb.41:
	v_subrev_nc_u32_e32 v90, 38, v0
	s_movk_i32 s46, 0x280
	s_mov_b32 s0, 0
.LBB105_42:                             ; =>This Inner Loop Header: Depth=1
	scratch_load_b64 v[92:93], off, s43
	v_dual_mov_b32 v91, s46 :: v_dual_add_nc_u32 v90, -1, v90
	s_add_co_i32 s46, s46, 8
	s_wait_xcnt 0x0
	s_add_co_i32 s43, s43, 8
	ds_load_b64 v[94:95], v91
	v_cmp_eq_u32_e32 vcc_lo, 0, v90
	s_or_b32 s0, vcc_lo, s0
	s_wait_loadcnt_dscnt 0x0
	v_pk_mul_f32 v[96:97], v[94:95], v[92:93] op_sel:[1,1] op_sel_hi:[0,1]
	s_delay_alu instid0(VALU_DEP_1) | instskip(SKIP_1) | instid1(VALU_DEP_2)
	v_pk_fma_f32 v[98:99], v[94:95], v[92:93], v[96:97] op_sel_hi:[1,0,1]
	v_pk_fma_f32 v[92:93], v[94:95], v[92:93], v[96:97] neg_lo:[0,0,1] neg_hi:[0,0,1]
	v_mov_b32_e32 v93, v99
	s_delay_alu instid0(VALU_DEP_1)
	v_pk_add_f32 v[88:89], v[88:89], v[92:93]
	s_and_not1_b32 exec_lo, exec_lo, s0
	s_cbranch_execnz .LBB105_42
; %bb.43:
	s_or_b32 exec_lo, exec_lo, s0
.LBB105_44:
	s_delay_alu instid0(SALU_CYCLE_1) | instskip(SKIP_4) | instid1(VALU_DEP_1)
	s_or_b32 exec_lo, exec_lo, s45
	v_mov_b32_e32 v90, 0
	ds_load_b64 v[90:91], v90 offset:296
	s_wait_dscnt 0x0
	v_pk_mul_f32 v[92:93], v[88:89], v[90:91] op_sel:[1,1] op_sel_hi:[0,1]
	v_pk_fma_f32 v[94:95], v[88:89], v[90:91], v[92:93] op_sel_hi:[1,0,1]
	v_pk_fma_f32 v[88:89], v[88:89], v[90:91], v[92:93] neg_lo:[0,0,1] neg_hi:[0,0,1]
	s_delay_alu instid0(VALU_DEP_2)
	v_mov_b32_e32 v89, v95
	scratch_store_b64 off, v[88:89], off offset:296
.LBB105_45:
	s_wait_xcnt 0x0
	s_or_b32 exec_lo, exec_lo, s44
	scratch_load_b64 v[88:89], off, off offset:288
	v_cmp_lt_u32_e64 s0, 36, v0
	s_wait_loadcnt 0x0
	ds_store_b64 v1, v[88:89]
	s_wait_storecnt_dscnt 0x0
	s_barrier_signal -1
	s_barrier_wait -1
	s_wait_xcnt 0x0
	s_and_saveexec_b32 s43, s0
	s_cbranch_execz .LBB105_55
; %bb.46:
	s_and_not1_b32 vcc_lo, exec_lo, s3
	s_cbranch_vccnz .LBB105_48
; %bb.47:
	scratch_load_b64 v[88:89], v59, off
	ds_load_b64 v[90:91], v1
	s_wait_loadcnt_dscnt 0x0
	v_pk_mul_f32 v[92:93], v[90:91], v[88:89] op_sel:[1,1] op_sel_hi:[0,1]
	s_delay_alu instid0(VALU_DEP_1) | instskip(SKIP_1) | instid1(VALU_DEP_2)
	v_pk_fma_f32 v[94:95], v[90:91], v[88:89], v[92:93] op_sel_hi:[1,0,1]
	v_pk_fma_f32 v[88:89], v[90:91], v[88:89], v[92:93] neg_lo:[0,0,1] neg_hi:[0,0,1]
	v_mov_b32_e32 v89, v95
	s_cbranch_execz .LBB105_49
	s_branch .LBB105_50
.LBB105_48:
                                        ; implicit-def: $vgpr88_vgpr89
.LBB105_49:
	ds_load_b64 v[88:89], v1
.LBB105_50:
	s_and_saveexec_b32 s44, s1
	s_cbranch_execz .LBB105_54
; %bb.51:
	v_subrev_nc_u32_e32 v90, 37, v0
	s_movk_i32 s45, 0x278
	s_mov_b32 s1, 0
.LBB105_52:                             ; =>This Inner Loop Header: Depth=1
	scratch_load_b64 v[92:93], off, s42
	v_dual_mov_b32 v91, s45 :: v_dual_add_nc_u32 v90, -1, v90
	s_add_co_i32 s45, s45, 8
	s_wait_xcnt 0x0
	s_add_co_i32 s42, s42, 8
	ds_load_b64 v[94:95], v91
	v_cmp_eq_u32_e32 vcc_lo, 0, v90
	s_or_b32 s1, vcc_lo, s1
	s_wait_loadcnt_dscnt 0x0
	v_pk_mul_f32 v[96:97], v[94:95], v[92:93] op_sel:[1,1] op_sel_hi:[0,1]
	s_delay_alu instid0(VALU_DEP_1) | instskip(SKIP_1) | instid1(VALU_DEP_2)
	v_pk_fma_f32 v[98:99], v[94:95], v[92:93], v[96:97] op_sel_hi:[1,0,1]
	v_pk_fma_f32 v[92:93], v[94:95], v[92:93], v[96:97] neg_lo:[0,0,1] neg_hi:[0,0,1]
	v_mov_b32_e32 v93, v99
	s_delay_alu instid0(VALU_DEP_1)
	v_pk_add_f32 v[88:89], v[88:89], v[92:93]
	s_and_not1_b32 exec_lo, exec_lo, s1
	s_cbranch_execnz .LBB105_52
; %bb.53:
	s_or_b32 exec_lo, exec_lo, s1
.LBB105_54:
	s_delay_alu instid0(SALU_CYCLE_1) | instskip(SKIP_4) | instid1(VALU_DEP_1)
	s_or_b32 exec_lo, exec_lo, s44
	v_mov_b32_e32 v90, 0
	ds_load_b64 v[90:91], v90 offset:288
	s_wait_dscnt 0x0
	v_pk_mul_f32 v[92:93], v[88:89], v[90:91] op_sel:[1,1] op_sel_hi:[0,1]
	v_pk_fma_f32 v[94:95], v[88:89], v[90:91], v[92:93] op_sel_hi:[1,0,1]
	v_pk_fma_f32 v[88:89], v[88:89], v[90:91], v[92:93] neg_lo:[0,0,1] neg_hi:[0,0,1]
	s_delay_alu instid0(VALU_DEP_2)
	v_mov_b32_e32 v89, v95
	scratch_store_b64 off, v[88:89], off offset:288
.LBB105_55:
	s_wait_xcnt 0x0
	s_or_b32 exec_lo, exec_lo, s43
	scratch_load_b64 v[88:89], off, off offset:280
	v_cmp_lt_u32_e64 s1, 35, v0
	s_wait_loadcnt 0x0
	ds_store_b64 v1, v[88:89]
	s_wait_storecnt_dscnt 0x0
	s_barrier_signal -1
	s_barrier_wait -1
	s_wait_xcnt 0x0
	s_and_saveexec_b32 s42, s1
	s_cbranch_execz .LBB105_65
; %bb.56:
	s_and_not1_b32 vcc_lo, exec_lo, s3
	s_cbranch_vccnz .LBB105_58
; %bb.57:
	scratch_load_b64 v[88:89], v59, off
	ds_load_b64 v[90:91], v1
	s_wait_loadcnt_dscnt 0x0
	v_pk_mul_f32 v[92:93], v[90:91], v[88:89] op_sel:[1,1] op_sel_hi:[0,1]
	s_delay_alu instid0(VALU_DEP_1) | instskip(SKIP_1) | instid1(VALU_DEP_2)
	v_pk_fma_f32 v[94:95], v[90:91], v[88:89], v[92:93] op_sel_hi:[1,0,1]
	v_pk_fma_f32 v[88:89], v[90:91], v[88:89], v[92:93] neg_lo:[0,0,1] neg_hi:[0,0,1]
	v_mov_b32_e32 v89, v95
	s_cbranch_execz .LBB105_59
	s_branch .LBB105_60
.LBB105_58:
                                        ; implicit-def: $vgpr88_vgpr89
.LBB105_59:
	ds_load_b64 v[88:89], v1
.LBB105_60:
	s_and_saveexec_b32 s43, s0
	s_cbranch_execz .LBB105_64
; %bb.61:
	v_subrev_nc_u32_e32 v90, 36, v0
	s_movk_i32 s44, 0x270
	s_mov_b32 s0, 0
.LBB105_62:                             ; =>This Inner Loop Header: Depth=1
	scratch_load_b64 v[92:93], off, s41
	v_dual_mov_b32 v91, s44 :: v_dual_add_nc_u32 v90, -1, v90
	s_add_co_i32 s44, s44, 8
	s_wait_xcnt 0x0
	s_add_co_i32 s41, s41, 8
	ds_load_b64 v[94:95], v91
	v_cmp_eq_u32_e32 vcc_lo, 0, v90
	s_or_b32 s0, vcc_lo, s0
	s_wait_loadcnt_dscnt 0x0
	v_pk_mul_f32 v[96:97], v[94:95], v[92:93] op_sel:[1,1] op_sel_hi:[0,1]
	s_delay_alu instid0(VALU_DEP_1) | instskip(SKIP_1) | instid1(VALU_DEP_2)
	v_pk_fma_f32 v[98:99], v[94:95], v[92:93], v[96:97] op_sel_hi:[1,0,1]
	v_pk_fma_f32 v[92:93], v[94:95], v[92:93], v[96:97] neg_lo:[0,0,1] neg_hi:[0,0,1]
	v_mov_b32_e32 v93, v99
	s_delay_alu instid0(VALU_DEP_1)
	v_pk_add_f32 v[88:89], v[88:89], v[92:93]
	s_and_not1_b32 exec_lo, exec_lo, s0
	s_cbranch_execnz .LBB105_62
; %bb.63:
	s_or_b32 exec_lo, exec_lo, s0
.LBB105_64:
	s_delay_alu instid0(SALU_CYCLE_1) | instskip(SKIP_4) | instid1(VALU_DEP_1)
	s_or_b32 exec_lo, exec_lo, s43
	v_mov_b32_e32 v90, 0
	ds_load_b64 v[90:91], v90 offset:280
	s_wait_dscnt 0x0
	v_pk_mul_f32 v[92:93], v[88:89], v[90:91] op_sel:[1,1] op_sel_hi:[0,1]
	v_pk_fma_f32 v[94:95], v[88:89], v[90:91], v[92:93] op_sel_hi:[1,0,1]
	v_pk_fma_f32 v[88:89], v[88:89], v[90:91], v[92:93] neg_lo:[0,0,1] neg_hi:[0,0,1]
	s_delay_alu instid0(VALU_DEP_2)
	v_mov_b32_e32 v89, v95
	scratch_store_b64 off, v[88:89], off offset:280
.LBB105_65:
	s_wait_xcnt 0x0
	s_or_b32 exec_lo, exec_lo, s42
	scratch_load_b64 v[88:89], off, off offset:272
	v_cmp_lt_u32_e64 s0, 34, v0
	s_wait_loadcnt 0x0
	ds_store_b64 v1, v[88:89]
	s_wait_storecnt_dscnt 0x0
	s_barrier_signal -1
	s_barrier_wait -1
	s_wait_xcnt 0x0
	s_and_saveexec_b32 s41, s0
	s_cbranch_execz .LBB105_75
; %bb.66:
	s_and_not1_b32 vcc_lo, exec_lo, s3
	s_cbranch_vccnz .LBB105_68
; %bb.67:
	scratch_load_b64 v[88:89], v59, off
	ds_load_b64 v[90:91], v1
	s_wait_loadcnt_dscnt 0x0
	v_pk_mul_f32 v[92:93], v[90:91], v[88:89] op_sel:[1,1] op_sel_hi:[0,1]
	s_delay_alu instid0(VALU_DEP_1) | instskip(SKIP_1) | instid1(VALU_DEP_2)
	v_pk_fma_f32 v[94:95], v[90:91], v[88:89], v[92:93] op_sel_hi:[1,0,1]
	v_pk_fma_f32 v[88:89], v[90:91], v[88:89], v[92:93] neg_lo:[0,0,1] neg_hi:[0,0,1]
	v_mov_b32_e32 v89, v95
	s_cbranch_execz .LBB105_69
	s_branch .LBB105_70
.LBB105_68:
                                        ; implicit-def: $vgpr88_vgpr89
.LBB105_69:
	ds_load_b64 v[88:89], v1
.LBB105_70:
	s_and_saveexec_b32 s42, s1
	s_cbranch_execz .LBB105_74
; %bb.71:
	v_subrev_nc_u32_e32 v90, 35, v0
	s_movk_i32 s43, 0x268
	s_mov_b32 s1, 0
.LBB105_72:                             ; =>This Inner Loop Header: Depth=1
	scratch_load_b64 v[92:93], off, s40
	v_dual_mov_b32 v91, s43 :: v_dual_add_nc_u32 v90, -1, v90
	s_add_co_i32 s43, s43, 8
	s_wait_xcnt 0x0
	s_add_co_i32 s40, s40, 8
	ds_load_b64 v[94:95], v91
	v_cmp_eq_u32_e32 vcc_lo, 0, v90
	s_or_b32 s1, vcc_lo, s1
	s_wait_loadcnt_dscnt 0x0
	v_pk_mul_f32 v[96:97], v[94:95], v[92:93] op_sel:[1,1] op_sel_hi:[0,1]
	s_delay_alu instid0(VALU_DEP_1) | instskip(SKIP_1) | instid1(VALU_DEP_2)
	v_pk_fma_f32 v[98:99], v[94:95], v[92:93], v[96:97] op_sel_hi:[1,0,1]
	v_pk_fma_f32 v[92:93], v[94:95], v[92:93], v[96:97] neg_lo:[0,0,1] neg_hi:[0,0,1]
	v_mov_b32_e32 v93, v99
	s_delay_alu instid0(VALU_DEP_1)
	v_pk_add_f32 v[88:89], v[88:89], v[92:93]
	s_and_not1_b32 exec_lo, exec_lo, s1
	s_cbranch_execnz .LBB105_72
; %bb.73:
	s_or_b32 exec_lo, exec_lo, s1
.LBB105_74:
	s_delay_alu instid0(SALU_CYCLE_1) | instskip(SKIP_4) | instid1(VALU_DEP_1)
	s_or_b32 exec_lo, exec_lo, s42
	v_mov_b32_e32 v90, 0
	ds_load_b64 v[90:91], v90 offset:272
	s_wait_dscnt 0x0
	v_pk_mul_f32 v[92:93], v[88:89], v[90:91] op_sel:[1,1] op_sel_hi:[0,1]
	v_pk_fma_f32 v[94:95], v[88:89], v[90:91], v[92:93] op_sel_hi:[1,0,1]
	v_pk_fma_f32 v[88:89], v[88:89], v[90:91], v[92:93] neg_lo:[0,0,1] neg_hi:[0,0,1]
	s_delay_alu instid0(VALU_DEP_2)
	v_mov_b32_e32 v89, v95
	scratch_store_b64 off, v[88:89], off offset:272
.LBB105_75:
	s_wait_xcnt 0x0
	s_or_b32 exec_lo, exec_lo, s41
	scratch_load_b64 v[88:89], off, off offset:264
	v_cmp_lt_u32_e64 s1, 33, v0
	s_wait_loadcnt 0x0
	ds_store_b64 v1, v[88:89]
	s_wait_storecnt_dscnt 0x0
	s_barrier_signal -1
	s_barrier_wait -1
	s_wait_xcnt 0x0
	s_and_saveexec_b32 s40, s1
	s_cbranch_execz .LBB105_85
; %bb.76:
	s_and_not1_b32 vcc_lo, exec_lo, s3
	s_cbranch_vccnz .LBB105_78
; %bb.77:
	scratch_load_b64 v[88:89], v59, off
	ds_load_b64 v[90:91], v1
	s_wait_loadcnt_dscnt 0x0
	v_pk_mul_f32 v[92:93], v[90:91], v[88:89] op_sel:[1,1] op_sel_hi:[0,1]
	s_delay_alu instid0(VALU_DEP_1) | instskip(SKIP_1) | instid1(VALU_DEP_2)
	v_pk_fma_f32 v[94:95], v[90:91], v[88:89], v[92:93] op_sel_hi:[1,0,1]
	v_pk_fma_f32 v[88:89], v[90:91], v[88:89], v[92:93] neg_lo:[0,0,1] neg_hi:[0,0,1]
	v_mov_b32_e32 v89, v95
	s_cbranch_execz .LBB105_79
	s_branch .LBB105_80
.LBB105_78:
                                        ; implicit-def: $vgpr88_vgpr89
.LBB105_79:
	ds_load_b64 v[88:89], v1
.LBB105_80:
	s_and_saveexec_b32 s41, s0
	s_cbranch_execz .LBB105_84
; %bb.81:
	v_subrev_nc_u32_e32 v90, 34, v0
	s_movk_i32 s42, 0x260
	s_mov_b32 s0, 0
.LBB105_82:                             ; =>This Inner Loop Header: Depth=1
	scratch_load_b64 v[92:93], off, s39
	v_dual_mov_b32 v91, s42 :: v_dual_add_nc_u32 v90, -1, v90
	s_add_co_i32 s42, s42, 8
	s_wait_xcnt 0x0
	s_add_co_i32 s39, s39, 8
	ds_load_b64 v[94:95], v91
	v_cmp_eq_u32_e32 vcc_lo, 0, v90
	s_or_b32 s0, vcc_lo, s0
	s_wait_loadcnt_dscnt 0x0
	v_pk_mul_f32 v[96:97], v[94:95], v[92:93] op_sel:[1,1] op_sel_hi:[0,1]
	s_delay_alu instid0(VALU_DEP_1) | instskip(SKIP_1) | instid1(VALU_DEP_2)
	v_pk_fma_f32 v[98:99], v[94:95], v[92:93], v[96:97] op_sel_hi:[1,0,1]
	v_pk_fma_f32 v[92:93], v[94:95], v[92:93], v[96:97] neg_lo:[0,0,1] neg_hi:[0,0,1]
	v_mov_b32_e32 v93, v99
	s_delay_alu instid0(VALU_DEP_1)
	v_pk_add_f32 v[88:89], v[88:89], v[92:93]
	s_and_not1_b32 exec_lo, exec_lo, s0
	s_cbranch_execnz .LBB105_82
; %bb.83:
	s_or_b32 exec_lo, exec_lo, s0
.LBB105_84:
	s_delay_alu instid0(SALU_CYCLE_1) | instskip(SKIP_4) | instid1(VALU_DEP_1)
	s_or_b32 exec_lo, exec_lo, s41
	v_mov_b32_e32 v90, 0
	ds_load_b64 v[90:91], v90 offset:264
	s_wait_dscnt 0x0
	v_pk_mul_f32 v[92:93], v[88:89], v[90:91] op_sel:[1,1] op_sel_hi:[0,1]
	v_pk_fma_f32 v[94:95], v[88:89], v[90:91], v[92:93] op_sel_hi:[1,0,1]
	v_pk_fma_f32 v[88:89], v[88:89], v[90:91], v[92:93] neg_lo:[0,0,1] neg_hi:[0,0,1]
	s_delay_alu instid0(VALU_DEP_2)
	v_mov_b32_e32 v89, v95
	scratch_store_b64 off, v[88:89], off offset:264
.LBB105_85:
	s_wait_xcnt 0x0
	s_or_b32 exec_lo, exec_lo, s40
	scratch_load_b64 v[88:89], off, off offset:256
	v_cmp_lt_u32_e64 s0, 32, v0
	s_wait_loadcnt 0x0
	ds_store_b64 v1, v[88:89]
	s_wait_storecnt_dscnt 0x0
	s_barrier_signal -1
	s_barrier_wait -1
	s_wait_xcnt 0x0
	s_and_saveexec_b32 s39, s0
	s_cbranch_execz .LBB105_95
; %bb.86:
	s_and_not1_b32 vcc_lo, exec_lo, s3
	s_cbranch_vccnz .LBB105_88
; %bb.87:
	scratch_load_b64 v[88:89], v59, off
	ds_load_b64 v[90:91], v1
	s_wait_loadcnt_dscnt 0x0
	v_pk_mul_f32 v[92:93], v[90:91], v[88:89] op_sel:[1,1] op_sel_hi:[0,1]
	s_delay_alu instid0(VALU_DEP_1) | instskip(SKIP_1) | instid1(VALU_DEP_2)
	v_pk_fma_f32 v[94:95], v[90:91], v[88:89], v[92:93] op_sel_hi:[1,0,1]
	v_pk_fma_f32 v[88:89], v[90:91], v[88:89], v[92:93] neg_lo:[0,0,1] neg_hi:[0,0,1]
	v_mov_b32_e32 v89, v95
	s_cbranch_execz .LBB105_89
	s_branch .LBB105_90
.LBB105_88:
                                        ; implicit-def: $vgpr88_vgpr89
.LBB105_89:
	ds_load_b64 v[88:89], v1
.LBB105_90:
	s_and_saveexec_b32 s40, s1
	s_cbranch_execz .LBB105_94
; %bb.91:
	v_subrev_nc_u32_e32 v90, 33, v0
	s_movk_i32 s41, 0x258
	s_mov_b32 s1, 0
.LBB105_92:                             ; =>This Inner Loop Header: Depth=1
	scratch_load_b64 v[92:93], off, s38
	v_dual_mov_b32 v91, s41 :: v_dual_add_nc_u32 v90, -1, v90
	s_add_co_i32 s41, s41, 8
	s_wait_xcnt 0x0
	s_add_co_i32 s38, s38, 8
	ds_load_b64 v[94:95], v91
	v_cmp_eq_u32_e32 vcc_lo, 0, v90
	s_or_b32 s1, vcc_lo, s1
	s_wait_loadcnt_dscnt 0x0
	v_pk_mul_f32 v[96:97], v[94:95], v[92:93] op_sel:[1,1] op_sel_hi:[0,1]
	s_delay_alu instid0(VALU_DEP_1) | instskip(SKIP_1) | instid1(VALU_DEP_2)
	v_pk_fma_f32 v[98:99], v[94:95], v[92:93], v[96:97] op_sel_hi:[1,0,1]
	v_pk_fma_f32 v[92:93], v[94:95], v[92:93], v[96:97] neg_lo:[0,0,1] neg_hi:[0,0,1]
	v_mov_b32_e32 v93, v99
	s_delay_alu instid0(VALU_DEP_1)
	v_pk_add_f32 v[88:89], v[88:89], v[92:93]
	s_and_not1_b32 exec_lo, exec_lo, s1
	s_cbranch_execnz .LBB105_92
; %bb.93:
	s_or_b32 exec_lo, exec_lo, s1
.LBB105_94:
	s_delay_alu instid0(SALU_CYCLE_1) | instskip(SKIP_4) | instid1(VALU_DEP_1)
	s_or_b32 exec_lo, exec_lo, s40
	v_mov_b32_e32 v90, 0
	ds_load_b64 v[90:91], v90 offset:256
	s_wait_dscnt 0x0
	v_pk_mul_f32 v[92:93], v[88:89], v[90:91] op_sel:[1,1] op_sel_hi:[0,1]
	v_pk_fma_f32 v[94:95], v[88:89], v[90:91], v[92:93] op_sel_hi:[1,0,1]
	v_pk_fma_f32 v[88:89], v[88:89], v[90:91], v[92:93] neg_lo:[0,0,1] neg_hi:[0,0,1]
	s_delay_alu instid0(VALU_DEP_2)
	v_mov_b32_e32 v89, v95
	scratch_store_b64 off, v[88:89], off offset:256
.LBB105_95:
	s_wait_xcnt 0x0
	s_or_b32 exec_lo, exec_lo, s39
	scratch_load_b64 v[88:89], off, off offset:248
	v_cmp_lt_u32_e64 s1, 31, v0
	s_wait_loadcnt 0x0
	ds_store_b64 v1, v[88:89]
	s_wait_storecnt_dscnt 0x0
	s_barrier_signal -1
	s_barrier_wait -1
	s_wait_xcnt 0x0
	s_and_saveexec_b32 s38, s1
	s_cbranch_execz .LBB105_105
; %bb.96:
	s_and_not1_b32 vcc_lo, exec_lo, s3
	s_cbranch_vccnz .LBB105_98
; %bb.97:
	scratch_load_b64 v[88:89], v59, off
	ds_load_b64 v[90:91], v1
	s_wait_loadcnt_dscnt 0x0
	v_pk_mul_f32 v[92:93], v[90:91], v[88:89] op_sel:[1,1] op_sel_hi:[0,1]
	s_delay_alu instid0(VALU_DEP_1) | instskip(SKIP_1) | instid1(VALU_DEP_2)
	v_pk_fma_f32 v[94:95], v[90:91], v[88:89], v[92:93] op_sel_hi:[1,0,1]
	v_pk_fma_f32 v[88:89], v[90:91], v[88:89], v[92:93] neg_lo:[0,0,1] neg_hi:[0,0,1]
	v_mov_b32_e32 v89, v95
	s_cbranch_execz .LBB105_99
	s_branch .LBB105_100
.LBB105_98:
                                        ; implicit-def: $vgpr88_vgpr89
.LBB105_99:
	ds_load_b64 v[88:89], v1
.LBB105_100:
	s_and_saveexec_b32 s39, s0
	s_cbranch_execz .LBB105_104
; %bb.101:
	v_subrev_nc_u32_e32 v90, 32, v0
	s_movk_i32 s40, 0x250
	s_mov_b32 s0, 0
.LBB105_102:                            ; =>This Inner Loop Header: Depth=1
	scratch_load_b64 v[92:93], off, s37
	v_dual_mov_b32 v91, s40 :: v_dual_add_nc_u32 v90, -1, v90
	s_add_co_i32 s40, s40, 8
	s_wait_xcnt 0x0
	s_add_co_i32 s37, s37, 8
	ds_load_b64 v[94:95], v91
	v_cmp_eq_u32_e32 vcc_lo, 0, v90
	s_or_b32 s0, vcc_lo, s0
	s_wait_loadcnt_dscnt 0x0
	v_pk_mul_f32 v[96:97], v[94:95], v[92:93] op_sel:[1,1] op_sel_hi:[0,1]
	s_delay_alu instid0(VALU_DEP_1) | instskip(SKIP_1) | instid1(VALU_DEP_2)
	v_pk_fma_f32 v[98:99], v[94:95], v[92:93], v[96:97] op_sel_hi:[1,0,1]
	v_pk_fma_f32 v[92:93], v[94:95], v[92:93], v[96:97] neg_lo:[0,0,1] neg_hi:[0,0,1]
	v_mov_b32_e32 v93, v99
	s_delay_alu instid0(VALU_DEP_1)
	v_pk_add_f32 v[88:89], v[88:89], v[92:93]
	s_and_not1_b32 exec_lo, exec_lo, s0
	s_cbranch_execnz .LBB105_102
; %bb.103:
	s_or_b32 exec_lo, exec_lo, s0
.LBB105_104:
	s_delay_alu instid0(SALU_CYCLE_1) | instskip(SKIP_4) | instid1(VALU_DEP_1)
	s_or_b32 exec_lo, exec_lo, s39
	v_mov_b32_e32 v90, 0
	ds_load_b64 v[90:91], v90 offset:248
	s_wait_dscnt 0x0
	v_pk_mul_f32 v[92:93], v[88:89], v[90:91] op_sel:[1,1] op_sel_hi:[0,1]
	v_pk_fma_f32 v[94:95], v[88:89], v[90:91], v[92:93] op_sel_hi:[1,0,1]
	v_pk_fma_f32 v[88:89], v[88:89], v[90:91], v[92:93] neg_lo:[0,0,1] neg_hi:[0,0,1]
	s_delay_alu instid0(VALU_DEP_2)
	v_mov_b32_e32 v89, v95
	scratch_store_b64 off, v[88:89], off offset:248
.LBB105_105:
	s_wait_xcnt 0x0
	s_or_b32 exec_lo, exec_lo, s38
	scratch_load_b64 v[88:89], off, off offset:240
	v_cmp_lt_u32_e64 s0, 30, v0
	s_wait_loadcnt 0x0
	ds_store_b64 v1, v[88:89]
	s_wait_storecnt_dscnt 0x0
	s_barrier_signal -1
	s_barrier_wait -1
	s_wait_xcnt 0x0
	s_and_saveexec_b32 s37, s0
	s_cbranch_execz .LBB105_115
; %bb.106:
	s_and_not1_b32 vcc_lo, exec_lo, s3
	s_cbranch_vccnz .LBB105_108
; %bb.107:
	scratch_load_b64 v[88:89], v59, off
	ds_load_b64 v[90:91], v1
	s_wait_loadcnt_dscnt 0x0
	v_pk_mul_f32 v[92:93], v[90:91], v[88:89] op_sel:[1,1] op_sel_hi:[0,1]
	s_delay_alu instid0(VALU_DEP_1) | instskip(SKIP_1) | instid1(VALU_DEP_2)
	v_pk_fma_f32 v[94:95], v[90:91], v[88:89], v[92:93] op_sel_hi:[1,0,1]
	v_pk_fma_f32 v[88:89], v[90:91], v[88:89], v[92:93] neg_lo:[0,0,1] neg_hi:[0,0,1]
	v_mov_b32_e32 v89, v95
	s_cbranch_execz .LBB105_109
	s_branch .LBB105_110
.LBB105_108:
                                        ; implicit-def: $vgpr88_vgpr89
.LBB105_109:
	ds_load_b64 v[88:89], v1
.LBB105_110:
	s_and_saveexec_b32 s38, s1
	s_cbranch_execz .LBB105_114
; %bb.111:
	v_subrev_nc_u32_e32 v90, 31, v0
	s_movk_i32 s39, 0x248
	s_mov_b32 s1, 0
.LBB105_112:                            ; =>This Inner Loop Header: Depth=1
	scratch_load_b64 v[92:93], off, s36
	v_dual_mov_b32 v91, s39 :: v_dual_add_nc_u32 v90, -1, v90
	s_add_co_i32 s39, s39, 8
	s_wait_xcnt 0x0
	s_add_co_i32 s36, s36, 8
	ds_load_b64 v[94:95], v91
	v_cmp_eq_u32_e32 vcc_lo, 0, v90
	s_or_b32 s1, vcc_lo, s1
	s_wait_loadcnt_dscnt 0x0
	v_pk_mul_f32 v[96:97], v[94:95], v[92:93] op_sel:[1,1] op_sel_hi:[0,1]
	s_delay_alu instid0(VALU_DEP_1) | instskip(SKIP_1) | instid1(VALU_DEP_2)
	v_pk_fma_f32 v[98:99], v[94:95], v[92:93], v[96:97] op_sel_hi:[1,0,1]
	v_pk_fma_f32 v[92:93], v[94:95], v[92:93], v[96:97] neg_lo:[0,0,1] neg_hi:[0,0,1]
	v_mov_b32_e32 v93, v99
	s_delay_alu instid0(VALU_DEP_1)
	v_pk_add_f32 v[88:89], v[88:89], v[92:93]
	s_and_not1_b32 exec_lo, exec_lo, s1
	s_cbranch_execnz .LBB105_112
; %bb.113:
	s_or_b32 exec_lo, exec_lo, s1
.LBB105_114:
	s_delay_alu instid0(SALU_CYCLE_1) | instskip(SKIP_4) | instid1(VALU_DEP_1)
	s_or_b32 exec_lo, exec_lo, s38
	v_mov_b32_e32 v90, 0
	ds_load_b64 v[90:91], v90 offset:240
	s_wait_dscnt 0x0
	v_pk_mul_f32 v[92:93], v[88:89], v[90:91] op_sel:[1,1] op_sel_hi:[0,1]
	v_pk_fma_f32 v[94:95], v[88:89], v[90:91], v[92:93] op_sel_hi:[1,0,1]
	v_pk_fma_f32 v[88:89], v[88:89], v[90:91], v[92:93] neg_lo:[0,0,1] neg_hi:[0,0,1]
	s_delay_alu instid0(VALU_DEP_2)
	v_mov_b32_e32 v89, v95
	scratch_store_b64 off, v[88:89], off offset:240
.LBB105_115:
	s_wait_xcnt 0x0
	s_or_b32 exec_lo, exec_lo, s37
	scratch_load_b64 v[88:89], off, off offset:232
	v_cmp_lt_u32_e64 s1, 29, v0
	s_wait_loadcnt 0x0
	ds_store_b64 v1, v[88:89]
	s_wait_storecnt_dscnt 0x0
	s_barrier_signal -1
	s_barrier_wait -1
	s_wait_xcnt 0x0
	s_and_saveexec_b32 s36, s1
	s_cbranch_execz .LBB105_125
; %bb.116:
	s_and_not1_b32 vcc_lo, exec_lo, s3
	s_cbranch_vccnz .LBB105_118
; %bb.117:
	scratch_load_b64 v[88:89], v59, off
	ds_load_b64 v[90:91], v1
	s_wait_loadcnt_dscnt 0x0
	v_pk_mul_f32 v[92:93], v[90:91], v[88:89] op_sel:[1,1] op_sel_hi:[0,1]
	s_delay_alu instid0(VALU_DEP_1) | instskip(SKIP_1) | instid1(VALU_DEP_2)
	v_pk_fma_f32 v[94:95], v[90:91], v[88:89], v[92:93] op_sel_hi:[1,0,1]
	v_pk_fma_f32 v[88:89], v[90:91], v[88:89], v[92:93] neg_lo:[0,0,1] neg_hi:[0,0,1]
	v_mov_b32_e32 v89, v95
	s_cbranch_execz .LBB105_119
	s_branch .LBB105_120
.LBB105_118:
                                        ; implicit-def: $vgpr88_vgpr89
.LBB105_119:
	ds_load_b64 v[88:89], v1
.LBB105_120:
	s_and_saveexec_b32 s37, s0
	s_cbranch_execz .LBB105_124
; %bb.121:
	v_subrev_nc_u32_e32 v90, 30, v0
	s_movk_i32 s38, 0x240
	s_mov_b32 s0, 0
.LBB105_122:                            ; =>This Inner Loop Header: Depth=1
	scratch_load_b64 v[92:93], off, s35
	v_dual_mov_b32 v91, s38 :: v_dual_add_nc_u32 v90, -1, v90
	s_add_co_i32 s38, s38, 8
	s_wait_xcnt 0x0
	s_add_co_i32 s35, s35, 8
	ds_load_b64 v[94:95], v91
	v_cmp_eq_u32_e32 vcc_lo, 0, v90
	s_or_b32 s0, vcc_lo, s0
	s_wait_loadcnt_dscnt 0x0
	v_pk_mul_f32 v[96:97], v[94:95], v[92:93] op_sel:[1,1] op_sel_hi:[0,1]
	s_delay_alu instid0(VALU_DEP_1) | instskip(SKIP_1) | instid1(VALU_DEP_2)
	v_pk_fma_f32 v[98:99], v[94:95], v[92:93], v[96:97] op_sel_hi:[1,0,1]
	v_pk_fma_f32 v[92:93], v[94:95], v[92:93], v[96:97] neg_lo:[0,0,1] neg_hi:[0,0,1]
	v_mov_b32_e32 v93, v99
	s_delay_alu instid0(VALU_DEP_1)
	v_pk_add_f32 v[88:89], v[88:89], v[92:93]
	s_and_not1_b32 exec_lo, exec_lo, s0
	s_cbranch_execnz .LBB105_122
; %bb.123:
	s_or_b32 exec_lo, exec_lo, s0
.LBB105_124:
	s_delay_alu instid0(SALU_CYCLE_1) | instskip(SKIP_4) | instid1(VALU_DEP_1)
	s_or_b32 exec_lo, exec_lo, s37
	v_mov_b32_e32 v90, 0
	ds_load_b64 v[90:91], v90 offset:232
	s_wait_dscnt 0x0
	v_pk_mul_f32 v[92:93], v[88:89], v[90:91] op_sel:[1,1] op_sel_hi:[0,1]
	v_pk_fma_f32 v[94:95], v[88:89], v[90:91], v[92:93] op_sel_hi:[1,0,1]
	v_pk_fma_f32 v[88:89], v[88:89], v[90:91], v[92:93] neg_lo:[0,0,1] neg_hi:[0,0,1]
	s_delay_alu instid0(VALU_DEP_2)
	v_mov_b32_e32 v89, v95
	scratch_store_b64 off, v[88:89], off offset:232
.LBB105_125:
	s_wait_xcnt 0x0
	s_or_b32 exec_lo, exec_lo, s36
	scratch_load_b64 v[88:89], off, off offset:224
	v_cmp_lt_u32_e64 s0, 28, v0
	s_wait_loadcnt 0x0
	ds_store_b64 v1, v[88:89]
	s_wait_storecnt_dscnt 0x0
	s_barrier_signal -1
	s_barrier_wait -1
	s_wait_xcnt 0x0
	s_and_saveexec_b32 s35, s0
	s_cbranch_execz .LBB105_135
; %bb.126:
	s_and_not1_b32 vcc_lo, exec_lo, s3
	s_cbranch_vccnz .LBB105_128
; %bb.127:
	scratch_load_b64 v[88:89], v59, off
	ds_load_b64 v[90:91], v1
	s_wait_loadcnt_dscnt 0x0
	v_pk_mul_f32 v[92:93], v[90:91], v[88:89] op_sel:[1,1] op_sel_hi:[0,1]
	s_delay_alu instid0(VALU_DEP_1) | instskip(SKIP_1) | instid1(VALU_DEP_2)
	v_pk_fma_f32 v[94:95], v[90:91], v[88:89], v[92:93] op_sel_hi:[1,0,1]
	v_pk_fma_f32 v[88:89], v[90:91], v[88:89], v[92:93] neg_lo:[0,0,1] neg_hi:[0,0,1]
	v_mov_b32_e32 v89, v95
	s_cbranch_execz .LBB105_129
	s_branch .LBB105_130
.LBB105_128:
                                        ; implicit-def: $vgpr88_vgpr89
.LBB105_129:
	ds_load_b64 v[88:89], v1
.LBB105_130:
	s_and_saveexec_b32 s36, s1
	s_cbranch_execz .LBB105_134
; %bb.131:
	v_subrev_nc_u32_e32 v90, 29, v0
	s_movk_i32 s37, 0x238
	s_mov_b32 s1, 0
.LBB105_132:                            ; =>This Inner Loop Header: Depth=1
	scratch_load_b64 v[92:93], off, s34
	v_dual_mov_b32 v91, s37 :: v_dual_add_nc_u32 v90, -1, v90
	s_add_co_i32 s37, s37, 8
	s_wait_xcnt 0x0
	s_add_co_i32 s34, s34, 8
	ds_load_b64 v[94:95], v91
	v_cmp_eq_u32_e32 vcc_lo, 0, v90
	s_or_b32 s1, vcc_lo, s1
	s_wait_loadcnt_dscnt 0x0
	v_pk_mul_f32 v[96:97], v[94:95], v[92:93] op_sel:[1,1] op_sel_hi:[0,1]
	s_delay_alu instid0(VALU_DEP_1) | instskip(SKIP_1) | instid1(VALU_DEP_2)
	v_pk_fma_f32 v[98:99], v[94:95], v[92:93], v[96:97] op_sel_hi:[1,0,1]
	v_pk_fma_f32 v[92:93], v[94:95], v[92:93], v[96:97] neg_lo:[0,0,1] neg_hi:[0,0,1]
	v_mov_b32_e32 v93, v99
	s_delay_alu instid0(VALU_DEP_1)
	v_pk_add_f32 v[88:89], v[88:89], v[92:93]
	s_and_not1_b32 exec_lo, exec_lo, s1
	s_cbranch_execnz .LBB105_132
; %bb.133:
	s_or_b32 exec_lo, exec_lo, s1
.LBB105_134:
	s_delay_alu instid0(SALU_CYCLE_1) | instskip(SKIP_4) | instid1(VALU_DEP_1)
	s_or_b32 exec_lo, exec_lo, s36
	v_mov_b32_e32 v90, 0
	ds_load_b64 v[90:91], v90 offset:224
	s_wait_dscnt 0x0
	v_pk_mul_f32 v[92:93], v[88:89], v[90:91] op_sel:[1,1] op_sel_hi:[0,1]
	v_pk_fma_f32 v[94:95], v[88:89], v[90:91], v[92:93] op_sel_hi:[1,0,1]
	v_pk_fma_f32 v[88:89], v[88:89], v[90:91], v[92:93] neg_lo:[0,0,1] neg_hi:[0,0,1]
	s_delay_alu instid0(VALU_DEP_2)
	v_mov_b32_e32 v89, v95
	scratch_store_b64 off, v[88:89], off offset:224
.LBB105_135:
	s_wait_xcnt 0x0
	s_or_b32 exec_lo, exec_lo, s35
	scratch_load_b64 v[88:89], off, off offset:216
	v_cmp_lt_u32_e64 s1, 27, v0
	s_wait_loadcnt 0x0
	ds_store_b64 v1, v[88:89]
	s_wait_storecnt_dscnt 0x0
	s_barrier_signal -1
	s_barrier_wait -1
	s_wait_xcnt 0x0
	s_and_saveexec_b32 s34, s1
	s_cbranch_execz .LBB105_145
; %bb.136:
	s_and_not1_b32 vcc_lo, exec_lo, s3
	s_cbranch_vccnz .LBB105_138
; %bb.137:
	scratch_load_b64 v[88:89], v59, off
	ds_load_b64 v[90:91], v1
	s_wait_loadcnt_dscnt 0x0
	v_pk_mul_f32 v[92:93], v[90:91], v[88:89] op_sel:[1,1] op_sel_hi:[0,1]
	s_delay_alu instid0(VALU_DEP_1) | instskip(SKIP_1) | instid1(VALU_DEP_2)
	v_pk_fma_f32 v[94:95], v[90:91], v[88:89], v[92:93] op_sel_hi:[1,0,1]
	v_pk_fma_f32 v[88:89], v[90:91], v[88:89], v[92:93] neg_lo:[0,0,1] neg_hi:[0,0,1]
	v_mov_b32_e32 v89, v95
	s_cbranch_execz .LBB105_139
	s_branch .LBB105_140
.LBB105_138:
                                        ; implicit-def: $vgpr88_vgpr89
.LBB105_139:
	ds_load_b64 v[88:89], v1
.LBB105_140:
	s_and_saveexec_b32 s35, s0
	s_cbranch_execz .LBB105_144
; %bb.141:
	v_subrev_nc_u32_e32 v90, 28, v0
	s_movk_i32 s36, 0x230
	s_mov_b32 s0, 0
.LBB105_142:                            ; =>This Inner Loop Header: Depth=1
	scratch_load_b64 v[92:93], off, s33
	v_dual_mov_b32 v91, s36 :: v_dual_add_nc_u32 v90, -1, v90
	s_add_co_i32 s36, s36, 8
	s_wait_xcnt 0x0
	s_add_co_i32 s33, s33, 8
	ds_load_b64 v[94:95], v91
	v_cmp_eq_u32_e32 vcc_lo, 0, v90
	s_or_b32 s0, vcc_lo, s0
	s_wait_loadcnt_dscnt 0x0
	v_pk_mul_f32 v[96:97], v[94:95], v[92:93] op_sel:[1,1] op_sel_hi:[0,1]
	s_delay_alu instid0(VALU_DEP_1) | instskip(SKIP_1) | instid1(VALU_DEP_2)
	v_pk_fma_f32 v[98:99], v[94:95], v[92:93], v[96:97] op_sel_hi:[1,0,1]
	v_pk_fma_f32 v[92:93], v[94:95], v[92:93], v[96:97] neg_lo:[0,0,1] neg_hi:[0,0,1]
	v_mov_b32_e32 v93, v99
	s_delay_alu instid0(VALU_DEP_1)
	v_pk_add_f32 v[88:89], v[88:89], v[92:93]
	s_and_not1_b32 exec_lo, exec_lo, s0
	s_cbranch_execnz .LBB105_142
; %bb.143:
	s_or_b32 exec_lo, exec_lo, s0
.LBB105_144:
	s_delay_alu instid0(SALU_CYCLE_1) | instskip(SKIP_4) | instid1(VALU_DEP_1)
	s_or_b32 exec_lo, exec_lo, s35
	v_mov_b32_e32 v90, 0
	ds_load_b64 v[90:91], v90 offset:216
	s_wait_dscnt 0x0
	v_pk_mul_f32 v[92:93], v[88:89], v[90:91] op_sel:[1,1] op_sel_hi:[0,1]
	v_pk_fma_f32 v[94:95], v[88:89], v[90:91], v[92:93] op_sel_hi:[1,0,1]
	v_pk_fma_f32 v[88:89], v[88:89], v[90:91], v[92:93] neg_lo:[0,0,1] neg_hi:[0,0,1]
	s_delay_alu instid0(VALU_DEP_2)
	v_mov_b32_e32 v89, v95
	scratch_store_b64 off, v[88:89], off offset:216
.LBB105_145:
	s_wait_xcnt 0x0
	s_or_b32 exec_lo, exec_lo, s34
	scratch_load_b64 v[88:89], off, off offset:208
	v_cmp_lt_u32_e64 s0, 26, v0
	s_wait_loadcnt 0x0
	ds_store_b64 v1, v[88:89]
	s_wait_storecnt_dscnt 0x0
	s_barrier_signal -1
	s_barrier_wait -1
	s_wait_xcnt 0x0
	s_and_saveexec_b32 s33, s0
	s_cbranch_execz .LBB105_155
; %bb.146:
	s_and_not1_b32 vcc_lo, exec_lo, s3
	s_cbranch_vccnz .LBB105_148
; %bb.147:
	scratch_load_b64 v[88:89], v59, off
	ds_load_b64 v[90:91], v1
	s_wait_loadcnt_dscnt 0x0
	v_pk_mul_f32 v[92:93], v[90:91], v[88:89] op_sel:[1,1] op_sel_hi:[0,1]
	s_delay_alu instid0(VALU_DEP_1) | instskip(SKIP_1) | instid1(VALU_DEP_2)
	v_pk_fma_f32 v[94:95], v[90:91], v[88:89], v[92:93] op_sel_hi:[1,0,1]
	v_pk_fma_f32 v[88:89], v[90:91], v[88:89], v[92:93] neg_lo:[0,0,1] neg_hi:[0,0,1]
	v_mov_b32_e32 v89, v95
	s_cbranch_execz .LBB105_149
	s_branch .LBB105_150
.LBB105_148:
                                        ; implicit-def: $vgpr88_vgpr89
.LBB105_149:
	ds_load_b64 v[88:89], v1
.LBB105_150:
	s_and_saveexec_b32 s34, s1
	s_cbranch_execz .LBB105_154
; %bb.151:
	v_subrev_nc_u32_e32 v90, 27, v0
	s_movk_i32 s35, 0x228
	s_mov_b32 s1, 0
.LBB105_152:                            ; =>This Inner Loop Header: Depth=1
	scratch_load_b64 v[92:93], off, s31
	v_dual_mov_b32 v91, s35 :: v_dual_add_nc_u32 v90, -1, v90
	s_add_co_i32 s35, s35, 8
	s_wait_xcnt 0x0
	s_add_co_i32 s31, s31, 8
	ds_load_b64 v[94:95], v91
	v_cmp_eq_u32_e32 vcc_lo, 0, v90
	s_or_b32 s1, vcc_lo, s1
	s_wait_loadcnt_dscnt 0x0
	v_pk_mul_f32 v[96:97], v[94:95], v[92:93] op_sel:[1,1] op_sel_hi:[0,1]
	s_delay_alu instid0(VALU_DEP_1) | instskip(SKIP_1) | instid1(VALU_DEP_2)
	v_pk_fma_f32 v[98:99], v[94:95], v[92:93], v[96:97] op_sel_hi:[1,0,1]
	v_pk_fma_f32 v[92:93], v[94:95], v[92:93], v[96:97] neg_lo:[0,0,1] neg_hi:[0,0,1]
	v_mov_b32_e32 v93, v99
	s_delay_alu instid0(VALU_DEP_1)
	v_pk_add_f32 v[88:89], v[88:89], v[92:93]
	s_and_not1_b32 exec_lo, exec_lo, s1
	s_cbranch_execnz .LBB105_152
; %bb.153:
	s_or_b32 exec_lo, exec_lo, s1
.LBB105_154:
	s_delay_alu instid0(SALU_CYCLE_1) | instskip(SKIP_4) | instid1(VALU_DEP_1)
	s_or_b32 exec_lo, exec_lo, s34
	v_mov_b32_e32 v90, 0
	ds_load_b64 v[90:91], v90 offset:208
	s_wait_dscnt 0x0
	v_pk_mul_f32 v[92:93], v[88:89], v[90:91] op_sel:[1,1] op_sel_hi:[0,1]
	v_pk_fma_f32 v[94:95], v[88:89], v[90:91], v[92:93] op_sel_hi:[1,0,1]
	v_pk_fma_f32 v[88:89], v[88:89], v[90:91], v[92:93] neg_lo:[0,0,1] neg_hi:[0,0,1]
	s_delay_alu instid0(VALU_DEP_2)
	v_mov_b32_e32 v89, v95
	scratch_store_b64 off, v[88:89], off offset:208
.LBB105_155:
	s_wait_xcnt 0x0
	s_or_b32 exec_lo, exec_lo, s33
	scratch_load_b64 v[88:89], off, off offset:200
	v_cmp_lt_u32_e64 s1, 25, v0
	s_wait_loadcnt 0x0
	ds_store_b64 v1, v[88:89]
	s_wait_storecnt_dscnt 0x0
	s_barrier_signal -1
	s_barrier_wait -1
	s_wait_xcnt 0x0
	s_and_saveexec_b32 s31, s1
	s_cbranch_execz .LBB105_165
; %bb.156:
	s_and_not1_b32 vcc_lo, exec_lo, s3
	s_cbranch_vccnz .LBB105_158
; %bb.157:
	scratch_load_b64 v[88:89], v59, off
	ds_load_b64 v[90:91], v1
	s_wait_loadcnt_dscnt 0x0
	v_pk_mul_f32 v[92:93], v[90:91], v[88:89] op_sel:[1,1] op_sel_hi:[0,1]
	s_delay_alu instid0(VALU_DEP_1) | instskip(SKIP_1) | instid1(VALU_DEP_2)
	v_pk_fma_f32 v[94:95], v[90:91], v[88:89], v[92:93] op_sel_hi:[1,0,1]
	v_pk_fma_f32 v[88:89], v[90:91], v[88:89], v[92:93] neg_lo:[0,0,1] neg_hi:[0,0,1]
	v_mov_b32_e32 v89, v95
	s_cbranch_execz .LBB105_159
	s_branch .LBB105_160
.LBB105_158:
                                        ; implicit-def: $vgpr88_vgpr89
.LBB105_159:
	ds_load_b64 v[88:89], v1
.LBB105_160:
	s_and_saveexec_b32 s33, s0
	s_cbranch_execz .LBB105_164
; %bb.161:
	v_subrev_nc_u32_e32 v90, 26, v0
	s_movk_i32 s34, 0x220
	s_mov_b32 s0, 0
.LBB105_162:                            ; =>This Inner Loop Header: Depth=1
	scratch_load_b64 v[92:93], off, s30
	v_dual_mov_b32 v91, s34 :: v_dual_add_nc_u32 v90, -1, v90
	s_add_co_i32 s34, s34, 8
	s_wait_xcnt 0x0
	s_add_co_i32 s30, s30, 8
	ds_load_b64 v[94:95], v91
	v_cmp_eq_u32_e32 vcc_lo, 0, v90
	s_or_b32 s0, vcc_lo, s0
	s_wait_loadcnt_dscnt 0x0
	v_pk_mul_f32 v[96:97], v[94:95], v[92:93] op_sel:[1,1] op_sel_hi:[0,1]
	s_delay_alu instid0(VALU_DEP_1) | instskip(SKIP_1) | instid1(VALU_DEP_2)
	v_pk_fma_f32 v[98:99], v[94:95], v[92:93], v[96:97] op_sel_hi:[1,0,1]
	v_pk_fma_f32 v[92:93], v[94:95], v[92:93], v[96:97] neg_lo:[0,0,1] neg_hi:[0,0,1]
	v_mov_b32_e32 v93, v99
	s_delay_alu instid0(VALU_DEP_1)
	v_pk_add_f32 v[88:89], v[88:89], v[92:93]
	s_and_not1_b32 exec_lo, exec_lo, s0
	s_cbranch_execnz .LBB105_162
; %bb.163:
	s_or_b32 exec_lo, exec_lo, s0
.LBB105_164:
	s_delay_alu instid0(SALU_CYCLE_1) | instskip(SKIP_4) | instid1(VALU_DEP_1)
	s_or_b32 exec_lo, exec_lo, s33
	v_mov_b32_e32 v90, 0
	ds_load_b64 v[90:91], v90 offset:200
	s_wait_dscnt 0x0
	v_pk_mul_f32 v[92:93], v[88:89], v[90:91] op_sel:[1,1] op_sel_hi:[0,1]
	v_pk_fma_f32 v[94:95], v[88:89], v[90:91], v[92:93] op_sel_hi:[1,0,1]
	v_pk_fma_f32 v[88:89], v[88:89], v[90:91], v[92:93] neg_lo:[0,0,1] neg_hi:[0,0,1]
	s_delay_alu instid0(VALU_DEP_2)
	v_mov_b32_e32 v89, v95
	scratch_store_b64 off, v[88:89], off offset:200
.LBB105_165:
	s_wait_xcnt 0x0
	s_or_b32 exec_lo, exec_lo, s31
	scratch_load_b64 v[88:89], off, off offset:192
	v_cmp_lt_u32_e64 s0, 24, v0
	s_wait_loadcnt 0x0
	ds_store_b64 v1, v[88:89]
	s_wait_storecnt_dscnt 0x0
	s_barrier_signal -1
	s_barrier_wait -1
	s_wait_xcnt 0x0
	s_and_saveexec_b32 s30, s0
	s_cbranch_execz .LBB105_175
; %bb.166:
	s_and_not1_b32 vcc_lo, exec_lo, s3
	s_cbranch_vccnz .LBB105_168
; %bb.167:
	scratch_load_b64 v[88:89], v59, off
	ds_load_b64 v[90:91], v1
	s_wait_loadcnt_dscnt 0x0
	v_pk_mul_f32 v[92:93], v[90:91], v[88:89] op_sel:[1,1] op_sel_hi:[0,1]
	s_delay_alu instid0(VALU_DEP_1) | instskip(SKIP_1) | instid1(VALU_DEP_2)
	v_pk_fma_f32 v[94:95], v[90:91], v[88:89], v[92:93] op_sel_hi:[1,0,1]
	v_pk_fma_f32 v[88:89], v[90:91], v[88:89], v[92:93] neg_lo:[0,0,1] neg_hi:[0,0,1]
	v_mov_b32_e32 v89, v95
	s_cbranch_execz .LBB105_169
	s_branch .LBB105_170
.LBB105_168:
                                        ; implicit-def: $vgpr88_vgpr89
.LBB105_169:
	ds_load_b64 v[88:89], v1
.LBB105_170:
	s_and_saveexec_b32 s31, s1
	s_cbranch_execz .LBB105_174
; %bb.171:
	v_subrev_nc_u32_e32 v90, 25, v0
	s_movk_i32 s33, 0x218
	s_mov_b32 s1, 0
.LBB105_172:                            ; =>This Inner Loop Header: Depth=1
	scratch_load_b64 v[92:93], off, s29
	v_dual_mov_b32 v91, s33 :: v_dual_add_nc_u32 v90, -1, v90
	s_add_co_i32 s33, s33, 8
	s_wait_xcnt 0x0
	s_add_co_i32 s29, s29, 8
	ds_load_b64 v[94:95], v91
	v_cmp_eq_u32_e32 vcc_lo, 0, v90
	s_or_b32 s1, vcc_lo, s1
	s_wait_loadcnt_dscnt 0x0
	v_pk_mul_f32 v[96:97], v[94:95], v[92:93] op_sel:[1,1] op_sel_hi:[0,1]
	s_delay_alu instid0(VALU_DEP_1) | instskip(SKIP_1) | instid1(VALU_DEP_2)
	v_pk_fma_f32 v[98:99], v[94:95], v[92:93], v[96:97] op_sel_hi:[1,0,1]
	v_pk_fma_f32 v[92:93], v[94:95], v[92:93], v[96:97] neg_lo:[0,0,1] neg_hi:[0,0,1]
	v_mov_b32_e32 v93, v99
	s_delay_alu instid0(VALU_DEP_1)
	v_pk_add_f32 v[88:89], v[88:89], v[92:93]
	s_and_not1_b32 exec_lo, exec_lo, s1
	s_cbranch_execnz .LBB105_172
; %bb.173:
	s_or_b32 exec_lo, exec_lo, s1
.LBB105_174:
	s_delay_alu instid0(SALU_CYCLE_1) | instskip(SKIP_4) | instid1(VALU_DEP_1)
	s_or_b32 exec_lo, exec_lo, s31
	v_mov_b32_e32 v90, 0
	ds_load_b64 v[90:91], v90 offset:192
	s_wait_dscnt 0x0
	v_pk_mul_f32 v[92:93], v[88:89], v[90:91] op_sel:[1,1] op_sel_hi:[0,1]
	v_pk_fma_f32 v[94:95], v[88:89], v[90:91], v[92:93] op_sel_hi:[1,0,1]
	v_pk_fma_f32 v[88:89], v[88:89], v[90:91], v[92:93] neg_lo:[0,0,1] neg_hi:[0,0,1]
	s_delay_alu instid0(VALU_DEP_2)
	v_mov_b32_e32 v89, v95
	scratch_store_b64 off, v[88:89], off offset:192
.LBB105_175:
	s_wait_xcnt 0x0
	s_or_b32 exec_lo, exec_lo, s30
	scratch_load_b64 v[88:89], off, off offset:184
	v_cmp_lt_u32_e64 s1, 23, v0
	s_wait_loadcnt 0x0
	ds_store_b64 v1, v[88:89]
	s_wait_storecnt_dscnt 0x0
	s_barrier_signal -1
	s_barrier_wait -1
	s_wait_xcnt 0x0
	s_and_saveexec_b32 s29, s1
	s_cbranch_execz .LBB105_185
; %bb.176:
	s_and_not1_b32 vcc_lo, exec_lo, s3
	s_cbranch_vccnz .LBB105_178
; %bb.177:
	scratch_load_b64 v[88:89], v59, off
	ds_load_b64 v[90:91], v1
	s_wait_loadcnt_dscnt 0x0
	v_pk_mul_f32 v[92:93], v[90:91], v[88:89] op_sel:[1,1] op_sel_hi:[0,1]
	s_delay_alu instid0(VALU_DEP_1) | instskip(SKIP_1) | instid1(VALU_DEP_2)
	v_pk_fma_f32 v[94:95], v[90:91], v[88:89], v[92:93] op_sel_hi:[1,0,1]
	v_pk_fma_f32 v[88:89], v[90:91], v[88:89], v[92:93] neg_lo:[0,0,1] neg_hi:[0,0,1]
	v_mov_b32_e32 v89, v95
	s_cbranch_execz .LBB105_179
	s_branch .LBB105_180
.LBB105_178:
                                        ; implicit-def: $vgpr88_vgpr89
.LBB105_179:
	ds_load_b64 v[88:89], v1
.LBB105_180:
	s_and_saveexec_b32 s30, s0
	s_cbranch_execz .LBB105_184
; %bb.181:
	v_subrev_nc_u32_e32 v90, 24, v0
	s_movk_i32 s31, 0x210
	s_mov_b32 s0, 0
.LBB105_182:                            ; =>This Inner Loop Header: Depth=1
	scratch_load_b64 v[92:93], off, s28
	v_dual_mov_b32 v91, s31 :: v_dual_add_nc_u32 v90, -1, v90
	s_add_co_i32 s31, s31, 8
	s_wait_xcnt 0x0
	s_add_co_i32 s28, s28, 8
	ds_load_b64 v[94:95], v91
	v_cmp_eq_u32_e32 vcc_lo, 0, v90
	s_or_b32 s0, vcc_lo, s0
	s_wait_loadcnt_dscnt 0x0
	v_pk_mul_f32 v[96:97], v[94:95], v[92:93] op_sel:[1,1] op_sel_hi:[0,1]
	s_delay_alu instid0(VALU_DEP_1) | instskip(SKIP_1) | instid1(VALU_DEP_2)
	v_pk_fma_f32 v[98:99], v[94:95], v[92:93], v[96:97] op_sel_hi:[1,0,1]
	v_pk_fma_f32 v[92:93], v[94:95], v[92:93], v[96:97] neg_lo:[0,0,1] neg_hi:[0,0,1]
	v_mov_b32_e32 v93, v99
	s_delay_alu instid0(VALU_DEP_1)
	v_pk_add_f32 v[88:89], v[88:89], v[92:93]
	s_and_not1_b32 exec_lo, exec_lo, s0
	s_cbranch_execnz .LBB105_182
; %bb.183:
	s_or_b32 exec_lo, exec_lo, s0
.LBB105_184:
	s_delay_alu instid0(SALU_CYCLE_1) | instskip(SKIP_4) | instid1(VALU_DEP_1)
	s_or_b32 exec_lo, exec_lo, s30
	v_mov_b32_e32 v90, 0
	ds_load_b64 v[90:91], v90 offset:184
	s_wait_dscnt 0x0
	v_pk_mul_f32 v[92:93], v[88:89], v[90:91] op_sel:[1,1] op_sel_hi:[0,1]
	v_pk_fma_f32 v[94:95], v[88:89], v[90:91], v[92:93] op_sel_hi:[1,0,1]
	v_pk_fma_f32 v[88:89], v[88:89], v[90:91], v[92:93] neg_lo:[0,0,1] neg_hi:[0,0,1]
	s_delay_alu instid0(VALU_DEP_2)
	v_mov_b32_e32 v89, v95
	scratch_store_b64 off, v[88:89], off offset:184
.LBB105_185:
	s_wait_xcnt 0x0
	s_or_b32 exec_lo, exec_lo, s29
	scratch_load_b64 v[88:89], off, off offset:176
	v_cmp_lt_u32_e64 s0, 22, v0
	s_wait_loadcnt 0x0
	ds_store_b64 v1, v[88:89]
	s_wait_storecnt_dscnt 0x0
	s_barrier_signal -1
	s_barrier_wait -1
	s_wait_xcnt 0x0
	s_and_saveexec_b32 s28, s0
	s_cbranch_execz .LBB105_195
; %bb.186:
	s_and_not1_b32 vcc_lo, exec_lo, s3
	s_cbranch_vccnz .LBB105_188
; %bb.187:
	scratch_load_b64 v[88:89], v59, off
	ds_load_b64 v[90:91], v1
	s_wait_loadcnt_dscnt 0x0
	v_pk_mul_f32 v[92:93], v[90:91], v[88:89] op_sel:[1,1] op_sel_hi:[0,1]
	s_delay_alu instid0(VALU_DEP_1) | instskip(SKIP_1) | instid1(VALU_DEP_2)
	v_pk_fma_f32 v[94:95], v[90:91], v[88:89], v[92:93] op_sel_hi:[1,0,1]
	v_pk_fma_f32 v[88:89], v[90:91], v[88:89], v[92:93] neg_lo:[0,0,1] neg_hi:[0,0,1]
	v_mov_b32_e32 v89, v95
	s_cbranch_execz .LBB105_189
	s_branch .LBB105_190
.LBB105_188:
                                        ; implicit-def: $vgpr88_vgpr89
.LBB105_189:
	ds_load_b64 v[88:89], v1
.LBB105_190:
	s_and_saveexec_b32 s29, s1
	s_cbranch_execz .LBB105_194
; %bb.191:
	v_subrev_nc_u32_e32 v90, 23, v0
	s_movk_i32 s30, 0x208
	s_mov_b32 s1, 0
.LBB105_192:                            ; =>This Inner Loop Header: Depth=1
	scratch_load_b64 v[92:93], off, s27
	v_dual_mov_b32 v91, s30 :: v_dual_add_nc_u32 v90, -1, v90
	s_add_co_i32 s30, s30, 8
	s_wait_xcnt 0x0
	s_add_co_i32 s27, s27, 8
	ds_load_b64 v[94:95], v91
	v_cmp_eq_u32_e32 vcc_lo, 0, v90
	s_or_b32 s1, vcc_lo, s1
	s_wait_loadcnt_dscnt 0x0
	v_pk_mul_f32 v[96:97], v[94:95], v[92:93] op_sel:[1,1] op_sel_hi:[0,1]
	s_delay_alu instid0(VALU_DEP_1) | instskip(SKIP_1) | instid1(VALU_DEP_2)
	v_pk_fma_f32 v[98:99], v[94:95], v[92:93], v[96:97] op_sel_hi:[1,0,1]
	v_pk_fma_f32 v[92:93], v[94:95], v[92:93], v[96:97] neg_lo:[0,0,1] neg_hi:[0,0,1]
	v_mov_b32_e32 v93, v99
	s_delay_alu instid0(VALU_DEP_1)
	v_pk_add_f32 v[88:89], v[88:89], v[92:93]
	s_and_not1_b32 exec_lo, exec_lo, s1
	s_cbranch_execnz .LBB105_192
; %bb.193:
	s_or_b32 exec_lo, exec_lo, s1
.LBB105_194:
	s_delay_alu instid0(SALU_CYCLE_1) | instskip(SKIP_4) | instid1(VALU_DEP_1)
	s_or_b32 exec_lo, exec_lo, s29
	v_mov_b32_e32 v90, 0
	ds_load_b64 v[90:91], v90 offset:176
	s_wait_dscnt 0x0
	v_pk_mul_f32 v[92:93], v[88:89], v[90:91] op_sel:[1,1] op_sel_hi:[0,1]
	v_pk_fma_f32 v[94:95], v[88:89], v[90:91], v[92:93] op_sel_hi:[1,0,1]
	v_pk_fma_f32 v[88:89], v[88:89], v[90:91], v[92:93] neg_lo:[0,0,1] neg_hi:[0,0,1]
	s_delay_alu instid0(VALU_DEP_2)
	v_mov_b32_e32 v89, v95
	scratch_store_b64 off, v[88:89], off offset:176
.LBB105_195:
	s_wait_xcnt 0x0
	s_or_b32 exec_lo, exec_lo, s28
	scratch_load_b64 v[88:89], off, off offset:168
	v_cmp_lt_u32_e64 s1, 21, v0
	s_wait_loadcnt 0x0
	ds_store_b64 v1, v[88:89]
	s_wait_storecnt_dscnt 0x0
	s_barrier_signal -1
	s_barrier_wait -1
	s_wait_xcnt 0x0
	s_and_saveexec_b32 s27, s1
	s_cbranch_execz .LBB105_205
; %bb.196:
	s_and_not1_b32 vcc_lo, exec_lo, s3
	s_cbranch_vccnz .LBB105_198
; %bb.197:
	scratch_load_b64 v[88:89], v59, off
	ds_load_b64 v[90:91], v1
	s_wait_loadcnt_dscnt 0x0
	v_pk_mul_f32 v[92:93], v[90:91], v[88:89] op_sel:[1,1] op_sel_hi:[0,1]
	s_delay_alu instid0(VALU_DEP_1) | instskip(SKIP_1) | instid1(VALU_DEP_2)
	v_pk_fma_f32 v[94:95], v[90:91], v[88:89], v[92:93] op_sel_hi:[1,0,1]
	v_pk_fma_f32 v[88:89], v[90:91], v[88:89], v[92:93] neg_lo:[0,0,1] neg_hi:[0,0,1]
	v_mov_b32_e32 v89, v95
	s_cbranch_execz .LBB105_199
	s_branch .LBB105_200
.LBB105_198:
                                        ; implicit-def: $vgpr88_vgpr89
.LBB105_199:
	ds_load_b64 v[88:89], v1
.LBB105_200:
	s_and_saveexec_b32 s28, s0
	s_cbranch_execz .LBB105_204
; %bb.201:
	v_subrev_nc_u32_e32 v90, 22, v0
	s_movk_i32 s29, 0x200
	s_mov_b32 s0, 0
.LBB105_202:                            ; =>This Inner Loop Header: Depth=1
	scratch_load_b64 v[92:93], off, s26
	v_dual_mov_b32 v91, s29 :: v_dual_add_nc_u32 v90, -1, v90
	s_add_co_i32 s29, s29, 8
	s_wait_xcnt 0x0
	s_add_co_i32 s26, s26, 8
	ds_load_b64 v[94:95], v91
	v_cmp_eq_u32_e32 vcc_lo, 0, v90
	s_or_b32 s0, vcc_lo, s0
	s_wait_loadcnt_dscnt 0x0
	v_pk_mul_f32 v[96:97], v[94:95], v[92:93] op_sel:[1,1] op_sel_hi:[0,1]
	s_delay_alu instid0(VALU_DEP_1) | instskip(SKIP_1) | instid1(VALU_DEP_2)
	v_pk_fma_f32 v[98:99], v[94:95], v[92:93], v[96:97] op_sel_hi:[1,0,1]
	v_pk_fma_f32 v[92:93], v[94:95], v[92:93], v[96:97] neg_lo:[0,0,1] neg_hi:[0,0,1]
	v_mov_b32_e32 v93, v99
	s_delay_alu instid0(VALU_DEP_1)
	v_pk_add_f32 v[88:89], v[88:89], v[92:93]
	s_and_not1_b32 exec_lo, exec_lo, s0
	s_cbranch_execnz .LBB105_202
; %bb.203:
	s_or_b32 exec_lo, exec_lo, s0
.LBB105_204:
	s_delay_alu instid0(SALU_CYCLE_1) | instskip(SKIP_4) | instid1(VALU_DEP_1)
	s_or_b32 exec_lo, exec_lo, s28
	v_mov_b32_e32 v90, 0
	ds_load_b64 v[90:91], v90 offset:168
	s_wait_dscnt 0x0
	v_pk_mul_f32 v[92:93], v[88:89], v[90:91] op_sel:[1,1] op_sel_hi:[0,1]
	v_pk_fma_f32 v[94:95], v[88:89], v[90:91], v[92:93] op_sel_hi:[1,0,1]
	v_pk_fma_f32 v[88:89], v[88:89], v[90:91], v[92:93] neg_lo:[0,0,1] neg_hi:[0,0,1]
	s_delay_alu instid0(VALU_DEP_2)
	v_mov_b32_e32 v89, v95
	scratch_store_b64 off, v[88:89], off offset:168
.LBB105_205:
	s_wait_xcnt 0x0
	s_or_b32 exec_lo, exec_lo, s27
	scratch_load_b64 v[88:89], off, off offset:160
	v_cmp_lt_u32_e64 s0, 20, v0
	s_wait_loadcnt 0x0
	ds_store_b64 v1, v[88:89]
	s_wait_storecnt_dscnt 0x0
	s_barrier_signal -1
	s_barrier_wait -1
	s_wait_xcnt 0x0
	s_and_saveexec_b32 s26, s0
	s_cbranch_execz .LBB105_215
; %bb.206:
	s_and_not1_b32 vcc_lo, exec_lo, s3
	s_cbranch_vccnz .LBB105_208
; %bb.207:
	scratch_load_b64 v[88:89], v59, off
	ds_load_b64 v[90:91], v1
	s_wait_loadcnt_dscnt 0x0
	v_pk_mul_f32 v[92:93], v[90:91], v[88:89] op_sel:[1,1] op_sel_hi:[0,1]
	s_delay_alu instid0(VALU_DEP_1) | instskip(SKIP_1) | instid1(VALU_DEP_2)
	v_pk_fma_f32 v[94:95], v[90:91], v[88:89], v[92:93] op_sel_hi:[1,0,1]
	v_pk_fma_f32 v[88:89], v[90:91], v[88:89], v[92:93] neg_lo:[0,0,1] neg_hi:[0,0,1]
	v_mov_b32_e32 v89, v95
	s_cbranch_execz .LBB105_209
	s_branch .LBB105_210
.LBB105_208:
                                        ; implicit-def: $vgpr88_vgpr89
.LBB105_209:
	ds_load_b64 v[88:89], v1
.LBB105_210:
	s_and_saveexec_b32 s27, s1
	s_cbranch_execz .LBB105_214
; %bb.211:
	v_subrev_nc_u32_e32 v90, 21, v0
	s_movk_i32 s28, 0x1f8
	s_mov_b32 s1, 0
.LBB105_212:                            ; =>This Inner Loop Header: Depth=1
	scratch_load_b64 v[92:93], off, s25
	v_dual_mov_b32 v91, s28 :: v_dual_add_nc_u32 v90, -1, v90
	s_add_co_i32 s28, s28, 8
	s_wait_xcnt 0x0
	s_add_co_i32 s25, s25, 8
	ds_load_b64 v[94:95], v91
	v_cmp_eq_u32_e32 vcc_lo, 0, v90
	s_or_b32 s1, vcc_lo, s1
	s_wait_loadcnt_dscnt 0x0
	v_pk_mul_f32 v[96:97], v[94:95], v[92:93] op_sel:[1,1] op_sel_hi:[0,1]
	s_delay_alu instid0(VALU_DEP_1) | instskip(SKIP_1) | instid1(VALU_DEP_2)
	v_pk_fma_f32 v[98:99], v[94:95], v[92:93], v[96:97] op_sel_hi:[1,0,1]
	v_pk_fma_f32 v[92:93], v[94:95], v[92:93], v[96:97] neg_lo:[0,0,1] neg_hi:[0,0,1]
	v_mov_b32_e32 v93, v99
	s_delay_alu instid0(VALU_DEP_1)
	v_pk_add_f32 v[88:89], v[88:89], v[92:93]
	s_and_not1_b32 exec_lo, exec_lo, s1
	s_cbranch_execnz .LBB105_212
; %bb.213:
	s_or_b32 exec_lo, exec_lo, s1
.LBB105_214:
	s_delay_alu instid0(SALU_CYCLE_1) | instskip(SKIP_4) | instid1(VALU_DEP_1)
	s_or_b32 exec_lo, exec_lo, s27
	v_mov_b32_e32 v90, 0
	ds_load_b64 v[90:91], v90 offset:160
	s_wait_dscnt 0x0
	v_pk_mul_f32 v[92:93], v[88:89], v[90:91] op_sel:[1,1] op_sel_hi:[0,1]
	v_pk_fma_f32 v[94:95], v[88:89], v[90:91], v[92:93] op_sel_hi:[1,0,1]
	v_pk_fma_f32 v[88:89], v[88:89], v[90:91], v[92:93] neg_lo:[0,0,1] neg_hi:[0,0,1]
	s_delay_alu instid0(VALU_DEP_2)
	v_mov_b32_e32 v89, v95
	scratch_store_b64 off, v[88:89], off offset:160
.LBB105_215:
	s_wait_xcnt 0x0
	s_or_b32 exec_lo, exec_lo, s26
	scratch_load_b64 v[88:89], off, off offset:152
	v_cmp_lt_u32_e64 s1, 19, v0
	s_wait_loadcnt 0x0
	ds_store_b64 v1, v[88:89]
	s_wait_storecnt_dscnt 0x0
	s_barrier_signal -1
	s_barrier_wait -1
	s_wait_xcnt 0x0
	s_and_saveexec_b32 s25, s1
	s_cbranch_execz .LBB105_225
; %bb.216:
	s_and_not1_b32 vcc_lo, exec_lo, s3
	s_cbranch_vccnz .LBB105_218
; %bb.217:
	scratch_load_b64 v[88:89], v59, off
	ds_load_b64 v[90:91], v1
	s_wait_loadcnt_dscnt 0x0
	v_pk_mul_f32 v[92:93], v[90:91], v[88:89] op_sel:[1,1] op_sel_hi:[0,1]
	s_delay_alu instid0(VALU_DEP_1) | instskip(SKIP_1) | instid1(VALU_DEP_2)
	v_pk_fma_f32 v[94:95], v[90:91], v[88:89], v[92:93] op_sel_hi:[1,0,1]
	v_pk_fma_f32 v[88:89], v[90:91], v[88:89], v[92:93] neg_lo:[0,0,1] neg_hi:[0,0,1]
	v_mov_b32_e32 v89, v95
	s_cbranch_execz .LBB105_219
	s_branch .LBB105_220
.LBB105_218:
                                        ; implicit-def: $vgpr88_vgpr89
.LBB105_219:
	ds_load_b64 v[88:89], v1
.LBB105_220:
	s_and_saveexec_b32 s26, s0
	s_cbranch_execz .LBB105_224
; %bb.221:
	v_subrev_nc_u32_e32 v90, 20, v0
	s_movk_i32 s27, 0x1f0
	s_mov_b32 s0, 0
.LBB105_222:                            ; =>This Inner Loop Header: Depth=1
	scratch_load_b64 v[92:93], off, s24
	v_dual_mov_b32 v91, s27 :: v_dual_add_nc_u32 v90, -1, v90
	s_add_co_i32 s27, s27, 8
	s_wait_xcnt 0x0
	s_add_co_i32 s24, s24, 8
	ds_load_b64 v[94:95], v91
	v_cmp_eq_u32_e32 vcc_lo, 0, v90
	s_or_b32 s0, vcc_lo, s0
	s_wait_loadcnt_dscnt 0x0
	v_pk_mul_f32 v[96:97], v[94:95], v[92:93] op_sel:[1,1] op_sel_hi:[0,1]
	s_delay_alu instid0(VALU_DEP_1) | instskip(SKIP_1) | instid1(VALU_DEP_2)
	v_pk_fma_f32 v[98:99], v[94:95], v[92:93], v[96:97] op_sel_hi:[1,0,1]
	v_pk_fma_f32 v[92:93], v[94:95], v[92:93], v[96:97] neg_lo:[0,0,1] neg_hi:[0,0,1]
	v_mov_b32_e32 v93, v99
	s_delay_alu instid0(VALU_DEP_1)
	v_pk_add_f32 v[88:89], v[88:89], v[92:93]
	s_and_not1_b32 exec_lo, exec_lo, s0
	s_cbranch_execnz .LBB105_222
; %bb.223:
	s_or_b32 exec_lo, exec_lo, s0
.LBB105_224:
	s_delay_alu instid0(SALU_CYCLE_1) | instskip(SKIP_4) | instid1(VALU_DEP_1)
	s_or_b32 exec_lo, exec_lo, s26
	v_mov_b32_e32 v90, 0
	ds_load_b64 v[90:91], v90 offset:152
	s_wait_dscnt 0x0
	v_pk_mul_f32 v[92:93], v[88:89], v[90:91] op_sel:[1,1] op_sel_hi:[0,1]
	v_pk_fma_f32 v[94:95], v[88:89], v[90:91], v[92:93] op_sel_hi:[1,0,1]
	v_pk_fma_f32 v[88:89], v[88:89], v[90:91], v[92:93] neg_lo:[0,0,1] neg_hi:[0,0,1]
	s_delay_alu instid0(VALU_DEP_2)
	v_mov_b32_e32 v89, v95
	scratch_store_b64 off, v[88:89], off offset:152
.LBB105_225:
	s_wait_xcnt 0x0
	s_or_b32 exec_lo, exec_lo, s25
	scratch_load_b64 v[88:89], off, off offset:144
	v_cmp_lt_u32_e64 s0, 18, v0
	s_wait_loadcnt 0x0
	ds_store_b64 v1, v[88:89]
	s_wait_storecnt_dscnt 0x0
	s_barrier_signal -1
	s_barrier_wait -1
	s_wait_xcnt 0x0
	s_and_saveexec_b32 s24, s0
	s_cbranch_execz .LBB105_235
; %bb.226:
	s_and_not1_b32 vcc_lo, exec_lo, s3
	s_cbranch_vccnz .LBB105_228
; %bb.227:
	scratch_load_b64 v[88:89], v59, off
	ds_load_b64 v[90:91], v1
	s_wait_loadcnt_dscnt 0x0
	v_pk_mul_f32 v[92:93], v[90:91], v[88:89] op_sel:[1,1] op_sel_hi:[0,1]
	s_delay_alu instid0(VALU_DEP_1) | instskip(SKIP_1) | instid1(VALU_DEP_2)
	v_pk_fma_f32 v[94:95], v[90:91], v[88:89], v[92:93] op_sel_hi:[1,0,1]
	v_pk_fma_f32 v[88:89], v[90:91], v[88:89], v[92:93] neg_lo:[0,0,1] neg_hi:[0,0,1]
	v_mov_b32_e32 v89, v95
	s_cbranch_execz .LBB105_229
	s_branch .LBB105_230
.LBB105_228:
                                        ; implicit-def: $vgpr88_vgpr89
.LBB105_229:
	ds_load_b64 v[88:89], v1
.LBB105_230:
	s_and_saveexec_b32 s25, s1
	s_cbranch_execz .LBB105_234
; %bb.231:
	v_subrev_nc_u32_e32 v90, 19, v0
	s_movk_i32 s26, 0x1e8
	s_mov_b32 s1, 0
.LBB105_232:                            ; =>This Inner Loop Header: Depth=1
	scratch_load_b64 v[92:93], off, s23
	v_dual_mov_b32 v91, s26 :: v_dual_add_nc_u32 v90, -1, v90
	s_add_co_i32 s26, s26, 8
	s_wait_xcnt 0x0
	s_add_co_i32 s23, s23, 8
	ds_load_b64 v[94:95], v91
	v_cmp_eq_u32_e32 vcc_lo, 0, v90
	s_or_b32 s1, vcc_lo, s1
	s_wait_loadcnt_dscnt 0x0
	v_pk_mul_f32 v[96:97], v[94:95], v[92:93] op_sel:[1,1] op_sel_hi:[0,1]
	s_delay_alu instid0(VALU_DEP_1) | instskip(SKIP_1) | instid1(VALU_DEP_2)
	v_pk_fma_f32 v[98:99], v[94:95], v[92:93], v[96:97] op_sel_hi:[1,0,1]
	v_pk_fma_f32 v[92:93], v[94:95], v[92:93], v[96:97] neg_lo:[0,0,1] neg_hi:[0,0,1]
	v_mov_b32_e32 v93, v99
	s_delay_alu instid0(VALU_DEP_1)
	v_pk_add_f32 v[88:89], v[88:89], v[92:93]
	s_and_not1_b32 exec_lo, exec_lo, s1
	s_cbranch_execnz .LBB105_232
; %bb.233:
	s_or_b32 exec_lo, exec_lo, s1
.LBB105_234:
	s_delay_alu instid0(SALU_CYCLE_1) | instskip(SKIP_4) | instid1(VALU_DEP_1)
	s_or_b32 exec_lo, exec_lo, s25
	v_mov_b32_e32 v90, 0
	ds_load_b64 v[90:91], v90 offset:144
	s_wait_dscnt 0x0
	v_pk_mul_f32 v[92:93], v[88:89], v[90:91] op_sel:[1,1] op_sel_hi:[0,1]
	v_pk_fma_f32 v[94:95], v[88:89], v[90:91], v[92:93] op_sel_hi:[1,0,1]
	v_pk_fma_f32 v[88:89], v[88:89], v[90:91], v[92:93] neg_lo:[0,0,1] neg_hi:[0,0,1]
	s_delay_alu instid0(VALU_DEP_2)
	v_mov_b32_e32 v89, v95
	scratch_store_b64 off, v[88:89], off offset:144
.LBB105_235:
	s_wait_xcnt 0x0
	s_or_b32 exec_lo, exec_lo, s24
	scratch_load_b64 v[88:89], off, off offset:136
	v_cmp_lt_u32_e64 s1, 17, v0
	s_wait_loadcnt 0x0
	ds_store_b64 v1, v[88:89]
	s_wait_storecnt_dscnt 0x0
	s_barrier_signal -1
	s_barrier_wait -1
	s_wait_xcnt 0x0
	s_and_saveexec_b32 s23, s1
	s_cbranch_execz .LBB105_245
; %bb.236:
	s_and_not1_b32 vcc_lo, exec_lo, s3
	s_cbranch_vccnz .LBB105_238
; %bb.237:
	scratch_load_b64 v[88:89], v59, off
	ds_load_b64 v[90:91], v1
	s_wait_loadcnt_dscnt 0x0
	v_pk_mul_f32 v[92:93], v[90:91], v[88:89] op_sel:[1,1] op_sel_hi:[0,1]
	s_delay_alu instid0(VALU_DEP_1) | instskip(SKIP_1) | instid1(VALU_DEP_2)
	v_pk_fma_f32 v[94:95], v[90:91], v[88:89], v[92:93] op_sel_hi:[1,0,1]
	v_pk_fma_f32 v[88:89], v[90:91], v[88:89], v[92:93] neg_lo:[0,0,1] neg_hi:[0,0,1]
	v_mov_b32_e32 v89, v95
	s_cbranch_execz .LBB105_239
	s_branch .LBB105_240
.LBB105_238:
                                        ; implicit-def: $vgpr88_vgpr89
.LBB105_239:
	ds_load_b64 v[88:89], v1
.LBB105_240:
	s_and_saveexec_b32 s24, s0
	s_cbranch_execz .LBB105_244
; %bb.241:
	v_subrev_nc_u32_e32 v90, 18, v0
	s_movk_i32 s25, 0x1e0
	s_mov_b32 s0, 0
.LBB105_242:                            ; =>This Inner Loop Header: Depth=1
	scratch_load_b64 v[92:93], off, s22
	v_dual_mov_b32 v91, s25 :: v_dual_add_nc_u32 v90, -1, v90
	s_add_co_i32 s25, s25, 8
	s_wait_xcnt 0x0
	s_add_co_i32 s22, s22, 8
	ds_load_b64 v[94:95], v91
	v_cmp_eq_u32_e32 vcc_lo, 0, v90
	s_or_b32 s0, vcc_lo, s0
	s_wait_loadcnt_dscnt 0x0
	v_pk_mul_f32 v[96:97], v[94:95], v[92:93] op_sel:[1,1] op_sel_hi:[0,1]
	s_delay_alu instid0(VALU_DEP_1) | instskip(SKIP_1) | instid1(VALU_DEP_2)
	v_pk_fma_f32 v[98:99], v[94:95], v[92:93], v[96:97] op_sel_hi:[1,0,1]
	v_pk_fma_f32 v[92:93], v[94:95], v[92:93], v[96:97] neg_lo:[0,0,1] neg_hi:[0,0,1]
	v_mov_b32_e32 v93, v99
	s_delay_alu instid0(VALU_DEP_1)
	v_pk_add_f32 v[88:89], v[88:89], v[92:93]
	s_and_not1_b32 exec_lo, exec_lo, s0
	s_cbranch_execnz .LBB105_242
; %bb.243:
	s_or_b32 exec_lo, exec_lo, s0
.LBB105_244:
	s_delay_alu instid0(SALU_CYCLE_1) | instskip(SKIP_4) | instid1(VALU_DEP_1)
	s_or_b32 exec_lo, exec_lo, s24
	v_mov_b32_e32 v90, 0
	ds_load_b64 v[90:91], v90 offset:136
	s_wait_dscnt 0x0
	v_pk_mul_f32 v[92:93], v[88:89], v[90:91] op_sel:[1,1] op_sel_hi:[0,1]
	v_pk_fma_f32 v[94:95], v[88:89], v[90:91], v[92:93] op_sel_hi:[1,0,1]
	v_pk_fma_f32 v[88:89], v[88:89], v[90:91], v[92:93] neg_lo:[0,0,1] neg_hi:[0,0,1]
	s_delay_alu instid0(VALU_DEP_2)
	v_mov_b32_e32 v89, v95
	scratch_store_b64 off, v[88:89], off offset:136
.LBB105_245:
	s_wait_xcnt 0x0
	s_or_b32 exec_lo, exec_lo, s23
	scratch_load_b64 v[88:89], off, off offset:128
	v_cmp_lt_u32_e64 s0, 16, v0
	s_wait_loadcnt 0x0
	ds_store_b64 v1, v[88:89]
	s_wait_storecnt_dscnt 0x0
	s_barrier_signal -1
	s_barrier_wait -1
	s_wait_xcnt 0x0
	s_and_saveexec_b32 s22, s0
	s_cbranch_execz .LBB105_255
; %bb.246:
	s_and_not1_b32 vcc_lo, exec_lo, s3
	s_cbranch_vccnz .LBB105_248
; %bb.247:
	scratch_load_b64 v[88:89], v59, off
	ds_load_b64 v[90:91], v1
	s_wait_loadcnt_dscnt 0x0
	v_pk_mul_f32 v[92:93], v[90:91], v[88:89] op_sel:[1,1] op_sel_hi:[0,1]
	s_delay_alu instid0(VALU_DEP_1) | instskip(SKIP_1) | instid1(VALU_DEP_2)
	v_pk_fma_f32 v[94:95], v[90:91], v[88:89], v[92:93] op_sel_hi:[1,0,1]
	v_pk_fma_f32 v[88:89], v[90:91], v[88:89], v[92:93] neg_lo:[0,0,1] neg_hi:[0,0,1]
	v_mov_b32_e32 v89, v95
	s_cbranch_execz .LBB105_249
	s_branch .LBB105_250
.LBB105_248:
                                        ; implicit-def: $vgpr88_vgpr89
.LBB105_249:
	ds_load_b64 v[88:89], v1
.LBB105_250:
	s_and_saveexec_b32 s23, s1
	s_cbranch_execz .LBB105_254
; %bb.251:
	v_subrev_nc_u32_e32 v90, 17, v0
	s_movk_i32 s24, 0x1d8
	s_mov_b32 s1, 0
.LBB105_252:                            ; =>This Inner Loop Header: Depth=1
	scratch_load_b64 v[92:93], off, s21
	v_dual_mov_b32 v91, s24 :: v_dual_add_nc_u32 v90, -1, v90
	s_add_co_i32 s24, s24, 8
	s_wait_xcnt 0x0
	s_add_co_i32 s21, s21, 8
	ds_load_b64 v[94:95], v91
	v_cmp_eq_u32_e32 vcc_lo, 0, v90
	s_or_b32 s1, vcc_lo, s1
	s_wait_loadcnt_dscnt 0x0
	v_pk_mul_f32 v[96:97], v[94:95], v[92:93] op_sel:[1,1] op_sel_hi:[0,1]
	s_delay_alu instid0(VALU_DEP_1) | instskip(SKIP_1) | instid1(VALU_DEP_2)
	v_pk_fma_f32 v[98:99], v[94:95], v[92:93], v[96:97] op_sel_hi:[1,0,1]
	v_pk_fma_f32 v[92:93], v[94:95], v[92:93], v[96:97] neg_lo:[0,0,1] neg_hi:[0,0,1]
	v_mov_b32_e32 v93, v99
	s_delay_alu instid0(VALU_DEP_1)
	v_pk_add_f32 v[88:89], v[88:89], v[92:93]
	s_and_not1_b32 exec_lo, exec_lo, s1
	s_cbranch_execnz .LBB105_252
; %bb.253:
	s_or_b32 exec_lo, exec_lo, s1
.LBB105_254:
	s_delay_alu instid0(SALU_CYCLE_1) | instskip(SKIP_4) | instid1(VALU_DEP_1)
	s_or_b32 exec_lo, exec_lo, s23
	v_mov_b32_e32 v90, 0
	ds_load_b64 v[90:91], v90 offset:128
	s_wait_dscnt 0x0
	v_pk_mul_f32 v[92:93], v[88:89], v[90:91] op_sel:[1,1] op_sel_hi:[0,1]
	v_pk_fma_f32 v[94:95], v[88:89], v[90:91], v[92:93] op_sel_hi:[1,0,1]
	v_pk_fma_f32 v[88:89], v[88:89], v[90:91], v[92:93] neg_lo:[0,0,1] neg_hi:[0,0,1]
	s_delay_alu instid0(VALU_DEP_2)
	v_mov_b32_e32 v89, v95
	scratch_store_b64 off, v[88:89], off offset:128
.LBB105_255:
	s_wait_xcnt 0x0
	s_or_b32 exec_lo, exec_lo, s22
	scratch_load_b64 v[88:89], off, off offset:120
	v_cmp_lt_u32_e64 s1, 15, v0
	s_wait_loadcnt 0x0
	ds_store_b64 v1, v[88:89]
	s_wait_storecnt_dscnt 0x0
	s_barrier_signal -1
	s_barrier_wait -1
	s_wait_xcnt 0x0
	s_and_saveexec_b32 s21, s1
	s_cbranch_execz .LBB105_265
; %bb.256:
	s_and_not1_b32 vcc_lo, exec_lo, s3
	s_cbranch_vccnz .LBB105_258
; %bb.257:
	scratch_load_b64 v[88:89], v59, off
	ds_load_b64 v[90:91], v1
	s_wait_loadcnt_dscnt 0x0
	v_pk_mul_f32 v[92:93], v[90:91], v[88:89] op_sel:[1,1] op_sel_hi:[0,1]
	s_delay_alu instid0(VALU_DEP_1) | instskip(SKIP_1) | instid1(VALU_DEP_2)
	v_pk_fma_f32 v[94:95], v[90:91], v[88:89], v[92:93] op_sel_hi:[1,0,1]
	v_pk_fma_f32 v[88:89], v[90:91], v[88:89], v[92:93] neg_lo:[0,0,1] neg_hi:[0,0,1]
	v_mov_b32_e32 v89, v95
	s_cbranch_execz .LBB105_259
	s_branch .LBB105_260
.LBB105_258:
                                        ; implicit-def: $vgpr88_vgpr89
.LBB105_259:
	ds_load_b64 v[88:89], v1
.LBB105_260:
	s_and_saveexec_b32 s22, s0
	s_cbranch_execz .LBB105_264
; %bb.261:
	v_add_nc_u32_e32 v90, -16, v0
	s_movk_i32 s23, 0x1d0
	s_mov_b32 s0, 0
.LBB105_262:                            ; =>This Inner Loop Header: Depth=1
	scratch_load_b64 v[92:93], off, s20
	v_dual_mov_b32 v91, s23 :: v_dual_add_nc_u32 v90, -1, v90
	s_add_co_i32 s23, s23, 8
	s_wait_xcnt 0x0
	s_add_co_i32 s20, s20, 8
	ds_load_b64 v[94:95], v91
	v_cmp_eq_u32_e32 vcc_lo, 0, v90
	s_or_b32 s0, vcc_lo, s0
	s_wait_loadcnt_dscnt 0x0
	v_pk_mul_f32 v[96:97], v[94:95], v[92:93] op_sel:[1,1] op_sel_hi:[0,1]
	s_delay_alu instid0(VALU_DEP_1) | instskip(SKIP_1) | instid1(VALU_DEP_2)
	v_pk_fma_f32 v[98:99], v[94:95], v[92:93], v[96:97] op_sel_hi:[1,0,1]
	v_pk_fma_f32 v[92:93], v[94:95], v[92:93], v[96:97] neg_lo:[0,0,1] neg_hi:[0,0,1]
	v_mov_b32_e32 v93, v99
	s_delay_alu instid0(VALU_DEP_1)
	v_pk_add_f32 v[88:89], v[88:89], v[92:93]
	s_and_not1_b32 exec_lo, exec_lo, s0
	s_cbranch_execnz .LBB105_262
; %bb.263:
	s_or_b32 exec_lo, exec_lo, s0
.LBB105_264:
	s_delay_alu instid0(SALU_CYCLE_1) | instskip(SKIP_4) | instid1(VALU_DEP_1)
	s_or_b32 exec_lo, exec_lo, s22
	v_mov_b32_e32 v90, 0
	ds_load_b64 v[90:91], v90 offset:120
	s_wait_dscnt 0x0
	v_pk_mul_f32 v[92:93], v[88:89], v[90:91] op_sel:[1,1] op_sel_hi:[0,1]
	v_pk_fma_f32 v[94:95], v[88:89], v[90:91], v[92:93] op_sel_hi:[1,0,1]
	v_pk_fma_f32 v[88:89], v[88:89], v[90:91], v[92:93] neg_lo:[0,0,1] neg_hi:[0,0,1]
	s_delay_alu instid0(VALU_DEP_2)
	v_mov_b32_e32 v89, v95
	scratch_store_b64 off, v[88:89], off offset:120
.LBB105_265:
	s_wait_xcnt 0x0
	s_or_b32 exec_lo, exec_lo, s21
	scratch_load_b64 v[88:89], off, off offset:112
	v_cmp_lt_u32_e64 s0, 14, v0
	s_wait_loadcnt 0x0
	ds_store_b64 v1, v[88:89]
	s_wait_storecnt_dscnt 0x0
	s_barrier_signal -1
	s_barrier_wait -1
	s_wait_xcnt 0x0
	s_and_saveexec_b32 s20, s0
	s_cbranch_execz .LBB105_275
; %bb.266:
	s_and_not1_b32 vcc_lo, exec_lo, s3
	s_cbranch_vccnz .LBB105_268
; %bb.267:
	scratch_load_b64 v[88:89], v59, off
	ds_load_b64 v[90:91], v1
	s_wait_loadcnt_dscnt 0x0
	v_pk_mul_f32 v[92:93], v[90:91], v[88:89] op_sel:[1,1] op_sel_hi:[0,1]
	s_delay_alu instid0(VALU_DEP_1) | instskip(SKIP_1) | instid1(VALU_DEP_2)
	v_pk_fma_f32 v[94:95], v[90:91], v[88:89], v[92:93] op_sel_hi:[1,0,1]
	v_pk_fma_f32 v[88:89], v[90:91], v[88:89], v[92:93] neg_lo:[0,0,1] neg_hi:[0,0,1]
	v_mov_b32_e32 v89, v95
	s_cbranch_execz .LBB105_269
	s_branch .LBB105_270
.LBB105_268:
                                        ; implicit-def: $vgpr88_vgpr89
.LBB105_269:
	ds_load_b64 v[88:89], v1
.LBB105_270:
	s_and_saveexec_b32 s21, s1
	s_cbranch_execz .LBB105_274
; %bb.271:
	v_add_nc_u32_e32 v90, -15, v0
	s_movk_i32 s22, 0x1c8
	s_mov_b32 s1, 0
.LBB105_272:                            ; =>This Inner Loop Header: Depth=1
	scratch_load_b64 v[92:93], off, s19
	v_dual_mov_b32 v91, s22 :: v_dual_add_nc_u32 v90, -1, v90
	s_add_co_i32 s22, s22, 8
	s_wait_xcnt 0x0
	s_add_co_i32 s19, s19, 8
	ds_load_b64 v[94:95], v91
	v_cmp_eq_u32_e32 vcc_lo, 0, v90
	s_or_b32 s1, vcc_lo, s1
	s_wait_loadcnt_dscnt 0x0
	v_pk_mul_f32 v[96:97], v[94:95], v[92:93] op_sel:[1,1] op_sel_hi:[0,1]
	s_delay_alu instid0(VALU_DEP_1) | instskip(SKIP_1) | instid1(VALU_DEP_2)
	v_pk_fma_f32 v[98:99], v[94:95], v[92:93], v[96:97] op_sel_hi:[1,0,1]
	v_pk_fma_f32 v[92:93], v[94:95], v[92:93], v[96:97] neg_lo:[0,0,1] neg_hi:[0,0,1]
	v_mov_b32_e32 v93, v99
	s_delay_alu instid0(VALU_DEP_1)
	v_pk_add_f32 v[88:89], v[88:89], v[92:93]
	s_and_not1_b32 exec_lo, exec_lo, s1
	s_cbranch_execnz .LBB105_272
; %bb.273:
	s_or_b32 exec_lo, exec_lo, s1
.LBB105_274:
	s_delay_alu instid0(SALU_CYCLE_1) | instskip(SKIP_4) | instid1(VALU_DEP_1)
	s_or_b32 exec_lo, exec_lo, s21
	v_mov_b32_e32 v90, 0
	ds_load_b64 v[90:91], v90 offset:112
	s_wait_dscnt 0x0
	v_pk_mul_f32 v[92:93], v[88:89], v[90:91] op_sel:[1,1] op_sel_hi:[0,1]
	v_pk_fma_f32 v[94:95], v[88:89], v[90:91], v[92:93] op_sel_hi:[1,0,1]
	v_pk_fma_f32 v[88:89], v[88:89], v[90:91], v[92:93] neg_lo:[0,0,1] neg_hi:[0,0,1]
	s_delay_alu instid0(VALU_DEP_2)
	v_mov_b32_e32 v89, v95
	scratch_store_b64 off, v[88:89], off offset:112
.LBB105_275:
	s_wait_xcnt 0x0
	s_or_b32 exec_lo, exec_lo, s20
	scratch_load_b64 v[88:89], off, off offset:104
	v_cmp_lt_u32_e64 s1, 13, v0
	s_wait_loadcnt 0x0
	ds_store_b64 v1, v[88:89]
	s_wait_storecnt_dscnt 0x0
	s_barrier_signal -1
	s_barrier_wait -1
	s_wait_xcnt 0x0
	s_and_saveexec_b32 s19, s1
	s_cbranch_execz .LBB105_285
; %bb.276:
	s_and_not1_b32 vcc_lo, exec_lo, s3
	s_cbranch_vccnz .LBB105_278
; %bb.277:
	scratch_load_b64 v[88:89], v59, off
	ds_load_b64 v[90:91], v1
	s_wait_loadcnt_dscnt 0x0
	v_pk_mul_f32 v[92:93], v[90:91], v[88:89] op_sel:[1,1] op_sel_hi:[0,1]
	s_delay_alu instid0(VALU_DEP_1) | instskip(SKIP_1) | instid1(VALU_DEP_2)
	v_pk_fma_f32 v[94:95], v[90:91], v[88:89], v[92:93] op_sel_hi:[1,0,1]
	v_pk_fma_f32 v[88:89], v[90:91], v[88:89], v[92:93] neg_lo:[0,0,1] neg_hi:[0,0,1]
	v_mov_b32_e32 v89, v95
	s_cbranch_execz .LBB105_279
	s_branch .LBB105_280
.LBB105_278:
                                        ; implicit-def: $vgpr88_vgpr89
.LBB105_279:
	ds_load_b64 v[88:89], v1
.LBB105_280:
	s_and_saveexec_b32 s20, s0
	s_cbranch_execz .LBB105_284
; %bb.281:
	v_add_nc_u32_e32 v90, -14, v0
	s_movk_i32 s21, 0x1c0
	s_mov_b32 s0, 0
.LBB105_282:                            ; =>This Inner Loop Header: Depth=1
	scratch_load_b64 v[92:93], off, s18
	v_dual_mov_b32 v91, s21 :: v_dual_add_nc_u32 v90, -1, v90
	s_add_co_i32 s21, s21, 8
	s_wait_xcnt 0x0
	s_add_co_i32 s18, s18, 8
	ds_load_b64 v[94:95], v91
	v_cmp_eq_u32_e32 vcc_lo, 0, v90
	s_or_b32 s0, vcc_lo, s0
	s_wait_loadcnt_dscnt 0x0
	v_pk_mul_f32 v[96:97], v[94:95], v[92:93] op_sel:[1,1] op_sel_hi:[0,1]
	s_delay_alu instid0(VALU_DEP_1) | instskip(SKIP_1) | instid1(VALU_DEP_2)
	v_pk_fma_f32 v[98:99], v[94:95], v[92:93], v[96:97] op_sel_hi:[1,0,1]
	v_pk_fma_f32 v[92:93], v[94:95], v[92:93], v[96:97] neg_lo:[0,0,1] neg_hi:[0,0,1]
	v_mov_b32_e32 v93, v99
	s_delay_alu instid0(VALU_DEP_1)
	v_pk_add_f32 v[88:89], v[88:89], v[92:93]
	s_and_not1_b32 exec_lo, exec_lo, s0
	s_cbranch_execnz .LBB105_282
; %bb.283:
	s_or_b32 exec_lo, exec_lo, s0
.LBB105_284:
	s_delay_alu instid0(SALU_CYCLE_1) | instskip(SKIP_4) | instid1(VALU_DEP_1)
	s_or_b32 exec_lo, exec_lo, s20
	v_mov_b32_e32 v90, 0
	ds_load_b64 v[90:91], v90 offset:104
	s_wait_dscnt 0x0
	v_pk_mul_f32 v[92:93], v[88:89], v[90:91] op_sel:[1,1] op_sel_hi:[0,1]
	v_pk_fma_f32 v[94:95], v[88:89], v[90:91], v[92:93] op_sel_hi:[1,0,1]
	v_pk_fma_f32 v[88:89], v[88:89], v[90:91], v[92:93] neg_lo:[0,0,1] neg_hi:[0,0,1]
	s_delay_alu instid0(VALU_DEP_2)
	v_mov_b32_e32 v89, v95
	scratch_store_b64 off, v[88:89], off offset:104
.LBB105_285:
	s_wait_xcnt 0x0
	s_or_b32 exec_lo, exec_lo, s19
	scratch_load_b64 v[88:89], off, off offset:96
	v_cmp_lt_u32_e64 s0, 12, v0
	s_wait_loadcnt 0x0
	ds_store_b64 v1, v[88:89]
	s_wait_storecnt_dscnt 0x0
	s_barrier_signal -1
	s_barrier_wait -1
	s_wait_xcnt 0x0
	s_and_saveexec_b32 s18, s0
	s_cbranch_execz .LBB105_295
; %bb.286:
	s_and_not1_b32 vcc_lo, exec_lo, s3
	s_cbranch_vccnz .LBB105_288
; %bb.287:
	scratch_load_b64 v[88:89], v59, off
	ds_load_b64 v[90:91], v1
	s_wait_loadcnt_dscnt 0x0
	v_pk_mul_f32 v[92:93], v[90:91], v[88:89] op_sel:[1,1] op_sel_hi:[0,1]
	s_delay_alu instid0(VALU_DEP_1) | instskip(SKIP_1) | instid1(VALU_DEP_2)
	v_pk_fma_f32 v[94:95], v[90:91], v[88:89], v[92:93] op_sel_hi:[1,0,1]
	v_pk_fma_f32 v[88:89], v[90:91], v[88:89], v[92:93] neg_lo:[0,0,1] neg_hi:[0,0,1]
	v_mov_b32_e32 v89, v95
	s_cbranch_execz .LBB105_289
	s_branch .LBB105_290
.LBB105_288:
                                        ; implicit-def: $vgpr88_vgpr89
.LBB105_289:
	ds_load_b64 v[88:89], v1
.LBB105_290:
	s_and_saveexec_b32 s19, s1
	s_cbranch_execz .LBB105_294
; %bb.291:
	v_add_nc_u32_e32 v90, -13, v0
	s_movk_i32 s20, 0x1b8
	s_mov_b32 s1, 0
.LBB105_292:                            ; =>This Inner Loop Header: Depth=1
	scratch_load_b64 v[92:93], off, s17
	v_dual_mov_b32 v91, s20 :: v_dual_add_nc_u32 v90, -1, v90
	s_add_co_i32 s20, s20, 8
	s_wait_xcnt 0x0
	s_add_co_i32 s17, s17, 8
	ds_load_b64 v[94:95], v91
	v_cmp_eq_u32_e32 vcc_lo, 0, v90
	s_or_b32 s1, vcc_lo, s1
	s_wait_loadcnt_dscnt 0x0
	v_pk_mul_f32 v[96:97], v[94:95], v[92:93] op_sel:[1,1] op_sel_hi:[0,1]
	s_delay_alu instid0(VALU_DEP_1) | instskip(SKIP_1) | instid1(VALU_DEP_2)
	v_pk_fma_f32 v[98:99], v[94:95], v[92:93], v[96:97] op_sel_hi:[1,0,1]
	v_pk_fma_f32 v[92:93], v[94:95], v[92:93], v[96:97] neg_lo:[0,0,1] neg_hi:[0,0,1]
	v_mov_b32_e32 v93, v99
	s_delay_alu instid0(VALU_DEP_1)
	v_pk_add_f32 v[88:89], v[88:89], v[92:93]
	s_and_not1_b32 exec_lo, exec_lo, s1
	s_cbranch_execnz .LBB105_292
; %bb.293:
	s_or_b32 exec_lo, exec_lo, s1
.LBB105_294:
	s_delay_alu instid0(SALU_CYCLE_1) | instskip(SKIP_4) | instid1(VALU_DEP_1)
	s_or_b32 exec_lo, exec_lo, s19
	v_mov_b32_e32 v90, 0
	ds_load_b64 v[90:91], v90 offset:96
	s_wait_dscnt 0x0
	v_pk_mul_f32 v[92:93], v[88:89], v[90:91] op_sel:[1,1] op_sel_hi:[0,1]
	v_pk_fma_f32 v[94:95], v[88:89], v[90:91], v[92:93] op_sel_hi:[1,0,1]
	v_pk_fma_f32 v[88:89], v[88:89], v[90:91], v[92:93] neg_lo:[0,0,1] neg_hi:[0,0,1]
	s_delay_alu instid0(VALU_DEP_2)
	v_mov_b32_e32 v89, v95
	scratch_store_b64 off, v[88:89], off offset:96
.LBB105_295:
	s_wait_xcnt 0x0
	s_or_b32 exec_lo, exec_lo, s18
	scratch_load_b64 v[88:89], off, off offset:88
	v_cmp_lt_u32_e64 s1, 11, v0
	s_wait_loadcnt 0x0
	ds_store_b64 v1, v[88:89]
	s_wait_storecnt_dscnt 0x0
	s_barrier_signal -1
	s_barrier_wait -1
	s_wait_xcnt 0x0
	s_and_saveexec_b32 s17, s1
	s_cbranch_execz .LBB105_305
; %bb.296:
	s_and_not1_b32 vcc_lo, exec_lo, s3
	s_cbranch_vccnz .LBB105_298
; %bb.297:
	scratch_load_b64 v[88:89], v59, off
	ds_load_b64 v[90:91], v1
	s_wait_loadcnt_dscnt 0x0
	v_pk_mul_f32 v[92:93], v[90:91], v[88:89] op_sel:[1,1] op_sel_hi:[0,1]
	s_delay_alu instid0(VALU_DEP_1) | instskip(SKIP_1) | instid1(VALU_DEP_2)
	v_pk_fma_f32 v[94:95], v[90:91], v[88:89], v[92:93] op_sel_hi:[1,0,1]
	v_pk_fma_f32 v[88:89], v[90:91], v[88:89], v[92:93] neg_lo:[0,0,1] neg_hi:[0,0,1]
	v_mov_b32_e32 v89, v95
	s_cbranch_execz .LBB105_299
	s_branch .LBB105_300
.LBB105_298:
                                        ; implicit-def: $vgpr88_vgpr89
.LBB105_299:
	ds_load_b64 v[88:89], v1
.LBB105_300:
	s_and_saveexec_b32 s18, s0
	s_cbranch_execz .LBB105_304
; %bb.301:
	v_add_nc_u32_e32 v90, -12, v0
	s_movk_i32 s19, 0x1b0
	s_mov_b32 s0, 0
.LBB105_302:                            ; =>This Inner Loop Header: Depth=1
	scratch_load_b64 v[92:93], off, s16
	v_dual_mov_b32 v91, s19 :: v_dual_add_nc_u32 v90, -1, v90
	s_add_co_i32 s19, s19, 8
	s_wait_xcnt 0x0
	s_add_co_i32 s16, s16, 8
	ds_load_b64 v[94:95], v91
	v_cmp_eq_u32_e32 vcc_lo, 0, v90
	s_or_b32 s0, vcc_lo, s0
	s_wait_loadcnt_dscnt 0x0
	v_pk_mul_f32 v[96:97], v[94:95], v[92:93] op_sel:[1,1] op_sel_hi:[0,1]
	s_delay_alu instid0(VALU_DEP_1) | instskip(SKIP_1) | instid1(VALU_DEP_2)
	v_pk_fma_f32 v[98:99], v[94:95], v[92:93], v[96:97] op_sel_hi:[1,0,1]
	v_pk_fma_f32 v[92:93], v[94:95], v[92:93], v[96:97] neg_lo:[0,0,1] neg_hi:[0,0,1]
	v_mov_b32_e32 v93, v99
	s_delay_alu instid0(VALU_DEP_1)
	v_pk_add_f32 v[88:89], v[88:89], v[92:93]
	s_and_not1_b32 exec_lo, exec_lo, s0
	s_cbranch_execnz .LBB105_302
; %bb.303:
	s_or_b32 exec_lo, exec_lo, s0
.LBB105_304:
	s_delay_alu instid0(SALU_CYCLE_1) | instskip(SKIP_4) | instid1(VALU_DEP_1)
	s_or_b32 exec_lo, exec_lo, s18
	v_mov_b32_e32 v90, 0
	ds_load_b64 v[90:91], v90 offset:88
	s_wait_dscnt 0x0
	v_pk_mul_f32 v[92:93], v[88:89], v[90:91] op_sel:[1,1] op_sel_hi:[0,1]
	v_pk_fma_f32 v[94:95], v[88:89], v[90:91], v[92:93] op_sel_hi:[1,0,1]
	v_pk_fma_f32 v[88:89], v[88:89], v[90:91], v[92:93] neg_lo:[0,0,1] neg_hi:[0,0,1]
	s_delay_alu instid0(VALU_DEP_2)
	v_mov_b32_e32 v89, v95
	scratch_store_b64 off, v[88:89], off offset:88
.LBB105_305:
	s_wait_xcnt 0x0
	s_or_b32 exec_lo, exec_lo, s17
	scratch_load_b64 v[88:89], off, off offset:80
	v_cmp_lt_u32_e64 s0, 10, v0
	s_wait_loadcnt 0x0
	ds_store_b64 v1, v[88:89]
	s_wait_storecnt_dscnt 0x0
	s_barrier_signal -1
	s_barrier_wait -1
	s_wait_xcnt 0x0
	s_and_saveexec_b32 s16, s0
	s_cbranch_execz .LBB105_315
; %bb.306:
	s_and_not1_b32 vcc_lo, exec_lo, s3
	s_cbranch_vccnz .LBB105_308
; %bb.307:
	scratch_load_b64 v[88:89], v59, off
	ds_load_b64 v[90:91], v1
	s_wait_loadcnt_dscnt 0x0
	v_pk_mul_f32 v[92:93], v[90:91], v[88:89] op_sel:[1,1] op_sel_hi:[0,1]
	s_delay_alu instid0(VALU_DEP_1) | instskip(SKIP_1) | instid1(VALU_DEP_2)
	v_pk_fma_f32 v[94:95], v[90:91], v[88:89], v[92:93] op_sel_hi:[1,0,1]
	v_pk_fma_f32 v[88:89], v[90:91], v[88:89], v[92:93] neg_lo:[0,0,1] neg_hi:[0,0,1]
	v_mov_b32_e32 v89, v95
	s_cbranch_execz .LBB105_309
	s_branch .LBB105_310
.LBB105_308:
                                        ; implicit-def: $vgpr88_vgpr89
.LBB105_309:
	ds_load_b64 v[88:89], v1
.LBB105_310:
	s_and_saveexec_b32 s17, s1
	s_cbranch_execz .LBB105_314
; %bb.311:
	v_add_nc_u32_e32 v90, -11, v0
	s_movk_i32 s18, 0x1a8
	s_mov_b32 s1, 0
.LBB105_312:                            ; =>This Inner Loop Header: Depth=1
	scratch_load_b64 v[92:93], off, s15
	v_dual_mov_b32 v91, s18 :: v_dual_add_nc_u32 v90, -1, v90
	s_add_co_i32 s18, s18, 8
	s_wait_xcnt 0x0
	s_add_co_i32 s15, s15, 8
	ds_load_b64 v[94:95], v91
	v_cmp_eq_u32_e32 vcc_lo, 0, v90
	s_or_b32 s1, vcc_lo, s1
	s_wait_loadcnt_dscnt 0x0
	v_pk_mul_f32 v[96:97], v[94:95], v[92:93] op_sel:[1,1] op_sel_hi:[0,1]
	s_delay_alu instid0(VALU_DEP_1) | instskip(SKIP_1) | instid1(VALU_DEP_2)
	v_pk_fma_f32 v[98:99], v[94:95], v[92:93], v[96:97] op_sel_hi:[1,0,1]
	v_pk_fma_f32 v[92:93], v[94:95], v[92:93], v[96:97] neg_lo:[0,0,1] neg_hi:[0,0,1]
	v_mov_b32_e32 v93, v99
	s_delay_alu instid0(VALU_DEP_1)
	v_pk_add_f32 v[88:89], v[88:89], v[92:93]
	s_and_not1_b32 exec_lo, exec_lo, s1
	s_cbranch_execnz .LBB105_312
; %bb.313:
	s_or_b32 exec_lo, exec_lo, s1
.LBB105_314:
	s_delay_alu instid0(SALU_CYCLE_1) | instskip(SKIP_4) | instid1(VALU_DEP_1)
	s_or_b32 exec_lo, exec_lo, s17
	v_mov_b32_e32 v90, 0
	ds_load_b64 v[90:91], v90 offset:80
	s_wait_dscnt 0x0
	v_pk_mul_f32 v[92:93], v[88:89], v[90:91] op_sel:[1,1] op_sel_hi:[0,1]
	v_pk_fma_f32 v[94:95], v[88:89], v[90:91], v[92:93] op_sel_hi:[1,0,1]
	v_pk_fma_f32 v[88:89], v[88:89], v[90:91], v[92:93] neg_lo:[0,0,1] neg_hi:[0,0,1]
	s_delay_alu instid0(VALU_DEP_2)
	v_mov_b32_e32 v89, v95
	scratch_store_b64 off, v[88:89], off offset:80
.LBB105_315:
	s_wait_xcnt 0x0
	s_or_b32 exec_lo, exec_lo, s16
	scratch_load_b64 v[88:89], off, off offset:72
	v_cmp_lt_u32_e64 s1, 9, v0
	s_wait_loadcnt 0x0
	ds_store_b64 v1, v[88:89]
	s_wait_storecnt_dscnt 0x0
	s_barrier_signal -1
	s_barrier_wait -1
	s_wait_xcnt 0x0
	s_and_saveexec_b32 s15, s1
	s_cbranch_execz .LBB105_325
; %bb.316:
	s_and_not1_b32 vcc_lo, exec_lo, s3
	s_cbranch_vccnz .LBB105_318
; %bb.317:
	scratch_load_b64 v[88:89], v59, off
	ds_load_b64 v[90:91], v1
	s_wait_loadcnt_dscnt 0x0
	v_pk_mul_f32 v[92:93], v[90:91], v[88:89] op_sel:[1,1] op_sel_hi:[0,1]
	s_delay_alu instid0(VALU_DEP_1) | instskip(SKIP_1) | instid1(VALU_DEP_2)
	v_pk_fma_f32 v[94:95], v[90:91], v[88:89], v[92:93] op_sel_hi:[1,0,1]
	v_pk_fma_f32 v[88:89], v[90:91], v[88:89], v[92:93] neg_lo:[0,0,1] neg_hi:[0,0,1]
	v_mov_b32_e32 v89, v95
	s_cbranch_execz .LBB105_319
	s_branch .LBB105_320
.LBB105_318:
                                        ; implicit-def: $vgpr88_vgpr89
.LBB105_319:
	ds_load_b64 v[88:89], v1
.LBB105_320:
	s_and_saveexec_b32 s16, s0
	s_cbranch_execz .LBB105_324
; %bb.321:
	v_add_nc_u32_e32 v90, -10, v0
	s_movk_i32 s17, 0x1a0
	s_mov_b32 s0, 0
.LBB105_322:                            ; =>This Inner Loop Header: Depth=1
	scratch_load_b64 v[92:93], off, s14
	v_dual_mov_b32 v91, s17 :: v_dual_add_nc_u32 v90, -1, v90
	s_add_co_i32 s17, s17, 8
	s_wait_xcnt 0x0
	s_add_co_i32 s14, s14, 8
	ds_load_b64 v[94:95], v91
	v_cmp_eq_u32_e32 vcc_lo, 0, v90
	s_or_b32 s0, vcc_lo, s0
	s_wait_loadcnt_dscnt 0x0
	v_pk_mul_f32 v[96:97], v[94:95], v[92:93] op_sel:[1,1] op_sel_hi:[0,1]
	s_delay_alu instid0(VALU_DEP_1) | instskip(SKIP_1) | instid1(VALU_DEP_2)
	v_pk_fma_f32 v[98:99], v[94:95], v[92:93], v[96:97] op_sel_hi:[1,0,1]
	v_pk_fma_f32 v[92:93], v[94:95], v[92:93], v[96:97] neg_lo:[0,0,1] neg_hi:[0,0,1]
	v_mov_b32_e32 v93, v99
	s_delay_alu instid0(VALU_DEP_1)
	v_pk_add_f32 v[88:89], v[88:89], v[92:93]
	s_and_not1_b32 exec_lo, exec_lo, s0
	s_cbranch_execnz .LBB105_322
; %bb.323:
	s_or_b32 exec_lo, exec_lo, s0
.LBB105_324:
	s_delay_alu instid0(SALU_CYCLE_1) | instskip(SKIP_4) | instid1(VALU_DEP_1)
	s_or_b32 exec_lo, exec_lo, s16
	v_mov_b32_e32 v90, 0
	ds_load_b64 v[90:91], v90 offset:72
	s_wait_dscnt 0x0
	v_pk_mul_f32 v[92:93], v[88:89], v[90:91] op_sel:[1,1] op_sel_hi:[0,1]
	v_pk_fma_f32 v[94:95], v[88:89], v[90:91], v[92:93] op_sel_hi:[1,0,1]
	v_pk_fma_f32 v[88:89], v[88:89], v[90:91], v[92:93] neg_lo:[0,0,1] neg_hi:[0,0,1]
	s_delay_alu instid0(VALU_DEP_2)
	v_mov_b32_e32 v89, v95
	scratch_store_b64 off, v[88:89], off offset:72
.LBB105_325:
	s_wait_xcnt 0x0
	s_or_b32 exec_lo, exec_lo, s15
	scratch_load_b64 v[88:89], off, off offset:64
	v_cmp_lt_u32_e64 s0, 8, v0
	s_wait_loadcnt 0x0
	ds_store_b64 v1, v[88:89]
	s_wait_storecnt_dscnt 0x0
	s_barrier_signal -1
	s_barrier_wait -1
	s_wait_xcnt 0x0
	s_and_saveexec_b32 s14, s0
	s_cbranch_execz .LBB105_335
; %bb.326:
	s_and_not1_b32 vcc_lo, exec_lo, s3
	s_cbranch_vccnz .LBB105_328
; %bb.327:
	scratch_load_b64 v[88:89], v59, off
	ds_load_b64 v[90:91], v1
	s_wait_loadcnt_dscnt 0x0
	v_pk_mul_f32 v[92:93], v[90:91], v[88:89] op_sel:[1,1] op_sel_hi:[0,1]
	s_delay_alu instid0(VALU_DEP_1) | instskip(SKIP_1) | instid1(VALU_DEP_2)
	v_pk_fma_f32 v[94:95], v[90:91], v[88:89], v[92:93] op_sel_hi:[1,0,1]
	v_pk_fma_f32 v[88:89], v[90:91], v[88:89], v[92:93] neg_lo:[0,0,1] neg_hi:[0,0,1]
	v_mov_b32_e32 v89, v95
	s_cbranch_execz .LBB105_329
	s_branch .LBB105_330
.LBB105_328:
                                        ; implicit-def: $vgpr88_vgpr89
.LBB105_329:
	ds_load_b64 v[88:89], v1
.LBB105_330:
	s_and_saveexec_b32 s15, s1
	s_cbranch_execz .LBB105_334
; %bb.331:
	v_add_nc_u32_e32 v90, -9, v0
	s_movk_i32 s16, 0x198
	s_mov_b32 s1, 0
.LBB105_332:                            ; =>This Inner Loop Header: Depth=1
	scratch_load_b64 v[92:93], off, s13
	v_dual_mov_b32 v91, s16 :: v_dual_add_nc_u32 v90, -1, v90
	s_add_co_i32 s16, s16, 8
	s_wait_xcnt 0x0
	s_add_co_i32 s13, s13, 8
	ds_load_b64 v[94:95], v91
	v_cmp_eq_u32_e32 vcc_lo, 0, v90
	s_or_b32 s1, vcc_lo, s1
	s_wait_loadcnt_dscnt 0x0
	v_pk_mul_f32 v[96:97], v[94:95], v[92:93] op_sel:[1,1] op_sel_hi:[0,1]
	s_delay_alu instid0(VALU_DEP_1) | instskip(SKIP_1) | instid1(VALU_DEP_2)
	v_pk_fma_f32 v[98:99], v[94:95], v[92:93], v[96:97] op_sel_hi:[1,0,1]
	v_pk_fma_f32 v[92:93], v[94:95], v[92:93], v[96:97] neg_lo:[0,0,1] neg_hi:[0,0,1]
	v_mov_b32_e32 v93, v99
	s_delay_alu instid0(VALU_DEP_1)
	v_pk_add_f32 v[88:89], v[88:89], v[92:93]
	s_and_not1_b32 exec_lo, exec_lo, s1
	s_cbranch_execnz .LBB105_332
; %bb.333:
	s_or_b32 exec_lo, exec_lo, s1
.LBB105_334:
	s_delay_alu instid0(SALU_CYCLE_1) | instskip(SKIP_4) | instid1(VALU_DEP_1)
	s_or_b32 exec_lo, exec_lo, s15
	v_mov_b32_e32 v90, 0
	ds_load_b64 v[90:91], v90 offset:64
	s_wait_dscnt 0x0
	v_pk_mul_f32 v[92:93], v[88:89], v[90:91] op_sel:[1,1] op_sel_hi:[0,1]
	v_pk_fma_f32 v[94:95], v[88:89], v[90:91], v[92:93] op_sel_hi:[1,0,1]
	v_pk_fma_f32 v[88:89], v[88:89], v[90:91], v[92:93] neg_lo:[0,0,1] neg_hi:[0,0,1]
	s_delay_alu instid0(VALU_DEP_2)
	v_mov_b32_e32 v89, v95
	scratch_store_b64 off, v[88:89], off offset:64
.LBB105_335:
	s_wait_xcnt 0x0
	s_or_b32 exec_lo, exec_lo, s14
	scratch_load_b64 v[88:89], off, off offset:56
	v_cmp_lt_u32_e64 s1, 7, v0
	s_wait_loadcnt 0x0
	ds_store_b64 v1, v[88:89]
	s_wait_storecnt_dscnt 0x0
	s_barrier_signal -1
	s_barrier_wait -1
	s_wait_xcnt 0x0
	s_and_saveexec_b32 s13, s1
	s_cbranch_execz .LBB105_345
; %bb.336:
	s_and_not1_b32 vcc_lo, exec_lo, s3
	s_cbranch_vccnz .LBB105_338
; %bb.337:
	scratch_load_b64 v[88:89], v59, off
	ds_load_b64 v[90:91], v1
	s_wait_loadcnt_dscnt 0x0
	v_pk_mul_f32 v[92:93], v[90:91], v[88:89] op_sel:[1,1] op_sel_hi:[0,1]
	s_delay_alu instid0(VALU_DEP_1) | instskip(SKIP_1) | instid1(VALU_DEP_2)
	v_pk_fma_f32 v[94:95], v[90:91], v[88:89], v[92:93] op_sel_hi:[1,0,1]
	v_pk_fma_f32 v[88:89], v[90:91], v[88:89], v[92:93] neg_lo:[0,0,1] neg_hi:[0,0,1]
	v_mov_b32_e32 v89, v95
	s_cbranch_execz .LBB105_339
	s_branch .LBB105_340
.LBB105_338:
                                        ; implicit-def: $vgpr88_vgpr89
.LBB105_339:
	ds_load_b64 v[88:89], v1
.LBB105_340:
	s_and_saveexec_b32 s14, s0
	s_cbranch_execz .LBB105_344
; %bb.341:
	v_add_nc_u32_e32 v90, -8, v0
	s_movk_i32 s15, 0x190
	s_mov_b32 s0, 0
.LBB105_342:                            ; =>This Inner Loop Header: Depth=1
	scratch_load_b64 v[92:93], off, s12
	v_dual_mov_b32 v91, s15 :: v_dual_add_nc_u32 v90, -1, v90
	s_add_co_i32 s15, s15, 8
	s_wait_xcnt 0x0
	s_add_co_i32 s12, s12, 8
	ds_load_b64 v[94:95], v91
	v_cmp_eq_u32_e32 vcc_lo, 0, v90
	s_or_b32 s0, vcc_lo, s0
	s_wait_loadcnt_dscnt 0x0
	v_pk_mul_f32 v[96:97], v[94:95], v[92:93] op_sel:[1,1] op_sel_hi:[0,1]
	s_delay_alu instid0(VALU_DEP_1) | instskip(SKIP_1) | instid1(VALU_DEP_2)
	v_pk_fma_f32 v[98:99], v[94:95], v[92:93], v[96:97] op_sel_hi:[1,0,1]
	v_pk_fma_f32 v[92:93], v[94:95], v[92:93], v[96:97] neg_lo:[0,0,1] neg_hi:[0,0,1]
	v_mov_b32_e32 v93, v99
	s_delay_alu instid0(VALU_DEP_1)
	v_pk_add_f32 v[88:89], v[88:89], v[92:93]
	s_and_not1_b32 exec_lo, exec_lo, s0
	s_cbranch_execnz .LBB105_342
; %bb.343:
	s_or_b32 exec_lo, exec_lo, s0
.LBB105_344:
	s_delay_alu instid0(SALU_CYCLE_1) | instskip(SKIP_4) | instid1(VALU_DEP_1)
	s_or_b32 exec_lo, exec_lo, s14
	v_mov_b32_e32 v90, 0
	ds_load_b64 v[90:91], v90 offset:56
	s_wait_dscnt 0x0
	v_pk_mul_f32 v[92:93], v[88:89], v[90:91] op_sel:[1,1] op_sel_hi:[0,1]
	v_pk_fma_f32 v[94:95], v[88:89], v[90:91], v[92:93] op_sel_hi:[1,0,1]
	v_pk_fma_f32 v[88:89], v[88:89], v[90:91], v[92:93] neg_lo:[0,0,1] neg_hi:[0,0,1]
	s_delay_alu instid0(VALU_DEP_2)
	v_mov_b32_e32 v89, v95
	scratch_store_b64 off, v[88:89], off offset:56
.LBB105_345:
	s_wait_xcnt 0x0
	s_or_b32 exec_lo, exec_lo, s13
	scratch_load_b64 v[88:89], off, off offset:48
	v_cmp_lt_u32_e64 s0, 6, v0
	s_wait_loadcnt 0x0
	ds_store_b64 v1, v[88:89]
	s_wait_storecnt_dscnt 0x0
	s_barrier_signal -1
	s_barrier_wait -1
	s_wait_xcnt 0x0
	s_and_saveexec_b32 s12, s0
	s_cbranch_execz .LBB105_355
; %bb.346:
	s_and_not1_b32 vcc_lo, exec_lo, s3
	s_cbranch_vccnz .LBB105_348
; %bb.347:
	scratch_load_b64 v[88:89], v59, off
	ds_load_b64 v[90:91], v1
	s_wait_loadcnt_dscnt 0x0
	v_pk_mul_f32 v[92:93], v[90:91], v[88:89] op_sel:[1,1] op_sel_hi:[0,1]
	s_delay_alu instid0(VALU_DEP_1) | instskip(SKIP_1) | instid1(VALU_DEP_2)
	v_pk_fma_f32 v[94:95], v[90:91], v[88:89], v[92:93] op_sel_hi:[1,0,1]
	v_pk_fma_f32 v[88:89], v[90:91], v[88:89], v[92:93] neg_lo:[0,0,1] neg_hi:[0,0,1]
	v_mov_b32_e32 v89, v95
	s_cbranch_execz .LBB105_349
	s_branch .LBB105_350
.LBB105_348:
                                        ; implicit-def: $vgpr88_vgpr89
.LBB105_349:
	ds_load_b64 v[88:89], v1
.LBB105_350:
	s_and_saveexec_b32 s13, s1
	s_cbranch_execz .LBB105_354
; %bb.351:
	v_add_nc_u32_e32 v90, -7, v0
	s_movk_i32 s14, 0x188
	s_mov_b32 s1, 0
.LBB105_352:                            ; =>This Inner Loop Header: Depth=1
	scratch_load_b64 v[92:93], off, s11
	v_dual_mov_b32 v91, s14 :: v_dual_add_nc_u32 v90, -1, v90
	s_add_co_i32 s14, s14, 8
	s_wait_xcnt 0x0
	s_add_co_i32 s11, s11, 8
	ds_load_b64 v[94:95], v91
	v_cmp_eq_u32_e32 vcc_lo, 0, v90
	s_or_b32 s1, vcc_lo, s1
	s_wait_loadcnt_dscnt 0x0
	v_pk_mul_f32 v[96:97], v[94:95], v[92:93] op_sel:[1,1] op_sel_hi:[0,1]
	s_delay_alu instid0(VALU_DEP_1) | instskip(SKIP_1) | instid1(VALU_DEP_2)
	v_pk_fma_f32 v[98:99], v[94:95], v[92:93], v[96:97] op_sel_hi:[1,0,1]
	v_pk_fma_f32 v[92:93], v[94:95], v[92:93], v[96:97] neg_lo:[0,0,1] neg_hi:[0,0,1]
	v_mov_b32_e32 v93, v99
	s_delay_alu instid0(VALU_DEP_1)
	v_pk_add_f32 v[88:89], v[88:89], v[92:93]
	s_and_not1_b32 exec_lo, exec_lo, s1
	s_cbranch_execnz .LBB105_352
; %bb.353:
	s_or_b32 exec_lo, exec_lo, s1
.LBB105_354:
	s_delay_alu instid0(SALU_CYCLE_1) | instskip(SKIP_4) | instid1(VALU_DEP_1)
	s_or_b32 exec_lo, exec_lo, s13
	v_mov_b32_e32 v90, 0
	ds_load_b64 v[90:91], v90 offset:48
	s_wait_dscnt 0x0
	v_pk_mul_f32 v[92:93], v[88:89], v[90:91] op_sel:[1,1] op_sel_hi:[0,1]
	v_pk_fma_f32 v[94:95], v[88:89], v[90:91], v[92:93] op_sel_hi:[1,0,1]
	v_pk_fma_f32 v[88:89], v[88:89], v[90:91], v[92:93] neg_lo:[0,0,1] neg_hi:[0,0,1]
	s_delay_alu instid0(VALU_DEP_2)
	v_mov_b32_e32 v89, v95
	scratch_store_b64 off, v[88:89], off offset:48
.LBB105_355:
	s_wait_xcnt 0x0
	s_or_b32 exec_lo, exec_lo, s12
	scratch_load_b64 v[88:89], off, off offset:40
	v_cmp_lt_u32_e64 s1, 5, v0
	s_wait_loadcnt 0x0
	ds_store_b64 v1, v[88:89]
	s_wait_storecnt_dscnt 0x0
	s_barrier_signal -1
	s_barrier_wait -1
	s_wait_xcnt 0x0
	s_and_saveexec_b32 s11, s1
	s_cbranch_execz .LBB105_365
; %bb.356:
	s_and_not1_b32 vcc_lo, exec_lo, s3
	s_cbranch_vccnz .LBB105_358
; %bb.357:
	scratch_load_b64 v[88:89], v59, off
	ds_load_b64 v[90:91], v1
	s_wait_loadcnt_dscnt 0x0
	v_pk_mul_f32 v[92:93], v[90:91], v[88:89] op_sel:[1,1] op_sel_hi:[0,1]
	s_delay_alu instid0(VALU_DEP_1) | instskip(SKIP_1) | instid1(VALU_DEP_2)
	v_pk_fma_f32 v[94:95], v[90:91], v[88:89], v[92:93] op_sel_hi:[1,0,1]
	v_pk_fma_f32 v[88:89], v[90:91], v[88:89], v[92:93] neg_lo:[0,0,1] neg_hi:[0,0,1]
	v_mov_b32_e32 v89, v95
	s_cbranch_execz .LBB105_359
	s_branch .LBB105_360
.LBB105_358:
                                        ; implicit-def: $vgpr88_vgpr89
.LBB105_359:
	ds_load_b64 v[88:89], v1
.LBB105_360:
	s_and_saveexec_b32 s12, s0
	s_cbranch_execz .LBB105_364
; %bb.361:
	v_add_nc_u32_e32 v90, -6, v0
	s_movk_i32 s13, 0x180
	s_mov_b32 s0, 0
.LBB105_362:                            ; =>This Inner Loop Header: Depth=1
	scratch_load_b64 v[92:93], off, s10
	v_dual_mov_b32 v91, s13 :: v_dual_add_nc_u32 v90, -1, v90
	s_add_co_i32 s13, s13, 8
	s_wait_xcnt 0x0
	s_add_co_i32 s10, s10, 8
	ds_load_b64 v[94:95], v91
	v_cmp_eq_u32_e32 vcc_lo, 0, v90
	s_or_b32 s0, vcc_lo, s0
	s_wait_loadcnt_dscnt 0x0
	v_pk_mul_f32 v[96:97], v[94:95], v[92:93] op_sel:[1,1] op_sel_hi:[0,1]
	s_delay_alu instid0(VALU_DEP_1) | instskip(SKIP_1) | instid1(VALU_DEP_2)
	v_pk_fma_f32 v[98:99], v[94:95], v[92:93], v[96:97] op_sel_hi:[1,0,1]
	v_pk_fma_f32 v[92:93], v[94:95], v[92:93], v[96:97] neg_lo:[0,0,1] neg_hi:[0,0,1]
	v_mov_b32_e32 v93, v99
	s_delay_alu instid0(VALU_DEP_1)
	v_pk_add_f32 v[88:89], v[88:89], v[92:93]
	s_and_not1_b32 exec_lo, exec_lo, s0
	s_cbranch_execnz .LBB105_362
; %bb.363:
	s_or_b32 exec_lo, exec_lo, s0
.LBB105_364:
	s_delay_alu instid0(SALU_CYCLE_1) | instskip(SKIP_4) | instid1(VALU_DEP_1)
	s_or_b32 exec_lo, exec_lo, s12
	v_mov_b32_e32 v90, 0
	ds_load_b64 v[90:91], v90 offset:40
	s_wait_dscnt 0x0
	v_pk_mul_f32 v[92:93], v[88:89], v[90:91] op_sel:[1,1] op_sel_hi:[0,1]
	v_pk_fma_f32 v[94:95], v[88:89], v[90:91], v[92:93] op_sel_hi:[1,0,1]
	v_pk_fma_f32 v[88:89], v[88:89], v[90:91], v[92:93] neg_lo:[0,0,1] neg_hi:[0,0,1]
	s_delay_alu instid0(VALU_DEP_2)
	v_mov_b32_e32 v89, v95
	scratch_store_b64 off, v[88:89], off offset:40
.LBB105_365:
	s_wait_xcnt 0x0
	s_or_b32 exec_lo, exec_lo, s11
	scratch_load_b64 v[88:89], off, off offset:32
	v_cmp_lt_u32_e64 s0, 4, v0
	s_wait_loadcnt 0x0
	ds_store_b64 v1, v[88:89]
	s_wait_storecnt_dscnt 0x0
	s_barrier_signal -1
	s_barrier_wait -1
	s_wait_xcnt 0x0
	s_and_saveexec_b32 s10, s0
	s_cbranch_execz .LBB105_375
; %bb.366:
	s_and_not1_b32 vcc_lo, exec_lo, s3
	s_cbranch_vccnz .LBB105_368
; %bb.367:
	scratch_load_b64 v[88:89], v59, off
	ds_load_b64 v[90:91], v1
	s_wait_loadcnt_dscnt 0x0
	v_pk_mul_f32 v[92:93], v[90:91], v[88:89] op_sel:[1,1] op_sel_hi:[0,1]
	s_delay_alu instid0(VALU_DEP_1) | instskip(SKIP_1) | instid1(VALU_DEP_2)
	v_pk_fma_f32 v[94:95], v[90:91], v[88:89], v[92:93] op_sel_hi:[1,0,1]
	v_pk_fma_f32 v[88:89], v[90:91], v[88:89], v[92:93] neg_lo:[0,0,1] neg_hi:[0,0,1]
	v_mov_b32_e32 v89, v95
	s_cbranch_execz .LBB105_369
	s_branch .LBB105_370
.LBB105_368:
                                        ; implicit-def: $vgpr88_vgpr89
.LBB105_369:
	ds_load_b64 v[88:89], v1
.LBB105_370:
	s_and_saveexec_b32 s11, s1
	s_cbranch_execz .LBB105_374
; %bb.371:
	v_add_nc_u32_e32 v90, -5, v0
	s_movk_i32 s12, 0x178
	s_mov_b32 s1, 0
.LBB105_372:                            ; =>This Inner Loop Header: Depth=1
	scratch_load_b64 v[92:93], off, s9
	v_dual_mov_b32 v91, s12 :: v_dual_add_nc_u32 v90, -1, v90
	s_add_co_i32 s12, s12, 8
	s_wait_xcnt 0x0
	s_add_co_i32 s9, s9, 8
	ds_load_b64 v[94:95], v91
	v_cmp_eq_u32_e32 vcc_lo, 0, v90
	s_or_b32 s1, vcc_lo, s1
	s_wait_loadcnt_dscnt 0x0
	v_pk_mul_f32 v[96:97], v[94:95], v[92:93] op_sel:[1,1] op_sel_hi:[0,1]
	s_delay_alu instid0(VALU_DEP_1) | instskip(SKIP_1) | instid1(VALU_DEP_2)
	v_pk_fma_f32 v[98:99], v[94:95], v[92:93], v[96:97] op_sel_hi:[1,0,1]
	v_pk_fma_f32 v[92:93], v[94:95], v[92:93], v[96:97] neg_lo:[0,0,1] neg_hi:[0,0,1]
	v_mov_b32_e32 v93, v99
	s_delay_alu instid0(VALU_DEP_1)
	v_pk_add_f32 v[88:89], v[88:89], v[92:93]
	s_and_not1_b32 exec_lo, exec_lo, s1
	s_cbranch_execnz .LBB105_372
; %bb.373:
	s_or_b32 exec_lo, exec_lo, s1
.LBB105_374:
	s_delay_alu instid0(SALU_CYCLE_1) | instskip(SKIP_4) | instid1(VALU_DEP_1)
	s_or_b32 exec_lo, exec_lo, s11
	v_mov_b32_e32 v90, 0
	ds_load_b64 v[90:91], v90 offset:32
	s_wait_dscnt 0x0
	v_pk_mul_f32 v[92:93], v[88:89], v[90:91] op_sel:[1,1] op_sel_hi:[0,1]
	v_pk_fma_f32 v[94:95], v[88:89], v[90:91], v[92:93] op_sel_hi:[1,0,1]
	v_pk_fma_f32 v[88:89], v[88:89], v[90:91], v[92:93] neg_lo:[0,0,1] neg_hi:[0,0,1]
	s_delay_alu instid0(VALU_DEP_2)
	v_mov_b32_e32 v89, v95
	scratch_store_b64 off, v[88:89], off offset:32
.LBB105_375:
	s_wait_xcnt 0x0
	s_or_b32 exec_lo, exec_lo, s10
	scratch_load_b64 v[88:89], off, off offset:24
	v_cmp_lt_u32_e64 s1, 3, v0
	s_wait_loadcnt 0x0
	ds_store_b64 v1, v[88:89]
	s_wait_storecnt_dscnt 0x0
	s_barrier_signal -1
	s_barrier_wait -1
	s_wait_xcnt 0x0
	s_and_saveexec_b32 s9, s1
	s_cbranch_execz .LBB105_385
; %bb.376:
	s_and_not1_b32 vcc_lo, exec_lo, s3
	s_cbranch_vccnz .LBB105_378
; %bb.377:
	scratch_load_b64 v[88:89], v59, off
	ds_load_b64 v[90:91], v1
	s_wait_loadcnt_dscnt 0x0
	v_pk_mul_f32 v[92:93], v[90:91], v[88:89] op_sel:[1,1] op_sel_hi:[0,1]
	s_delay_alu instid0(VALU_DEP_1) | instskip(SKIP_1) | instid1(VALU_DEP_2)
	v_pk_fma_f32 v[94:95], v[90:91], v[88:89], v[92:93] op_sel_hi:[1,0,1]
	v_pk_fma_f32 v[88:89], v[90:91], v[88:89], v[92:93] neg_lo:[0,0,1] neg_hi:[0,0,1]
	v_mov_b32_e32 v89, v95
	s_cbranch_execz .LBB105_379
	s_branch .LBB105_380
.LBB105_378:
                                        ; implicit-def: $vgpr88_vgpr89
.LBB105_379:
	ds_load_b64 v[88:89], v1
.LBB105_380:
	s_and_saveexec_b32 s10, s0
	s_cbranch_execz .LBB105_384
; %bb.381:
	v_add_nc_u32_e32 v90, -4, v0
	s_movk_i32 s11, 0x170
	s_mov_b32 s0, 0
.LBB105_382:                            ; =>This Inner Loop Header: Depth=1
	scratch_load_b64 v[92:93], off, s2
	v_dual_mov_b32 v91, s11 :: v_dual_add_nc_u32 v90, -1, v90
	s_add_co_i32 s11, s11, 8
	s_wait_xcnt 0x0
	s_add_co_i32 s2, s2, 8
	ds_load_b64 v[94:95], v91
	v_cmp_eq_u32_e32 vcc_lo, 0, v90
	s_or_b32 s0, vcc_lo, s0
	s_wait_loadcnt_dscnt 0x0
	v_pk_mul_f32 v[96:97], v[94:95], v[92:93] op_sel:[1,1] op_sel_hi:[0,1]
	s_delay_alu instid0(VALU_DEP_1) | instskip(SKIP_1) | instid1(VALU_DEP_2)
	v_pk_fma_f32 v[98:99], v[94:95], v[92:93], v[96:97] op_sel_hi:[1,0,1]
	v_pk_fma_f32 v[92:93], v[94:95], v[92:93], v[96:97] neg_lo:[0,0,1] neg_hi:[0,0,1]
	v_mov_b32_e32 v93, v99
	s_delay_alu instid0(VALU_DEP_1)
	v_pk_add_f32 v[88:89], v[88:89], v[92:93]
	s_and_not1_b32 exec_lo, exec_lo, s0
	s_cbranch_execnz .LBB105_382
; %bb.383:
	s_or_b32 exec_lo, exec_lo, s0
.LBB105_384:
	s_delay_alu instid0(SALU_CYCLE_1) | instskip(SKIP_4) | instid1(VALU_DEP_1)
	s_or_b32 exec_lo, exec_lo, s10
	v_mov_b32_e32 v90, 0
	ds_load_b64 v[90:91], v90 offset:24
	s_wait_dscnt 0x0
	v_pk_mul_f32 v[92:93], v[88:89], v[90:91] op_sel:[1,1] op_sel_hi:[0,1]
	v_pk_fma_f32 v[94:95], v[88:89], v[90:91], v[92:93] op_sel_hi:[1,0,1]
	v_pk_fma_f32 v[88:89], v[88:89], v[90:91], v[92:93] neg_lo:[0,0,1] neg_hi:[0,0,1]
	s_delay_alu instid0(VALU_DEP_2)
	v_mov_b32_e32 v89, v95
	scratch_store_b64 off, v[88:89], off offset:24
.LBB105_385:
	s_wait_xcnt 0x0
	s_or_b32 exec_lo, exec_lo, s9
	scratch_load_b64 v[88:89], off, off offset:16
	v_cmp_lt_u32_e64 s2, 2, v0
	s_wait_loadcnt 0x0
	ds_store_b64 v1, v[88:89]
	s_wait_storecnt_dscnt 0x0
	s_barrier_signal -1
	s_barrier_wait -1
	s_wait_xcnt 0x0
	s_and_saveexec_b32 s0, s2
	s_cbranch_execz .LBB105_395
; %bb.386:
	s_and_not1_b32 vcc_lo, exec_lo, s3
	s_cbranch_vccnz .LBB105_388
; %bb.387:
	scratch_load_b64 v[88:89], v59, off
	ds_load_b64 v[90:91], v1
	s_wait_loadcnt_dscnt 0x0
	v_pk_mul_f32 v[92:93], v[90:91], v[88:89] op_sel:[1,1] op_sel_hi:[0,1]
	s_delay_alu instid0(VALU_DEP_1) | instskip(SKIP_1) | instid1(VALU_DEP_2)
	v_pk_fma_f32 v[94:95], v[90:91], v[88:89], v[92:93] op_sel_hi:[1,0,1]
	v_pk_fma_f32 v[88:89], v[90:91], v[88:89], v[92:93] neg_lo:[0,0,1] neg_hi:[0,0,1]
	v_mov_b32_e32 v89, v95
	s_cbranch_execz .LBB105_389
	s_branch .LBB105_390
.LBB105_388:
                                        ; implicit-def: $vgpr88_vgpr89
.LBB105_389:
	ds_load_b64 v[88:89], v1
.LBB105_390:
	s_and_saveexec_b32 s9, s1
	s_cbranch_execz .LBB105_394
; %bb.391:
	v_add_nc_u32_e32 v90, -3, v0
	s_movk_i32 s10, 0x168
	s_mov_b32 s1, 0
.LBB105_392:                            ; =>This Inner Loop Header: Depth=1
	scratch_load_b64 v[92:93], off, s8
	v_dual_mov_b32 v91, s10 :: v_dual_add_nc_u32 v90, -1, v90
	s_add_co_i32 s10, s10, 8
	s_wait_xcnt 0x0
	s_add_co_i32 s8, s8, 8
	ds_load_b64 v[94:95], v91
	v_cmp_eq_u32_e32 vcc_lo, 0, v90
	s_or_b32 s1, vcc_lo, s1
	s_wait_loadcnt_dscnt 0x0
	v_pk_mul_f32 v[96:97], v[94:95], v[92:93] op_sel:[1,1] op_sel_hi:[0,1]
	s_delay_alu instid0(VALU_DEP_1) | instskip(SKIP_1) | instid1(VALU_DEP_2)
	v_pk_fma_f32 v[98:99], v[94:95], v[92:93], v[96:97] op_sel_hi:[1,0,1]
	v_pk_fma_f32 v[92:93], v[94:95], v[92:93], v[96:97] neg_lo:[0,0,1] neg_hi:[0,0,1]
	v_mov_b32_e32 v93, v99
	s_delay_alu instid0(VALU_DEP_1)
	v_pk_add_f32 v[88:89], v[88:89], v[92:93]
	s_and_not1_b32 exec_lo, exec_lo, s1
	s_cbranch_execnz .LBB105_392
; %bb.393:
	s_or_b32 exec_lo, exec_lo, s1
.LBB105_394:
	s_delay_alu instid0(SALU_CYCLE_1) | instskip(SKIP_4) | instid1(VALU_DEP_1)
	s_or_b32 exec_lo, exec_lo, s9
	v_mov_b32_e32 v90, 0
	ds_load_b64 v[90:91], v90 offset:16
	s_wait_dscnt 0x0
	v_pk_mul_f32 v[92:93], v[88:89], v[90:91] op_sel:[1,1] op_sel_hi:[0,1]
	v_pk_fma_f32 v[94:95], v[88:89], v[90:91], v[92:93] op_sel_hi:[1,0,1]
	v_pk_fma_f32 v[88:89], v[88:89], v[90:91], v[92:93] neg_lo:[0,0,1] neg_hi:[0,0,1]
	s_delay_alu instid0(VALU_DEP_2)
	v_mov_b32_e32 v89, v95
	scratch_store_b64 off, v[88:89], off offset:16
.LBB105_395:
	s_wait_xcnt 0x0
	s_or_b32 exec_lo, exec_lo, s0
	scratch_load_b64 v[88:89], off, off offset:8
	v_cmp_lt_u32_e64 s0, 1, v0
	s_wait_loadcnt 0x0
	ds_store_b64 v1, v[88:89]
	s_wait_storecnt_dscnt 0x0
	s_barrier_signal -1
	s_barrier_wait -1
	s_wait_xcnt 0x0
	s_and_saveexec_b32 s1, s0
	s_cbranch_execz .LBB105_405
; %bb.396:
	s_and_not1_b32 vcc_lo, exec_lo, s3
	s_cbranch_vccnz .LBB105_398
; %bb.397:
	scratch_load_b64 v[88:89], v59, off
	ds_load_b64 v[90:91], v1
	s_wait_loadcnt_dscnt 0x0
	v_pk_mul_f32 v[92:93], v[90:91], v[88:89] op_sel:[1,1] op_sel_hi:[0,1]
	s_delay_alu instid0(VALU_DEP_1) | instskip(SKIP_1) | instid1(VALU_DEP_2)
	v_pk_fma_f32 v[94:95], v[90:91], v[88:89], v[92:93] op_sel_hi:[1,0,1]
	v_pk_fma_f32 v[88:89], v[90:91], v[88:89], v[92:93] neg_lo:[0,0,1] neg_hi:[0,0,1]
	v_mov_b32_e32 v89, v95
	s_cbranch_execz .LBB105_399
	s_branch .LBB105_400
.LBB105_398:
                                        ; implicit-def: $vgpr88_vgpr89
.LBB105_399:
	ds_load_b64 v[88:89], v1
.LBB105_400:
	s_and_saveexec_b32 s8, s2
	s_cbranch_execz .LBB105_404
; %bb.401:
	v_add_nc_u32_e32 v90, -2, v0
	s_movk_i32 s9, 0x160
	s_mov_b32 s2, 0
.LBB105_402:                            ; =>This Inner Loop Header: Depth=1
	scratch_load_b64 v[92:93], off, s5
	v_dual_mov_b32 v91, s9 :: v_dual_add_nc_u32 v90, -1, v90
	s_add_co_i32 s9, s9, 8
	s_wait_xcnt 0x0
	s_add_co_i32 s5, s5, 8
	ds_load_b64 v[94:95], v91
	v_cmp_eq_u32_e32 vcc_lo, 0, v90
	s_or_b32 s2, vcc_lo, s2
	s_wait_loadcnt_dscnt 0x0
	v_pk_mul_f32 v[96:97], v[94:95], v[92:93] op_sel:[1,1] op_sel_hi:[0,1]
	s_delay_alu instid0(VALU_DEP_1) | instskip(SKIP_1) | instid1(VALU_DEP_2)
	v_pk_fma_f32 v[98:99], v[94:95], v[92:93], v[96:97] op_sel_hi:[1,0,1]
	v_pk_fma_f32 v[92:93], v[94:95], v[92:93], v[96:97] neg_lo:[0,0,1] neg_hi:[0,0,1]
	v_mov_b32_e32 v93, v99
	s_delay_alu instid0(VALU_DEP_1)
	v_pk_add_f32 v[88:89], v[88:89], v[92:93]
	s_and_not1_b32 exec_lo, exec_lo, s2
	s_cbranch_execnz .LBB105_402
; %bb.403:
	s_or_b32 exec_lo, exec_lo, s2
.LBB105_404:
	s_delay_alu instid0(SALU_CYCLE_1) | instskip(SKIP_4) | instid1(VALU_DEP_1)
	s_or_b32 exec_lo, exec_lo, s8
	v_mov_b32_e32 v90, 0
	ds_load_b64 v[90:91], v90 offset:8
	s_wait_dscnt 0x0
	v_pk_mul_f32 v[92:93], v[88:89], v[90:91] op_sel:[1,1] op_sel_hi:[0,1]
	v_pk_fma_f32 v[94:95], v[88:89], v[90:91], v[92:93] op_sel_hi:[1,0,1]
	v_pk_fma_f32 v[88:89], v[88:89], v[90:91], v[92:93] neg_lo:[0,0,1] neg_hi:[0,0,1]
	s_delay_alu instid0(VALU_DEP_2)
	v_mov_b32_e32 v89, v95
	scratch_store_b64 off, v[88:89], off offset:8
.LBB105_405:
	s_wait_xcnt 0x0
	s_or_b32 exec_lo, exec_lo, s1
	scratch_load_b64 v[88:89], off, off
	s_mov_b32 s2, 0
	s_mov_b32 s1, 0
	s_mov_b32 s8, exec_lo
                                        ; implicit-def: $vgpr124
                                        ; implicit-def: $sgpr5
	s_wait_loadcnt 0x0
	ds_store_b64 v1, v[88:89]
	s_wait_storecnt_dscnt 0x0
	s_barrier_signal -1
	s_barrier_wait -1
	s_wait_xcnt 0x0
	v_cmpx_ne_u32_e32 0, v0
	s_cbranch_execz .LBB105_415
; %bb.406:
	s_and_not1_b32 vcc_lo, exec_lo, s3
	s_cbranch_vccnz .LBB105_408
; %bb.407:
	scratch_load_b64 v[90:91], v59, off
	ds_load_b64 v[92:93], v1
	s_wait_loadcnt_dscnt 0x0
	v_dual_mul_f32 v88, v93, v91 :: v_dual_mul_f32 v89, v92, v91
	s_delay_alu instid0(VALU_DEP_1)
	v_dual_fma_f32 v88, v92, v90, -v88 :: v_dual_fmac_f32 v89, v93, v90
	s_and_not1_b32 vcc_lo, exec_lo, s1
	s_cbranch_vccz .LBB105_409
	s_branch .LBB105_410
.LBB105_408:
                                        ; implicit-def: $vgpr88
.LBB105_409:
	ds_load_b64 v[88:89], v1
.LBB105_410:
	s_and_saveexec_b32 s1, s0
	s_cbranch_execz .LBB105_414
; %bb.411:
	v_add_nc_u32_e32 v90, -1, v0
	s_movk_i32 s5, 0x158
	s_mov_b32 s0, 0
.LBB105_412:                            ; =>This Inner Loop Header: Depth=1
	scratch_load_b64 v[92:93], off, s4
	v_mov_b32_e32 v91, s5
	s_add_co_i32 s5, s5, 8
	s_wait_xcnt 0x0
	s_add_co_i32 s4, s4, 8
	v_add_nc_u32_e32 v90, -1, v90
	ds_load_b64 v[94:95], v91
	v_cmp_eq_u32_e32 vcc_lo, 0, v90
	s_or_b32 s0, vcc_lo, s0
	s_wait_loadcnt_dscnt 0x0
	v_dual_mul_f32 v91, v95, v93 :: v_dual_mul_f32 v93, v94, v93
	s_delay_alu instid0(VALU_DEP_1) | instskip(NEXT) | instid1(VALU_DEP_1)
	v_dual_fma_f32 v91, v94, v92, -v91 :: v_dual_fmac_f32 v93, v95, v92
	v_dual_add_f32 v88, v88, v91 :: v_dual_add_f32 v89, v89, v93
	s_and_not1_b32 exec_lo, exec_lo, s0
	s_cbranch_execnz .LBB105_412
; %bb.413:
	s_or_b32 exec_lo, exec_lo, s0
.LBB105_414:
	s_delay_alu instid0(SALU_CYCLE_1)
	s_or_b32 exec_lo, exec_lo, s1
	v_mov_b32_e32 v90, 0
	s_mov_b32 s1, exec_lo
	s_or_b32 s5, 0, 4
	ds_load_b64 v[90:91], v90
	s_wait_dscnt 0x0
	v_dual_mul_f32 v92, v89, v91 :: v_dual_mul_f32 v124, v88, v91
	s_delay_alu instid0(VALU_DEP_1) | instskip(NEXT) | instid1(VALU_DEP_2)
	v_fma_f32 v88, v88, v90, -v92
	v_fmac_f32_e32 v124, v89, v90
	scratch_store_b32 off, v88, off
.LBB105_415:
	s_wait_xcnt 0x0
	s_or_b32 exec_lo, exec_lo, s8
	s_delay_alu instid0(SALU_CYCLE_1)
	s_and_b32 vcc_lo, exec_lo, s2
	s_cbranch_vccz .LBB105_821
.LBB105_416:
	scratch_load_b64 v[88:89], off, off offset:8
	v_cmp_eq_u32_e64 s0, 0, v0
	s_wait_loadcnt 0x0
	ds_store_b64 v1, v[88:89]
	s_wait_storecnt_dscnt 0x0
	s_barrier_signal -1
	s_barrier_wait -1
	s_wait_xcnt 0x0
	s_and_saveexec_b32 s2, s0
	s_cbranch_execz .LBB105_422
; %bb.417:
	s_and_b32 vcc_lo, exec_lo, s3
	s_cbranch_vccz .LBB105_419
; %bb.418:
	scratch_load_b64 v[88:89], v59, off
	ds_load_b64 v[90:91], v1
	s_wait_loadcnt_dscnt 0x0
	v_pk_mul_f32 v[92:93], v[90:91], v[88:89] op_sel:[1,1] op_sel_hi:[0,1]
	v_pk_mul_f32 v[94:95], v[90:91], v[88:89] op_sel_hi:[1,0]
	s_delay_alu instid0(VALU_DEP_2) | instskip(NEXT) | instid1(VALU_DEP_2)
	v_pk_fma_f32 v[88:89], v[90:91], v[88:89], v[92:93] op_sel_hi:[1,0,1]
	v_sub_f32_e32 v88, v94, v92
	s_cbranch_execz .LBB105_420
	s_branch .LBB105_421
.LBB105_419:
                                        ; implicit-def: $vgpr89
.LBB105_420:
	ds_load_b64 v[88:89], v1
.LBB105_421:
	s_wait_dscnt 0x0
	v_dual_mov_b32 v90, 0 :: v_dual_mov_b32 v92, v89
	v_mov_b32_e32 v93, v88
	ds_load_b64 v[90:91], v90 offset:8
	s_wait_dscnt 0x0
	v_pk_mul_f32 v[92:93], v[92:93], v[90:91] op_sel:[0,1]
	s_delay_alu instid0(VALU_DEP_1) | instskip(SKIP_1) | instid1(VALU_DEP_2)
	v_pk_fma_f32 v[94:95], v[88:89], v[90:91], v[92:93] op_sel_hi:[1,0,1]
	v_pk_fma_f32 v[88:89], v[88:89], v[90:91], v[92:93] neg_lo:[0,0,1] neg_hi:[0,0,1]
	v_mov_b32_e32 v89, v95
	scratch_store_b64 off, v[88:89], off offset:8
.LBB105_422:
	s_wait_xcnt 0x0
	s_or_b32 exec_lo, exec_lo, s2
	scratch_load_b64 v[88:89], off, off offset:16
	v_cndmask_b32_e64 v90, 0, 1, s3
	s_mov_b32 s2, exec_lo
	s_wait_loadcnt 0x0
	ds_store_b64 v1, v[88:89]
	s_wait_storecnt_dscnt 0x0
	s_barrier_signal -1
	s_barrier_wait -1
	s_wait_xcnt 0x0
	v_cmpx_gt_u32_e32 2, v0
	s_cbranch_execz .LBB105_430
; %bb.423:
	s_and_not1_b32 vcc_lo, exec_lo, s3
	s_cbranch_vccnz .LBB105_425
; %bb.424:
	scratch_load_b64 v[88:89], v59, off
	ds_load_b64 v[92:93], v1
	s_wait_loadcnt_dscnt 0x0
	v_pk_mul_f32 v[94:95], v[92:93], v[88:89] op_sel:[1,1] op_sel_hi:[0,1]
	s_delay_alu instid0(VALU_DEP_1) | instskip(SKIP_1) | instid1(VALU_DEP_2)
	v_pk_fma_f32 v[96:97], v[92:93], v[88:89], v[94:95] op_sel_hi:[1,0,1]
	v_pk_fma_f32 v[88:89], v[92:93], v[88:89], v[94:95] neg_lo:[0,0,1] neg_hi:[0,0,1]
	v_mov_b32_e32 v89, v97
	s_cbranch_execz .LBB105_426
	s_branch .LBB105_427
.LBB105_425:
                                        ; implicit-def: $vgpr88_vgpr89
.LBB105_426:
	ds_load_b64 v[88:89], v1
.LBB105_427:
	s_and_saveexec_b32 s3, s0
	s_cbranch_execz .LBB105_429
; %bb.428:
	scratch_load_b64 v[92:93], off, off offset:8
	v_mov_b32_e32 v91, 0
	ds_load_b64 v[94:95], v91 offset:344
	s_wait_loadcnt_dscnt 0x0
	v_pk_mul_f32 v[96:97], v[94:95], v[92:93] op_sel:[1,1] op_sel_hi:[0,1]
	s_delay_alu instid0(VALU_DEP_1) | instskip(SKIP_1) | instid1(VALU_DEP_2)
	v_pk_fma_f32 v[98:99], v[94:95], v[92:93], v[96:97] op_sel_hi:[1,0,1]
	v_pk_fma_f32 v[92:93], v[94:95], v[92:93], v[96:97] neg_lo:[0,0,1] neg_hi:[0,0,1]
	v_mov_b32_e32 v93, v99
	s_delay_alu instid0(VALU_DEP_1)
	v_pk_add_f32 v[88:89], v[88:89], v[92:93]
.LBB105_429:
	s_or_b32 exec_lo, exec_lo, s3
	v_mov_b32_e32 v91, 0
	ds_load_b64 v[92:93], v91 offset:16
	s_wait_dscnt 0x0
	v_pk_mul_f32 v[94:95], v[88:89], v[92:93] op_sel:[1,1] op_sel_hi:[0,1]
	s_delay_alu instid0(VALU_DEP_1) | instskip(SKIP_1) | instid1(VALU_DEP_2)
	v_pk_fma_f32 v[96:97], v[88:89], v[92:93], v[94:95] op_sel_hi:[1,0,1]
	v_pk_fma_f32 v[88:89], v[88:89], v[92:93], v[94:95] neg_lo:[0,0,1] neg_hi:[0,0,1]
	v_mov_b32_e32 v89, v97
	scratch_store_b64 off, v[88:89], off offset:16
.LBB105_430:
	s_wait_xcnt 0x0
	s_or_b32 exec_lo, exec_lo, s2
	scratch_load_b64 v[88:89], off, off offset:24
	s_mov_b32 s2, exec_lo
	s_wait_loadcnt 0x0
	ds_store_b64 v1, v[88:89]
	s_wait_storecnt_dscnt 0x0
	s_barrier_signal -1
	s_barrier_wait -1
	s_wait_xcnt 0x0
	v_cmpx_gt_u32_e32 3, v0
	s_cbranch_execz .LBB105_440
; %bb.431:
	v_cmp_ne_u32_e32 vcc_lo, 1, v90
	s_cbranch_vccnz .LBB105_433
; %bb.432:
	scratch_load_b64 v[88:89], v59, off
	ds_load_b64 v[92:93], v1
	s_wait_loadcnt_dscnt 0x0
	v_pk_mul_f32 v[94:95], v[92:93], v[88:89] op_sel:[1,1] op_sel_hi:[0,1]
	s_delay_alu instid0(VALU_DEP_1) | instskip(SKIP_1) | instid1(VALU_DEP_2)
	v_pk_fma_f32 v[96:97], v[92:93], v[88:89], v[94:95] op_sel_hi:[1,0,1]
	v_pk_fma_f32 v[88:89], v[92:93], v[88:89], v[94:95] neg_lo:[0,0,1] neg_hi:[0,0,1]
	v_mov_b32_e32 v89, v97
	s_cbranch_execz .LBB105_434
	s_branch .LBB105_435
.LBB105_433:
                                        ; implicit-def: $vgpr88_vgpr89
.LBB105_434:
	ds_load_b64 v[88:89], v1
.LBB105_435:
	s_mov_b32 s3, exec_lo
	v_cmpx_ne_u32_e32 2, v0
	s_cbranch_execz .LBB105_439
; %bb.436:
	scratch_load_b64 v[92:93], v59, off offset:8
	ds_load_b64 v[94:95], v1 offset:8
	s_wait_loadcnt_dscnt 0x0
	v_pk_mul_f32 v[96:97], v[94:95], v[92:93] op_sel:[1,1] op_sel_hi:[0,1]
	s_delay_alu instid0(VALU_DEP_1) | instskip(SKIP_1) | instid1(VALU_DEP_2)
	v_pk_fma_f32 v[98:99], v[94:95], v[92:93], v[96:97] op_sel_hi:[1,0,1]
	v_pk_fma_f32 v[92:93], v[94:95], v[92:93], v[96:97] neg_lo:[0,0,1] neg_hi:[0,0,1]
	v_mov_b32_e32 v93, v99
	s_delay_alu instid0(VALU_DEP_1)
	v_pk_add_f32 v[88:89], v[88:89], v[92:93]
	s_and_saveexec_b32 s4, s0
	s_cbranch_execz .LBB105_438
; %bb.437:
	scratch_load_b64 v[92:93], off, off offset:16
	v_mov_b32_e32 v91, 0
	ds_load_b64 v[94:95], v91 offset:352
	s_wait_loadcnt_dscnt 0x0
	v_pk_mul_f32 v[96:97], v[94:95], v[92:93] op_sel:[1,1] op_sel_hi:[0,1]
	s_delay_alu instid0(VALU_DEP_1) | instskip(SKIP_1) | instid1(VALU_DEP_2)
	v_pk_fma_f32 v[98:99], v[94:95], v[92:93], v[96:97] op_sel_hi:[1,0,1]
	v_pk_fma_f32 v[92:93], v[94:95], v[92:93], v[96:97] neg_lo:[0,0,1] neg_hi:[0,0,1]
	v_mov_b32_e32 v93, v99
	s_delay_alu instid0(VALU_DEP_1)
	v_pk_add_f32 v[88:89], v[88:89], v[92:93]
.LBB105_438:
	s_or_b32 exec_lo, exec_lo, s4
.LBB105_439:
	s_delay_alu instid0(SALU_CYCLE_1) | instskip(SKIP_4) | instid1(VALU_DEP_1)
	s_or_b32 exec_lo, exec_lo, s3
	v_mov_b32_e32 v91, 0
	ds_load_b64 v[92:93], v91 offset:24
	s_wait_dscnt 0x0
	v_pk_mul_f32 v[94:95], v[88:89], v[92:93] op_sel:[1,1] op_sel_hi:[0,1]
	v_pk_fma_f32 v[96:97], v[88:89], v[92:93], v[94:95] op_sel_hi:[1,0,1]
	v_pk_fma_f32 v[88:89], v[88:89], v[92:93], v[94:95] neg_lo:[0,0,1] neg_hi:[0,0,1]
	s_delay_alu instid0(VALU_DEP_2)
	v_mov_b32_e32 v89, v97
	scratch_store_b64 off, v[88:89], off offset:24
.LBB105_440:
	s_wait_xcnt 0x0
	s_or_b32 exec_lo, exec_lo, s2
	scratch_load_b64 v[88:89], off, off offset:32
	s_mov_b32 s0, exec_lo
	s_wait_loadcnt 0x0
	ds_store_b64 v1, v[88:89]
	s_wait_storecnt_dscnt 0x0
	s_barrier_signal -1
	s_barrier_wait -1
	s_wait_xcnt 0x0
	v_cmpx_gt_u32_e32 4, v0
	s_cbranch_execz .LBB105_450
; %bb.441:
	v_cmp_ne_u32_e32 vcc_lo, 1, v90
	s_cbranch_vccnz .LBB105_443
; %bb.442:
	scratch_load_b64 v[88:89], v59, off
	ds_load_b64 v[92:93], v1
	s_wait_loadcnt_dscnt 0x0
	v_pk_mul_f32 v[94:95], v[92:93], v[88:89] op_sel:[1,1] op_sel_hi:[0,1]
	s_delay_alu instid0(VALU_DEP_1) | instskip(SKIP_1) | instid1(VALU_DEP_2)
	v_pk_fma_f32 v[96:97], v[92:93], v[88:89], v[94:95] op_sel_hi:[1,0,1]
	v_pk_fma_f32 v[88:89], v[92:93], v[88:89], v[94:95] neg_lo:[0,0,1] neg_hi:[0,0,1]
	v_mov_b32_e32 v89, v97
	s_cbranch_execz .LBB105_444
	s_branch .LBB105_445
.LBB105_443:
                                        ; implicit-def: $vgpr88_vgpr89
.LBB105_444:
	ds_load_b64 v[88:89], v1
.LBB105_445:
	s_mov_b32 s2, exec_lo
	v_cmpx_ne_u32_e32 3, v0
	s_cbranch_execz .LBB105_449
; %bb.446:
	v_add_nc_u32_e32 v91, 0x158, v58
	v_add3_u32 v92, 0, v58, 8
	v_mov_b32_e32 v93, v0
	s_mov_b32 s3, 0
.LBB105_447:                            ; =>This Inner Loop Header: Depth=1
	scratch_load_b64 v[94:95], v92, off
	ds_load_b64 v[96:97], v91
	s_wait_xcnt 0x0
	v_dual_add_nc_u32 v91, 8, v91 :: v_dual_add_nc_u32 v92, 8, v92
	s_wait_loadcnt_dscnt 0x0
	v_pk_mul_f32 v[98:99], v[96:97], v[94:95] op_sel:[1,1] op_sel_hi:[0,1]
	s_delay_alu instid0(VALU_DEP_1) | instskip(SKIP_2) | instid1(VALU_DEP_3)
	v_pk_fma_f32 v[100:101], v[96:97], v[94:95], v[98:99] op_sel_hi:[1,0,1]
	v_add_nc_u32_e32 v93, 1, v93
	v_pk_fma_f32 v[94:95], v[96:97], v[94:95], v[98:99] neg_lo:[0,0,1] neg_hi:[0,0,1]
	v_mov_b32_e32 v95, v101
	s_delay_alu instid0(VALU_DEP_3) | instskip(NEXT) | instid1(VALU_DEP_2)
	v_cmp_lt_u32_e32 vcc_lo, 2, v93
	v_pk_add_f32 v[88:89], v[88:89], v[94:95]
	s_or_b32 s3, vcc_lo, s3
	s_delay_alu instid0(SALU_CYCLE_1)
	s_and_not1_b32 exec_lo, exec_lo, s3
	s_cbranch_execnz .LBB105_447
; %bb.448:
	s_or_b32 exec_lo, exec_lo, s3
.LBB105_449:
	s_delay_alu instid0(SALU_CYCLE_1) | instskip(SKIP_4) | instid1(VALU_DEP_1)
	s_or_b32 exec_lo, exec_lo, s2
	v_mov_b32_e32 v91, 0
	ds_load_b64 v[92:93], v91 offset:32
	s_wait_dscnt 0x0
	v_pk_mul_f32 v[94:95], v[88:89], v[92:93] op_sel:[1,1] op_sel_hi:[0,1]
	v_pk_fma_f32 v[96:97], v[88:89], v[92:93], v[94:95] op_sel_hi:[1,0,1]
	v_pk_fma_f32 v[88:89], v[88:89], v[92:93], v[94:95] neg_lo:[0,0,1] neg_hi:[0,0,1]
	s_delay_alu instid0(VALU_DEP_2)
	v_mov_b32_e32 v89, v97
	scratch_store_b64 off, v[88:89], off offset:32
.LBB105_450:
	s_wait_xcnt 0x0
	s_or_b32 exec_lo, exec_lo, s0
	scratch_load_b64 v[88:89], off, off offset:40
	s_mov_b32 s0, exec_lo
	s_wait_loadcnt 0x0
	ds_store_b64 v1, v[88:89]
	s_wait_storecnt_dscnt 0x0
	s_barrier_signal -1
	s_barrier_wait -1
	s_wait_xcnt 0x0
	v_cmpx_gt_u32_e32 5, v0
	s_cbranch_execz .LBB105_460
; %bb.451:
	v_cmp_ne_u32_e32 vcc_lo, 1, v90
	s_cbranch_vccnz .LBB105_453
; %bb.452:
	scratch_load_b64 v[88:89], v59, off
	ds_load_b64 v[92:93], v1
	s_wait_loadcnt_dscnt 0x0
	v_pk_mul_f32 v[94:95], v[92:93], v[88:89] op_sel:[1,1] op_sel_hi:[0,1]
	s_delay_alu instid0(VALU_DEP_1) | instskip(SKIP_1) | instid1(VALU_DEP_2)
	v_pk_fma_f32 v[96:97], v[92:93], v[88:89], v[94:95] op_sel_hi:[1,0,1]
	v_pk_fma_f32 v[88:89], v[92:93], v[88:89], v[94:95] neg_lo:[0,0,1] neg_hi:[0,0,1]
	v_mov_b32_e32 v89, v97
	s_cbranch_execz .LBB105_454
	s_branch .LBB105_455
.LBB105_453:
                                        ; implicit-def: $vgpr88_vgpr89
.LBB105_454:
	ds_load_b64 v[88:89], v1
.LBB105_455:
	s_mov_b32 s2, exec_lo
	v_cmpx_ne_u32_e32 4, v0
	s_cbranch_execz .LBB105_459
; %bb.456:
	v_add_nc_u32_e32 v91, 0x158, v58
	v_add3_u32 v92, 0, v58, 8
	v_mov_b32_e32 v93, v0
	s_mov_b32 s3, 0
.LBB105_457:                            ; =>This Inner Loop Header: Depth=1
	scratch_load_b64 v[94:95], v92, off
	ds_load_b64 v[96:97], v91
	s_wait_xcnt 0x0
	v_dual_add_nc_u32 v91, 8, v91 :: v_dual_add_nc_u32 v92, 8, v92
	s_wait_loadcnt_dscnt 0x0
	v_pk_mul_f32 v[98:99], v[96:97], v[94:95] op_sel:[1,1] op_sel_hi:[0,1]
	s_delay_alu instid0(VALU_DEP_1) | instskip(SKIP_2) | instid1(VALU_DEP_3)
	v_pk_fma_f32 v[100:101], v[96:97], v[94:95], v[98:99] op_sel_hi:[1,0,1]
	v_add_nc_u32_e32 v93, 1, v93
	v_pk_fma_f32 v[94:95], v[96:97], v[94:95], v[98:99] neg_lo:[0,0,1] neg_hi:[0,0,1]
	v_mov_b32_e32 v95, v101
	s_delay_alu instid0(VALU_DEP_3) | instskip(NEXT) | instid1(VALU_DEP_2)
	v_cmp_lt_u32_e32 vcc_lo, 3, v93
	v_pk_add_f32 v[88:89], v[88:89], v[94:95]
	s_or_b32 s3, vcc_lo, s3
	s_delay_alu instid0(SALU_CYCLE_1)
	s_and_not1_b32 exec_lo, exec_lo, s3
	s_cbranch_execnz .LBB105_457
; %bb.458:
	s_or_b32 exec_lo, exec_lo, s3
.LBB105_459:
	s_delay_alu instid0(SALU_CYCLE_1) | instskip(SKIP_4) | instid1(VALU_DEP_1)
	s_or_b32 exec_lo, exec_lo, s2
	v_mov_b32_e32 v91, 0
	ds_load_b64 v[92:93], v91 offset:40
	s_wait_dscnt 0x0
	v_pk_mul_f32 v[94:95], v[88:89], v[92:93] op_sel:[1,1] op_sel_hi:[0,1]
	v_pk_fma_f32 v[96:97], v[88:89], v[92:93], v[94:95] op_sel_hi:[1,0,1]
	v_pk_fma_f32 v[88:89], v[88:89], v[92:93], v[94:95] neg_lo:[0,0,1] neg_hi:[0,0,1]
	s_delay_alu instid0(VALU_DEP_2)
	v_mov_b32_e32 v89, v97
	scratch_store_b64 off, v[88:89], off offset:40
.LBB105_460:
	s_wait_xcnt 0x0
	s_or_b32 exec_lo, exec_lo, s0
	scratch_load_b64 v[88:89], off, off offset:48
	s_mov_b32 s0, exec_lo
	s_wait_loadcnt 0x0
	ds_store_b64 v1, v[88:89]
	s_wait_storecnt_dscnt 0x0
	s_barrier_signal -1
	s_barrier_wait -1
	s_wait_xcnt 0x0
	v_cmpx_gt_u32_e32 6, v0
	s_cbranch_execz .LBB105_470
; %bb.461:
	v_cmp_ne_u32_e32 vcc_lo, 1, v90
	s_cbranch_vccnz .LBB105_463
; %bb.462:
	scratch_load_b64 v[88:89], v59, off
	ds_load_b64 v[92:93], v1
	s_wait_loadcnt_dscnt 0x0
	v_pk_mul_f32 v[94:95], v[92:93], v[88:89] op_sel:[1,1] op_sel_hi:[0,1]
	s_delay_alu instid0(VALU_DEP_1) | instskip(SKIP_1) | instid1(VALU_DEP_2)
	v_pk_fma_f32 v[96:97], v[92:93], v[88:89], v[94:95] op_sel_hi:[1,0,1]
	v_pk_fma_f32 v[88:89], v[92:93], v[88:89], v[94:95] neg_lo:[0,0,1] neg_hi:[0,0,1]
	v_mov_b32_e32 v89, v97
	s_cbranch_execz .LBB105_464
	s_branch .LBB105_465
.LBB105_463:
                                        ; implicit-def: $vgpr88_vgpr89
.LBB105_464:
	ds_load_b64 v[88:89], v1
.LBB105_465:
	s_mov_b32 s2, exec_lo
	v_cmpx_ne_u32_e32 5, v0
	s_cbranch_execz .LBB105_469
; %bb.466:
	v_add_nc_u32_e32 v91, 0x158, v58
	v_add3_u32 v92, 0, v58, 8
	v_mov_b32_e32 v93, v0
	s_mov_b32 s3, 0
.LBB105_467:                            ; =>This Inner Loop Header: Depth=1
	scratch_load_b64 v[94:95], v92, off
	ds_load_b64 v[96:97], v91
	s_wait_xcnt 0x0
	v_dual_add_nc_u32 v91, 8, v91 :: v_dual_add_nc_u32 v92, 8, v92
	s_wait_loadcnt_dscnt 0x0
	v_pk_mul_f32 v[98:99], v[96:97], v[94:95] op_sel:[1,1] op_sel_hi:[0,1]
	s_delay_alu instid0(VALU_DEP_1) | instskip(SKIP_2) | instid1(VALU_DEP_3)
	v_pk_fma_f32 v[100:101], v[96:97], v[94:95], v[98:99] op_sel_hi:[1,0,1]
	v_add_nc_u32_e32 v93, 1, v93
	v_pk_fma_f32 v[94:95], v[96:97], v[94:95], v[98:99] neg_lo:[0,0,1] neg_hi:[0,0,1]
	v_mov_b32_e32 v95, v101
	s_delay_alu instid0(VALU_DEP_3) | instskip(NEXT) | instid1(VALU_DEP_2)
	v_cmp_lt_u32_e32 vcc_lo, 4, v93
	v_pk_add_f32 v[88:89], v[88:89], v[94:95]
	s_or_b32 s3, vcc_lo, s3
	s_delay_alu instid0(SALU_CYCLE_1)
	s_and_not1_b32 exec_lo, exec_lo, s3
	s_cbranch_execnz .LBB105_467
; %bb.468:
	s_or_b32 exec_lo, exec_lo, s3
.LBB105_469:
	s_delay_alu instid0(SALU_CYCLE_1) | instskip(SKIP_4) | instid1(VALU_DEP_1)
	s_or_b32 exec_lo, exec_lo, s2
	v_mov_b32_e32 v91, 0
	ds_load_b64 v[92:93], v91 offset:48
	s_wait_dscnt 0x0
	v_pk_mul_f32 v[94:95], v[88:89], v[92:93] op_sel:[1,1] op_sel_hi:[0,1]
	v_pk_fma_f32 v[96:97], v[88:89], v[92:93], v[94:95] op_sel_hi:[1,0,1]
	v_pk_fma_f32 v[88:89], v[88:89], v[92:93], v[94:95] neg_lo:[0,0,1] neg_hi:[0,0,1]
	s_delay_alu instid0(VALU_DEP_2)
	v_mov_b32_e32 v89, v97
	scratch_store_b64 off, v[88:89], off offset:48
.LBB105_470:
	s_wait_xcnt 0x0
	s_or_b32 exec_lo, exec_lo, s0
	scratch_load_b64 v[88:89], off, off offset:56
	s_mov_b32 s0, exec_lo
	s_wait_loadcnt 0x0
	ds_store_b64 v1, v[88:89]
	s_wait_storecnt_dscnt 0x0
	s_barrier_signal -1
	s_barrier_wait -1
	s_wait_xcnt 0x0
	v_cmpx_gt_u32_e32 7, v0
	s_cbranch_execz .LBB105_480
; %bb.471:
	v_cmp_ne_u32_e32 vcc_lo, 1, v90
	s_cbranch_vccnz .LBB105_473
; %bb.472:
	scratch_load_b64 v[88:89], v59, off
	ds_load_b64 v[92:93], v1
	s_wait_loadcnt_dscnt 0x0
	v_pk_mul_f32 v[94:95], v[92:93], v[88:89] op_sel:[1,1] op_sel_hi:[0,1]
	s_delay_alu instid0(VALU_DEP_1) | instskip(SKIP_1) | instid1(VALU_DEP_2)
	v_pk_fma_f32 v[96:97], v[92:93], v[88:89], v[94:95] op_sel_hi:[1,0,1]
	v_pk_fma_f32 v[88:89], v[92:93], v[88:89], v[94:95] neg_lo:[0,0,1] neg_hi:[0,0,1]
	v_mov_b32_e32 v89, v97
	s_cbranch_execz .LBB105_474
	s_branch .LBB105_475
.LBB105_473:
                                        ; implicit-def: $vgpr88_vgpr89
.LBB105_474:
	ds_load_b64 v[88:89], v1
.LBB105_475:
	s_mov_b32 s2, exec_lo
	v_cmpx_ne_u32_e32 6, v0
	s_cbranch_execz .LBB105_479
; %bb.476:
	v_add_nc_u32_e32 v91, 0x158, v58
	v_add3_u32 v92, 0, v58, 8
	v_mov_b32_e32 v93, v0
	s_mov_b32 s3, 0
.LBB105_477:                            ; =>This Inner Loop Header: Depth=1
	scratch_load_b64 v[94:95], v92, off
	ds_load_b64 v[96:97], v91
	s_wait_xcnt 0x0
	v_dual_add_nc_u32 v91, 8, v91 :: v_dual_add_nc_u32 v92, 8, v92
	s_wait_loadcnt_dscnt 0x0
	v_pk_mul_f32 v[98:99], v[96:97], v[94:95] op_sel:[1,1] op_sel_hi:[0,1]
	s_delay_alu instid0(VALU_DEP_1) | instskip(SKIP_2) | instid1(VALU_DEP_3)
	v_pk_fma_f32 v[100:101], v[96:97], v[94:95], v[98:99] op_sel_hi:[1,0,1]
	v_add_nc_u32_e32 v93, 1, v93
	v_pk_fma_f32 v[94:95], v[96:97], v[94:95], v[98:99] neg_lo:[0,0,1] neg_hi:[0,0,1]
	v_mov_b32_e32 v95, v101
	s_delay_alu instid0(VALU_DEP_3) | instskip(NEXT) | instid1(VALU_DEP_2)
	v_cmp_lt_u32_e32 vcc_lo, 5, v93
	v_pk_add_f32 v[88:89], v[88:89], v[94:95]
	s_or_b32 s3, vcc_lo, s3
	s_delay_alu instid0(SALU_CYCLE_1)
	s_and_not1_b32 exec_lo, exec_lo, s3
	s_cbranch_execnz .LBB105_477
; %bb.478:
	s_or_b32 exec_lo, exec_lo, s3
.LBB105_479:
	s_delay_alu instid0(SALU_CYCLE_1) | instskip(SKIP_4) | instid1(VALU_DEP_1)
	s_or_b32 exec_lo, exec_lo, s2
	v_mov_b32_e32 v91, 0
	ds_load_b64 v[92:93], v91 offset:56
	s_wait_dscnt 0x0
	v_pk_mul_f32 v[94:95], v[88:89], v[92:93] op_sel:[1,1] op_sel_hi:[0,1]
	v_pk_fma_f32 v[96:97], v[88:89], v[92:93], v[94:95] op_sel_hi:[1,0,1]
	v_pk_fma_f32 v[88:89], v[88:89], v[92:93], v[94:95] neg_lo:[0,0,1] neg_hi:[0,0,1]
	s_delay_alu instid0(VALU_DEP_2)
	v_mov_b32_e32 v89, v97
	scratch_store_b64 off, v[88:89], off offset:56
.LBB105_480:
	s_wait_xcnt 0x0
	s_or_b32 exec_lo, exec_lo, s0
	scratch_load_b64 v[88:89], off, off offset:64
	s_mov_b32 s0, exec_lo
	s_wait_loadcnt 0x0
	ds_store_b64 v1, v[88:89]
	s_wait_storecnt_dscnt 0x0
	s_barrier_signal -1
	s_barrier_wait -1
	s_wait_xcnt 0x0
	v_cmpx_gt_u32_e32 8, v0
	s_cbranch_execz .LBB105_490
; %bb.481:
	v_cmp_ne_u32_e32 vcc_lo, 1, v90
	s_cbranch_vccnz .LBB105_483
; %bb.482:
	scratch_load_b64 v[88:89], v59, off
	ds_load_b64 v[92:93], v1
	s_wait_loadcnt_dscnt 0x0
	v_pk_mul_f32 v[94:95], v[92:93], v[88:89] op_sel:[1,1] op_sel_hi:[0,1]
	s_delay_alu instid0(VALU_DEP_1) | instskip(SKIP_1) | instid1(VALU_DEP_2)
	v_pk_fma_f32 v[96:97], v[92:93], v[88:89], v[94:95] op_sel_hi:[1,0,1]
	v_pk_fma_f32 v[88:89], v[92:93], v[88:89], v[94:95] neg_lo:[0,0,1] neg_hi:[0,0,1]
	v_mov_b32_e32 v89, v97
	s_cbranch_execz .LBB105_484
	s_branch .LBB105_485
.LBB105_483:
                                        ; implicit-def: $vgpr88_vgpr89
.LBB105_484:
	ds_load_b64 v[88:89], v1
.LBB105_485:
	s_mov_b32 s2, exec_lo
	v_cmpx_ne_u32_e32 7, v0
	s_cbranch_execz .LBB105_489
; %bb.486:
	v_add_nc_u32_e32 v91, 0x158, v58
	v_add3_u32 v92, 0, v58, 8
	v_mov_b32_e32 v93, v0
	s_mov_b32 s3, 0
.LBB105_487:                            ; =>This Inner Loop Header: Depth=1
	scratch_load_b64 v[94:95], v92, off
	ds_load_b64 v[96:97], v91
	s_wait_xcnt 0x0
	v_dual_add_nc_u32 v91, 8, v91 :: v_dual_add_nc_u32 v92, 8, v92
	s_wait_loadcnt_dscnt 0x0
	v_pk_mul_f32 v[98:99], v[96:97], v[94:95] op_sel:[1,1] op_sel_hi:[0,1]
	s_delay_alu instid0(VALU_DEP_1) | instskip(SKIP_2) | instid1(VALU_DEP_3)
	v_pk_fma_f32 v[100:101], v[96:97], v[94:95], v[98:99] op_sel_hi:[1,0,1]
	v_add_nc_u32_e32 v93, 1, v93
	v_pk_fma_f32 v[94:95], v[96:97], v[94:95], v[98:99] neg_lo:[0,0,1] neg_hi:[0,0,1]
	v_mov_b32_e32 v95, v101
	s_delay_alu instid0(VALU_DEP_3) | instskip(NEXT) | instid1(VALU_DEP_2)
	v_cmp_lt_u32_e32 vcc_lo, 6, v93
	v_pk_add_f32 v[88:89], v[88:89], v[94:95]
	s_or_b32 s3, vcc_lo, s3
	s_delay_alu instid0(SALU_CYCLE_1)
	s_and_not1_b32 exec_lo, exec_lo, s3
	s_cbranch_execnz .LBB105_487
; %bb.488:
	s_or_b32 exec_lo, exec_lo, s3
.LBB105_489:
	s_delay_alu instid0(SALU_CYCLE_1) | instskip(SKIP_4) | instid1(VALU_DEP_1)
	s_or_b32 exec_lo, exec_lo, s2
	v_mov_b32_e32 v91, 0
	ds_load_b64 v[92:93], v91 offset:64
	s_wait_dscnt 0x0
	v_pk_mul_f32 v[94:95], v[88:89], v[92:93] op_sel:[1,1] op_sel_hi:[0,1]
	v_pk_fma_f32 v[96:97], v[88:89], v[92:93], v[94:95] op_sel_hi:[1,0,1]
	v_pk_fma_f32 v[88:89], v[88:89], v[92:93], v[94:95] neg_lo:[0,0,1] neg_hi:[0,0,1]
	s_delay_alu instid0(VALU_DEP_2)
	v_mov_b32_e32 v89, v97
	scratch_store_b64 off, v[88:89], off offset:64
.LBB105_490:
	s_wait_xcnt 0x0
	s_or_b32 exec_lo, exec_lo, s0
	scratch_load_b64 v[88:89], off, off offset:72
	s_mov_b32 s0, exec_lo
	s_wait_loadcnt 0x0
	ds_store_b64 v1, v[88:89]
	s_wait_storecnt_dscnt 0x0
	s_barrier_signal -1
	s_barrier_wait -1
	s_wait_xcnt 0x0
	v_cmpx_gt_u32_e32 9, v0
	s_cbranch_execz .LBB105_500
; %bb.491:
	v_cmp_ne_u32_e32 vcc_lo, 1, v90
	s_cbranch_vccnz .LBB105_493
; %bb.492:
	scratch_load_b64 v[88:89], v59, off
	ds_load_b64 v[92:93], v1
	s_wait_loadcnt_dscnt 0x0
	v_pk_mul_f32 v[94:95], v[92:93], v[88:89] op_sel:[1,1] op_sel_hi:[0,1]
	s_delay_alu instid0(VALU_DEP_1) | instskip(SKIP_1) | instid1(VALU_DEP_2)
	v_pk_fma_f32 v[96:97], v[92:93], v[88:89], v[94:95] op_sel_hi:[1,0,1]
	v_pk_fma_f32 v[88:89], v[92:93], v[88:89], v[94:95] neg_lo:[0,0,1] neg_hi:[0,0,1]
	v_mov_b32_e32 v89, v97
	s_cbranch_execz .LBB105_494
	s_branch .LBB105_495
.LBB105_493:
                                        ; implicit-def: $vgpr88_vgpr89
.LBB105_494:
	ds_load_b64 v[88:89], v1
.LBB105_495:
	s_mov_b32 s2, exec_lo
	v_cmpx_ne_u32_e32 8, v0
	s_cbranch_execz .LBB105_499
; %bb.496:
	v_add_nc_u32_e32 v91, 0x158, v58
	v_add3_u32 v92, 0, v58, 8
	v_mov_b32_e32 v93, v0
	s_mov_b32 s3, 0
.LBB105_497:                            ; =>This Inner Loop Header: Depth=1
	scratch_load_b64 v[94:95], v92, off
	ds_load_b64 v[96:97], v91
	s_wait_xcnt 0x0
	v_dual_add_nc_u32 v91, 8, v91 :: v_dual_add_nc_u32 v92, 8, v92
	s_wait_loadcnt_dscnt 0x0
	v_pk_mul_f32 v[98:99], v[96:97], v[94:95] op_sel:[1,1] op_sel_hi:[0,1]
	s_delay_alu instid0(VALU_DEP_1) | instskip(SKIP_2) | instid1(VALU_DEP_3)
	v_pk_fma_f32 v[100:101], v[96:97], v[94:95], v[98:99] op_sel_hi:[1,0,1]
	v_add_nc_u32_e32 v93, 1, v93
	v_pk_fma_f32 v[94:95], v[96:97], v[94:95], v[98:99] neg_lo:[0,0,1] neg_hi:[0,0,1]
	v_mov_b32_e32 v95, v101
	s_delay_alu instid0(VALU_DEP_3) | instskip(NEXT) | instid1(VALU_DEP_2)
	v_cmp_lt_u32_e32 vcc_lo, 7, v93
	v_pk_add_f32 v[88:89], v[88:89], v[94:95]
	s_or_b32 s3, vcc_lo, s3
	s_delay_alu instid0(SALU_CYCLE_1)
	s_and_not1_b32 exec_lo, exec_lo, s3
	s_cbranch_execnz .LBB105_497
; %bb.498:
	s_or_b32 exec_lo, exec_lo, s3
.LBB105_499:
	s_delay_alu instid0(SALU_CYCLE_1) | instskip(SKIP_4) | instid1(VALU_DEP_1)
	s_or_b32 exec_lo, exec_lo, s2
	v_mov_b32_e32 v91, 0
	ds_load_b64 v[92:93], v91 offset:72
	s_wait_dscnt 0x0
	v_pk_mul_f32 v[94:95], v[88:89], v[92:93] op_sel:[1,1] op_sel_hi:[0,1]
	v_pk_fma_f32 v[96:97], v[88:89], v[92:93], v[94:95] op_sel_hi:[1,0,1]
	v_pk_fma_f32 v[88:89], v[88:89], v[92:93], v[94:95] neg_lo:[0,0,1] neg_hi:[0,0,1]
	s_delay_alu instid0(VALU_DEP_2)
	v_mov_b32_e32 v89, v97
	scratch_store_b64 off, v[88:89], off offset:72
.LBB105_500:
	s_wait_xcnt 0x0
	s_or_b32 exec_lo, exec_lo, s0
	scratch_load_b64 v[88:89], off, off offset:80
	s_mov_b32 s0, exec_lo
	s_wait_loadcnt 0x0
	ds_store_b64 v1, v[88:89]
	s_wait_storecnt_dscnt 0x0
	s_barrier_signal -1
	s_barrier_wait -1
	s_wait_xcnt 0x0
	v_cmpx_gt_u32_e32 10, v0
	s_cbranch_execz .LBB105_510
; %bb.501:
	v_cmp_ne_u32_e32 vcc_lo, 1, v90
	s_cbranch_vccnz .LBB105_503
; %bb.502:
	scratch_load_b64 v[88:89], v59, off
	ds_load_b64 v[92:93], v1
	s_wait_loadcnt_dscnt 0x0
	v_pk_mul_f32 v[94:95], v[92:93], v[88:89] op_sel:[1,1] op_sel_hi:[0,1]
	s_delay_alu instid0(VALU_DEP_1) | instskip(SKIP_1) | instid1(VALU_DEP_2)
	v_pk_fma_f32 v[96:97], v[92:93], v[88:89], v[94:95] op_sel_hi:[1,0,1]
	v_pk_fma_f32 v[88:89], v[92:93], v[88:89], v[94:95] neg_lo:[0,0,1] neg_hi:[0,0,1]
	v_mov_b32_e32 v89, v97
	s_cbranch_execz .LBB105_504
	s_branch .LBB105_505
.LBB105_503:
                                        ; implicit-def: $vgpr88_vgpr89
.LBB105_504:
	ds_load_b64 v[88:89], v1
.LBB105_505:
	s_mov_b32 s2, exec_lo
	v_cmpx_ne_u32_e32 9, v0
	s_cbranch_execz .LBB105_509
; %bb.506:
	v_add_nc_u32_e32 v91, 0x158, v58
	v_add3_u32 v92, 0, v58, 8
	v_mov_b32_e32 v93, v0
	s_mov_b32 s3, 0
.LBB105_507:                            ; =>This Inner Loop Header: Depth=1
	scratch_load_b64 v[94:95], v92, off
	ds_load_b64 v[96:97], v91
	s_wait_xcnt 0x0
	v_dual_add_nc_u32 v91, 8, v91 :: v_dual_add_nc_u32 v92, 8, v92
	s_wait_loadcnt_dscnt 0x0
	v_pk_mul_f32 v[98:99], v[96:97], v[94:95] op_sel:[1,1] op_sel_hi:[0,1]
	s_delay_alu instid0(VALU_DEP_1) | instskip(SKIP_2) | instid1(VALU_DEP_3)
	v_pk_fma_f32 v[100:101], v[96:97], v[94:95], v[98:99] op_sel_hi:[1,0,1]
	v_add_nc_u32_e32 v93, 1, v93
	v_pk_fma_f32 v[94:95], v[96:97], v[94:95], v[98:99] neg_lo:[0,0,1] neg_hi:[0,0,1]
	v_mov_b32_e32 v95, v101
	s_delay_alu instid0(VALU_DEP_3) | instskip(NEXT) | instid1(VALU_DEP_2)
	v_cmp_lt_u32_e32 vcc_lo, 8, v93
	v_pk_add_f32 v[88:89], v[88:89], v[94:95]
	s_or_b32 s3, vcc_lo, s3
	s_delay_alu instid0(SALU_CYCLE_1)
	s_and_not1_b32 exec_lo, exec_lo, s3
	s_cbranch_execnz .LBB105_507
; %bb.508:
	s_or_b32 exec_lo, exec_lo, s3
.LBB105_509:
	s_delay_alu instid0(SALU_CYCLE_1) | instskip(SKIP_4) | instid1(VALU_DEP_1)
	s_or_b32 exec_lo, exec_lo, s2
	v_mov_b32_e32 v91, 0
	ds_load_b64 v[92:93], v91 offset:80
	s_wait_dscnt 0x0
	v_pk_mul_f32 v[94:95], v[88:89], v[92:93] op_sel:[1,1] op_sel_hi:[0,1]
	v_pk_fma_f32 v[96:97], v[88:89], v[92:93], v[94:95] op_sel_hi:[1,0,1]
	v_pk_fma_f32 v[88:89], v[88:89], v[92:93], v[94:95] neg_lo:[0,0,1] neg_hi:[0,0,1]
	s_delay_alu instid0(VALU_DEP_2)
	v_mov_b32_e32 v89, v97
	scratch_store_b64 off, v[88:89], off offset:80
.LBB105_510:
	s_wait_xcnt 0x0
	s_or_b32 exec_lo, exec_lo, s0
	scratch_load_b64 v[88:89], off, off offset:88
	s_mov_b32 s0, exec_lo
	s_wait_loadcnt 0x0
	ds_store_b64 v1, v[88:89]
	s_wait_storecnt_dscnt 0x0
	s_barrier_signal -1
	s_barrier_wait -1
	s_wait_xcnt 0x0
	v_cmpx_gt_u32_e32 11, v0
	s_cbranch_execz .LBB105_520
; %bb.511:
	v_cmp_ne_u32_e32 vcc_lo, 1, v90
	s_cbranch_vccnz .LBB105_513
; %bb.512:
	scratch_load_b64 v[88:89], v59, off
	ds_load_b64 v[92:93], v1
	s_wait_loadcnt_dscnt 0x0
	v_pk_mul_f32 v[94:95], v[92:93], v[88:89] op_sel:[1,1] op_sel_hi:[0,1]
	s_delay_alu instid0(VALU_DEP_1) | instskip(SKIP_1) | instid1(VALU_DEP_2)
	v_pk_fma_f32 v[96:97], v[92:93], v[88:89], v[94:95] op_sel_hi:[1,0,1]
	v_pk_fma_f32 v[88:89], v[92:93], v[88:89], v[94:95] neg_lo:[0,0,1] neg_hi:[0,0,1]
	v_mov_b32_e32 v89, v97
	s_cbranch_execz .LBB105_514
	s_branch .LBB105_515
.LBB105_513:
                                        ; implicit-def: $vgpr88_vgpr89
.LBB105_514:
	ds_load_b64 v[88:89], v1
.LBB105_515:
	s_mov_b32 s2, exec_lo
	v_cmpx_ne_u32_e32 10, v0
	s_cbranch_execz .LBB105_519
; %bb.516:
	v_add_nc_u32_e32 v91, 0x158, v58
	v_add3_u32 v92, 0, v58, 8
	v_mov_b32_e32 v93, v0
	s_mov_b32 s3, 0
.LBB105_517:                            ; =>This Inner Loop Header: Depth=1
	scratch_load_b64 v[94:95], v92, off
	ds_load_b64 v[96:97], v91
	s_wait_xcnt 0x0
	v_dual_add_nc_u32 v91, 8, v91 :: v_dual_add_nc_u32 v92, 8, v92
	s_wait_loadcnt_dscnt 0x0
	v_pk_mul_f32 v[98:99], v[96:97], v[94:95] op_sel:[1,1] op_sel_hi:[0,1]
	s_delay_alu instid0(VALU_DEP_1) | instskip(SKIP_2) | instid1(VALU_DEP_3)
	v_pk_fma_f32 v[100:101], v[96:97], v[94:95], v[98:99] op_sel_hi:[1,0,1]
	v_add_nc_u32_e32 v93, 1, v93
	v_pk_fma_f32 v[94:95], v[96:97], v[94:95], v[98:99] neg_lo:[0,0,1] neg_hi:[0,0,1]
	v_mov_b32_e32 v95, v101
	s_delay_alu instid0(VALU_DEP_3) | instskip(NEXT) | instid1(VALU_DEP_2)
	v_cmp_lt_u32_e32 vcc_lo, 9, v93
	v_pk_add_f32 v[88:89], v[88:89], v[94:95]
	s_or_b32 s3, vcc_lo, s3
	s_delay_alu instid0(SALU_CYCLE_1)
	s_and_not1_b32 exec_lo, exec_lo, s3
	s_cbranch_execnz .LBB105_517
; %bb.518:
	s_or_b32 exec_lo, exec_lo, s3
.LBB105_519:
	s_delay_alu instid0(SALU_CYCLE_1) | instskip(SKIP_4) | instid1(VALU_DEP_1)
	s_or_b32 exec_lo, exec_lo, s2
	v_mov_b32_e32 v91, 0
	ds_load_b64 v[92:93], v91 offset:88
	s_wait_dscnt 0x0
	v_pk_mul_f32 v[94:95], v[88:89], v[92:93] op_sel:[1,1] op_sel_hi:[0,1]
	v_pk_fma_f32 v[96:97], v[88:89], v[92:93], v[94:95] op_sel_hi:[1,0,1]
	v_pk_fma_f32 v[88:89], v[88:89], v[92:93], v[94:95] neg_lo:[0,0,1] neg_hi:[0,0,1]
	s_delay_alu instid0(VALU_DEP_2)
	v_mov_b32_e32 v89, v97
	scratch_store_b64 off, v[88:89], off offset:88
.LBB105_520:
	s_wait_xcnt 0x0
	s_or_b32 exec_lo, exec_lo, s0
	scratch_load_b64 v[88:89], off, off offset:96
	s_mov_b32 s0, exec_lo
	s_wait_loadcnt 0x0
	ds_store_b64 v1, v[88:89]
	s_wait_storecnt_dscnt 0x0
	s_barrier_signal -1
	s_barrier_wait -1
	s_wait_xcnt 0x0
	v_cmpx_gt_u32_e32 12, v0
	s_cbranch_execz .LBB105_530
; %bb.521:
	v_cmp_ne_u32_e32 vcc_lo, 1, v90
	s_cbranch_vccnz .LBB105_523
; %bb.522:
	scratch_load_b64 v[88:89], v59, off
	ds_load_b64 v[92:93], v1
	s_wait_loadcnt_dscnt 0x0
	v_pk_mul_f32 v[94:95], v[92:93], v[88:89] op_sel:[1,1] op_sel_hi:[0,1]
	s_delay_alu instid0(VALU_DEP_1) | instskip(SKIP_1) | instid1(VALU_DEP_2)
	v_pk_fma_f32 v[96:97], v[92:93], v[88:89], v[94:95] op_sel_hi:[1,0,1]
	v_pk_fma_f32 v[88:89], v[92:93], v[88:89], v[94:95] neg_lo:[0,0,1] neg_hi:[0,0,1]
	v_mov_b32_e32 v89, v97
	s_cbranch_execz .LBB105_524
	s_branch .LBB105_525
.LBB105_523:
                                        ; implicit-def: $vgpr88_vgpr89
.LBB105_524:
	ds_load_b64 v[88:89], v1
.LBB105_525:
	s_mov_b32 s2, exec_lo
	v_cmpx_ne_u32_e32 11, v0
	s_cbranch_execz .LBB105_529
; %bb.526:
	v_add_nc_u32_e32 v91, 0x158, v58
	v_add3_u32 v92, 0, v58, 8
	v_mov_b32_e32 v93, v0
	s_mov_b32 s3, 0
.LBB105_527:                            ; =>This Inner Loop Header: Depth=1
	scratch_load_b64 v[94:95], v92, off
	ds_load_b64 v[96:97], v91
	s_wait_xcnt 0x0
	v_dual_add_nc_u32 v91, 8, v91 :: v_dual_add_nc_u32 v92, 8, v92
	s_wait_loadcnt_dscnt 0x0
	v_pk_mul_f32 v[98:99], v[96:97], v[94:95] op_sel:[1,1] op_sel_hi:[0,1]
	s_delay_alu instid0(VALU_DEP_1) | instskip(SKIP_2) | instid1(VALU_DEP_3)
	v_pk_fma_f32 v[100:101], v[96:97], v[94:95], v[98:99] op_sel_hi:[1,0,1]
	v_add_nc_u32_e32 v93, 1, v93
	v_pk_fma_f32 v[94:95], v[96:97], v[94:95], v[98:99] neg_lo:[0,0,1] neg_hi:[0,0,1]
	v_mov_b32_e32 v95, v101
	s_delay_alu instid0(VALU_DEP_3) | instskip(NEXT) | instid1(VALU_DEP_2)
	v_cmp_lt_u32_e32 vcc_lo, 10, v93
	v_pk_add_f32 v[88:89], v[88:89], v[94:95]
	s_or_b32 s3, vcc_lo, s3
	s_delay_alu instid0(SALU_CYCLE_1)
	s_and_not1_b32 exec_lo, exec_lo, s3
	s_cbranch_execnz .LBB105_527
; %bb.528:
	s_or_b32 exec_lo, exec_lo, s3
.LBB105_529:
	s_delay_alu instid0(SALU_CYCLE_1) | instskip(SKIP_4) | instid1(VALU_DEP_1)
	s_or_b32 exec_lo, exec_lo, s2
	v_mov_b32_e32 v91, 0
	ds_load_b64 v[92:93], v91 offset:96
	s_wait_dscnt 0x0
	v_pk_mul_f32 v[94:95], v[88:89], v[92:93] op_sel:[1,1] op_sel_hi:[0,1]
	v_pk_fma_f32 v[96:97], v[88:89], v[92:93], v[94:95] op_sel_hi:[1,0,1]
	v_pk_fma_f32 v[88:89], v[88:89], v[92:93], v[94:95] neg_lo:[0,0,1] neg_hi:[0,0,1]
	s_delay_alu instid0(VALU_DEP_2)
	v_mov_b32_e32 v89, v97
	scratch_store_b64 off, v[88:89], off offset:96
.LBB105_530:
	s_wait_xcnt 0x0
	s_or_b32 exec_lo, exec_lo, s0
	scratch_load_b64 v[88:89], off, off offset:104
	s_mov_b32 s0, exec_lo
	s_wait_loadcnt 0x0
	ds_store_b64 v1, v[88:89]
	s_wait_storecnt_dscnt 0x0
	s_barrier_signal -1
	s_barrier_wait -1
	s_wait_xcnt 0x0
	v_cmpx_gt_u32_e32 13, v0
	s_cbranch_execz .LBB105_540
; %bb.531:
	v_cmp_ne_u32_e32 vcc_lo, 1, v90
	s_cbranch_vccnz .LBB105_533
; %bb.532:
	scratch_load_b64 v[88:89], v59, off
	ds_load_b64 v[92:93], v1
	s_wait_loadcnt_dscnt 0x0
	v_pk_mul_f32 v[94:95], v[92:93], v[88:89] op_sel:[1,1] op_sel_hi:[0,1]
	s_delay_alu instid0(VALU_DEP_1) | instskip(SKIP_1) | instid1(VALU_DEP_2)
	v_pk_fma_f32 v[96:97], v[92:93], v[88:89], v[94:95] op_sel_hi:[1,0,1]
	v_pk_fma_f32 v[88:89], v[92:93], v[88:89], v[94:95] neg_lo:[0,0,1] neg_hi:[0,0,1]
	v_mov_b32_e32 v89, v97
	s_cbranch_execz .LBB105_534
	s_branch .LBB105_535
.LBB105_533:
                                        ; implicit-def: $vgpr88_vgpr89
.LBB105_534:
	ds_load_b64 v[88:89], v1
.LBB105_535:
	s_mov_b32 s2, exec_lo
	v_cmpx_ne_u32_e32 12, v0
	s_cbranch_execz .LBB105_539
; %bb.536:
	v_add_nc_u32_e32 v91, 0x158, v58
	v_add3_u32 v92, 0, v58, 8
	v_mov_b32_e32 v93, v0
	s_mov_b32 s3, 0
.LBB105_537:                            ; =>This Inner Loop Header: Depth=1
	scratch_load_b64 v[94:95], v92, off
	ds_load_b64 v[96:97], v91
	s_wait_xcnt 0x0
	v_dual_add_nc_u32 v91, 8, v91 :: v_dual_add_nc_u32 v92, 8, v92
	s_wait_loadcnt_dscnt 0x0
	v_pk_mul_f32 v[98:99], v[96:97], v[94:95] op_sel:[1,1] op_sel_hi:[0,1]
	s_delay_alu instid0(VALU_DEP_1) | instskip(SKIP_2) | instid1(VALU_DEP_3)
	v_pk_fma_f32 v[100:101], v[96:97], v[94:95], v[98:99] op_sel_hi:[1,0,1]
	v_add_nc_u32_e32 v93, 1, v93
	v_pk_fma_f32 v[94:95], v[96:97], v[94:95], v[98:99] neg_lo:[0,0,1] neg_hi:[0,0,1]
	v_mov_b32_e32 v95, v101
	s_delay_alu instid0(VALU_DEP_3) | instskip(NEXT) | instid1(VALU_DEP_2)
	v_cmp_lt_u32_e32 vcc_lo, 11, v93
	v_pk_add_f32 v[88:89], v[88:89], v[94:95]
	s_or_b32 s3, vcc_lo, s3
	s_delay_alu instid0(SALU_CYCLE_1)
	s_and_not1_b32 exec_lo, exec_lo, s3
	s_cbranch_execnz .LBB105_537
; %bb.538:
	s_or_b32 exec_lo, exec_lo, s3
.LBB105_539:
	s_delay_alu instid0(SALU_CYCLE_1) | instskip(SKIP_4) | instid1(VALU_DEP_1)
	s_or_b32 exec_lo, exec_lo, s2
	v_mov_b32_e32 v91, 0
	ds_load_b64 v[92:93], v91 offset:104
	s_wait_dscnt 0x0
	v_pk_mul_f32 v[94:95], v[88:89], v[92:93] op_sel:[1,1] op_sel_hi:[0,1]
	v_pk_fma_f32 v[96:97], v[88:89], v[92:93], v[94:95] op_sel_hi:[1,0,1]
	v_pk_fma_f32 v[88:89], v[88:89], v[92:93], v[94:95] neg_lo:[0,0,1] neg_hi:[0,0,1]
	s_delay_alu instid0(VALU_DEP_2)
	v_mov_b32_e32 v89, v97
	scratch_store_b64 off, v[88:89], off offset:104
.LBB105_540:
	s_wait_xcnt 0x0
	s_or_b32 exec_lo, exec_lo, s0
	scratch_load_b64 v[88:89], off, off offset:112
	s_mov_b32 s0, exec_lo
	s_wait_loadcnt 0x0
	ds_store_b64 v1, v[88:89]
	s_wait_storecnt_dscnt 0x0
	s_barrier_signal -1
	s_barrier_wait -1
	s_wait_xcnt 0x0
	v_cmpx_gt_u32_e32 14, v0
	s_cbranch_execz .LBB105_550
; %bb.541:
	v_cmp_ne_u32_e32 vcc_lo, 1, v90
	s_cbranch_vccnz .LBB105_543
; %bb.542:
	scratch_load_b64 v[88:89], v59, off
	ds_load_b64 v[92:93], v1
	s_wait_loadcnt_dscnt 0x0
	v_pk_mul_f32 v[94:95], v[92:93], v[88:89] op_sel:[1,1] op_sel_hi:[0,1]
	s_delay_alu instid0(VALU_DEP_1) | instskip(SKIP_1) | instid1(VALU_DEP_2)
	v_pk_fma_f32 v[96:97], v[92:93], v[88:89], v[94:95] op_sel_hi:[1,0,1]
	v_pk_fma_f32 v[88:89], v[92:93], v[88:89], v[94:95] neg_lo:[0,0,1] neg_hi:[0,0,1]
	v_mov_b32_e32 v89, v97
	s_cbranch_execz .LBB105_544
	s_branch .LBB105_545
.LBB105_543:
                                        ; implicit-def: $vgpr88_vgpr89
.LBB105_544:
	ds_load_b64 v[88:89], v1
.LBB105_545:
	s_mov_b32 s2, exec_lo
	v_cmpx_ne_u32_e32 13, v0
	s_cbranch_execz .LBB105_549
; %bb.546:
	v_add_nc_u32_e32 v91, 0x158, v58
	v_add3_u32 v92, 0, v58, 8
	v_mov_b32_e32 v93, v0
	s_mov_b32 s3, 0
.LBB105_547:                            ; =>This Inner Loop Header: Depth=1
	scratch_load_b64 v[94:95], v92, off
	ds_load_b64 v[96:97], v91
	s_wait_xcnt 0x0
	v_dual_add_nc_u32 v91, 8, v91 :: v_dual_add_nc_u32 v92, 8, v92
	s_wait_loadcnt_dscnt 0x0
	v_pk_mul_f32 v[98:99], v[96:97], v[94:95] op_sel:[1,1] op_sel_hi:[0,1]
	s_delay_alu instid0(VALU_DEP_1) | instskip(SKIP_2) | instid1(VALU_DEP_3)
	v_pk_fma_f32 v[100:101], v[96:97], v[94:95], v[98:99] op_sel_hi:[1,0,1]
	v_add_nc_u32_e32 v93, 1, v93
	v_pk_fma_f32 v[94:95], v[96:97], v[94:95], v[98:99] neg_lo:[0,0,1] neg_hi:[0,0,1]
	v_mov_b32_e32 v95, v101
	s_delay_alu instid0(VALU_DEP_3) | instskip(NEXT) | instid1(VALU_DEP_2)
	v_cmp_lt_u32_e32 vcc_lo, 12, v93
	v_pk_add_f32 v[88:89], v[88:89], v[94:95]
	s_or_b32 s3, vcc_lo, s3
	s_delay_alu instid0(SALU_CYCLE_1)
	s_and_not1_b32 exec_lo, exec_lo, s3
	s_cbranch_execnz .LBB105_547
; %bb.548:
	s_or_b32 exec_lo, exec_lo, s3
.LBB105_549:
	s_delay_alu instid0(SALU_CYCLE_1) | instskip(SKIP_4) | instid1(VALU_DEP_1)
	s_or_b32 exec_lo, exec_lo, s2
	v_mov_b32_e32 v91, 0
	ds_load_b64 v[92:93], v91 offset:112
	s_wait_dscnt 0x0
	v_pk_mul_f32 v[94:95], v[88:89], v[92:93] op_sel:[1,1] op_sel_hi:[0,1]
	v_pk_fma_f32 v[96:97], v[88:89], v[92:93], v[94:95] op_sel_hi:[1,0,1]
	v_pk_fma_f32 v[88:89], v[88:89], v[92:93], v[94:95] neg_lo:[0,0,1] neg_hi:[0,0,1]
	s_delay_alu instid0(VALU_DEP_2)
	v_mov_b32_e32 v89, v97
	scratch_store_b64 off, v[88:89], off offset:112
.LBB105_550:
	s_wait_xcnt 0x0
	s_or_b32 exec_lo, exec_lo, s0
	scratch_load_b64 v[88:89], off, off offset:120
	s_mov_b32 s0, exec_lo
	s_wait_loadcnt 0x0
	ds_store_b64 v1, v[88:89]
	s_wait_storecnt_dscnt 0x0
	s_barrier_signal -1
	s_barrier_wait -1
	s_wait_xcnt 0x0
	v_cmpx_gt_u32_e32 15, v0
	s_cbranch_execz .LBB105_560
; %bb.551:
	v_cmp_ne_u32_e32 vcc_lo, 1, v90
	s_cbranch_vccnz .LBB105_553
; %bb.552:
	scratch_load_b64 v[88:89], v59, off
	ds_load_b64 v[92:93], v1
	s_wait_loadcnt_dscnt 0x0
	v_pk_mul_f32 v[94:95], v[92:93], v[88:89] op_sel:[1,1] op_sel_hi:[0,1]
	s_delay_alu instid0(VALU_DEP_1) | instskip(SKIP_1) | instid1(VALU_DEP_2)
	v_pk_fma_f32 v[96:97], v[92:93], v[88:89], v[94:95] op_sel_hi:[1,0,1]
	v_pk_fma_f32 v[88:89], v[92:93], v[88:89], v[94:95] neg_lo:[0,0,1] neg_hi:[0,0,1]
	v_mov_b32_e32 v89, v97
	s_cbranch_execz .LBB105_554
	s_branch .LBB105_555
.LBB105_553:
                                        ; implicit-def: $vgpr88_vgpr89
.LBB105_554:
	ds_load_b64 v[88:89], v1
.LBB105_555:
	s_mov_b32 s2, exec_lo
	v_cmpx_ne_u32_e32 14, v0
	s_cbranch_execz .LBB105_559
; %bb.556:
	v_add_nc_u32_e32 v91, 0x158, v58
	v_add3_u32 v92, 0, v58, 8
	v_mov_b32_e32 v93, v0
	s_mov_b32 s3, 0
.LBB105_557:                            ; =>This Inner Loop Header: Depth=1
	scratch_load_b64 v[94:95], v92, off
	ds_load_b64 v[96:97], v91
	s_wait_xcnt 0x0
	v_dual_add_nc_u32 v91, 8, v91 :: v_dual_add_nc_u32 v92, 8, v92
	s_wait_loadcnt_dscnt 0x0
	v_pk_mul_f32 v[98:99], v[96:97], v[94:95] op_sel:[1,1] op_sel_hi:[0,1]
	s_delay_alu instid0(VALU_DEP_1) | instskip(SKIP_2) | instid1(VALU_DEP_3)
	v_pk_fma_f32 v[100:101], v[96:97], v[94:95], v[98:99] op_sel_hi:[1,0,1]
	v_add_nc_u32_e32 v93, 1, v93
	v_pk_fma_f32 v[94:95], v[96:97], v[94:95], v[98:99] neg_lo:[0,0,1] neg_hi:[0,0,1]
	v_mov_b32_e32 v95, v101
	s_delay_alu instid0(VALU_DEP_3) | instskip(NEXT) | instid1(VALU_DEP_2)
	v_cmp_lt_u32_e32 vcc_lo, 13, v93
	v_pk_add_f32 v[88:89], v[88:89], v[94:95]
	s_or_b32 s3, vcc_lo, s3
	s_delay_alu instid0(SALU_CYCLE_1)
	s_and_not1_b32 exec_lo, exec_lo, s3
	s_cbranch_execnz .LBB105_557
; %bb.558:
	s_or_b32 exec_lo, exec_lo, s3
.LBB105_559:
	s_delay_alu instid0(SALU_CYCLE_1) | instskip(SKIP_4) | instid1(VALU_DEP_1)
	s_or_b32 exec_lo, exec_lo, s2
	v_mov_b32_e32 v91, 0
	ds_load_b64 v[92:93], v91 offset:120
	s_wait_dscnt 0x0
	v_pk_mul_f32 v[94:95], v[88:89], v[92:93] op_sel:[1,1] op_sel_hi:[0,1]
	v_pk_fma_f32 v[96:97], v[88:89], v[92:93], v[94:95] op_sel_hi:[1,0,1]
	v_pk_fma_f32 v[88:89], v[88:89], v[92:93], v[94:95] neg_lo:[0,0,1] neg_hi:[0,0,1]
	s_delay_alu instid0(VALU_DEP_2)
	v_mov_b32_e32 v89, v97
	scratch_store_b64 off, v[88:89], off offset:120
.LBB105_560:
	s_wait_xcnt 0x0
	s_or_b32 exec_lo, exec_lo, s0
	scratch_load_b64 v[88:89], off, off offset:128
	s_mov_b32 s0, exec_lo
	s_wait_loadcnt 0x0
	ds_store_b64 v1, v[88:89]
	s_wait_storecnt_dscnt 0x0
	s_barrier_signal -1
	s_barrier_wait -1
	s_wait_xcnt 0x0
	v_cmpx_gt_u32_e32 16, v0
	s_cbranch_execz .LBB105_570
; %bb.561:
	v_cmp_ne_u32_e32 vcc_lo, 1, v90
	s_cbranch_vccnz .LBB105_563
; %bb.562:
	scratch_load_b64 v[88:89], v59, off
	ds_load_b64 v[92:93], v1
	s_wait_loadcnt_dscnt 0x0
	v_pk_mul_f32 v[94:95], v[92:93], v[88:89] op_sel:[1,1] op_sel_hi:[0,1]
	s_delay_alu instid0(VALU_DEP_1) | instskip(SKIP_1) | instid1(VALU_DEP_2)
	v_pk_fma_f32 v[96:97], v[92:93], v[88:89], v[94:95] op_sel_hi:[1,0,1]
	v_pk_fma_f32 v[88:89], v[92:93], v[88:89], v[94:95] neg_lo:[0,0,1] neg_hi:[0,0,1]
	v_mov_b32_e32 v89, v97
	s_cbranch_execz .LBB105_564
	s_branch .LBB105_565
.LBB105_563:
                                        ; implicit-def: $vgpr88_vgpr89
.LBB105_564:
	ds_load_b64 v[88:89], v1
.LBB105_565:
	s_mov_b32 s2, exec_lo
	v_cmpx_ne_u32_e32 15, v0
	s_cbranch_execz .LBB105_569
; %bb.566:
	v_add_nc_u32_e32 v91, 0x158, v58
	v_add3_u32 v92, 0, v58, 8
	v_mov_b32_e32 v93, v0
	s_mov_b32 s3, 0
.LBB105_567:                            ; =>This Inner Loop Header: Depth=1
	scratch_load_b64 v[94:95], v92, off
	ds_load_b64 v[96:97], v91
	s_wait_xcnt 0x0
	v_dual_add_nc_u32 v91, 8, v91 :: v_dual_add_nc_u32 v92, 8, v92
	s_wait_loadcnt_dscnt 0x0
	v_pk_mul_f32 v[98:99], v[96:97], v[94:95] op_sel:[1,1] op_sel_hi:[0,1]
	s_delay_alu instid0(VALU_DEP_1) | instskip(SKIP_2) | instid1(VALU_DEP_3)
	v_pk_fma_f32 v[100:101], v[96:97], v[94:95], v[98:99] op_sel_hi:[1,0,1]
	v_add_nc_u32_e32 v93, 1, v93
	v_pk_fma_f32 v[94:95], v[96:97], v[94:95], v[98:99] neg_lo:[0,0,1] neg_hi:[0,0,1]
	v_mov_b32_e32 v95, v101
	s_delay_alu instid0(VALU_DEP_3) | instskip(NEXT) | instid1(VALU_DEP_2)
	v_cmp_lt_u32_e32 vcc_lo, 14, v93
	v_pk_add_f32 v[88:89], v[88:89], v[94:95]
	s_or_b32 s3, vcc_lo, s3
	s_delay_alu instid0(SALU_CYCLE_1)
	s_and_not1_b32 exec_lo, exec_lo, s3
	s_cbranch_execnz .LBB105_567
; %bb.568:
	s_or_b32 exec_lo, exec_lo, s3
.LBB105_569:
	s_delay_alu instid0(SALU_CYCLE_1) | instskip(SKIP_4) | instid1(VALU_DEP_1)
	s_or_b32 exec_lo, exec_lo, s2
	v_mov_b32_e32 v91, 0
	ds_load_b64 v[92:93], v91 offset:128
	s_wait_dscnt 0x0
	v_pk_mul_f32 v[94:95], v[88:89], v[92:93] op_sel:[1,1] op_sel_hi:[0,1]
	v_pk_fma_f32 v[96:97], v[88:89], v[92:93], v[94:95] op_sel_hi:[1,0,1]
	v_pk_fma_f32 v[88:89], v[88:89], v[92:93], v[94:95] neg_lo:[0,0,1] neg_hi:[0,0,1]
	s_delay_alu instid0(VALU_DEP_2)
	v_mov_b32_e32 v89, v97
	scratch_store_b64 off, v[88:89], off offset:128
.LBB105_570:
	s_wait_xcnt 0x0
	s_or_b32 exec_lo, exec_lo, s0
	scratch_load_b64 v[88:89], off, off offset:136
	s_mov_b32 s0, exec_lo
	s_wait_loadcnt 0x0
	ds_store_b64 v1, v[88:89]
	s_wait_storecnt_dscnt 0x0
	s_barrier_signal -1
	s_barrier_wait -1
	s_wait_xcnt 0x0
	v_cmpx_gt_u32_e32 17, v0
	s_cbranch_execz .LBB105_580
; %bb.571:
	v_cmp_ne_u32_e32 vcc_lo, 1, v90
	s_cbranch_vccnz .LBB105_573
; %bb.572:
	scratch_load_b64 v[88:89], v59, off
	ds_load_b64 v[92:93], v1
	s_wait_loadcnt_dscnt 0x0
	v_pk_mul_f32 v[94:95], v[92:93], v[88:89] op_sel:[1,1] op_sel_hi:[0,1]
	s_delay_alu instid0(VALU_DEP_1) | instskip(SKIP_1) | instid1(VALU_DEP_2)
	v_pk_fma_f32 v[96:97], v[92:93], v[88:89], v[94:95] op_sel_hi:[1,0,1]
	v_pk_fma_f32 v[88:89], v[92:93], v[88:89], v[94:95] neg_lo:[0,0,1] neg_hi:[0,0,1]
	v_mov_b32_e32 v89, v97
	s_cbranch_execz .LBB105_574
	s_branch .LBB105_575
.LBB105_573:
                                        ; implicit-def: $vgpr88_vgpr89
.LBB105_574:
	ds_load_b64 v[88:89], v1
.LBB105_575:
	s_mov_b32 s2, exec_lo
	v_cmpx_ne_u32_e32 16, v0
	s_cbranch_execz .LBB105_579
; %bb.576:
	v_add_nc_u32_e32 v91, 0x158, v58
	v_add3_u32 v92, 0, v58, 8
	v_mov_b32_e32 v93, v0
	s_mov_b32 s3, 0
.LBB105_577:                            ; =>This Inner Loop Header: Depth=1
	scratch_load_b64 v[94:95], v92, off
	ds_load_b64 v[96:97], v91
	s_wait_xcnt 0x0
	v_dual_add_nc_u32 v91, 8, v91 :: v_dual_add_nc_u32 v92, 8, v92
	s_wait_loadcnt_dscnt 0x0
	v_pk_mul_f32 v[98:99], v[96:97], v[94:95] op_sel:[1,1] op_sel_hi:[0,1]
	s_delay_alu instid0(VALU_DEP_1) | instskip(SKIP_2) | instid1(VALU_DEP_3)
	v_pk_fma_f32 v[100:101], v[96:97], v[94:95], v[98:99] op_sel_hi:[1,0,1]
	v_add_nc_u32_e32 v93, 1, v93
	v_pk_fma_f32 v[94:95], v[96:97], v[94:95], v[98:99] neg_lo:[0,0,1] neg_hi:[0,0,1]
	v_mov_b32_e32 v95, v101
	s_delay_alu instid0(VALU_DEP_3) | instskip(NEXT) | instid1(VALU_DEP_2)
	v_cmp_lt_u32_e32 vcc_lo, 15, v93
	v_pk_add_f32 v[88:89], v[88:89], v[94:95]
	s_or_b32 s3, vcc_lo, s3
	s_delay_alu instid0(SALU_CYCLE_1)
	s_and_not1_b32 exec_lo, exec_lo, s3
	s_cbranch_execnz .LBB105_577
; %bb.578:
	s_or_b32 exec_lo, exec_lo, s3
.LBB105_579:
	s_delay_alu instid0(SALU_CYCLE_1) | instskip(SKIP_4) | instid1(VALU_DEP_1)
	s_or_b32 exec_lo, exec_lo, s2
	v_mov_b32_e32 v91, 0
	ds_load_b64 v[92:93], v91 offset:136
	s_wait_dscnt 0x0
	v_pk_mul_f32 v[94:95], v[88:89], v[92:93] op_sel:[1,1] op_sel_hi:[0,1]
	v_pk_fma_f32 v[96:97], v[88:89], v[92:93], v[94:95] op_sel_hi:[1,0,1]
	v_pk_fma_f32 v[88:89], v[88:89], v[92:93], v[94:95] neg_lo:[0,0,1] neg_hi:[0,0,1]
	s_delay_alu instid0(VALU_DEP_2)
	v_mov_b32_e32 v89, v97
	scratch_store_b64 off, v[88:89], off offset:136
.LBB105_580:
	s_wait_xcnt 0x0
	s_or_b32 exec_lo, exec_lo, s0
	scratch_load_b64 v[88:89], off, off offset:144
	s_mov_b32 s0, exec_lo
	s_wait_loadcnt 0x0
	ds_store_b64 v1, v[88:89]
	s_wait_storecnt_dscnt 0x0
	s_barrier_signal -1
	s_barrier_wait -1
	s_wait_xcnt 0x0
	v_cmpx_gt_u32_e32 18, v0
	s_cbranch_execz .LBB105_590
; %bb.581:
	v_cmp_ne_u32_e32 vcc_lo, 1, v90
	s_cbranch_vccnz .LBB105_583
; %bb.582:
	scratch_load_b64 v[88:89], v59, off
	ds_load_b64 v[92:93], v1
	s_wait_loadcnt_dscnt 0x0
	v_pk_mul_f32 v[94:95], v[92:93], v[88:89] op_sel:[1,1] op_sel_hi:[0,1]
	s_delay_alu instid0(VALU_DEP_1) | instskip(SKIP_1) | instid1(VALU_DEP_2)
	v_pk_fma_f32 v[96:97], v[92:93], v[88:89], v[94:95] op_sel_hi:[1,0,1]
	v_pk_fma_f32 v[88:89], v[92:93], v[88:89], v[94:95] neg_lo:[0,0,1] neg_hi:[0,0,1]
	v_mov_b32_e32 v89, v97
	s_cbranch_execz .LBB105_584
	s_branch .LBB105_585
.LBB105_583:
                                        ; implicit-def: $vgpr88_vgpr89
.LBB105_584:
	ds_load_b64 v[88:89], v1
.LBB105_585:
	s_mov_b32 s2, exec_lo
	v_cmpx_ne_u32_e32 17, v0
	s_cbranch_execz .LBB105_589
; %bb.586:
	v_add_nc_u32_e32 v91, 0x158, v58
	v_add3_u32 v92, 0, v58, 8
	v_mov_b32_e32 v93, v0
	s_mov_b32 s3, 0
.LBB105_587:                            ; =>This Inner Loop Header: Depth=1
	scratch_load_b64 v[94:95], v92, off
	ds_load_b64 v[96:97], v91
	s_wait_xcnt 0x0
	v_dual_add_nc_u32 v91, 8, v91 :: v_dual_add_nc_u32 v92, 8, v92
	s_wait_loadcnt_dscnt 0x0
	v_pk_mul_f32 v[98:99], v[96:97], v[94:95] op_sel:[1,1] op_sel_hi:[0,1]
	s_delay_alu instid0(VALU_DEP_1) | instskip(SKIP_2) | instid1(VALU_DEP_3)
	v_pk_fma_f32 v[100:101], v[96:97], v[94:95], v[98:99] op_sel_hi:[1,0,1]
	v_add_nc_u32_e32 v93, 1, v93
	v_pk_fma_f32 v[94:95], v[96:97], v[94:95], v[98:99] neg_lo:[0,0,1] neg_hi:[0,0,1]
	v_mov_b32_e32 v95, v101
	s_delay_alu instid0(VALU_DEP_3) | instskip(NEXT) | instid1(VALU_DEP_2)
	v_cmp_lt_u32_e32 vcc_lo, 16, v93
	v_pk_add_f32 v[88:89], v[88:89], v[94:95]
	s_or_b32 s3, vcc_lo, s3
	s_delay_alu instid0(SALU_CYCLE_1)
	s_and_not1_b32 exec_lo, exec_lo, s3
	s_cbranch_execnz .LBB105_587
; %bb.588:
	s_or_b32 exec_lo, exec_lo, s3
.LBB105_589:
	s_delay_alu instid0(SALU_CYCLE_1) | instskip(SKIP_4) | instid1(VALU_DEP_1)
	s_or_b32 exec_lo, exec_lo, s2
	v_mov_b32_e32 v91, 0
	ds_load_b64 v[92:93], v91 offset:144
	s_wait_dscnt 0x0
	v_pk_mul_f32 v[94:95], v[88:89], v[92:93] op_sel:[1,1] op_sel_hi:[0,1]
	v_pk_fma_f32 v[96:97], v[88:89], v[92:93], v[94:95] op_sel_hi:[1,0,1]
	v_pk_fma_f32 v[88:89], v[88:89], v[92:93], v[94:95] neg_lo:[0,0,1] neg_hi:[0,0,1]
	s_delay_alu instid0(VALU_DEP_2)
	v_mov_b32_e32 v89, v97
	scratch_store_b64 off, v[88:89], off offset:144
.LBB105_590:
	s_wait_xcnt 0x0
	s_or_b32 exec_lo, exec_lo, s0
	scratch_load_b64 v[88:89], off, off offset:152
	s_mov_b32 s0, exec_lo
	s_wait_loadcnt 0x0
	ds_store_b64 v1, v[88:89]
	s_wait_storecnt_dscnt 0x0
	s_barrier_signal -1
	s_barrier_wait -1
	s_wait_xcnt 0x0
	v_cmpx_gt_u32_e32 19, v0
	s_cbranch_execz .LBB105_600
; %bb.591:
	v_cmp_ne_u32_e32 vcc_lo, 1, v90
	s_cbranch_vccnz .LBB105_593
; %bb.592:
	scratch_load_b64 v[88:89], v59, off
	ds_load_b64 v[92:93], v1
	s_wait_loadcnt_dscnt 0x0
	v_pk_mul_f32 v[94:95], v[92:93], v[88:89] op_sel:[1,1] op_sel_hi:[0,1]
	s_delay_alu instid0(VALU_DEP_1) | instskip(SKIP_1) | instid1(VALU_DEP_2)
	v_pk_fma_f32 v[96:97], v[92:93], v[88:89], v[94:95] op_sel_hi:[1,0,1]
	v_pk_fma_f32 v[88:89], v[92:93], v[88:89], v[94:95] neg_lo:[0,0,1] neg_hi:[0,0,1]
	v_mov_b32_e32 v89, v97
	s_cbranch_execz .LBB105_594
	s_branch .LBB105_595
.LBB105_593:
                                        ; implicit-def: $vgpr88_vgpr89
.LBB105_594:
	ds_load_b64 v[88:89], v1
.LBB105_595:
	s_mov_b32 s2, exec_lo
	v_cmpx_ne_u32_e32 18, v0
	s_cbranch_execz .LBB105_599
; %bb.596:
	v_add_nc_u32_e32 v91, 0x158, v58
	v_add3_u32 v92, 0, v58, 8
	v_mov_b32_e32 v93, v0
	s_mov_b32 s3, 0
.LBB105_597:                            ; =>This Inner Loop Header: Depth=1
	scratch_load_b64 v[94:95], v92, off
	ds_load_b64 v[96:97], v91
	s_wait_xcnt 0x0
	v_dual_add_nc_u32 v91, 8, v91 :: v_dual_add_nc_u32 v92, 8, v92
	s_wait_loadcnt_dscnt 0x0
	v_pk_mul_f32 v[98:99], v[96:97], v[94:95] op_sel:[1,1] op_sel_hi:[0,1]
	s_delay_alu instid0(VALU_DEP_1) | instskip(SKIP_2) | instid1(VALU_DEP_3)
	v_pk_fma_f32 v[100:101], v[96:97], v[94:95], v[98:99] op_sel_hi:[1,0,1]
	v_add_nc_u32_e32 v93, 1, v93
	v_pk_fma_f32 v[94:95], v[96:97], v[94:95], v[98:99] neg_lo:[0,0,1] neg_hi:[0,0,1]
	v_mov_b32_e32 v95, v101
	s_delay_alu instid0(VALU_DEP_3) | instskip(NEXT) | instid1(VALU_DEP_2)
	v_cmp_lt_u32_e32 vcc_lo, 17, v93
	v_pk_add_f32 v[88:89], v[88:89], v[94:95]
	s_or_b32 s3, vcc_lo, s3
	s_delay_alu instid0(SALU_CYCLE_1)
	s_and_not1_b32 exec_lo, exec_lo, s3
	s_cbranch_execnz .LBB105_597
; %bb.598:
	s_or_b32 exec_lo, exec_lo, s3
.LBB105_599:
	s_delay_alu instid0(SALU_CYCLE_1) | instskip(SKIP_4) | instid1(VALU_DEP_1)
	s_or_b32 exec_lo, exec_lo, s2
	v_mov_b32_e32 v91, 0
	ds_load_b64 v[92:93], v91 offset:152
	s_wait_dscnt 0x0
	v_pk_mul_f32 v[94:95], v[88:89], v[92:93] op_sel:[1,1] op_sel_hi:[0,1]
	v_pk_fma_f32 v[96:97], v[88:89], v[92:93], v[94:95] op_sel_hi:[1,0,1]
	v_pk_fma_f32 v[88:89], v[88:89], v[92:93], v[94:95] neg_lo:[0,0,1] neg_hi:[0,0,1]
	s_delay_alu instid0(VALU_DEP_2)
	v_mov_b32_e32 v89, v97
	scratch_store_b64 off, v[88:89], off offset:152
.LBB105_600:
	s_wait_xcnt 0x0
	s_or_b32 exec_lo, exec_lo, s0
	scratch_load_b64 v[88:89], off, off offset:160
	s_mov_b32 s0, exec_lo
	s_wait_loadcnt 0x0
	ds_store_b64 v1, v[88:89]
	s_wait_storecnt_dscnt 0x0
	s_barrier_signal -1
	s_barrier_wait -1
	s_wait_xcnt 0x0
	v_cmpx_gt_u32_e32 20, v0
	s_cbranch_execz .LBB105_610
; %bb.601:
	v_cmp_ne_u32_e32 vcc_lo, 1, v90
	s_cbranch_vccnz .LBB105_603
; %bb.602:
	scratch_load_b64 v[88:89], v59, off
	ds_load_b64 v[92:93], v1
	s_wait_loadcnt_dscnt 0x0
	v_pk_mul_f32 v[94:95], v[92:93], v[88:89] op_sel:[1,1] op_sel_hi:[0,1]
	s_delay_alu instid0(VALU_DEP_1) | instskip(SKIP_1) | instid1(VALU_DEP_2)
	v_pk_fma_f32 v[96:97], v[92:93], v[88:89], v[94:95] op_sel_hi:[1,0,1]
	v_pk_fma_f32 v[88:89], v[92:93], v[88:89], v[94:95] neg_lo:[0,0,1] neg_hi:[0,0,1]
	v_mov_b32_e32 v89, v97
	s_cbranch_execz .LBB105_604
	s_branch .LBB105_605
.LBB105_603:
                                        ; implicit-def: $vgpr88_vgpr89
.LBB105_604:
	ds_load_b64 v[88:89], v1
.LBB105_605:
	s_mov_b32 s2, exec_lo
	v_cmpx_ne_u32_e32 19, v0
	s_cbranch_execz .LBB105_609
; %bb.606:
	v_add_nc_u32_e32 v91, 0x158, v58
	v_add3_u32 v92, 0, v58, 8
	v_mov_b32_e32 v93, v0
	s_mov_b32 s3, 0
.LBB105_607:                            ; =>This Inner Loop Header: Depth=1
	scratch_load_b64 v[94:95], v92, off
	ds_load_b64 v[96:97], v91
	s_wait_xcnt 0x0
	v_dual_add_nc_u32 v91, 8, v91 :: v_dual_add_nc_u32 v92, 8, v92
	s_wait_loadcnt_dscnt 0x0
	v_pk_mul_f32 v[98:99], v[96:97], v[94:95] op_sel:[1,1] op_sel_hi:[0,1]
	s_delay_alu instid0(VALU_DEP_1) | instskip(SKIP_2) | instid1(VALU_DEP_3)
	v_pk_fma_f32 v[100:101], v[96:97], v[94:95], v[98:99] op_sel_hi:[1,0,1]
	v_add_nc_u32_e32 v93, 1, v93
	v_pk_fma_f32 v[94:95], v[96:97], v[94:95], v[98:99] neg_lo:[0,0,1] neg_hi:[0,0,1]
	v_mov_b32_e32 v95, v101
	s_delay_alu instid0(VALU_DEP_3) | instskip(NEXT) | instid1(VALU_DEP_2)
	v_cmp_lt_u32_e32 vcc_lo, 18, v93
	v_pk_add_f32 v[88:89], v[88:89], v[94:95]
	s_or_b32 s3, vcc_lo, s3
	s_delay_alu instid0(SALU_CYCLE_1)
	s_and_not1_b32 exec_lo, exec_lo, s3
	s_cbranch_execnz .LBB105_607
; %bb.608:
	s_or_b32 exec_lo, exec_lo, s3
.LBB105_609:
	s_delay_alu instid0(SALU_CYCLE_1) | instskip(SKIP_4) | instid1(VALU_DEP_1)
	s_or_b32 exec_lo, exec_lo, s2
	v_mov_b32_e32 v91, 0
	ds_load_b64 v[92:93], v91 offset:160
	s_wait_dscnt 0x0
	v_pk_mul_f32 v[94:95], v[88:89], v[92:93] op_sel:[1,1] op_sel_hi:[0,1]
	v_pk_fma_f32 v[96:97], v[88:89], v[92:93], v[94:95] op_sel_hi:[1,0,1]
	v_pk_fma_f32 v[88:89], v[88:89], v[92:93], v[94:95] neg_lo:[0,0,1] neg_hi:[0,0,1]
	s_delay_alu instid0(VALU_DEP_2)
	v_mov_b32_e32 v89, v97
	scratch_store_b64 off, v[88:89], off offset:160
.LBB105_610:
	s_wait_xcnt 0x0
	s_or_b32 exec_lo, exec_lo, s0
	scratch_load_b64 v[88:89], off, off offset:168
	s_mov_b32 s0, exec_lo
	s_wait_loadcnt 0x0
	ds_store_b64 v1, v[88:89]
	s_wait_storecnt_dscnt 0x0
	s_barrier_signal -1
	s_barrier_wait -1
	s_wait_xcnt 0x0
	v_cmpx_gt_u32_e32 21, v0
	s_cbranch_execz .LBB105_620
; %bb.611:
	v_cmp_ne_u32_e32 vcc_lo, 1, v90
	s_cbranch_vccnz .LBB105_613
; %bb.612:
	scratch_load_b64 v[88:89], v59, off
	ds_load_b64 v[92:93], v1
	s_wait_loadcnt_dscnt 0x0
	v_pk_mul_f32 v[94:95], v[92:93], v[88:89] op_sel:[1,1] op_sel_hi:[0,1]
	s_delay_alu instid0(VALU_DEP_1) | instskip(SKIP_1) | instid1(VALU_DEP_2)
	v_pk_fma_f32 v[96:97], v[92:93], v[88:89], v[94:95] op_sel_hi:[1,0,1]
	v_pk_fma_f32 v[88:89], v[92:93], v[88:89], v[94:95] neg_lo:[0,0,1] neg_hi:[0,0,1]
	v_mov_b32_e32 v89, v97
	s_cbranch_execz .LBB105_614
	s_branch .LBB105_615
.LBB105_613:
                                        ; implicit-def: $vgpr88_vgpr89
.LBB105_614:
	ds_load_b64 v[88:89], v1
.LBB105_615:
	s_mov_b32 s2, exec_lo
	v_cmpx_ne_u32_e32 20, v0
	s_cbranch_execz .LBB105_619
; %bb.616:
	v_add_nc_u32_e32 v91, 0x158, v58
	v_add3_u32 v92, 0, v58, 8
	v_mov_b32_e32 v93, v0
	s_mov_b32 s3, 0
.LBB105_617:                            ; =>This Inner Loop Header: Depth=1
	scratch_load_b64 v[94:95], v92, off
	ds_load_b64 v[96:97], v91
	s_wait_xcnt 0x0
	v_dual_add_nc_u32 v91, 8, v91 :: v_dual_add_nc_u32 v92, 8, v92
	s_wait_loadcnt_dscnt 0x0
	v_pk_mul_f32 v[98:99], v[96:97], v[94:95] op_sel:[1,1] op_sel_hi:[0,1]
	s_delay_alu instid0(VALU_DEP_1) | instskip(SKIP_2) | instid1(VALU_DEP_3)
	v_pk_fma_f32 v[100:101], v[96:97], v[94:95], v[98:99] op_sel_hi:[1,0,1]
	v_add_nc_u32_e32 v93, 1, v93
	v_pk_fma_f32 v[94:95], v[96:97], v[94:95], v[98:99] neg_lo:[0,0,1] neg_hi:[0,0,1]
	v_mov_b32_e32 v95, v101
	s_delay_alu instid0(VALU_DEP_3) | instskip(NEXT) | instid1(VALU_DEP_2)
	v_cmp_lt_u32_e32 vcc_lo, 19, v93
	v_pk_add_f32 v[88:89], v[88:89], v[94:95]
	s_or_b32 s3, vcc_lo, s3
	s_delay_alu instid0(SALU_CYCLE_1)
	s_and_not1_b32 exec_lo, exec_lo, s3
	s_cbranch_execnz .LBB105_617
; %bb.618:
	s_or_b32 exec_lo, exec_lo, s3
.LBB105_619:
	s_delay_alu instid0(SALU_CYCLE_1) | instskip(SKIP_4) | instid1(VALU_DEP_1)
	s_or_b32 exec_lo, exec_lo, s2
	v_mov_b32_e32 v91, 0
	ds_load_b64 v[92:93], v91 offset:168
	s_wait_dscnt 0x0
	v_pk_mul_f32 v[94:95], v[88:89], v[92:93] op_sel:[1,1] op_sel_hi:[0,1]
	v_pk_fma_f32 v[96:97], v[88:89], v[92:93], v[94:95] op_sel_hi:[1,0,1]
	v_pk_fma_f32 v[88:89], v[88:89], v[92:93], v[94:95] neg_lo:[0,0,1] neg_hi:[0,0,1]
	s_delay_alu instid0(VALU_DEP_2)
	v_mov_b32_e32 v89, v97
	scratch_store_b64 off, v[88:89], off offset:168
.LBB105_620:
	s_wait_xcnt 0x0
	s_or_b32 exec_lo, exec_lo, s0
	scratch_load_b64 v[88:89], off, off offset:176
	s_mov_b32 s0, exec_lo
	s_wait_loadcnt 0x0
	ds_store_b64 v1, v[88:89]
	s_wait_storecnt_dscnt 0x0
	s_barrier_signal -1
	s_barrier_wait -1
	s_wait_xcnt 0x0
	v_cmpx_gt_u32_e32 22, v0
	s_cbranch_execz .LBB105_630
; %bb.621:
	v_cmp_ne_u32_e32 vcc_lo, 1, v90
	s_cbranch_vccnz .LBB105_623
; %bb.622:
	scratch_load_b64 v[88:89], v59, off
	ds_load_b64 v[92:93], v1
	s_wait_loadcnt_dscnt 0x0
	v_pk_mul_f32 v[94:95], v[92:93], v[88:89] op_sel:[1,1] op_sel_hi:[0,1]
	s_delay_alu instid0(VALU_DEP_1) | instskip(SKIP_1) | instid1(VALU_DEP_2)
	v_pk_fma_f32 v[96:97], v[92:93], v[88:89], v[94:95] op_sel_hi:[1,0,1]
	v_pk_fma_f32 v[88:89], v[92:93], v[88:89], v[94:95] neg_lo:[0,0,1] neg_hi:[0,0,1]
	v_mov_b32_e32 v89, v97
	s_cbranch_execz .LBB105_624
	s_branch .LBB105_625
.LBB105_623:
                                        ; implicit-def: $vgpr88_vgpr89
.LBB105_624:
	ds_load_b64 v[88:89], v1
.LBB105_625:
	s_mov_b32 s2, exec_lo
	v_cmpx_ne_u32_e32 21, v0
	s_cbranch_execz .LBB105_629
; %bb.626:
	v_add_nc_u32_e32 v91, 0x158, v58
	v_add3_u32 v92, 0, v58, 8
	v_mov_b32_e32 v93, v0
	s_mov_b32 s3, 0
.LBB105_627:                            ; =>This Inner Loop Header: Depth=1
	scratch_load_b64 v[94:95], v92, off
	ds_load_b64 v[96:97], v91
	s_wait_xcnt 0x0
	v_dual_add_nc_u32 v91, 8, v91 :: v_dual_add_nc_u32 v92, 8, v92
	s_wait_loadcnt_dscnt 0x0
	v_pk_mul_f32 v[98:99], v[96:97], v[94:95] op_sel:[1,1] op_sel_hi:[0,1]
	s_delay_alu instid0(VALU_DEP_1) | instskip(SKIP_2) | instid1(VALU_DEP_3)
	v_pk_fma_f32 v[100:101], v[96:97], v[94:95], v[98:99] op_sel_hi:[1,0,1]
	v_add_nc_u32_e32 v93, 1, v93
	v_pk_fma_f32 v[94:95], v[96:97], v[94:95], v[98:99] neg_lo:[0,0,1] neg_hi:[0,0,1]
	v_mov_b32_e32 v95, v101
	s_delay_alu instid0(VALU_DEP_3) | instskip(NEXT) | instid1(VALU_DEP_2)
	v_cmp_lt_u32_e32 vcc_lo, 20, v93
	v_pk_add_f32 v[88:89], v[88:89], v[94:95]
	s_or_b32 s3, vcc_lo, s3
	s_delay_alu instid0(SALU_CYCLE_1)
	s_and_not1_b32 exec_lo, exec_lo, s3
	s_cbranch_execnz .LBB105_627
; %bb.628:
	s_or_b32 exec_lo, exec_lo, s3
.LBB105_629:
	s_delay_alu instid0(SALU_CYCLE_1) | instskip(SKIP_4) | instid1(VALU_DEP_1)
	s_or_b32 exec_lo, exec_lo, s2
	v_mov_b32_e32 v91, 0
	ds_load_b64 v[92:93], v91 offset:176
	s_wait_dscnt 0x0
	v_pk_mul_f32 v[94:95], v[88:89], v[92:93] op_sel:[1,1] op_sel_hi:[0,1]
	v_pk_fma_f32 v[96:97], v[88:89], v[92:93], v[94:95] op_sel_hi:[1,0,1]
	v_pk_fma_f32 v[88:89], v[88:89], v[92:93], v[94:95] neg_lo:[0,0,1] neg_hi:[0,0,1]
	s_delay_alu instid0(VALU_DEP_2)
	v_mov_b32_e32 v89, v97
	scratch_store_b64 off, v[88:89], off offset:176
.LBB105_630:
	s_wait_xcnt 0x0
	s_or_b32 exec_lo, exec_lo, s0
	scratch_load_b64 v[88:89], off, off offset:184
	s_mov_b32 s0, exec_lo
	s_wait_loadcnt 0x0
	ds_store_b64 v1, v[88:89]
	s_wait_storecnt_dscnt 0x0
	s_barrier_signal -1
	s_barrier_wait -1
	s_wait_xcnt 0x0
	v_cmpx_gt_u32_e32 23, v0
	s_cbranch_execz .LBB105_640
; %bb.631:
	v_cmp_ne_u32_e32 vcc_lo, 1, v90
	s_cbranch_vccnz .LBB105_633
; %bb.632:
	scratch_load_b64 v[88:89], v59, off
	ds_load_b64 v[92:93], v1
	s_wait_loadcnt_dscnt 0x0
	v_pk_mul_f32 v[94:95], v[92:93], v[88:89] op_sel:[1,1] op_sel_hi:[0,1]
	s_delay_alu instid0(VALU_DEP_1) | instskip(SKIP_1) | instid1(VALU_DEP_2)
	v_pk_fma_f32 v[96:97], v[92:93], v[88:89], v[94:95] op_sel_hi:[1,0,1]
	v_pk_fma_f32 v[88:89], v[92:93], v[88:89], v[94:95] neg_lo:[0,0,1] neg_hi:[0,0,1]
	v_mov_b32_e32 v89, v97
	s_cbranch_execz .LBB105_634
	s_branch .LBB105_635
.LBB105_633:
                                        ; implicit-def: $vgpr88_vgpr89
.LBB105_634:
	ds_load_b64 v[88:89], v1
.LBB105_635:
	s_mov_b32 s2, exec_lo
	v_cmpx_ne_u32_e32 22, v0
	s_cbranch_execz .LBB105_639
; %bb.636:
	v_add_nc_u32_e32 v91, 0x158, v58
	v_add3_u32 v92, 0, v58, 8
	v_mov_b32_e32 v93, v0
	s_mov_b32 s3, 0
.LBB105_637:                            ; =>This Inner Loop Header: Depth=1
	scratch_load_b64 v[94:95], v92, off
	ds_load_b64 v[96:97], v91
	s_wait_xcnt 0x0
	v_dual_add_nc_u32 v91, 8, v91 :: v_dual_add_nc_u32 v92, 8, v92
	s_wait_loadcnt_dscnt 0x0
	v_pk_mul_f32 v[98:99], v[96:97], v[94:95] op_sel:[1,1] op_sel_hi:[0,1]
	s_delay_alu instid0(VALU_DEP_1) | instskip(SKIP_2) | instid1(VALU_DEP_3)
	v_pk_fma_f32 v[100:101], v[96:97], v[94:95], v[98:99] op_sel_hi:[1,0,1]
	v_add_nc_u32_e32 v93, 1, v93
	v_pk_fma_f32 v[94:95], v[96:97], v[94:95], v[98:99] neg_lo:[0,0,1] neg_hi:[0,0,1]
	v_mov_b32_e32 v95, v101
	s_delay_alu instid0(VALU_DEP_3) | instskip(NEXT) | instid1(VALU_DEP_2)
	v_cmp_lt_u32_e32 vcc_lo, 21, v93
	v_pk_add_f32 v[88:89], v[88:89], v[94:95]
	s_or_b32 s3, vcc_lo, s3
	s_delay_alu instid0(SALU_CYCLE_1)
	s_and_not1_b32 exec_lo, exec_lo, s3
	s_cbranch_execnz .LBB105_637
; %bb.638:
	s_or_b32 exec_lo, exec_lo, s3
.LBB105_639:
	s_delay_alu instid0(SALU_CYCLE_1) | instskip(SKIP_4) | instid1(VALU_DEP_1)
	s_or_b32 exec_lo, exec_lo, s2
	v_mov_b32_e32 v91, 0
	ds_load_b64 v[92:93], v91 offset:184
	s_wait_dscnt 0x0
	v_pk_mul_f32 v[94:95], v[88:89], v[92:93] op_sel:[1,1] op_sel_hi:[0,1]
	v_pk_fma_f32 v[96:97], v[88:89], v[92:93], v[94:95] op_sel_hi:[1,0,1]
	v_pk_fma_f32 v[88:89], v[88:89], v[92:93], v[94:95] neg_lo:[0,0,1] neg_hi:[0,0,1]
	s_delay_alu instid0(VALU_DEP_2)
	v_mov_b32_e32 v89, v97
	scratch_store_b64 off, v[88:89], off offset:184
.LBB105_640:
	s_wait_xcnt 0x0
	s_or_b32 exec_lo, exec_lo, s0
	scratch_load_b64 v[88:89], off, off offset:192
	s_mov_b32 s0, exec_lo
	s_wait_loadcnt 0x0
	ds_store_b64 v1, v[88:89]
	s_wait_storecnt_dscnt 0x0
	s_barrier_signal -1
	s_barrier_wait -1
	s_wait_xcnt 0x0
	v_cmpx_gt_u32_e32 24, v0
	s_cbranch_execz .LBB105_650
; %bb.641:
	v_cmp_ne_u32_e32 vcc_lo, 1, v90
	s_cbranch_vccnz .LBB105_643
; %bb.642:
	scratch_load_b64 v[88:89], v59, off
	ds_load_b64 v[92:93], v1
	s_wait_loadcnt_dscnt 0x0
	v_pk_mul_f32 v[94:95], v[92:93], v[88:89] op_sel:[1,1] op_sel_hi:[0,1]
	s_delay_alu instid0(VALU_DEP_1) | instskip(SKIP_1) | instid1(VALU_DEP_2)
	v_pk_fma_f32 v[96:97], v[92:93], v[88:89], v[94:95] op_sel_hi:[1,0,1]
	v_pk_fma_f32 v[88:89], v[92:93], v[88:89], v[94:95] neg_lo:[0,0,1] neg_hi:[0,0,1]
	v_mov_b32_e32 v89, v97
	s_cbranch_execz .LBB105_644
	s_branch .LBB105_645
.LBB105_643:
                                        ; implicit-def: $vgpr88_vgpr89
.LBB105_644:
	ds_load_b64 v[88:89], v1
.LBB105_645:
	s_mov_b32 s2, exec_lo
	v_cmpx_ne_u32_e32 23, v0
	s_cbranch_execz .LBB105_649
; %bb.646:
	v_add_nc_u32_e32 v91, 0x158, v58
	v_add3_u32 v92, 0, v58, 8
	v_mov_b32_e32 v93, v0
	s_mov_b32 s3, 0
.LBB105_647:                            ; =>This Inner Loop Header: Depth=1
	scratch_load_b64 v[94:95], v92, off
	ds_load_b64 v[96:97], v91
	s_wait_xcnt 0x0
	v_dual_add_nc_u32 v91, 8, v91 :: v_dual_add_nc_u32 v92, 8, v92
	s_wait_loadcnt_dscnt 0x0
	v_pk_mul_f32 v[98:99], v[96:97], v[94:95] op_sel:[1,1] op_sel_hi:[0,1]
	s_delay_alu instid0(VALU_DEP_1) | instskip(SKIP_2) | instid1(VALU_DEP_3)
	v_pk_fma_f32 v[100:101], v[96:97], v[94:95], v[98:99] op_sel_hi:[1,0,1]
	v_add_nc_u32_e32 v93, 1, v93
	v_pk_fma_f32 v[94:95], v[96:97], v[94:95], v[98:99] neg_lo:[0,0,1] neg_hi:[0,0,1]
	v_mov_b32_e32 v95, v101
	s_delay_alu instid0(VALU_DEP_3) | instskip(NEXT) | instid1(VALU_DEP_2)
	v_cmp_lt_u32_e32 vcc_lo, 22, v93
	v_pk_add_f32 v[88:89], v[88:89], v[94:95]
	s_or_b32 s3, vcc_lo, s3
	s_delay_alu instid0(SALU_CYCLE_1)
	s_and_not1_b32 exec_lo, exec_lo, s3
	s_cbranch_execnz .LBB105_647
; %bb.648:
	s_or_b32 exec_lo, exec_lo, s3
.LBB105_649:
	s_delay_alu instid0(SALU_CYCLE_1) | instskip(SKIP_4) | instid1(VALU_DEP_1)
	s_or_b32 exec_lo, exec_lo, s2
	v_mov_b32_e32 v91, 0
	ds_load_b64 v[92:93], v91 offset:192
	s_wait_dscnt 0x0
	v_pk_mul_f32 v[94:95], v[88:89], v[92:93] op_sel:[1,1] op_sel_hi:[0,1]
	v_pk_fma_f32 v[96:97], v[88:89], v[92:93], v[94:95] op_sel_hi:[1,0,1]
	v_pk_fma_f32 v[88:89], v[88:89], v[92:93], v[94:95] neg_lo:[0,0,1] neg_hi:[0,0,1]
	s_delay_alu instid0(VALU_DEP_2)
	v_mov_b32_e32 v89, v97
	scratch_store_b64 off, v[88:89], off offset:192
.LBB105_650:
	s_wait_xcnt 0x0
	s_or_b32 exec_lo, exec_lo, s0
	scratch_load_b64 v[88:89], off, off offset:200
	s_mov_b32 s0, exec_lo
	s_wait_loadcnt 0x0
	ds_store_b64 v1, v[88:89]
	s_wait_storecnt_dscnt 0x0
	s_barrier_signal -1
	s_barrier_wait -1
	s_wait_xcnt 0x0
	v_cmpx_gt_u32_e32 25, v0
	s_cbranch_execz .LBB105_660
; %bb.651:
	v_cmp_ne_u32_e32 vcc_lo, 1, v90
	s_cbranch_vccnz .LBB105_653
; %bb.652:
	scratch_load_b64 v[88:89], v59, off
	ds_load_b64 v[92:93], v1
	s_wait_loadcnt_dscnt 0x0
	v_pk_mul_f32 v[94:95], v[92:93], v[88:89] op_sel:[1,1] op_sel_hi:[0,1]
	s_delay_alu instid0(VALU_DEP_1) | instskip(SKIP_1) | instid1(VALU_DEP_2)
	v_pk_fma_f32 v[96:97], v[92:93], v[88:89], v[94:95] op_sel_hi:[1,0,1]
	v_pk_fma_f32 v[88:89], v[92:93], v[88:89], v[94:95] neg_lo:[0,0,1] neg_hi:[0,0,1]
	v_mov_b32_e32 v89, v97
	s_cbranch_execz .LBB105_654
	s_branch .LBB105_655
.LBB105_653:
                                        ; implicit-def: $vgpr88_vgpr89
.LBB105_654:
	ds_load_b64 v[88:89], v1
.LBB105_655:
	s_mov_b32 s2, exec_lo
	v_cmpx_ne_u32_e32 24, v0
	s_cbranch_execz .LBB105_659
; %bb.656:
	v_add_nc_u32_e32 v91, 0x158, v58
	v_add3_u32 v92, 0, v58, 8
	v_mov_b32_e32 v93, v0
	s_mov_b32 s3, 0
.LBB105_657:                            ; =>This Inner Loop Header: Depth=1
	scratch_load_b64 v[94:95], v92, off
	ds_load_b64 v[96:97], v91
	s_wait_xcnt 0x0
	v_dual_add_nc_u32 v91, 8, v91 :: v_dual_add_nc_u32 v92, 8, v92
	s_wait_loadcnt_dscnt 0x0
	v_pk_mul_f32 v[98:99], v[96:97], v[94:95] op_sel:[1,1] op_sel_hi:[0,1]
	s_delay_alu instid0(VALU_DEP_1) | instskip(SKIP_2) | instid1(VALU_DEP_3)
	v_pk_fma_f32 v[100:101], v[96:97], v[94:95], v[98:99] op_sel_hi:[1,0,1]
	v_add_nc_u32_e32 v93, 1, v93
	v_pk_fma_f32 v[94:95], v[96:97], v[94:95], v[98:99] neg_lo:[0,0,1] neg_hi:[0,0,1]
	v_mov_b32_e32 v95, v101
	s_delay_alu instid0(VALU_DEP_3) | instskip(NEXT) | instid1(VALU_DEP_2)
	v_cmp_lt_u32_e32 vcc_lo, 23, v93
	v_pk_add_f32 v[88:89], v[88:89], v[94:95]
	s_or_b32 s3, vcc_lo, s3
	s_delay_alu instid0(SALU_CYCLE_1)
	s_and_not1_b32 exec_lo, exec_lo, s3
	s_cbranch_execnz .LBB105_657
; %bb.658:
	s_or_b32 exec_lo, exec_lo, s3
.LBB105_659:
	s_delay_alu instid0(SALU_CYCLE_1) | instskip(SKIP_4) | instid1(VALU_DEP_1)
	s_or_b32 exec_lo, exec_lo, s2
	v_mov_b32_e32 v91, 0
	ds_load_b64 v[92:93], v91 offset:200
	s_wait_dscnt 0x0
	v_pk_mul_f32 v[94:95], v[88:89], v[92:93] op_sel:[1,1] op_sel_hi:[0,1]
	v_pk_fma_f32 v[96:97], v[88:89], v[92:93], v[94:95] op_sel_hi:[1,0,1]
	v_pk_fma_f32 v[88:89], v[88:89], v[92:93], v[94:95] neg_lo:[0,0,1] neg_hi:[0,0,1]
	s_delay_alu instid0(VALU_DEP_2)
	v_mov_b32_e32 v89, v97
	scratch_store_b64 off, v[88:89], off offset:200
.LBB105_660:
	s_wait_xcnt 0x0
	s_or_b32 exec_lo, exec_lo, s0
	scratch_load_b64 v[88:89], off, off offset:208
	s_mov_b32 s0, exec_lo
	s_wait_loadcnt 0x0
	ds_store_b64 v1, v[88:89]
	s_wait_storecnt_dscnt 0x0
	s_barrier_signal -1
	s_barrier_wait -1
	s_wait_xcnt 0x0
	v_cmpx_gt_u32_e32 26, v0
	s_cbranch_execz .LBB105_670
; %bb.661:
	v_cmp_ne_u32_e32 vcc_lo, 1, v90
	s_cbranch_vccnz .LBB105_663
; %bb.662:
	scratch_load_b64 v[88:89], v59, off
	ds_load_b64 v[92:93], v1
	s_wait_loadcnt_dscnt 0x0
	v_pk_mul_f32 v[94:95], v[92:93], v[88:89] op_sel:[1,1] op_sel_hi:[0,1]
	s_delay_alu instid0(VALU_DEP_1) | instskip(SKIP_1) | instid1(VALU_DEP_2)
	v_pk_fma_f32 v[96:97], v[92:93], v[88:89], v[94:95] op_sel_hi:[1,0,1]
	v_pk_fma_f32 v[88:89], v[92:93], v[88:89], v[94:95] neg_lo:[0,0,1] neg_hi:[0,0,1]
	v_mov_b32_e32 v89, v97
	s_cbranch_execz .LBB105_664
	s_branch .LBB105_665
.LBB105_663:
                                        ; implicit-def: $vgpr88_vgpr89
.LBB105_664:
	ds_load_b64 v[88:89], v1
.LBB105_665:
	s_mov_b32 s2, exec_lo
	v_cmpx_ne_u32_e32 25, v0
	s_cbranch_execz .LBB105_669
; %bb.666:
	v_add_nc_u32_e32 v91, 0x158, v58
	v_add3_u32 v92, 0, v58, 8
	v_mov_b32_e32 v93, v0
	s_mov_b32 s3, 0
.LBB105_667:                            ; =>This Inner Loop Header: Depth=1
	scratch_load_b64 v[94:95], v92, off
	ds_load_b64 v[96:97], v91
	s_wait_xcnt 0x0
	v_dual_add_nc_u32 v91, 8, v91 :: v_dual_add_nc_u32 v92, 8, v92
	s_wait_loadcnt_dscnt 0x0
	v_pk_mul_f32 v[98:99], v[96:97], v[94:95] op_sel:[1,1] op_sel_hi:[0,1]
	s_delay_alu instid0(VALU_DEP_1) | instskip(SKIP_2) | instid1(VALU_DEP_3)
	v_pk_fma_f32 v[100:101], v[96:97], v[94:95], v[98:99] op_sel_hi:[1,0,1]
	v_add_nc_u32_e32 v93, 1, v93
	v_pk_fma_f32 v[94:95], v[96:97], v[94:95], v[98:99] neg_lo:[0,0,1] neg_hi:[0,0,1]
	v_mov_b32_e32 v95, v101
	s_delay_alu instid0(VALU_DEP_3) | instskip(NEXT) | instid1(VALU_DEP_2)
	v_cmp_lt_u32_e32 vcc_lo, 24, v93
	v_pk_add_f32 v[88:89], v[88:89], v[94:95]
	s_or_b32 s3, vcc_lo, s3
	s_delay_alu instid0(SALU_CYCLE_1)
	s_and_not1_b32 exec_lo, exec_lo, s3
	s_cbranch_execnz .LBB105_667
; %bb.668:
	s_or_b32 exec_lo, exec_lo, s3
.LBB105_669:
	s_delay_alu instid0(SALU_CYCLE_1) | instskip(SKIP_4) | instid1(VALU_DEP_1)
	s_or_b32 exec_lo, exec_lo, s2
	v_mov_b32_e32 v91, 0
	ds_load_b64 v[92:93], v91 offset:208
	s_wait_dscnt 0x0
	v_pk_mul_f32 v[94:95], v[88:89], v[92:93] op_sel:[1,1] op_sel_hi:[0,1]
	v_pk_fma_f32 v[96:97], v[88:89], v[92:93], v[94:95] op_sel_hi:[1,0,1]
	v_pk_fma_f32 v[88:89], v[88:89], v[92:93], v[94:95] neg_lo:[0,0,1] neg_hi:[0,0,1]
	s_delay_alu instid0(VALU_DEP_2)
	v_mov_b32_e32 v89, v97
	scratch_store_b64 off, v[88:89], off offset:208
.LBB105_670:
	s_wait_xcnt 0x0
	s_or_b32 exec_lo, exec_lo, s0
	scratch_load_b64 v[88:89], off, off offset:216
	s_mov_b32 s0, exec_lo
	s_wait_loadcnt 0x0
	ds_store_b64 v1, v[88:89]
	s_wait_storecnt_dscnt 0x0
	s_barrier_signal -1
	s_barrier_wait -1
	s_wait_xcnt 0x0
	v_cmpx_gt_u32_e32 27, v0
	s_cbranch_execz .LBB105_680
; %bb.671:
	v_cmp_ne_u32_e32 vcc_lo, 1, v90
	s_cbranch_vccnz .LBB105_673
; %bb.672:
	scratch_load_b64 v[88:89], v59, off
	ds_load_b64 v[92:93], v1
	s_wait_loadcnt_dscnt 0x0
	v_pk_mul_f32 v[94:95], v[92:93], v[88:89] op_sel:[1,1] op_sel_hi:[0,1]
	s_delay_alu instid0(VALU_DEP_1) | instskip(SKIP_1) | instid1(VALU_DEP_2)
	v_pk_fma_f32 v[96:97], v[92:93], v[88:89], v[94:95] op_sel_hi:[1,0,1]
	v_pk_fma_f32 v[88:89], v[92:93], v[88:89], v[94:95] neg_lo:[0,0,1] neg_hi:[0,0,1]
	v_mov_b32_e32 v89, v97
	s_cbranch_execz .LBB105_674
	s_branch .LBB105_675
.LBB105_673:
                                        ; implicit-def: $vgpr88_vgpr89
.LBB105_674:
	ds_load_b64 v[88:89], v1
.LBB105_675:
	s_mov_b32 s2, exec_lo
	v_cmpx_ne_u32_e32 26, v0
	s_cbranch_execz .LBB105_679
; %bb.676:
	v_add_nc_u32_e32 v91, 0x158, v58
	v_add3_u32 v92, 0, v58, 8
	v_mov_b32_e32 v93, v0
	s_mov_b32 s3, 0
.LBB105_677:                            ; =>This Inner Loop Header: Depth=1
	scratch_load_b64 v[94:95], v92, off
	ds_load_b64 v[96:97], v91
	s_wait_xcnt 0x0
	v_dual_add_nc_u32 v91, 8, v91 :: v_dual_add_nc_u32 v92, 8, v92
	s_wait_loadcnt_dscnt 0x0
	v_pk_mul_f32 v[98:99], v[96:97], v[94:95] op_sel:[1,1] op_sel_hi:[0,1]
	s_delay_alu instid0(VALU_DEP_1) | instskip(SKIP_2) | instid1(VALU_DEP_3)
	v_pk_fma_f32 v[100:101], v[96:97], v[94:95], v[98:99] op_sel_hi:[1,0,1]
	v_add_nc_u32_e32 v93, 1, v93
	v_pk_fma_f32 v[94:95], v[96:97], v[94:95], v[98:99] neg_lo:[0,0,1] neg_hi:[0,0,1]
	v_mov_b32_e32 v95, v101
	s_delay_alu instid0(VALU_DEP_3) | instskip(NEXT) | instid1(VALU_DEP_2)
	v_cmp_lt_u32_e32 vcc_lo, 25, v93
	v_pk_add_f32 v[88:89], v[88:89], v[94:95]
	s_or_b32 s3, vcc_lo, s3
	s_delay_alu instid0(SALU_CYCLE_1)
	s_and_not1_b32 exec_lo, exec_lo, s3
	s_cbranch_execnz .LBB105_677
; %bb.678:
	s_or_b32 exec_lo, exec_lo, s3
.LBB105_679:
	s_delay_alu instid0(SALU_CYCLE_1) | instskip(SKIP_4) | instid1(VALU_DEP_1)
	s_or_b32 exec_lo, exec_lo, s2
	v_mov_b32_e32 v91, 0
	ds_load_b64 v[92:93], v91 offset:216
	s_wait_dscnt 0x0
	v_pk_mul_f32 v[94:95], v[88:89], v[92:93] op_sel:[1,1] op_sel_hi:[0,1]
	v_pk_fma_f32 v[96:97], v[88:89], v[92:93], v[94:95] op_sel_hi:[1,0,1]
	v_pk_fma_f32 v[88:89], v[88:89], v[92:93], v[94:95] neg_lo:[0,0,1] neg_hi:[0,0,1]
	s_delay_alu instid0(VALU_DEP_2)
	v_mov_b32_e32 v89, v97
	scratch_store_b64 off, v[88:89], off offset:216
.LBB105_680:
	s_wait_xcnt 0x0
	s_or_b32 exec_lo, exec_lo, s0
	scratch_load_b64 v[88:89], off, off offset:224
	s_mov_b32 s0, exec_lo
	s_wait_loadcnt 0x0
	ds_store_b64 v1, v[88:89]
	s_wait_storecnt_dscnt 0x0
	s_barrier_signal -1
	s_barrier_wait -1
	s_wait_xcnt 0x0
	v_cmpx_gt_u32_e32 28, v0
	s_cbranch_execz .LBB105_690
; %bb.681:
	v_cmp_ne_u32_e32 vcc_lo, 1, v90
	s_cbranch_vccnz .LBB105_683
; %bb.682:
	scratch_load_b64 v[88:89], v59, off
	ds_load_b64 v[92:93], v1
	s_wait_loadcnt_dscnt 0x0
	v_pk_mul_f32 v[94:95], v[92:93], v[88:89] op_sel:[1,1] op_sel_hi:[0,1]
	s_delay_alu instid0(VALU_DEP_1) | instskip(SKIP_1) | instid1(VALU_DEP_2)
	v_pk_fma_f32 v[96:97], v[92:93], v[88:89], v[94:95] op_sel_hi:[1,0,1]
	v_pk_fma_f32 v[88:89], v[92:93], v[88:89], v[94:95] neg_lo:[0,0,1] neg_hi:[0,0,1]
	v_mov_b32_e32 v89, v97
	s_cbranch_execz .LBB105_684
	s_branch .LBB105_685
.LBB105_683:
                                        ; implicit-def: $vgpr88_vgpr89
.LBB105_684:
	ds_load_b64 v[88:89], v1
.LBB105_685:
	s_mov_b32 s2, exec_lo
	v_cmpx_ne_u32_e32 27, v0
	s_cbranch_execz .LBB105_689
; %bb.686:
	v_add_nc_u32_e32 v91, 0x158, v58
	v_add3_u32 v92, 0, v58, 8
	v_mov_b32_e32 v93, v0
	s_mov_b32 s3, 0
.LBB105_687:                            ; =>This Inner Loop Header: Depth=1
	scratch_load_b64 v[94:95], v92, off
	ds_load_b64 v[96:97], v91
	s_wait_xcnt 0x0
	v_dual_add_nc_u32 v91, 8, v91 :: v_dual_add_nc_u32 v92, 8, v92
	s_wait_loadcnt_dscnt 0x0
	v_pk_mul_f32 v[98:99], v[96:97], v[94:95] op_sel:[1,1] op_sel_hi:[0,1]
	s_delay_alu instid0(VALU_DEP_1) | instskip(SKIP_2) | instid1(VALU_DEP_3)
	v_pk_fma_f32 v[100:101], v[96:97], v[94:95], v[98:99] op_sel_hi:[1,0,1]
	v_add_nc_u32_e32 v93, 1, v93
	v_pk_fma_f32 v[94:95], v[96:97], v[94:95], v[98:99] neg_lo:[0,0,1] neg_hi:[0,0,1]
	v_mov_b32_e32 v95, v101
	s_delay_alu instid0(VALU_DEP_3) | instskip(NEXT) | instid1(VALU_DEP_2)
	v_cmp_lt_u32_e32 vcc_lo, 26, v93
	v_pk_add_f32 v[88:89], v[88:89], v[94:95]
	s_or_b32 s3, vcc_lo, s3
	s_delay_alu instid0(SALU_CYCLE_1)
	s_and_not1_b32 exec_lo, exec_lo, s3
	s_cbranch_execnz .LBB105_687
; %bb.688:
	s_or_b32 exec_lo, exec_lo, s3
.LBB105_689:
	s_delay_alu instid0(SALU_CYCLE_1) | instskip(SKIP_4) | instid1(VALU_DEP_1)
	s_or_b32 exec_lo, exec_lo, s2
	v_mov_b32_e32 v91, 0
	ds_load_b64 v[92:93], v91 offset:224
	s_wait_dscnt 0x0
	v_pk_mul_f32 v[94:95], v[88:89], v[92:93] op_sel:[1,1] op_sel_hi:[0,1]
	v_pk_fma_f32 v[96:97], v[88:89], v[92:93], v[94:95] op_sel_hi:[1,0,1]
	v_pk_fma_f32 v[88:89], v[88:89], v[92:93], v[94:95] neg_lo:[0,0,1] neg_hi:[0,0,1]
	s_delay_alu instid0(VALU_DEP_2)
	v_mov_b32_e32 v89, v97
	scratch_store_b64 off, v[88:89], off offset:224
.LBB105_690:
	s_wait_xcnt 0x0
	s_or_b32 exec_lo, exec_lo, s0
	scratch_load_b64 v[88:89], off, off offset:232
	s_mov_b32 s0, exec_lo
	s_wait_loadcnt 0x0
	ds_store_b64 v1, v[88:89]
	s_wait_storecnt_dscnt 0x0
	s_barrier_signal -1
	s_barrier_wait -1
	s_wait_xcnt 0x0
	v_cmpx_gt_u32_e32 29, v0
	s_cbranch_execz .LBB105_700
; %bb.691:
	v_cmp_ne_u32_e32 vcc_lo, 1, v90
	s_cbranch_vccnz .LBB105_693
; %bb.692:
	scratch_load_b64 v[88:89], v59, off
	ds_load_b64 v[92:93], v1
	s_wait_loadcnt_dscnt 0x0
	v_pk_mul_f32 v[94:95], v[92:93], v[88:89] op_sel:[1,1] op_sel_hi:[0,1]
	s_delay_alu instid0(VALU_DEP_1) | instskip(SKIP_1) | instid1(VALU_DEP_2)
	v_pk_fma_f32 v[96:97], v[92:93], v[88:89], v[94:95] op_sel_hi:[1,0,1]
	v_pk_fma_f32 v[88:89], v[92:93], v[88:89], v[94:95] neg_lo:[0,0,1] neg_hi:[0,0,1]
	v_mov_b32_e32 v89, v97
	s_cbranch_execz .LBB105_694
	s_branch .LBB105_695
.LBB105_693:
                                        ; implicit-def: $vgpr88_vgpr89
.LBB105_694:
	ds_load_b64 v[88:89], v1
.LBB105_695:
	s_mov_b32 s2, exec_lo
	v_cmpx_ne_u32_e32 28, v0
	s_cbranch_execz .LBB105_699
; %bb.696:
	v_add_nc_u32_e32 v91, 0x158, v58
	v_add3_u32 v92, 0, v58, 8
	v_mov_b32_e32 v93, v0
	s_mov_b32 s3, 0
.LBB105_697:                            ; =>This Inner Loop Header: Depth=1
	scratch_load_b64 v[94:95], v92, off
	ds_load_b64 v[96:97], v91
	s_wait_xcnt 0x0
	v_dual_add_nc_u32 v91, 8, v91 :: v_dual_add_nc_u32 v92, 8, v92
	s_wait_loadcnt_dscnt 0x0
	v_pk_mul_f32 v[98:99], v[96:97], v[94:95] op_sel:[1,1] op_sel_hi:[0,1]
	s_delay_alu instid0(VALU_DEP_1) | instskip(SKIP_2) | instid1(VALU_DEP_3)
	v_pk_fma_f32 v[100:101], v[96:97], v[94:95], v[98:99] op_sel_hi:[1,0,1]
	v_add_nc_u32_e32 v93, 1, v93
	v_pk_fma_f32 v[94:95], v[96:97], v[94:95], v[98:99] neg_lo:[0,0,1] neg_hi:[0,0,1]
	v_mov_b32_e32 v95, v101
	s_delay_alu instid0(VALU_DEP_3) | instskip(NEXT) | instid1(VALU_DEP_2)
	v_cmp_lt_u32_e32 vcc_lo, 27, v93
	v_pk_add_f32 v[88:89], v[88:89], v[94:95]
	s_or_b32 s3, vcc_lo, s3
	s_delay_alu instid0(SALU_CYCLE_1)
	s_and_not1_b32 exec_lo, exec_lo, s3
	s_cbranch_execnz .LBB105_697
; %bb.698:
	s_or_b32 exec_lo, exec_lo, s3
.LBB105_699:
	s_delay_alu instid0(SALU_CYCLE_1) | instskip(SKIP_4) | instid1(VALU_DEP_1)
	s_or_b32 exec_lo, exec_lo, s2
	v_mov_b32_e32 v91, 0
	ds_load_b64 v[92:93], v91 offset:232
	s_wait_dscnt 0x0
	v_pk_mul_f32 v[94:95], v[88:89], v[92:93] op_sel:[1,1] op_sel_hi:[0,1]
	v_pk_fma_f32 v[96:97], v[88:89], v[92:93], v[94:95] op_sel_hi:[1,0,1]
	v_pk_fma_f32 v[88:89], v[88:89], v[92:93], v[94:95] neg_lo:[0,0,1] neg_hi:[0,0,1]
	s_delay_alu instid0(VALU_DEP_2)
	v_mov_b32_e32 v89, v97
	scratch_store_b64 off, v[88:89], off offset:232
.LBB105_700:
	s_wait_xcnt 0x0
	s_or_b32 exec_lo, exec_lo, s0
	scratch_load_b64 v[88:89], off, off offset:240
	s_mov_b32 s0, exec_lo
	s_wait_loadcnt 0x0
	ds_store_b64 v1, v[88:89]
	s_wait_storecnt_dscnt 0x0
	s_barrier_signal -1
	s_barrier_wait -1
	s_wait_xcnt 0x0
	v_cmpx_gt_u32_e32 30, v0
	s_cbranch_execz .LBB105_710
; %bb.701:
	v_cmp_ne_u32_e32 vcc_lo, 1, v90
	s_cbranch_vccnz .LBB105_703
; %bb.702:
	scratch_load_b64 v[88:89], v59, off
	ds_load_b64 v[92:93], v1
	s_wait_loadcnt_dscnt 0x0
	v_pk_mul_f32 v[94:95], v[92:93], v[88:89] op_sel:[1,1] op_sel_hi:[0,1]
	s_delay_alu instid0(VALU_DEP_1) | instskip(SKIP_1) | instid1(VALU_DEP_2)
	v_pk_fma_f32 v[96:97], v[92:93], v[88:89], v[94:95] op_sel_hi:[1,0,1]
	v_pk_fma_f32 v[88:89], v[92:93], v[88:89], v[94:95] neg_lo:[0,0,1] neg_hi:[0,0,1]
	v_mov_b32_e32 v89, v97
	s_cbranch_execz .LBB105_704
	s_branch .LBB105_705
.LBB105_703:
                                        ; implicit-def: $vgpr88_vgpr89
.LBB105_704:
	ds_load_b64 v[88:89], v1
.LBB105_705:
	s_mov_b32 s2, exec_lo
	v_cmpx_ne_u32_e32 29, v0
	s_cbranch_execz .LBB105_709
; %bb.706:
	v_add_nc_u32_e32 v91, 0x158, v58
	v_add3_u32 v92, 0, v58, 8
	v_mov_b32_e32 v93, v0
	s_mov_b32 s3, 0
.LBB105_707:                            ; =>This Inner Loop Header: Depth=1
	scratch_load_b64 v[94:95], v92, off
	ds_load_b64 v[96:97], v91
	s_wait_xcnt 0x0
	v_dual_add_nc_u32 v91, 8, v91 :: v_dual_add_nc_u32 v92, 8, v92
	s_wait_loadcnt_dscnt 0x0
	v_pk_mul_f32 v[98:99], v[96:97], v[94:95] op_sel:[1,1] op_sel_hi:[0,1]
	s_delay_alu instid0(VALU_DEP_1) | instskip(SKIP_2) | instid1(VALU_DEP_3)
	v_pk_fma_f32 v[100:101], v[96:97], v[94:95], v[98:99] op_sel_hi:[1,0,1]
	v_add_nc_u32_e32 v93, 1, v93
	v_pk_fma_f32 v[94:95], v[96:97], v[94:95], v[98:99] neg_lo:[0,0,1] neg_hi:[0,0,1]
	v_mov_b32_e32 v95, v101
	s_delay_alu instid0(VALU_DEP_3) | instskip(NEXT) | instid1(VALU_DEP_2)
	v_cmp_lt_u32_e32 vcc_lo, 28, v93
	v_pk_add_f32 v[88:89], v[88:89], v[94:95]
	s_or_b32 s3, vcc_lo, s3
	s_delay_alu instid0(SALU_CYCLE_1)
	s_and_not1_b32 exec_lo, exec_lo, s3
	s_cbranch_execnz .LBB105_707
; %bb.708:
	s_or_b32 exec_lo, exec_lo, s3
.LBB105_709:
	s_delay_alu instid0(SALU_CYCLE_1) | instskip(SKIP_4) | instid1(VALU_DEP_1)
	s_or_b32 exec_lo, exec_lo, s2
	v_mov_b32_e32 v91, 0
	ds_load_b64 v[92:93], v91 offset:240
	s_wait_dscnt 0x0
	v_pk_mul_f32 v[94:95], v[88:89], v[92:93] op_sel:[1,1] op_sel_hi:[0,1]
	v_pk_fma_f32 v[96:97], v[88:89], v[92:93], v[94:95] op_sel_hi:[1,0,1]
	v_pk_fma_f32 v[88:89], v[88:89], v[92:93], v[94:95] neg_lo:[0,0,1] neg_hi:[0,0,1]
	s_delay_alu instid0(VALU_DEP_2)
	v_mov_b32_e32 v89, v97
	scratch_store_b64 off, v[88:89], off offset:240
.LBB105_710:
	s_wait_xcnt 0x0
	s_or_b32 exec_lo, exec_lo, s0
	scratch_load_b64 v[88:89], off, off offset:248
	s_mov_b32 s0, exec_lo
	s_wait_loadcnt 0x0
	ds_store_b64 v1, v[88:89]
	s_wait_storecnt_dscnt 0x0
	s_barrier_signal -1
	s_barrier_wait -1
	s_wait_xcnt 0x0
	v_cmpx_gt_u32_e32 31, v0
	s_cbranch_execz .LBB105_720
; %bb.711:
	v_cmp_ne_u32_e32 vcc_lo, 1, v90
	s_cbranch_vccnz .LBB105_713
; %bb.712:
	scratch_load_b64 v[88:89], v59, off
	ds_load_b64 v[92:93], v1
	s_wait_loadcnt_dscnt 0x0
	v_pk_mul_f32 v[94:95], v[92:93], v[88:89] op_sel:[1,1] op_sel_hi:[0,1]
	s_delay_alu instid0(VALU_DEP_1) | instskip(SKIP_1) | instid1(VALU_DEP_2)
	v_pk_fma_f32 v[96:97], v[92:93], v[88:89], v[94:95] op_sel_hi:[1,0,1]
	v_pk_fma_f32 v[88:89], v[92:93], v[88:89], v[94:95] neg_lo:[0,0,1] neg_hi:[0,0,1]
	v_mov_b32_e32 v89, v97
	s_cbranch_execz .LBB105_714
	s_branch .LBB105_715
.LBB105_713:
                                        ; implicit-def: $vgpr88_vgpr89
.LBB105_714:
	ds_load_b64 v[88:89], v1
.LBB105_715:
	s_mov_b32 s2, exec_lo
	v_cmpx_ne_u32_e32 30, v0
	s_cbranch_execz .LBB105_719
; %bb.716:
	v_add_nc_u32_e32 v91, 0x158, v58
	v_add3_u32 v92, 0, v58, 8
	v_mov_b32_e32 v93, v0
	s_mov_b32 s3, 0
.LBB105_717:                            ; =>This Inner Loop Header: Depth=1
	scratch_load_b64 v[94:95], v92, off
	ds_load_b64 v[96:97], v91
	s_wait_xcnt 0x0
	v_dual_add_nc_u32 v91, 8, v91 :: v_dual_add_nc_u32 v92, 8, v92
	s_wait_loadcnt_dscnt 0x0
	v_pk_mul_f32 v[98:99], v[96:97], v[94:95] op_sel:[1,1] op_sel_hi:[0,1]
	s_delay_alu instid0(VALU_DEP_1) | instskip(SKIP_2) | instid1(VALU_DEP_3)
	v_pk_fma_f32 v[100:101], v[96:97], v[94:95], v[98:99] op_sel_hi:[1,0,1]
	v_add_nc_u32_e32 v93, 1, v93
	v_pk_fma_f32 v[94:95], v[96:97], v[94:95], v[98:99] neg_lo:[0,0,1] neg_hi:[0,0,1]
	v_mov_b32_e32 v95, v101
	s_delay_alu instid0(VALU_DEP_3) | instskip(NEXT) | instid1(VALU_DEP_2)
	v_cmp_lt_u32_e32 vcc_lo, 29, v93
	v_pk_add_f32 v[88:89], v[88:89], v[94:95]
	s_or_b32 s3, vcc_lo, s3
	s_delay_alu instid0(SALU_CYCLE_1)
	s_and_not1_b32 exec_lo, exec_lo, s3
	s_cbranch_execnz .LBB105_717
; %bb.718:
	s_or_b32 exec_lo, exec_lo, s3
.LBB105_719:
	s_delay_alu instid0(SALU_CYCLE_1) | instskip(SKIP_4) | instid1(VALU_DEP_1)
	s_or_b32 exec_lo, exec_lo, s2
	v_mov_b32_e32 v91, 0
	ds_load_b64 v[92:93], v91 offset:248
	s_wait_dscnt 0x0
	v_pk_mul_f32 v[94:95], v[88:89], v[92:93] op_sel:[1,1] op_sel_hi:[0,1]
	v_pk_fma_f32 v[96:97], v[88:89], v[92:93], v[94:95] op_sel_hi:[1,0,1]
	v_pk_fma_f32 v[88:89], v[88:89], v[92:93], v[94:95] neg_lo:[0,0,1] neg_hi:[0,0,1]
	s_delay_alu instid0(VALU_DEP_2)
	v_mov_b32_e32 v89, v97
	scratch_store_b64 off, v[88:89], off offset:248
.LBB105_720:
	s_wait_xcnt 0x0
	s_or_b32 exec_lo, exec_lo, s0
	scratch_load_b64 v[88:89], off, off offset:256
	s_mov_b32 s0, exec_lo
	s_wait_loadcnt 0x0
	ds_store_b64 v1, v[88:89]
	s_wait_storecnt_dscnt 0x0
	s_barrier_signal -1
	s_barrier_wait -1
	s_wait_xcnt 0x0
	v_cmpx_gt_u32_e32 32, v0
	s_cbranch_execz .LBB105_730
; %bb.721:
	v_cmp_ne_u32_e32 vcc_lo, 1, v90
	s_cbranch_vccnz .LBB105_723
; %bb.722:
	scratch_load_b64 v[88:89], v59, off
	ds_load_b64 v[92:93], v1
	s_wait_loadcnt_dscnt 0x0
	v_pk_mul_f32 v[94:95], v[92:93], v[88:89] op_sel:[1,1] op_sel_hi:[0,1]
	s_delay_alu instid0(VALU_DEP_1) | instskip(SKIP_1) | instid1(VALU_DEP_2)
	v_pk_fma_f32 v[96:97], v[92:93], v[88:89], v[94:95] op_sel_hi:[1,0,1]
	v_pk_fma_f32 v[88:89], v[92:93], v[88:89], v[94:95] neg_lo:[0,0,1] neg_hi:[0,0,1]
	v_mov_b32_e32 v89, v97
	s_cbranch_execz .LBB105_724
	s_branch .LBB105_725
.LBB105_723:
                                        ; implicit-def: $vgpr88_vgpr89
.LBB105_724:
	ds_load_b64 v[88:89], v1
.LBB105_725:
	s_mov_b32 s2, exec_lo
	v_cmpx_ne_u32_e32 31, v0
	s_cbranch_execz .LBB105_729
; %bb.726:
	v_add_nc_u32_e32 v91, 0x158, v58
	v_add3_u32 v92, 0, v58, 8
	v_mov_b32_e32 v93, v0
	s_mov_b32 s3, 0
.LBB105_727:                            ; =>This Inner Loop Header: Depth=1
	scratch_load_b64 v[94:95], v92, off
	ds_load_b64 v[96:97], v91
	s_wait_xcnt 0x0
	v_dual_add_nc_u32 v91, 8, v91 :: v_dual_add_nc_u32 v92, 8, v92
	s_wait_loadcnt_dscnt 0x0
	v_pk_mul_f32 v[98:99], v[96:97], v[94:95] op_sel:[1,1] op_sel_hi:[0,1]
	s_delay_alu instid0(VALU_DEP_1) | instskip(SKIP_2) | instid1(VALU_DEP_3)
	v_pk_fma_f32 v[100:101], v[96:97], v[94:95], v[98:99] op_sel_hi:[1,0,1]
	v_add_nc_u32_e32 v93, 1, v93
	v_pk_fma_f32 v[94:95], v[96:97], v[94:95], v[98:99] neg_lo:[0,0,1] neg_hi:[0,0,1]
	v_mov_b32_e32 v95, v101
	s_delay_alu instid0(VALU_DEP_3) | instskip(NEXT) | instid1(VALU_DEP_2)
	v_cmp_lt_u32_e32 vcc_lo, 30, v93
	v_pk_add_f32 v[88:89], v[88:89], v[94:95]
	s_or_b32 s3, vcc_lo, s3
	s_delay_alu instid0(SALU_CYCLE_1)
	s_and_not1_b32 exec_lo, exec_lo, s3
	s_cbranch_execnz .LBB105_727
; %bb.728:
	s_or_b32 exec_lo, exec_lo, s3
.LBB105_729:
	s_delay_alu instid0(SALU_CYCLE_1) | instskip(SKIP_4) | instid1(VALU_DEP_1)
	s_or_b32 exec_lo, exec_lo, s2
	v_mov_b32_e32 v91, 0
	ds_load_b64 v[92:93], v91 offset:256
	s_wait_dscnt 0x0
	v_pk_mul_f32 v[94:95], v[88:89], v[92:93] op_sel:[1,1] op_sel_hi:[0,1]
	v_pk_fma_f32 v[96:97], v[88:89], v[92:93], v[94:95] op_sel_hi:[1,0,1]
	v_pk_fma_f32 v[88:89], v[88:89], v[92:93], v[94:95] neg_lo:[0,0,1] neg_hi:[0,0,1]
	s_delay_alu instid0(VALU_DEP_2)
	v_mov_b32_e32 v89, v97
	scratch_store_b64 off, v[88:89], off offset:256
.LBB105_730:
	s_wait_xcnt 0x0
	s_or_b32 exec_lo, exec_lo, s0
	scratch_load_b64 v[88:89], off, off offset:264
	s_mov_b32 s0, exec_lo
	s_wait_loadcnt 0x0
	ds_store_b64 v1, v[88:89]
	s_wait_storecnt_dscnt 0x0
	s_barrier_signal -1
	s_barrier_wait -1
	s_wait_xcnt 0x0
	v_cmpx_gt_u32_e32 33, v0
	s_cbranch_execz .LBB105_740
; %bb.731:
	v_cmp_ne_u32_e32 vcc_lo, 1, v90
	s_cbranch_vccnz .LBB105_733
; %bb.732:
	scratch_load_b64 v[88:89], v59, off
	ds_load_b64 v[92:93], v1
	s_wait_loadcnt_dscnt 0x0
	v_pk_mul_f32 v[94:95], v[92:93], v[88:89] op_sel:[1,1] op_sel_hi:[0,1]
	s_delay_alu instid0(VALU_DEP_1) | instskip(SKIP_1) | instid1(VALU_DEP_2)
	v_pk_fma_f32 v[96:97], v[92:93], v[88:89], v[94:95] op_sel_hi:[1,0,1]
	v_pk_fma_f32 v[88:89], v[92:93], v[88:89], v[94:95] neg_lo:[0,0,1] neg_hi:[0,0,1]
	v_mov_b32_e32 v89, v97
	s_cbranch_execz .LBB105_734
	s_branch .LBB105_735
.LBB105_733:
                                        ; implicit-def: $vgpr88_vgpr89
.LBB105_734:
	ds_load_b64 v[88:89], v1
.LBB105_735:
	s_mov_b32 s2, exec_lo
	v_cmpx_ne_u32_e32 32, v0
	s_cbranch_execz .LBB105_739
; %bb.736:
	v_add_nc_u32_e32 v91, 0x158, v58
	v_add3_u32 v92, 0, v58, 8
	v_mov_b32_e32 v93, v0
	s_mov_b32 s3, 0
.LBB105_737:                            ; =>This Inner Loop Header: Depth=1
	scratch_load_b64 v[94:95], v92, off
	ds_load_b64 v[96:97], v91
	s_wait_xcnt 0x0
	v_dual_add_nc_u32 v91, 8, v91 :: v_dual_add_nc_u32 v92, 8, v92
	s_wait_loadcnt_dscnt 0x0
	v_pk_mul_f32 v[98:99], v[96:97], v[94:95] op_sel:[1,1] op_sel_hi:[0,1]
	s_delay_alu instid0(VALU_DEP_1) | instskip(SKIP_2) | instid1(VALU_DEP_3)
	v_pk_fma_f32 v[100:101], v[96:97], v[94:95], v[98:99] op_sel_hi:[1,0,1]
	v_add_nc_u32_e32 v93, 1, v93
	v_pk_fma_f32 v[94:95], v[96:97], v[94:95], v[98:99] neg_lo:[0,0,1] neg_hi:[0,0,1]
	v_mov_b32_e32 v95, v101
	s_delay_alu instid0(VALU_DEP_3) | instskip(NEXT) | instid1(VALU_DEP_2)
	v_cmp_lt_u32_e32 vcc_lo, 31, v93
	v_pk_add_f32 v[88:89], v[88:89], v[94:95]
	s_or_b32 s3, vcc_lo, s3
	s_delay_alu instid0(SALU_CYCLE_1)
	s_and_not1_b32 exec_lo, exec_lo, s3
	s_cbranch_execnz .LBB105_737
; %bb.738:
	s_or_b32 exec_lo, exec_lo, s3
.LBB105_739:
	s_delay_alu instid0(SALU_CYCLE_1) | instskip(SKIP_4) | instid1(VALU_DEP_1)
	s_or_b32 exec_lo, exec_lo, s2
	v_mov_b32_e32 v91, 0
	ds_load_b64 v[92:93], v91 offset:264
	s_wait_dscnt 0x0
	v_pk_mul_f32 v[94:95], v[88:89], v[92:93] op_sel:[1,1] op_sel_hi:[0,1]
	v_pk_fma_f32 v[96:97], v[88:89], v[92:93], v[94:95] op_sel_hi:[1,0,1]
	v_pk_fma_f32 v[88:89], v[88:89], v[92:93], v[94:95] neg_lo:[0,0,1] neg_hi:[0,0,1]
	s_delay_alu instid0(VALU_DEP_2)
	v_mov_b32_e32 v89, v97
	scratch_store_b64 off, v[88:89], off offset:264
.LBB105_740:
	s_wait_xcnt 0x0
	s_or_b32 exec_lo, exec_lo, s0
	scratch_load_b64 v[88:89], off, off offset:272
	s_mov_b32 s0, exec_lo
	s_wait_loadcnt 0x0
	ds_store_b64 v1, v[88:89]
	s_wait_storecnt_dscnt 0x0
	s_barrier_signal -1
	s_barrier_wait -1
	s_wait_xcnt 0x0
	v_cmpx_gt_u32_e32 34, v0
	s_cbranch_execz .LBB105_750
; %bb.741:
	v_cmp_ne_u32_e32 vcc_lo, 1, v90
	s_cbranch_vccnz .LBB105_743
; %bb.742:
	scratch_load_b64 v[88:89], v59, off
	ds_load_b64 v[92:93], v1
	s_wait_loadcnt_dscnt 0x0
	v_pk_mul_f32 v[94:95], v[92:93], v[88:89] op_sel:[1,1] op_sel_hi:[0,1]
	s_delay_alu instid0(VALU_DEP_1) | instskip(SKIP_1) | instid1(VALU_DEP_2)
	v_pk_fma_f32 v[96:97], v[92:93], v[88:89], v[94:95] op_sel_hi:[1,0,1]
	v_pk_fma_f32 v[88:89], v[92:93], v[88:89], v[94:95] neg_lo:[0,0,1] neg_hi:[0,0,1]
	v_mov_b32_e32 v89, v97
	s_cbranch_execz .LBB105_744
	s_branch .LBB105_745
.LBB105_743:
                                        ; implicit-def: $vgpr88_vgpr89
.LBB105_744:
	ds_load_b64 v[88:89], v1
.LBB105_745:
	s_mov_b32 s2, exec_lo
	v_cmpx_ne_u32_e32 33, v0
	s_cbranch_execz .LBB105_749
; %bb.746:
	v_add_nc_u32_e32 v91, 0x158, v58
	v_add3_u32 v92, 0, v58, 8
	v_mov_b32_e32 v93, v0
	s_mov_b32 s3, 0
.LBB105_747:                            ; =>This Inner Loop Header: Depth=1
	scratch_load_b64 v[94:95], v92, off
	ds_load_b64 v[96:97], v91
	s_wait_xcnt 0x0
	v_dual_add_nc_u32 v91, 8, v91 :: v_dual_add_nc_u32 v92, 8, v92
	s_wait_loadcnt_dscnt 0x0
	v_pk_mul_f32 v[98:99], v[96:97], v[94:95] op_sel:[1,1] op_sel_hi:[0,1]
	s_delay_alu instid0(VALU_DEP_1) | instskip(SKIP_2) | instid1(VALU_DEP_3)
	v_pk_fma_f32 v[100:101], v[96:97], v[94:95], v[98:99] op_sel_hi:[1,0,1]
	v_add_nc_u32_e32 v93, 1, v93
	v_pk_fma_f32 v[94:95], v[96:97], v[94:95], v[98:99] neg_lo:[0,0,1] neg_hi:[0,0,1]
	v_mov_b32_e32 v95, v101
	s_delay_alu instid0(VALU_DEP_3) | instskip(NEXT) | instid1(VALU_DEP_2)
	v_cmp_lt_u32_e32 vcc_lo, 32, v93
	v_pk_add_f32 v[88:89], v[88:89], v[94:95]
	s_or_b32 s3, vcc_lo, s3
	s_delay_alu instid0(SALU_CYCLE_1)
	s_and_not1_b32 exec_lo, exec_lo, s3
	s_cbranch_execnz .LBB105_747
; %bb.748:
	s_or_b32 exec_lo, exec_lo, s3
.LBB105_749:
	s_delay_alu instid0(SALU_CYCLE_1) | instskip(SKIP_4) | instid1(VALU_DEP_1)
	s_or_b32 exec_lo, exec_lo, s2
	v_mov_b32_e32 v91, 0
	ds_load_b64 v[92:93], v91 offset:272
	s_wait_dscnt 0x0
	v_pk_mul_f32 v[94:95], v[88:89], v[92:93] op_sel:[1,1] op_sel_hi:[0,1]
	v_pk_fma_f32 v[96:97], v[88:89], v[92:93], v[94:95] op_sel_hi:[1,0,1]
	v_pk_fma_f32 v[88:89], v[88:89], v[92:93], v[94:95] neg_lo:[0,0,1] neg_hi:[0,0,1]
	s_delay_alu instid0(VALU_DEP_2)
	v_mov_b32_e32 v89, v97
	scratch_store_b64 off, v[88:89], off offset:272
.LBB105_750:
	s_wait_xcnt 0x0
	s_or_b32 exec_lo, exec_lo, s0
	scratch_load_b64 v[88:89], off, off offset:280
	s_mov_b32 s0, exec_lo
	s_wait_loadcnt 0x0
	ds_store_b64 v1, v[88:89]
	s_wait_storecnt_dscnt 0x0
	s_barrier_signal -1
	s_barrier_wait -1
	s_wait_xcnt 0x0
	v_cmpx_gt_u32_e32 35, v0
	s_cbranch_execz .LBB105_760
; %bb.751:
	v_cmp_ne_u32_e32 vcc_lo, 1, v90
	s_cbranch_vccnz .LBB105_753
; %bb.752:
	scratch_load_b64 v[88:89], v59, off
	ds_load_b64 v[92:93], v1
	s_wait_loadcnt_dscnt 0x0
	v_pk_mul_f32 v[94:95], v[92:93], v[88:89] op_sel:[1,1] op_sel_hi:[0,1]
	s_delay_alu instid0(VALU_DEP_1) | instskip(SKIP_1) | instid1(VALU_DEP_2)
	v_pk_fma_f32 v[96:97], v[92:93], v[88:89], v[94:95] op_sel_hi:[1,0,1]
	v_pk_fma_f32 v[88:89], v[92:93], v[88:89], v[94:95] neg_lo:[0,0,1] neg_hi:[0,0,1]
	v_mov_b32_e32 v89, v97
	s_cbranch_execz .LBB105_754
	s_branch .LBB105_755
.LBB105_753:
                                        ; implicit-def: $vgpr88_vgpr89
.LBB105_754:
	ds_load_b64 v[88:89], v1
.LBB105_755:
	s_mov_b32 s2, exec_lo
	v_cmpx_ne_u32_e32 34, v0
	s_cbranch_execz .LBB105_759
; %bb.756:
	v_add_nc_u32_e32 v91, 0x158, v58
	v_add3_u32 v92, 0, v58, 8
	v_mov_b32_e32 v93, v0
	s_mov_b32 s3, 0
.LBB105_757:                            ; =>This Inner Loop Header: Depth=1
	scratch_load_b64 v[94:95], v92, off
	ds_load_b64 v[96:97], v91
	s_wait_xcnt 0x0
	v_dual_add_nc_u32 v91, 8, v91 :: v_dual_add_nc_u32 v92, 8, v92
	s_wait_loadcnt_dscnt 0x0
	v_pk_mul_f32 v[98:99], v[96:97], v[94:95] op_sel:[1,1] op_sel_hi:[0,1]
	s_delay_alu instid0(VALU_DEP_1) | instskip(SKIP_2) | instid1(VALU_DEP_3)
	v_pk_fma_f32 v[100:101], v[96:97], v[94:95], v[98:99] op_sel_hi:[1,0,1]
	v_add_nc_u32_e32 v93, 1, v93
	v_pk_fma_f32 v[94:95], v[96:97], v[94:95], v[98:99] neg_lo:[0,0,1] neg_hi:[0,0,1]
	v_mov_b32_e32 v95, v101
	s_delay_alu instid0(VALU_DEP_3) | instskip(NEXT) | instid1(VALU_DEP_2)
	v_cmp_lt_u32_e32 vcc_lo, 33, v93
	v_pk_add_f32 v[88:89], v[88:89], v[94:95]
	s_or_b32 s3, vcc_lo, s3
	s_delay_alu instid0(SALU_CYCLE_1)
	s_and_not1_b32 exec_lo, exec_lo, s3
	s_cbranch_execnz .LBB105_757
; %bb.758:
	s_or_b32 exec_lo, exec_lo, s3
.LBB105_759:
	s_delay_alu instid0(SALU_CYCLE_1) | instskip(SKIP_4) | instid1(VALU_DEP_1)
	s_or_b32 exec_lo, exec_lo, s2
	v_mov_b32_e32 v91, 0
	ds_load_b64 v[92:93], v91 offset:280
	s_wait_dscnt 0x0
	v_pk_mul_f32 v[94:95], v[88:89], v[92:93] op_sel:[1,1] op_sel_hi:[0,1]
	v_pk_fma_f32 v[96:97], v[88:89], v[92:93], v[94:95] op_sel_hi:[1,0,1]
	v_pk_fma_f32 v[88:89], v[88:89], v[92:93], v[94:95] neg_lo:[0,0,1] neg_hi:[0,0,1]
	s_delay_alu instid0(VALU_DEP_2)
	v_mov_b32_e32 v89, v97
	scratch_store_b64 off, v[88:89], off offset:280
.LBB105_760:
	s_wait_xcnt 0x0
	s_or_b32 exec_lo, exec_lo, s0
	scratch_load_b64 v[88:89], off, off offset:288
	s_mov_b32 s0, exec_lo
	s_wait_loadcnt 0x0
	ds_store_b64 v1, v[88:89]
	s_wait_storecnt_dscnt 0x0
	s_barrier_signal -1
	s_barrier_wait -1
	s_wait_xcnt 0x0
	v_cmpx_gt_u32_e32 36, v0
	s_cbranch_execz .LBB105_770
; %bb.761:
	v_cmp_ne_u32_e32 vcc_lo, 1, v90
	s_cbranch_vccnz .LBB105_763
; %bb.762:
	scratch_load_b64 v[88:89], v59, off
	ds_load_b64 v[92:93], v1
	s_wait_loadcnt_dscnt 0x0
	v_pk_mul_f32 v[94:95], v[92:93], v[88:89] op_sel:[1,1] op_sel_hi:[0,1]
	s_delay_alu instid0(VALU_DEP_1) | instskip(SKIP_1) | instid1(VALU_DEP_2)
	v_pk_fma_f32 v[96:97], v[92:93], v[88:89], v[94:95] op_sel_hi:[1,0,1]
	v_pk_fma_f32 v[88:89], v[92:93], v[88:89], v[94:95] neg_lo:[0,0,1] neg_hi:[0,0,1]
	v_mov_b32_e32 v89, v97
	s_cbranch_execz .LBB105_764
	s_branch .LBB105_765
.LBB105_763:
                                        ; implicit-def: $vgpr88_vgpr89
.LBB105_764:
	ds_load_b64 v[88:89], v1
.LBB105_765:
	s_mov_b32 s2, exec_lo
	v_cmpx_ne_u32_e32 35, v0
	s_cbranch_execz .LBB105_769
; %bb.766:
	v_add_nc_u32_e32 v91, 0x158, v58
	v_add3_u32 v92, 0, v58, 8
	v_mov_b32_e32 v93, v0
	s_mov_b32 s3, 0
.LBB105_767:                            ; =>This Inner Loop Header: Depth=1
	scratch_load_b64 v[94:95], v92, off
	ds_load_b64 v[96:97], v91
	s_wait_xcnt 0x0
	v_dual_add_nc_u32 v91, 8, v91 :: v_dual_add_nc_u32 v92, 8, v92
	s_wait_loadcnt_dscnt 0x0
	v_pk_mul_f32 v[98:99], v[96:97], v[94:95] op_sel:[1,1] op_sel_hi:[0,1]
	s_delay_alu instid0(VALU_DEP_1) | instskip(SKIP_2) | instid1(VALU_DEP_3)
	v_pk_fma_f32 v[100:101], v[96:97], v[94:95], v[98:99] op_sel_hi:[1,0,1]
	v_add_nc_u32_e32 v93, 1, v93
	v_pk_fma_f32 v[94:95], v[96:97], v[94:95], v[98:99] neg_lo:[0,0,1] neg_hi:[0,0,1]
	v_mov_b32_e32 v95, v101
	s_delay_alu instid0(VALU_DEP_3) | instskip(NEXT) | instid1(VALU_DEP_2)
	v_cmp_lt_u32_e32 vcc_lo, 34, v93
	v_pk_add_f32 v[88:89], v[88:89], v[94:95]
	s_or_b32 s3, vcc_lo, s3
	s_delay_alu instid0(SALU_CYCLE_1)
	s_and_not1_b32 exec_lo, exec_lo, s3
	s_cbranch_execnz .LBB105_767
; %bb.768:
	s_or_b32 exec_lo, exec_lo, s3
.LBB105_769:
	s_delay_alu instid0(SALU_CYCLE_1) | instskip(SKIP_4) | instid1(VALU_DEP_1)
	s_or_b32 exec_lo, exec_lo, s2
	v_mov_b32_e32 v91, 0
	ds_load_b64 v[92:93], v91 offset:288
	s_wait_dscnt 0x0
	v_pk_mul_f32 v[94:95], v[88:89], v[92:93] op_sel:[1,1] op_sel_hi:[0,1]
	v_pk_fma_f32 v[96:97], v[88:89], v[92:93], v[94:95] op_sel_hi:[1,0,1]
	v_pk_fma_f32 v[88:89], v[88:89], v[92:93], v[94:95] neg_lo:[0,0,1] neg_hi:[0,0,1]
	s_delay_alu instid0(VALU_DEP_2)
	v_mov_b32_e32 v89, v97
	scratch_store_b64 off, v[88:89], off offset:288
.LBB105_770:
	s_wait_xcnt 0x0
	s_or_b32 exec_lo, exec_lo, s0
	scratch_load_b64 v[88:89], off, off offset:296
	s_mov_b32 s0, exec_lo
	s_wait_loadcnt 0x0
	ds_store_b64 v1, v[88:89]
	s_wait_storecnt_dscnt 0x0
	s_barrier_signal -1
	s_barrier_wait -1
	s_wait_xcnt 0x0
	v_cmpx_gt_u32_e32 37, v0
	s_cbranch_execz .LBB105_780
; %bb.771:
	v_cmp_ne_u32_e32 vcc_lo, 1, v90
	s_cbranch_vccnz .LBB105_773
; %bb.772:
	scratch_load_b64 v[88:89], v59, off
	ds_load_b64 v[92:93], v1
	s_wait_loadcnt_dscnt 0x0
	v_pk_mul_f32 v[94:95], v[92:93], v[88:89] op_sel:[1,1] op_sel_hi:[0,1]
	s_delay_alu instid0(VALU_DEP_1) | instskip(SKIP_1) | instid1(VALU_DEP_2)
	v_pk_fma_f32 v[96:97], v[92:93], v[88:89], v[94:95] op_sel_hi:[1,0,1]
	v_pk_fma_f32 v[88:89], v[92:93], v[88:89], v[94:95] neg_lo:[0,0,1] neg_hi:[0,0,1]
	v_mov_b32_e32 v89, v97
	s_cbranch_execz .LBB105_774
	s_branch .LBB105_775
.LBB105_773:
                                        ; implicit-def: $vgpr88_vgpr89
.LBB105_774:
	ds_load_b64 v[88:89], v1
.LBB105_775:
	s_mov_b32 s2, exec_lo
	v_cmpx_ne_u32_e32 36, v0
	s_cbranch_execz .LBB105_779
; %bb.776:
	v_add_nc_u32_e32 v91, 0x158, v58
	v_add3_u32 v92, 0, v58, 8
	v_mov_b32_e32 v93, v0
	s_mov_b32 s3, 0
.LBB105_777:                            ; =>This Inner Loop Header: Depth=1
	scratch_load_b64 v[94:95], v92, off
	ds_load_b64 v[96:97], v91
	s_wait_xcnt 0x0
	v_dual_add_nc_u32 v91, 8, v91 :: v_dual_add_nc_u32 v92, 8, v92
	s_wait_loadcnt_dscnt 0x0
	v_pk_mul_f32 v[98:99], v[96:97], v[94:95] op_sel:[1,1] op_sel_hi:[0,1]
	s_delay_alu instid0(VALU_DEP_1) | instskip(SKIP_2) | instid1(VALU_DEP_3)
	v_pk_fma_f32 v[100:101], v[96:97], v[94:95], v[98:99] op_sel_hi:[1,0,1]
	v_add_nc_u32_e32 v93, 1, v93
	v_pk_fma_f32 v[94:95], v[96:97], v[94:95], v[98:99] neg_lo:[0,0,1] neg_hi:[0,0,1]
	v_mov_b32_e32 v95, v101
	s_delay_alu instid0(VALU_DEP_3) | instskip(NEXT) | instid1(VALU_DEP_2)
	v_cmp_lt_u32_e32 vcc_lo, 35, v93
	v_pk_add_f32 v[88:89], v[88:89], v[94:95]
	s_or_b32 s3, vcc_lo, s3
	s_delay_alu instid0(SALU_CYCLE_1)
	s_and_not1_b32 exec_lo, exec_lo, s3
	s_cbranch_execnz .LBB105_777
; %bb.778:
	s_or_b32 exec_lo, exec_lo, s3
.LBB105_779:
	s_delay_alu instid0(SALU_CYCLE_1) | instskip(SKIP_4) | instid1(VALU_DEP_1)
	s_or_b32 exec_lo, exec_lo, s2
	v_mov_b32_e32 v91, 0
	ds_load_b64 v[92:93], v91 offset:296
	s_wait_dscnt 0x0
	v_pk_mul_f32 v[94:95], v[88:89], v[92:93] op_sel:[1,1] op_sel_hi:[0,1]
	v_pk_fma_f32 v[96:97], v[88:89], v[92:93], v[94:95] op_sel_hi:[1,0,1]
	v_pk_fma_f32 v[88:89], v[88:89], v[92:93], v[94:95] neg_lo:[0,0,1] neg_hi:[0,0,1]
	s_delay_alu instid0(VALU_DEP_2)
	v_mov_b32_e32 v89, v97
	scratch_store_b64 off, v[88:89], off offset:296
.LBB105_780:
	s_wait_xcnt 0x0
	s_or_b32 exec_lo, exec_lo, s0
	scratch_load_b64 v[88:89], off, off offset:304
	s_mov_b32 s0, exec_lo
	s_wait_loadcnt 0x0
	ds_store_b64 v1, v[88:89]
	s_wait_storecnt_dscnt 0x0
	s_barrier_signal -1
	s_barrier_wait -1
	s_wait_xcnt 0x0
	v_cmpx_gt_u32_e32 38, v0
	s_cbranch_execz .LBB105_790
; %bb.781:
	v_cmp_ne_u32_e32 vcc_lo, 1, v90
	s_cbranch_vccnz .LBB105_783
; %bb.782:
	scratch_load_b64 v[88:89], v59, off
	ds_load_b64 v[92:93], v1
	s_wait_loadcnt_dscnt 0x0
	v_pk_mul_f32 v[94:95], v[92:93], v[88:89] op_sel:[1,1] op_sel_hi:[0,1]
	s_delay_alu instid0(VALU_DEP_1) | instskip(SKIP_1) | instid1(VALU_DEP_2)
	v_pk_fma_f32 v[96:97], v[92:93], v[88:89], v[94:95] op_sel_hi:[1,0,1]
	v_pk_fma_f32 v[88:89], v[92:93], v[88:89], v[94:95] neg_lo:[0,0,1] neg_hi:[0,0,1]
	v_mov_b32_e32 v89, v97
	s_cbranch_execz .LBB105_784
	s_branch .LBB105_785
.LBB105_783:
                                        ; implicit-def: $vgpr88_vgpr89
.LBB105_784:
	ds_load_b64 v[88:89], v1
.LBB105_785:
	s_mov_b32 s2, exec_lo
	v_cmpx_ne_u32_e32 37, v0
	s_cbranch_execz .LBB105_789
; %bb.786:
	v_add_nc_u32_e32 v91, 0x158, v58
	v_add3_u32 v92, 0, v58, 8
	v_mov_b32_e32 v93, v0
	s_mov_b32 s3, 0
.LBB105_787:                            ; =>This Inner Loop Header: Depth=1
	scratch_load_b64 v[94:95], v92, off
	ds_load_b64 v[96:97], v91
	s_wait_xcnt 0x0
	v_dual_add_nc_u32 v91, 8, v91 :: v_dual_add_nc_u32 v92, 8, v92
	s_wait_loadcnt_dscnt 0x0
	v_pk_mul_f32 v[98:99], v[96:97], v[94:95] op_sel:[1,1] op_sel_hi:[0,1]
	s_delay_alu instid0(VALU_DEP_1) | instskip(SKIP_2) | instid1(VALU_DEP_3)
	v_pk_fma_f32 v[100:101], v[96:97], v[94:95], v[98:99] op_sel_hi:[1,0,1]
	v_add_nc_u32_e32 v93, 1, v93
	v_pk_fma_f32 v[94:95], v[96:97], v[94:95], v[98:99] neg_lo:[0,0,1] neg_hi:[0,0,1]
	v_mov_b32_e32 v95, v101
	s_delay_alu instid0(VALU_DEP_3) | instskip(NEXT) | instid1(VALU_DEP_2)
	v_cmp_lt_u32_e32 vcc_lo, 36, v93
	v_pk_add_f32 v[88:89], v[88:89], v[94:95]
	s_or_b32 s3, vcc_lo, s3
	s_delay_alu instid0(SALU_CYCLE_1)
	s_and_not1_b32 exec_lo, exec_lo, s3
	s_cbranch_execnz .LBB105_787
; %bb.788:
	s_or_b32 exec_lo, exec_lo, s3
.LBB105_789:
	s_delay_alu instid0(SALU_CYCLE_1) | instskip(SKIP_4) | instid1(VALU_DEP_1)
	s_or_b32 exec_lo, exec_lo, s2
	v_mov_b32_e32 v91, 0
	ds_load_b64 v[92:93], v91 offset:304
	s_wait_dscnt 0x0
	v_pk_mul_f32 v[94:95], v[88:89], v[92:93] op_sel:[1,1] op_sel_hi:[0,1]
	v_pk_fma_f32 v[96:97], v[88:89], v[92:93], v[94:95] op_sel_hi:[1,0,1]
	v_pk_fma_f32 v[88:89], v[88:89], v[92:93], v[94:95] neg_lo:[0,0,1] neg_hi:[0,0,1]
	s_delay_alu instid0(VALU_DEP_2)
	v_mov_b32_e32 v89, v97
	scratch_store_b64 off, v[88:89], off offset:304
.LBB105_790:
	s_wait_xcnt 0x0
	s_or_b32 exec_lo, exec_lo, s0
	scratch_load_b64 v[88:89], off, off offset:312
	s_mov_b32 s0, exec_lo
	s_wait_loadcnt 0x0
	ds_store_b64 v1, v[88:89]
	s_wait_storecnt_dscnt 0x0
	s_barrier_signal -1
	s_barrier_wait -1
	s_wait_xcnt 0x0
	v_cmpx_gt_u32_e32 39, v0
	s_cbranch_execz .LBB105_800
; %bb.791:
	v_cmp_ne_u32_e32 vcc_lo, 1, v90
	s_cbranch_vccnz .LBB105_793
; %bb.792:
	scratch_load_b64 v[88:89], v59, off
	ds_load_b64 v[92:93], v1
	s_wait_loadcnt_dscnt 0x0
	v_pk_mul_f32 v[94:95], v[92:93], v[88:89] op_sel:[1,1] op_sel_hi:[0,1]
	s_delay_alu instid0(VALU_DEP_1) | instskip(SKIP_1) | instid1(VALU_DEP_2)
	v_pk_fma_f32 v[96:97], v[92:93], v[88:89], v[94:95] op_sel_hi:[1,0,1]
	v_pk_fma_f32 v[88:89], v[92:93], v[88:89], v[94:95] neg_lo:[0,0,1] neg_hi:[0,0,1]
	v_mov_b32_e32 v89, v97
	s_cbranch_execz .LBB105_794
	s_branch .LBB105_795
.LBB105_793:
                                        ; implicit-def: $vgpr88_vgpr89
.LBB105_794:
	ds_load_b64 v[88:89], v1
.LBB105_795:
	s_mov_b32 s2, exec_lo
	v_cmpx_ne_u32_e32 38, v0
	s_cbranch_execz .LBB105_799
; %bb.796:
	v_add_nc_u32_e32 v91, 0x158, v58
	v_add3_u32 v92, 0, v58, 8
	v_mov_b32_e32 v93, v0
	s_mov_b32 s3, 0
.LBB105_797:                            ; =>This Inner Loop Header: Depth=1
	scratch_load_b64 v[94:95], v92, off
	ds_load_b64 v[96:97], v91
	s_wait_xcnt 0x0
	v_dual_add_nc_u32 v91, 8, v91 :: v_dual_add_nc_u32 v92, 8, v92
	s_wait_loadcnt_dscnt 0x0
	v_pk_mul_f32 v[98:99], v[96:97], v[94:95] op_sel:[1,1] op_sel_hi:[0,1]
	s_delay_alu instid0(VALU_DEP_1) | instskip(SKIP_2) | instid1(VALU_DEP_3)
	v_pk_fma_f32 v[100:101], v[96:97], v[94:95], v[98:99] op_sel_hi:[1,0,1]
	v_add_nc_u32_e32 v93, 1, v93
	v_pk_fma_f32 v[94:95], v[96:97], v[94:95], v[98:99] neg_lo:[0,0,1] neg_hi:[0,0,1]
	v_mov_b32_e32 v95, v101
	s_delay_alu instid0(VALU_DEP_3) | instskip(NEXT) | instid1(VALU_DEP_2)
	v_cmp_lt_u32_e32 vcc_lo, 37, v93
	v_pk_add_f32 v[88:89], v[88:89], v[94:95]
	s_or_b32 s3, vcc_lo, s3
	s_delay_alu instid0(SALU_CYCLE_1)
	s_and_not1_b32 exec_lo, exec_lo, s3
	s_cbranch_execnz .LBB105_797
; %bb.798:
	s_or_b32 exec_lo, exec_lo, s3
.LBB105_799:
	s_delay_alu instid0(SALU_CYCLE_1) | instskip(SKIP_4) | instid1(VALU_DEP_1)
	s_or_b32 exec_lo, exec_lo, s2
	v_mov_b32_e32 v91, 0
	ds_load_b64 v[92:93], v91 offset:312
	s_wait_dscnt 0x0
	v_pk_mul_f32 v[94:95], v[88:89], v[92:93] op_sel:[1,1] op_sel_hi:[0,1]
	v_pk_fma_f32 v[96:97], v[88:89], v[92:93], v[94:95] op_sel_hi:[1,0,1]
	v_pk_fma_f32 v[88:89], v[88:89], v[92:93], v[94:95] neg_lo:[0,0,1] neg_hi:[0,0,1]
	s_delay_alu instid0(VALU_DEP_2)
	v_mov_b32_e32 v89, v97
	scratch_store_b64 off, v[88:89], off offset:312
.LBB105_800:
	s_wait_xcnt 0x0
	s_or_b32 exec_lo, exec_lo, s0
	scratch_load_b64 v[88:89], off, off offset:320
	v_cmp_gt_u32_e64 s0, 40, v0
	s_wait_loadcnt 0x0
	ds_store_b64 v1, v[88:89]
	s_wait_storecnt_dscnt 0x0
	s_barrier_signal -1
	s_barrier_wait -1
	s_wait_xcnt 0x0
	s_and_saveexec_b32 s2, s0
	s_cbranch_execz .LBB105_810
; %bb.801:
	v_cmp_ne_u32_e32 vcc_lo, 1, v90
	s_cbranch_vccnz .LBB105_803
; %bb.802:
	scratch_load_b64 v[88:89], v59, off
	ds_load_b64 v[92:93], v1
	s_wait_loadcnt_dscnt 0x0
	v_pk_mul_f32 v[94:95], v[92:93], v[88:89] op_sel:[1,1] op_sel_hi:[0,1]
	s_delay_alu instid0(VALU_DEP_1) | instskip(SKIP_1) | instid1(VALU_DEP_2)
	v_pk_fma_f32 v[96:97], v[92:93], v[88:89], v[94:95] op_sel_hi:[1,0,1]
	v_pk_fma_f32 v[88:89], v[92:93], v[88:89], v[94:95] neg_lo:[0,0,1] neg_hi:[0,0,1]
	v_mov_b32_e32 v89, v97
	s_cbranch_execz .LBB105_804
	s_branch .LBB105_805
.LBB105_803:
                                        ; implicit-def: $vgpr88_vgpr89
.LBB105_804:
	ds_load_b64 v[88:89], v1
.LBB105_805:
	s_mov_b32 s3, exec_lo
	v_cmpx_ne_u32_e32 39, v0
	s_cbranch_execz .LBB105_809
; %bb.806:
	v_add_nc_u32_e32 v91, 0x158, v58
	v_add3_u32 v92, 0, v58, 8
	v_mov_b32_e32 v93, v0
	s_mov_b32 s4, 0
.LBB105_807:                            ; =>This Inner Loop Header: Depth=1
	scratch_load_b64 v[94:95], v92, off
	ds_load_b64 v[96:97], v91
	s_wait_xcnt 0x0
	v_dual_add_nc_u32 v91, 8, v91 :: v_dual_add_nc_u32 v92, 8, v92
	s_wait_loadcnt_dscnt 0x0
	v_pk_mul_f32 v[98:99], v[96:97], v[94:95] op_sel:[1,1] op_sel_hi:[0,1]
	s_delay_alu instid0(VALU_DEP_1) | instskip(SKIP_2) | instid1(VALU_DEP_3)
	v_pk_fma_f32 v[100:101], v[96:97], v[94:95], v[98:99] op_sel_hi:[1,0,1]
	v_add_nc_u32_e32 v93, 1, v93
	v_pk_fma_f32 v[94:95], v[96:97], v[94:95], v[98:99] neg_lo:[0,0,1] neg_hi:[0,0,1]
	v_mov_b32_e32 v95, v101
	s_delay_alu instid0(VALU_DEP_3) | instskip(NEXT) | instid1(VALU_DEP_2)
	v_cmp_lt_u32_e32 vcc_lo, 38, v93
	v_pk_add_f32 v[88:89], v[88:89], v[94:95]
	s_or_b32 s4, vcc_lo, s4
	s_delay_alu instid0(SALU_CYCLE_1)
	s_and_not1_b32 exec_lo, exec_lo, s4
	s_cbranch_execnz .LBB105_807
; %bb.808:
	s_or_b32 exec_lo, exec_lo, s4
.LBB105_809:
	s_delay_alu instid0(SALU_CYCLE_1) | instskip(SKIP_4) | instid1(VALU_DEP_1)
	s_or_b32 exec_lo, exec_lo, s3
	v_mov_b32_e32 v91, 0
	ds_load_b64 v[92:93], v91 offset:320
	s_wait_dscnt 0x0
	v_pk_mul_f32 v[94:95], v[88:89], v[92:93] op_sel:[1,1] op_sel_hi:[0,1]
	v_pk_fma_f32 v[96:97], v[88:89], v[92:93], v[94:95] op_sel_hi:[1,0,1]
	v_pk_fma_f32 v[88:89], v[88:89], v[92:93], v[94:95] neg_lo:[0,0,1] neg_hi:[0,0,1]
	s_delay_alu instid0(VALU_DEP_2)
	v_mov_b32_e32 v89, v97
	scratch_store_b64 off, v[88:89], off offset:320
.LBB105_810:
	s_wait_xcnt 0x0
	s_or_b32 exec_lo, exec_lo, s2
	scratch_load_b64 v[88:89], off, off offset:328
	s_mov_b32 s2, exec_lo
                                        ; implicit-def: $vgpr124
                                        ; implicit-def: $sgpr5
	s_wait_loadcnt 0x0
	ds_store_b64 v1, v[88:89]
	s_wait_storecnt_dscnt 0x0
	s_barrier_signal -1
	s_barrier_wait -1
	s_wait_xcnt 0x0
	v_cmpx_ne_u32_e32 41, v0
	s_cbranch_execz .LBB105_820
; %bb.811:
	v_cmp_ne_u32_e32 vcc_lo, 1, v90
	s_cbranch_vccnz .LBB105_813
; %bb.812:
	scratch_load_b64 v[90:91], v59, off
	ds_load_b64 v[92:93], v1
	s_wait_loadcnt_dscnt 0x0
	v_dual_mul_f32 v59, v93, v91 :: v_dual_mul_f32 v89, v92, v91
	s_delay_alu instid0(VALU_DEP_1)
	v_dual_fma_f32 v88, v92, v90, -v59 :: v_dual_fmac_f32 v89, v93, v90
	s_cbranch_execz .LBB105_814
	s_branch .LBB105_815
.LBB105_813:
                                        ; implicit-def: $vgpr89
.LBB105_814:
	ds_load_b64 v[88:89], v1
.LBB105_815:
	s_and_saveexec_b32 s3, s0
	s_cbranch_execz .LBB105_819
; %bb.816:
	v_add_nc_u32_e32 v1, 0x158, v58
	v_add3_u32 v58, 0, v58, 8
	s_mov_b32 s0, 0
.LBB105_817:                            ; =>This Inner Loop Header: Depth=1
	scratch_load_b64 v[90:91], v58, off
	ds_load_b64 v[92:93], v1
	s_wait_loadcnt_dscnt 0x0
	v_dual_add_nc_u32 v1, 8, v1 :: v_dual_mul_f32 v59, v93, v91
	v_dual_mul_f32 v91, v92, v91 :: v_dual_add_nc_u32 v0, 1, v0
	s_delay_alu instid0(VALU_DEP_2) | instskip(NEXT) | instid1(VALU_DEP_2)
	v_fma_f32 v59, v92, v90, -v59
	v_fmac_f32_e32 v91, v93, v90
	s_delay_alu instid0(VALU_DEP_3) | instskip(NEXT) | instid1(VALU_DEP_3)
	v_cmp_lt_u32_e32 vcc_lo, 39, v0
	v_dual_add_nc_u32 v58, 8, v58 :: v_dual_add_f32 v88, v88, v59
	s_delay_alu instid0(VALU_DEP_3) | instskip(SKIP_1) | instid1(SALU_CYCLE_1)
	v_add_f32_e32 v89, v89, v91
	s_or_b32 s0, vcc_lo, s0
	s_and_not1_b32 exec_lo, exec_lo, s0
	s_cbranch_execnz .LBB105_817
; %bb.818:
	s_or_b32 exec_lo, exec_lo, s0
.LBB105_819:
	s_delay_alu instid0(SALU_CYCLE_1)
	s_or_b32 exec_lo, exec_lo, s3
	v_mov_b32_e32 v0, 0
	s_movk_i32 s5, 0x14c
	s_or_b32 s1, s1, exec_lo
	ds_load_b64 v[0:1], v0 offset:328
	s_wait_dscnt 0x0
	v_dual_mul_f32 v58, v89, v1 :: v_dual_mul_f32 v124, v88, v1
	s_delay_alu instid0(VALU_DEP_1)
	v_dual_fma_f32 v1, v88, v0, -v58 :: v_dual_fmac_f32 v124, v89, v0
	scratch_store_b32 off, v1, off offset:328
.LBB105_820:
	s_wait_xcnt 0x0
	s_or_b32 exec_lo, exec_lo, s2
.LBB105_821:
	v_lshl_add_u64 v[122:123], v[6:7], 3, s[6:7]
	v_lshl_add_u64 v[120:121], v[8:9], 3, s[6:7]
	;; [unrolled: 1-line block ×40, first 2 shown]
	s_and_saveexec_b32 s0, s1
	s_cbranch_execz .LBB105_823
; %bb.822:
	scratch_store_b32 off, v124, s5
.LBB105_823:
	s_wait_xcnt 0x0
	s_or_b32 exec_lo, exec_lo, s0
	scratch_load_b64 v[46:47], off, off
	s_wait_loadcnt 0x0
	flat_store_b64 v[2:3], v[46:47]
	scratch_load_b64 v[2:3], off, off offset:8
	s_wait_loadcnt 0x0
	flat_store_b64 v[4:5], v[2:3]
	scratch_load_b64 v[2:3], off, off offset:16
	;; [unrolled: 3-line block ×41, first 2 shown]
	s_wait_loadcnt 0x0
	flat_store_b64 v[0:1], v[2:3]
.LBB105_824:
	s_sendmsg sendmsg(MSG_DEALLOC_VGPRS)
	s_endpgm
	.section	.rodata,"a",@progbits
	.p2align	6, 0x0
	.amdhsa_kernel _ZN9rocsolver6v33100L18trti2_kernel_smallILi42E19rocblas_complex_numIfEPKPS3_EEv13rocblas_fill_17rocblas_diagonal_T1_iil
		.amdhsa_group_segment_fixed_size 672
		.amdhsa_private_segment_fixed_size 352
		.amdhsa_kernarg_size 32
		.amdhsa_user_sgpr_count 2
		.amdhsa_user_sgpr_dispatch_ptr 0
		.amdhsa_user_sgpr_queue_ptr 0
		.amdhsa_user_sgpr_kernarg_segment_ptr 1
		.amdhsa_user_sgpr_dispatch_id 0
		.amdhsa_user_sgpr_kernarg_preload_length 0
		.amdhsa_user_sgpr_kernarg_preload_offset 0
		.amdhsa_user_sgpr_private_segment_size 0
		.amdhsa_wavefront_size32 1
		.amdhsa_uses_dynamic_stack 0
		.amdhsa_enable_private_segment 1
		.amdhsa_system_sgpr_workgroup_id_x 1
		.amdhsa_system_sgpr_workgroup_id_y 0
		.amdhsa_system_sgpr_workgroup_id_z 0
		.amdhsa_system_sgpr_workgroup_info 0
		.amdhsa_system_vgpr_workitem_id 0
		.amdhsa_next_free_vgpr 125
		.amdhsa_next_free_sgpr 48
		.amdhsa_named_barrier_count 0
		.amdhsa_reserve_vcc 1
		.amdhsa_float_round_mode_32 0
		.amdhsa_float_round_mode_16_64 0
		.amdhsa_float_denorm_mode_32 3
		.amdhsa_float_denorm_mode_16_64 3
		.amdhsa_fp16_overflow 0
		.amdhsa_memory_ordered 1
		.amdhsa_forward_progress 1
		.amdhsa_inst_pref_size 254
		.amdhsa_round_robin_scheduling 0
		.amdhsa_exception_fp_ieee_invalid_op 0
		.amdhsa_exception_fp_denorm_src 0
		.amdhsa_exception_fp_ieee_div_zero 0
		.amdhsa_exception_fp_ieee_overflow 0
		.amdhsa_exception_fp_ieee_underflow 0
		.amdhsa_exception_fp_ieee_inexact 0
		.amdhsa_exception_int_div_zero 0
	.end_amdhsa_kernel
	.section	.text._ZN9rocsolver6v33100L18trti2_kernel_smallILi42E19rocblas_complex_numIfEPKPS3_EEv13rocblas_fill_17rocblas_diagonal_T1_iil,"axG",@progbits,_ZN9rocsolver6v33100L18trti2_kernel_smallILi42E19rocblas_complex_numIfEPKPS3_EEv13rocblas_fill_17rocblas_diagonal_T1_iil,comdat
.Lfunc_end105:
	.size	_ZN9rocsolver6v33100L18trti2_kernel_smallILi42E19rocblas_complex_numIfEPKPS3_EEv13rocblas_fill_17rocblas_diagonal_T1_iil, .Lfunc_end105-_ZN9rocsolver6v33100L18trti2_kernel_smallILi42E19rocblas_complex_numIfEPKPS3_EEv13rocblas_fill_17rocblas_diagonal_T1_iil
                                        ; -- End function
	.set _ZN9rocsolver6v33100L18trti2_kernel_smallILi42E19rocblas_complex_numIfEPKPS3_EEv13rocblas_fill_17rocblas_diagonal_T1_iil.num_vgpr, 125
	.set _ZN9rocsolver6v33100L18trti2_kernel_smallILi42E19rocblas_complex_numIfEPKPS3_EEv13rocblas_fill_17rocblas_diagonal_T1_iil.num_agpr, 0
	.set _ZN9rocsolver6v33100L18trti2_kernel_smallILi42E19rocblas_complex_numIfEPKPS3_EEv13rocblas_fill_17rocblas_diagonal_T1_iil.numbered_sgpr, 48
	.set _ZN9rocsolver6v33100L18trti2_kernel_smallILi42E19rocblas_complex_numIfEPKPS3_EEv13rocblas_fill_17rocblas_diagonal_T1_iil.num_named_barrier, 0
	.set _ZN9rocsolver6v33100L18trti2_kernel_smallILi42E19rocblas_complex_numIfEPKPS3_EEv13rocblas_fill_17rocblas_diagonal_T1_iil.private_seg_size, 352
	.set _ZN9rocsolver6v33100L18trti2_kernel_smallILi42E19rocblas_complex_numIfEPKPS3_EEv13rocblas_fill_17rocblas_diagonal_T1_iil.uses_vcc, 1
	.set _ZN9rocsolver6v33100L18trti2_kernel_smallILi42E19rocblas_complex_numIfEPKPS3_EEv13rocblas_fill_17rocblas_diagonal_T1_iil.uses_flat_scratch, 0
	.set _ZN9rocsolver6v33100L18trti2_kernel_smallILi42E19rocblas_complex_numIfEPKPS3_EEv13rocblas_fill_17rocblas_diagonal_T1_iil.has_dyn_sized_stack, 0
	.set _ZN9rocsolver6v33100L18trti2_kernel_smallILi42E19rocblas_complex_numIfEPKPS3_EEv13rocblas_fill_17rocblas_diagonal_T1_iil.has_recursion, 0
	.set _ZN9rocsolver6v33100L18trti2_kernel_smallILi42E19rocblas_complex_numIfEPKPS3_EEv13rocblas_fill_17rocblas_diagonal_T1_iil.has_indirect_call, 0
	.section	.AMDGPU.csdata,"",@progbits
; Kernel info:
; codeLenInByte = 32392
; TotalNumSgprs: 50
; NumVgprs: 125
; ScratchSize: 352
; MemoryBound: 0
; FloatMode: 240
; IeeeMode: 1
; LDSByteSize: 672 bytes/workgroup (compile time only)
; SGPRBlocks: 0
; VGPRBlocks: 7
; NumSGPRsForWavesPerEU: 50
; NumVGPRsForWavesPerEU: 125
; NamedBarCnt: 0
; Occupancy: 8
; WaveLimiterHint : 1
; COMPUTE_PGM_RSRC2:SCRATCH_EN: 1
; COMPUTE_PGM_RSRC2:USER_SGPR: 2
; COMPUTE_PGM_RSRC2:TRAP_HANDLER: 0
; COMPUTE_PGM_RSRC2:TGID_X_EN: 1
; COMPUTE_PGM_RSRC2:TGID_Y_EN: 0
; COMPUTE_PGM_RSRC2:TGID_Z_EN: 0
; COMPUTE_PGM_RSRC2:TIDIG_COMP_CNT: 0
	.section	.text._ZN9rocsolver6v33100L18trti2_kernel_smallILi43E19rocblas_complex_numIfEPKPS3_EEv13rocblas_fill_17rocblas_diagonal_T1_iil,"axG",@progbits,_ZN9rocsolver6v33100L18trti2_kernel_smallILi43E19rocblas_complex_numIfEPKPS3_EEv13rocblas_fill_17rocblas_diagonal_T1_iil,comdat
	.globl	_ZN9rocsolver6v33100L18trti2_kernel_smallILi43E19rocblas_complex_numIfEPKPS3_EEv13rocblas_fill_17rocblas_diagonal_T1_iil ; -- Begin function _ZN9rocsolver6v33100L18trti2_kernel_smallILi43E19rocblas_complex_numIfEPKPS3_EEv13rocblas_fill_17rocblas_diagonal_T1_iil
	.p2align	8
	.type	_ZN9rocsolver6v33100L18trti2_kernel_smallILi43E19rocblas_complex_numIfEPKPS3_EEv13rocblas_fill_17rocblas_diagonal_T1_iil,@function
_ZN9rocsolver6v33100L18trti2_kernel_smallILi43E19rocblas_complex_numIfEPKPS3_EEv13rocblas_fill_17rocblas_diagonal_T1_iil: ; @_ZN9rocsolver6v33100L18trti2_kernel_smallILi43E19rocblas_complex_numIfEPKPS3_EEv13rocblas_fill_17rocblas_diagonal_T1_iil
; %bb.0:
	s_mov_b32 s2, exec_lo
	v_cmpx_gt_u32_e32 43, v0
	s_cbranch_execz .LBB106_844
; %bb.1:
	s_clause 0x1
	s_load_b64 s[8:9], s[0:1], 0x10
	s_load_b128 s[4:7], s[0:1], 0x0
	s_wait_xcnt 0x0
	s_bfe_u32 s0, ttmp6, 0x4000c
	s_and_b32 s1, ttmp6, 15
	s_add_co_i32 s0, s0, 1
	s_getreg_b32 s2, hwreg(HW_REG_IB_STS2, 6, 4)
	s_mul_i32 s0, ttmp9, s0
	v_dual_mov_b32 v59, 0 :: v_dual_lshlrev_b32 v58, 3, v0
	s_add_co_i32 s0, s1, s0
	s_wait_kmcnt 0x0
	s_ashr_i32 s1, s8, 31
	s_cmp_eq_u32 s2, 0
	s_cselect_b32 s2, ttmp9, s0
	s_mov_b32 s0, s8
	s_ashr_i32 s3, s2, 31
	s_lshl_b64 s[0:1], s[0:1], 3
	s_lshl_b64 s[2:3], s[2:3], 3
	s_delay_alu instid0(SALU_CYCLE_1)
	s_add_nc_u64 s[2:3], s[6:7], s[2:3]
	s_load_b64 s[2:3], s[2:3], 0x0
	s_wait_kmcnt 0x0
	s_add_nc_u64 s[2:3], s[2:3], s[0:1]
	s_mov_b32 s0, s9
	flat_load_b64 v[6:7], v0, s[2:3] scale_offset
	v_add_nc_u64_e32 v[2:3], s[2:3], v[58:59]
	s_ashr_i32 s1, s9, 31
	s_cmp_lg_u32 s5, 0x84
	s_cselect_b32 s5, -1, 0
	s_delay_alu instid0(SALU_CYCLE_1) | instskip(NEXT) | instid1(VALU_DEP_1)
	s_and_b32 vcc_lo, exec_lo, s5
	v_lshl_add_u64 v[4:5], s[0:1], 3, v[2:3]
	s_mov_b32 s0, -1
	s_wait_loadcnt_dscnt 0x0
	scratch_store_b64 off, v[6:7], off
	flat_load_b64 v[8:9], v[4:5]
	s_wait_xcnt 0x1
	v_add3_u32 v6, s9, s9, v0
	s_wait_loadcnt_dscnt 0x0
	scratch_store_b64 off, v[8:9], off offset:8
	flat_load_b64 v[10:11], v6, s[2:3] scale_offset
	s_wait_xcnt 0x1
	v_add_nc_u32_e32 v8, s9, v6
	s_wait_loadcnt_dscnt 0x0
	scratch_store_b64 off, v[10:11], off offset:16
	flat_load_b64 v[12:13], v8, s[2:3] scale_offset
	s_wait_xcnt 0x1
	v_add_nc_u32_e32 v10, s9, v8
	;; [unrolled: 5-line block ×40, first 2 shown]
	s_wait_loadcnt_dscnt 0x0
	scratch_store_b64 off, v[90:91], off offset:328
	flat_load_b64 v[90:91], v88, s[2:3] scale_offset
	s_wait_loadcnt_dscnt 0x0
	scratch_store_b64 off, v[90:91], off offset:336
	s_cbranch_vccz .LBB106_7
; %bb.2:
	scratch_load_b64 v[90:91], v0, off scale_offset
                                        ; implicit-def: $vgpr95
                                        ; implicit-def: $vgpr92
	s_wait_loadcnt 0x0
	v_cmp_ngt_f32_e64 s0, |v90|, |v91|
	s_wait_xcnt 0x0
	s_and_saveexec_b32 s1, s0
	s_delay_alu instid0(SALU_CYCLE_1)
	s_xor_b32 s0, exec_lo, s1
	s_cbranch_execz .LBB106_4
; %bb.3:
	v_div_scale_f32 v1, null, v91, v91, v90
	v_div_scale_f32 v11, vcc_lo, v90, v91, v90
	s_delay_alu instid0(VALU_DEP_2) | instskip(SKIP_1) | instid1(TRANS32_DEP_1)
	v_rcp_f32_e32 v7, v1
	v_nop
	v_fma_f32 v9, -v1, v7, 1.0
	s_delay_alu instid0(VALU_DEP_1) | instskip(NEXT) | instid1(VALU_DEP_1)
	v_fmac_f32_e32 v7, v9, v7
	v_mul_f32_e32 v9, v11, v7
	s_delay_alu instid0(VALU_DEP_1) | instskip(NEXT) | instid1(VALU_DEP_1)
	v_fma_f32 v13, -v1, v9, v11
	v_fmac_f32_e32 v9, v13, v7
	s_delay_alu instid0(VALU_DEP_1) | instskip(NEXT) | instid1(VALU_DEP_1)
	v_fma_f32 v1, -v1, v9, v11
	v_div_fmas_f32 v1, v1, v7, v9
	s_delay_alu instid0(VALU_DEP_1) | instskip(NEXT) | instid1(VALU_DEP_1)
	v_div_fixup_f32 v1, v1, v91, v90
	v_fmac_f32_e32 v91, v90, v1
	s_delay_alu instid0(VALU_DEP_1) | instskip(NEXT) | instid1(VALU_DEP_1)
	v_div_scale_f32 v7, null, v91, v91, -1.0
	v_rcp_f32_e32 v9, v7
	v_nop
	s_delay_alu instid0(TRANS32_DEP_1) | instskip(NEXT) | instid1(VALU_DEP_1)
	v_fma_f32 v11, -v7, v9, 1.0
	v_fmac_f32_e32 v9, v11, v9
	v_div_scale_f32 v11, vcc_lo, -1.0, v91, -1.0
	s_delay_alu instid0(VALU_DEP_1) | instskip(NEXT) | instid1(VALU_DEP_1)
	v_mul_f32_e32 v13, v11, v9
	v_fma_f32 v15, -v7, v13, v11
	s_delay_alu instid0(VALU_DEP_1) | instskip(NEXT) | instid1(VALU_DEP_1)
	v_fmac_f32_e32 v13, v15, v9
	v_fma_f32 v7, -v7, v13, v11
	s_delay_alu instid0(VALU_DEP_1) | instskip(NEXT) | instid1(VALU_DEP_1)
	v_div_fmas_f32 v7, v7, v9, v13
	v_div_fixup_f32 v95, v7, v91, -1.0
                                        ; implicit-def: $vgpr90_vgpr91
	s_delay_alu instid0(VALU_DEP_1) | instskip(NEXT) | instid1(VALU_DEP_1)
	v_mul_f32_e32 v92, v1, v95
	v_xor_b32_e32 v94, 0x80000000, v92
.LBB106_4:
	s_or_saveexec_b32 s0, s0
	v_lshl_add_u32 v1, v0, 3, 0
	s_xor_b32 exec_lo, exec_lo, s0
	s_cbranch_execz .LBB106_6
; %bb.5:
	v_div_scale_f32 v7, null, v90, v90, v91
	v_div_scale_f32 v13, vcc_lo, v91, v90, v91
	s_delay_alu instid0(VALU_DEP_2) | instskip(SKIP_1) | instid1(TRANS32_DEP_1)
	v_rcp_f32_e32 v9, v7
	v_nop
	v_fma_f32 v11, -v7, v9, 1.0
	s_delay_alu instid0(VALU_DEP_1) | instskip(NEXT) | instid1(VALU_DEP_1)
	v_fmac_f32_e32 v9, v11, v9
	v_mul_f32_e32 v11, v13, v9
	s_delay_alu instid0(VALU_DEP_1) | instskip(NEXT) | instid1(VALU_DEP_1)
	v_fma_f32 v15, -v7, v11, v13
	v_fmac_f32_e32 v11, v15, v9
	s_delay_alu instid0(VALU_DEP_1) | instskip(NEXT) | instid1(VALU_DEP_1)
	v_fma_f32 v7, -v7, v11, v13
	v_div_fmas_f32 v7, v7, v9, v11
	s_delay_alu instid0(VALU_DEP_1) | instskip(NEXT) | instid1(VALU_DEP_1)
	v_div_fixup_f32 v7, v7, v90, v91
	v_fmac_f32_e32 v90, v91, v7
	s_delay_alu instid0(VALU_DEP_1) | instskip(SKIP_1) | instid1(VALU_DEP_2)
	v_div_scale_f32 v9, null, v90, v90, 1.0
	v_div_scale_f32 v15, vcc_lo, 1.0, v90, 1.0
	v_rcp_f32_e32 v11, v9
	v_nop
	s_delay_alu instid0(TRANS32_DEP_1) | instskip(NEXT) | instid1(VALU_DEP_1)
	v_fma_f32 v13, -v9, v11, 1.0
	v_fmac_f32_e32 v11, v13, v11
	s_delay_alu instid0(VALU_DEP_1) | instskip(NEXT) | instid1(VALU_DEP_1)
	v_mul_f32_e32 v13, v15, v11
	v_fma_f32 v17, -v9, v13, v15
	s_delay_alu instid0(VALU_DEP_1) | instskip(NEXT) | instid1(VALU_DEP_1)
	v_fmac_f32_e32 v13, v17, v11
	v_fma_f32 v9, -v9, v13, v15
	s_delay_alu instid0(VALU_DEP_1) | instskip(NEXT) | instid1(VALU_DEP_1)
	v_div_fmas_f32 v9, v9, v11, v13
	v_div_fixup_f32 v94, v9, v90, 1.0
	s_delay_alu instid0(VALU_DEP_1)
	v_xor_b32_e32 v92, 0x80000000, v94
	v_mul_f32_e64 v95, v7, -v94
.LBB106_6:
	s_or_b32 exec_lo, exec_lo, s0
	s_delay_alu instid0(VALU_DEP_1)
	v_xor_b32_e32 v93, 0x80000000, v95
	s_mov_b32 s0, 0
	scratch_store_b64 v1, v[94:95], off
	ds_store_b64 v58, v[92:93]
.LBB106_7:
	s_and_b32 vcc_lo, exec_lo, s0
	s_cbranch_vccz .LBB106_9
; %bb.8:
	s_mov_b64 s[0:1], 0xbf800000
	s_wait_xcnt 0x0
	v_mov_b64_e32 v[90:91], s[0:1]
	ds_store_b64 v58, v[90:91]
.LBB106_9:
	v_dual_ashrrev_i32 v7, 31, v6 :: v_dual_ashrrev_i32 v9, 31, v8
	v_dual_ashrrev_i32 v11, 31, v10 :: v_dual_ashrrev_i32 v13, 31, v12
	;; [unrolled: 1-line block ×20, first 2 shown]
	v_dual_ashrrev_i32 v89, 31, v88 :: v_dual_mov_b32 v59, v58
	s_wait_xcnt 0x0
	v_add_nc_u32_e32 v1, 0x160, v58
	s_cmp_eq_u32 s4, 0x79
	s_cbranch_scc1 .LBB106_13
; %bb.10:
	scratch_load_b64 v[90:91], off, off offset:328
	v_cmp_eq_u32_e64 s0, 42, v0
	s_movk_i32 s1, 0x48
	s_movk_i32 s14, 0x50
	;; [unrolled: 1-line block ×32, first 2 shown]
	s_wait_loadcnt 0x0
	ds_store_b64 v1, v[90:91]
	s_wait_storecnt_dscnt 0x0
	s_barrier_signal -1
	s_barrier_wait -1
	s_wait_xcnt 0x0
	s_and_saveexec_b32 s4, s0
	s_cbranch_execz .LBB106_17
; %bb.11:
	s_and_b32 vcc_lo, exec_lo, s5
	s_cbranch_vccz .LBB106_14
; %bb.12:
	scratch_load_b64 v[90:91], v59, off
	ds_load_b64 v[92:93], v1
	s_wait_loadcnt_dscnt 0x0
	v_pk_mul_f32 v[94:95], v[92:93], v[90:91] op_sel:[1,1] op_sel_hi:[0,1]
	v_pk_mul_f32 v[96:97], v[92:93], v[90:91] op_sel_hi:[1,0]
	s_delay_alu instid0(VALU_DEP_2) | instskip(NEXT) | instid1(VALU_DEP_2)
	v_pk_fma_f32 v[90:91], v[92:93], v[90:91], v[94:95] op_sel_hi:[1,0,1]
	v_sub_f32_e32 v90, v96, v94
	s_cbranch_execz .LBB106_15
	s_branch .LBB106_16
.LBB106_13:
	s_mov_b32 s1, 0
                                        ; implicit-def: $vgpr128
                                        ; implicit-def: $sgpr7
	s_cbranch_execnz .LBB106_426
	s_branch .LBB106_841
.LBB106_14:
                                        ; implicit-def: $vgpr91
.LBB106_15:
	ds_load_b64 v[90:91], v1
.LBB106_16:
	s_wait_dscnt 0x0
	v_dual_mov_b32 v92, 0 :: v_dual_mov_b32 v94, v91
	v_mov_b32_e32 v95, v90
	ds_load_b64 v[92:93], v92 offset:328
	s_wait_dscnt 0x0
	v_pk_mul_f32 v[94:95], v[94:95], v[92:93] op_sel:[0,1]
	s_delay_alu instid0(VALU_DEP_1) | instskip(SKIP_1) | instid1(VALU_DEP_2)
	v_pk_fma_f32 v[96:97], v[90:91], v[92:93], v[94:95] op_sel_hi:[1,0,1]
	v_pk_fma_f32 v[90:91], v[90:91], v[92:93], v[94:95] neg_lo:[0,0,1] neg_hi:[0,0,1]
	v_mov_b32_e32 v91, v97
	scratch_store_b64 off, v[90:91], off offset:328
.LBB106_17:
	s_wait_xcnt 0x0
	s_or_b32 exec_lo, exec_lo, s4
	scratch_load_b64 v[90:91], off, off offset:320
	s_mov_b32 s13, s1
	v_cmp_lt_u32_e64 s1, 40, v0
	s_or_b32 s4, 0, 8
	s_mov_b32 s6, 16
	s_mov_b32 s7, 24
	;; [unrolled: 1-line block ×7, first 2 shown]
	s_wait_loadcnt 0x0
	ds_store_b64 v1, v[90:91]
	s_wait_storecnt_dscnt 0x0
	s_barrier_signal -1
	s_barrier_wait -1
	s_wait_xcnt 0x0
	s_and_saveexec_b32 s46, s1
	s_cbranch_execz .LBB106_25
; %bb.18:
	s_and_not1_b32 vcc_lo, exec_lo, s5
	s_cbranch_vccnz .LBB106_20
; %bb.19:
	scratch_load_b64 v[90:91], v59, off
	ds_load_b64 v[92:93], v1
	s_wait_loadcnt_dscnt 0x0
	v_pk_mul_f32 v[94:95], v[92:93], v[90:91] op_sel:[1,1] op_sel_hi:[0,1]
	s_delay_alu instid0(VALU_DEP_1) | instskip(SKIP_1) | instid1(VALU_DEP_2)
	v_pk_fma_f32 v[96:97], v[92:93], v[90:91], v[94:95] op_sel_hi:[1,0,1]
	v_pk_fma_f32 v[90:91], v[92:93], v[90:91], v[94:95] neg_lo:[0,0,1] neg_hi:[0,0,1]
	v_mov_b32_e32 v91, v97
	s_cbranch_execz .LBB106_21
	s_branch .LBB106_22
.LBB106_20:
                                        ; implicit-def: $vgpr90_vgpr91
.LBB106_21:
	ds_load_b64 v[90:91], v1
.LBB106_22:
	s_and_saveexec_b32 s47, s0
	s_cbranch_execz .LBB106_24
; %bb.23:
	scratch_load_b64 v[92:93], off, off offset:328
	v_mov_b32_e32 v94, 0
	ds_load_b64 v[94:95], v94 offset:680
	s_wait_loadcnt_dscnt 0x0
	v_pk_mul_f32 v[96:97], v[94:95], v[92:93] op_sel:[1,1] op_sel_hi:[0,1]
	s_delay_alu instid0(VALU_DEP_1) | instskip(SKIP_1) | instid1(VALU_DEP_2)
	v_pk_fma_f32 v[98:99], v[94:95], v[92:93], v[96:97] op_sel_hi:[1,0,1]
	v_pk_fma_f32 v[92:93], v[94:95], v[92:93], v[96:97] neg_lo:[0,0,1] neg_hi:[0,0,1]
	v_mov_b32_e32 v93, v99
	s_delay_alu instid0(VALU_DEP_1)
	v_pk_add_f32 v[90:91], v[90:91], v[92:93]
.LBB106_24:
	s_or_b32 exec_lo, exec_lo, s47
	v_mov_b32_e32 v92, 0
	ds_load_b64 v[92:93], v92 offset:320
	s_wait_dscnt 0x0
	v_pk_mul_f32 v[94:95], v[90:91], v[92:93] op_sel:[1,1] op_sel_hi:[0,1]
	s_delay_alu instid0(VALU_DEP_1) | instskip(SKIP_1) | instid1(VALU_DEP_2)
	v_pk_fma_f32 v[96:97], v[90:91], v[92:93], v[94:95] op_sel_hi:[1,0,1]
	v_pk_fma_f32 v[90:91], v[90:91], v[92:93], v[94:95] neg_lo:[0,0,1] neg_hi:[0,0,1]
	v_mov_b32_e32 v91, v97
	scratch_store_b64 off, v[90:91], off offset:320
.LBB106_25:
	s_wait_xcnt 0x0
	s_or_b32 exec_lo, exec_lo, s46
	scratch_load_b64 v[90:91], off, off offset:312
	v_cmp_lt_u32_e64 s0, 39, v0
	s_wait_loadcnt 0x0
	ds_store_b64 v1, v[90:91]
	s_wait_storecnt_dscnt 0x0
	s_barrier_signal -1
	s_barrier_wait -1
	s_wait_xcnt 0x0
	s_and_saveexec_b32 s46, s0
	s_cbranch_execz .LBB106_35
; %bb.26:
	s_and_not1_b32 vcc_lo, exec_lo, s5
	s_cbranch_vccnz .LBB106_28
; %bb.27:
	scratch_load_b64 v[90:91], v59, off
	ds_load_b64 v[92:93], v1
	s_wait_loadcnt_dscnt 0x0
	v_pk_mul_f32 v[94:95], v[92:93], v[90:91] op_sel:[1,1] op_sel_hi:[0,1]
	s_delay_alu instid0(VALU_DEP_1) | instskip(SKIP_1) | instid1(VALU_DEP_2)
	v_pk_fma_f32 v[96:97], v[92:93], v[90:91], v[94:95] op_sel_hi:[1,0,1]
	v_pk_fma_f32 v[90:91], v[92:93], v[90:91], v[94:95] neg_lo:[0,0,1] neg_hi:[0,0,1]
	v_mov_b32_e32 v91, v97
	s_cbranch_execz .LBB106_29
	s_branch .LBB106_30
.LBB106_28:
                                        ; implicit-def: $vgpr90_vgpr91
.LBB106_29:
	ds_load_b64 v[90:91], v1
.LBB106_30:
	s_and_saveexec_b32 s47, s1
	s_cbranch_execz .LBB106_34
; %bb.31:
	v_subrev_nc_u32_e32 v92, 40, v0
	s_movk_i32 s48, 0x2a0
	s_mov_b32 s1, 0
.LBB106_32:                             ; =>This Inner Loop Header: Depth=1
	scratch_load_b64 v[94:95], off, s45
	v_dual_mov_b32 v93, s48 :: v_dual_add_nc_u32 v92, -1, v92
	s_add_co_i32 s48, s48, 8
	s_wait_xcnt 0x0
	s_add_co_i32 s45, s45, 8
	ds_load_b64 v[96:97], v93
	v_cmp_eq_u32_e32 vcc_lo, 0, v92
	s_or_b32 s1, vcc_lo, s1
	s_wait_loadcnt_dscnt 0x0
	v_pk_mul_f32 v[98:99], v[96:97], v[94:95] op_sel:[1,1] op_sel_hi:[0,1]
	s_delay_alu instid0(VALU_DEP_1) | instskip(SKIP_1) | instid1(VALU_DEP_2)
	v_pk_fma_f32 v[100:101], v[96:97], v[94:95], v[98:99] op_sel_hi:[1,0,1]
	v_pk_fma_f32 v[94:95], v[96:97], v[94:95], v[98:99] neg_lo:[0,0,1] neg_hi:[0,0,1]
	v_mov_b32_e32 v95, v101
	s_delay_alu instid0(VALU_DEP_1)
	v_pk_add_f32 v[90:91], v[90:91], v[94:95]
	s_and_not1_b32 exec_lo, exec_lo, s1
	s_cbranch_execnz .LBB106_32
; %bb.33:
	s_or_b32 exec_lo, exec_lo, s1
.LBB106_34:
	s_delay_alu instid0(SALU_CYCLE_1) | instskip(SKIP_4) | instid1(VALU_DEP_1)
	s_or_b32 exec_lo, exec_lo, s47
	v_mov_b32_e32 v92, 0
	ds_load_b64 v[92:93], v92 offset:312
	s_wait_dscnt 0x0
	v_pk_mul_f32 v[94:95], v[90:91], v[92:93] op_sel:[1,1] op_sel_hi:[0,1]
	v_pk_fma_f32 v[96:97], v[90:91], v[92:93], v[94:95] op_sel_hi:[1,0,1]
	v_pk_fma_f32 v[90:91], v[90:91], v[92:93], v[94:95] neg_lo:[0,0,1] neg_hi:[0,0,1]
	s_delay_alu instid0(VALU_DEP_2)
	v_mov_b32_e32 v91, v97
	scratch_store_b64 off, v[90:91], off offset:312
.LBB106_35:
	s_wait_xcnt 0x0
	s_or_b32 exec_lo, exec_lo, s46
	scratch_load_b64 v[90:91], off, off offset:304
	v_cmp_lt_u32_e64 s1, 38, v0
	s_wait_loadcnt 0x0
	ds_store_b64 v1, v[90:91]
	s_wait_storecnt_dscnt 0x0
	s_barrier_signal -1
	s_barrier_wait -1
	s_wait_xcnt 0x0
	s_and_saveexec_b32 s45, s1
	s_cbranch_execz .LBB106_45
; %bb.36:
	s_and_not1_b32 vcc_lo, exec_lo, s5
	s_cbranch_vccnz .LBB106_38
; %bb.37:
	scratch_load_b64 v[90:91], v59, off
	ds_load_b64 v[92:93], v1
	s_wait_loadcnt_dscnt 0x0
	v_pk_mul_f32 v[94:95], v[92:93], v[90:91] op_sel:[1,1] op_sel_hi:[0,1]
	s_delay_alu instid0(VALU_DEP_1) | instskip(SKIP_1) | instid1(VALU_DEP_2)
	v_pk_fma_f32 v[96:97], v[92:93], v[90:91], v[94:95] op_sel_hi:[1,0,1]
	v_pk_fma_f32 v[90:91], v[92:93], v[90:91], v[94:95] neg_lo:[0,0,1] neg_hi:[0,0,1]
	v_mov_b32_e32 v91, v97
	s_cbranch_execz .LBB106_39
	s_branch .LBB106_40
.LBB106_38:
                                        ; implicit-def: $vgpr90_vgpr91
.LBB106_39:
	ds_load_b64 v[90:91], v1
.LBB106_40:
	s_and_saveexec_b32 s46, s0
	s_cbranch_execz .LBB106_44
; %bb.41:
	v_subrev_nc_u32_e32 v92, 39, v0
	s_movk_i32 s47, 0x298
	s_mov_b32 s0, 0
.LBB106_42:                             ; =>This Inner Loop Header: Depth=1
	scratch_load_b64 v[94:95], off, s44
	v_dual_mov_b32 v93, s47 :: v_dual_add_nc_u32 v92, -1, v92
	s_add_co_i32 s47, s47, 8
	s_wait_xcnt 0x0
	s_add_co_i32 s44, s44, 8
	ds_load_b64 v[96:97], v93
	v_cmp_eq_u32_e32 vcc_lo, 0, v92
	s_or_b32 s0, vcc_lo, s0
	s_wait_loadcnt_dscnt 0x0
	v_pk_mul_f32 v[98:99], v[96:97], v[94:95] op_sel:[1,1] op_sel_hi:[0,1]
	s_delay_alu instid0(VALU_DEP_1) | instskip(SKIP_1) | instid1(VALU_DEP_2)
	v_pk_fma_f32 v[100:101], v[96:97], v[94:95], v[98:99] op_sel_hi:[1,0,1]
	v_pk_fma_f32 v[94:95], v[96:97], v[94:95], v[98:99] neg_lo:[0,0,1] neg_hi:[0,0,1]
	v_mov_b32_e32 v95, v101
	s_delay_alu instid0(VALU_DEP_1)
	v_pk_add_f32 v[90:91], v[90:91], v[94:95]
	s_and_not1_b32 exec_lo, exec_lo, s0
	s_cbranch_execnz .LBB106_42
; %bb.43:
	s_or_b32 exec_lo, exec_lo, s0
.LBB106_44:
	s_delay_alu instid0(SALU_CYCLE_1) | instskip(SKIP_4) | instid1(VALU_DEP_1)
	s_or_b32 exec_lo, exec_lo, s46
	v_mov_b32_e32 v92, 0
	ds_load_b64 v[92:93], v92 offset:304
	s_wait_dscnt 0x0
	v_pk_mul_f32 v[94:95], v[90:91], v[92:93] op_sel:[1,1] op_sel_hi:[0,1]
	v_pk_fma_f32 v[96:97], v[90:91], v[92:93], v[94:95] op_sel_hi:[1,0,1]
	v_pk_fma_f32 v[90:91], v[90:91], v[92:93], v[94:95] neg_lo:[0,0,1] neg_hi:[0,0,1]
	s_delay_alu instid0(VALU_DEP_2)
	v_mov_b32_e32 v91, v97
	scratch_store_b64 off, v[90:91], off offset:304
.LBB106_45:
	s_wait_xcnt 0x0
	s_or_b32 exec_lo, exec_lo, s45
	scratch_load_b64 v[90:91], off, off offset:296
	v_cmp_lt_u32_e64 s0, 37, v0
	s_wait_loadcnt 0x0
	ds_store_b64 v1, v[90:91]
	s_wait_storecnt_dscnt 0x0
	s_barrier_signal -1
	s_barrier_wait -1
	s_wait_xcnt 0x0
	s_and_saveexec_b32 s44, s0
	s_cbranch_execz .LBB106_55
; %bb.46:
	s_and_not1_b32 vcc_lo, exec_lo, s5
	s_cbranch_vccnz .LBB106_48
; %bb.47:
	scratch_load_b64 v[90:91], v59, off
	ds_load_b64 v[92:93], v1
	s_wait_loadcnt_dscnt 0x0
	v_pk_mul_f32 v[94:95], v[92:93], v[90:91] op_sel:[1,1] op_sel_hi:[0,1]
	s_delay_alu instid0(VALU_DEP_1) | instskip(SKIP_1) | instid1(VALU_DEP_2)
	v_pk_fma_f32 v[96:97], v[92:93], v[90:91], v[94:95] op_sel_hi:[1,0,1]
	v_pk_fma_f32 v[90:91], v[92:93], v[90:91], v[94:95] neg_lo:[0,0,1] neg_hi:[0,0,1]
	v_mov_b32_e32 v91, v97
	s_cbranch_execz .LBB106_49
	s_branch .LBB106_50
.LBB106_48:
                                        ; implicit-def: $vgpr90_vgpr91
.LBB106_49:
	ds_load_b64 v[90:91], v1
.LBB106_50:
	s_and_saveexec_b32 s45, s1
	s_cbranch_execz .LBB106_54
; %bb.51:
	v_subrev_nc_u32_e32 v92, 38, v0
	s_movk_i32 s46, 0x290
	s_mov_b32 s1, 0
.LBB106_52:                             ; =>This Inner Loop Header: Depth=1
	scratch_load_b64 v[94:95], off, s43
	v_dual_mov_b32 v93, s46 :: v_dual_add_nc_u32 v92, -1, v92
	s_add_co_i32 s46, s46, 8
	s_wait_xcnt 0x0
	s_add_co_i32 s43, s43, 8
	ds_load_b64 v[96:97], v93
	v_cmp_eq_u32_e32 vcc_lo, 0, v92
	s_or_b32 s1, vcc_lo, s1
	s_wait_loadcnt_dscnt 0x0
	v_pk_mul_f32 v[98:99], v[96:97], v[94:95] op_sel:[1,1] op_sel_hi:[0,1]
	s_delay_alu instid0(VALU_DEP_1) | instskip(SKIP_1) | instid1(VALU_DEP_2)
	v_pk_fma_f32 v[100:101], v[96:97], v[94:95], v[98:99] op_sel_hi:[1,0,1]
	v_pk_fma_f32 v[94:95], v[96:97], v[94:95], v[98:99] neg_lo:[0,0,1] neg_hi:[0,0,1]
	v_mov_b32_e32 v95, v101
	s_delay_alu instid0(VALU_DEP_1)
	v_pk_add_f32 v[90:91], v[90:91], v[94:95]
	s_and_not1_b32 exec_lo, exec_lo, s1
	s_cbranch_execnz .LBB106_52
; %bb.53:
	s_or_b32 exec_lo, exec_lo, s1
.LBB106_54:
	s_delay_alu instid0(SALU_CYCLE_1) | instskip(SKIP_4) | instid1(VALU_DEP_1)
	s_or_b32 exec_lo, exec_lo, s45
	v_mov_b32_e32 v92, 0
	ds_load_b64 v[92:93], v92 offset:296
	s_wait_dscnt 0x0
	v_pk_mul_f32 v[94:95], v[90:91], v[92:93] op_sel:[1,1] op_sel_hi:[0,1]
	v_pk_fma_f32 v[96:97], v[90:91], v[92:93], v[94:95] op_sel_hi:[1,0,1]
	v_pk_fma_f32 v[90:91], v[90:91], v[92:93], v[94:95] neg_lo:[0,0,1] neg_hi:[0,0,1]
	s_delay_alu instid0(VALU_DEP_2)
	v_mov_b32_e32 v91, v97
	scratch_store_b64 off, v[90:91], off offset:296
.LBB106_55:
	s_wait_xcnt 0x0
	s_or_b32 exec_lo, exec_lo, s44
	scratch_load_b64 v[90:91], off, off offset:288
	v_cmp_lt_u32_e64 s1, 36, v0
	s_wait_loadcnt 0x0
	ds_store_b64 v1, v[90:91]
	s_wait_storecnt_dscnt 0x0
	s_barrier_signal -1
	s_barrier_wait -1
	s_wait_xcnt 0x0
	s_and_saveexec_b32 s43, s1
	s_cbranch_execz .LBB106_65
; %bb.56:
	s_and_not1_b32 vcc_lo, exec_lo, s5
	s_cbranch_vccnz .LBB106_58
; %bb.57:
	scratch_load_b64 v[90:91], v59, off
	ds_load_b64 v[92:93], v1
	s_wait_loadcnt_dscnt 0x0
	v_pk_mul_f32 v[94:95], v[92:93], v[90:91] op_sel:[1,1] op_sel_hi:[0,1]
	s_delay_alu instid0(VALU_DEP_1) | instskip(SKIP_1) | instid1(VALU_DEP_2)
	v_pk_fma_f32 v[96:97], v[92:93], v[90:91], v[94:95] op_sel_hi:[1,0,1]
	v_pk_fma_f32 v[90:91], v[92:93], v[90:91], v[94:95] neg_lo:[0,0,1] neg_hi:[0,0,1]
	v_mov_b32_e32 v91, v97
	s_cbranch_execz .LBB106_59
	s_branch .LBB106_60
.LBB106_58:
                                        ; implicit-def: $vgpr90_vgpr91
.LBB106_59:
	ds_load_b64 v[90:91], v1
.LBB106_60:
	s_and_saveexec_b32 s44, s0
	s_cbranch_execz .LBB106_64
; %bb.61:
	v_subrev_nc_u32_e32 v92, 37, v0
	s_movk_i32 s45, 0x288
	s_mov_b32 s0, 0
.LBB106_62:                             ; =>This Inner Loop Header: Depth=1
	scratch_load_b64 v[94:95], off, s42
	v_dual_mov_b32 v93, s45 :: v_dual_add_nc_u32 v92, -1, v92
	s_add_co_i32 s45, s45, 8
	s_wait_xcnt 0x0
	s_add_co_i32 s42, s42, 8
	ds_load_b64 v[96:97], v93
	v_cmp_eq_u32_e32 vcc_lo, 0, v92
	s_or_b32 s0, vcc_lo, s0
	s_wait_loadcnt_dscnt 0x0
	v_pk_mul_f32 v[98:99], v[96:97], v[94:95] op_sel:[1,1] op_sel_hi:[0,1]
	s_delay_alu instid0(VALU_DEP_1) | instskip(SKIP_1) | instid1(VALU_DEP_2)
	v_pk_fma_f32 v[100:101], v[96:97], v[94:95], v[98:99] op_sel_hi:[1,0,1]
	v_pk_fma_f32 v[94:95], v[96:97], v[94:95], v[98:99] neg_lo:[0,0,1] neg_hi:[0,0,1]
	v_mov_b32_e32 v95, v101
	s_delay_alu instid0(VALU_DEP_1)
	v_pk_add_f32 v[90:91], v[90:91], v[94:95]
	s_and_not1_b32 exec_lo, exec_lo, s0
	s_cbranch_execnz .LBB106_62
; %bb.63:
	s_or_b32 exec_lo, exec_lo, s0
.LBB106_64:
	s_delay_alu instid0(SALU_CYCLE_1) | instskip(SKIP_4) | instid1(VALU_DEP_1)
	s_or_b32 exec_lo, exec_lo, s44
	v_mov_b32_e32 v92, 0
	ds_load_b64 v[92:93], v92 offset:288
	s_wait_dscnt 0x0
	v_pk_mul_f32 v[94:95], v[90:91], v[92:93] op_sel:[1,1] op_sel_hi:[0,1]
	v_pk_fma_f32 v[96:97], v[90:91], v[92:93], v[94:95] op_sel_hi:[1,0,1]
	v_pk_fma_f32 v[90:91], v[90:91], v[92:93], v[94:95] neg_lo:[0,0,1] neg_hi:[0,0,1]
	s_delay_alu instid0(VALU_DEP_2)
	v_mov_b32_e32 v91, v97
	scratch_store_b64 off, v[90:91], off offset:288
.LBB106_65:
	s_wait_xcnt 0x0
	s_or_b32 exec_lo, exec_lo, s43
	scratch_load_b64 v[90:91], off, off offset:280
	v_cmp_lt_u32_e64 s0, 35, v0
	s_wait_loadcnt 0x0
	ds_store_b64 v1, v[90:91]
	s_wait_storecnt_dscnt 0x0
	s_barrier_signal -1
	s_barrier_wait -1
	s_wait_xcnt 0x0
	s_and_saveexec_b32 s42, s0
	s_cbranch_execz .LBB106_75
; %bb.66:
	s_and_not1_b32 vcc_lo, exec_lo, s5
	s_cbranch_vccnz .LBB106_68
; %bb.67:
	scratch_load_b64 v[90:91], v59, off
	ds_load_b64 v[92:93], v1
	s_wait_loadcnt_dscnt 0x0
	v_pk_mul_f32 v[94:95], v[92:93], v[90:91] op_sel:[1,1] op_sel_hi:[0,1]
	s_delay_alu instid0(VALU_DEP_1) | instskip(SKIP_1) | instid1(VALU_DEP_2)
	v_pk_fma_f32 v[96:97], v[92:93], v[90:91], v[94:95] op_sel_hi:[1,0,1]
	v_pk_fma_f32 v[90:91], v[92:93], v[90:91], v[94:95] neg_lo:[0,0,1] neg_hi:[0,0,1]
	v_mov_b32_e32 v91, v97
	s_cbranch_execz .LBB106_69
	s_branch .LBB106_70
.LBB106_68:
                                        ; implicit-def: $vgpr90_vgpr91
.LBB106_69:
	ds_load_b64 v[90:91], v1
.LBB106_70:
	s_and_saveexec_b32 s43, s1
	s_cbranch_execz .LBB106_74
; %bb.71:
	v_subrev_nc_u32_e32 v92, 36, v0
	s_movk_i32 s44, 0x280
	s_mov_b32 s1, 0
.LBB106_72:                             ; =>This Inner Loop Header: Depth=1
	scratch_load_b64 v[94:95], off, s41
	v_dual_mov_b32 v93, s44 :: v_dual_add_nc_u32 v92, -1, v92
	s_add_co_i32 s44, s44, 8
	s_wait_xcnt 0x0
	s_add_co_i32 s41, s41, 8
	ds_load_b64 v[96:97], v93
	v_cmp_eq_u32_e32 vcc_lo, 0, v92
	s_or_b32 s1, vcc_lo, s1
	s_wait_loadcnt_dscnt 0x0
	v_pk_mul_f32 v[98:99], v[96:97], v[94:95] op_sel:[1,1] op_sel_hi:[0,1]
	s_delay_alu instid0(VALU_DEP_1) | instskip(SKIP_1) | instid1(VALU_DEP_2)
	v_pk_fma_f32 v[100:101], v[96:97], v[94:95], v[98:99] op_sel_hi:[1,0,1]
	v_pk_fma_f32 v[94:95], v[96:97], v[94:95], v[98:99] neg_lo:[0,0,1] neg_hi:[0,0,1]
	v_mov_b32_e32 v95, v101
	s_delay_alu instid0(VALU_DEP_1)
	v_pk_add_f32 v[90:91], v[90:91], v[94:95]
	s_and_not1_b32 exec_lo, exec_lo, s1
	s_cbranch_execnz .LBB106_72
; %bb.73:
	s_or_b32 exec_lo, exec_lo, s1
.LBB106_74:
	s_delay_alu instid0(SALU_CYCLE_1) | instskip(SKIP_4) | instid1(VALU_DEP_1)
	s_or_b32 exec_lo, exec_lo, s43
	v_mov_b32_e32 v92, 0
	ds_load_b64 v[92:93], v92 offset:280
	s_wait_dscnt 0x0
	v_pk_mul_f32 v[94:95], v[90:91], v[92:93] op_sel:[1,1] op_sel_hi:[0,1]
	v_pk_fma_f32 v[96:97], v[90:91], v[92:93], v[94:95] op_sel_hi:[1,0,1]
	v_pk_fma_f32 v[90:91], v[90:91], v[92:93], v[94:95] neg_lo:[0,0,1] neg_hi:[0,0,1]
	s_delay_alu instid0(VALU_DEP_2)
	v_mov_b32_e32 v91, v97
	scratch_store_b64 off, v[90:91], off offset:280
.LBB106_75:
	s_wait_xcnt 0x0
	s_or_b32 exec_lo, exec_lo, s42
	scratch_load_b64 v[90:91], off, off offset:272
	v_cmp_lt_u32_e64 s1, 34, v0
	s_wait_loadcnt 0x0
	ds_store_b64 v1, v[90:91]
	s_wait_storecnt_dscnt 0x0
	s_barrier_signal -1
	s_barrier_wait -1
	s_wait_xcnt 0x0
	s_and_saveexec_b32 s41, s1
	s_cbranch_execz .LBB106_85
; %bb.76:
	s_and_not1_b32 vcc_lo, exec_lo, s5
	s_cbranch_vccnz .LBB106_78
; %bb.77:
	scratch_load_b64 v[90:91], v59, off
	ds_load_b64 v[92:93], v1
	s_wait_loadcnt_dscnt 0x0
	v_pk_mul_f32 v[94:95], v[92:93], v[90:91] op_sel:[1,1] op_sel_hi:[0,1]
	s_delay_alu instid0(VALU_DEP_1) | instskip(SKIP_1) | instid1(VALU_DEP_2)
	v_pk_fma_f32 v[96:97], v[92:93], v[90:91], v[94:95] op_sel_hi:[1,0,1]
	v_pk_fma_f32 v[90:91], v[92:93], v[90:91], v[94:95] neg_lo:[0,0,1] neg_hi:[0,0,1]
	v_mov_b32_e32 v91, v97
	s_cbranch_execz .LBB106_79
	s_branch .LBB106_80
.LBB106_78:
                                        ; implicit-def: $vgpr90_vgpr91
.LBB106_79:
	ds_load_b64 v[90:91], v1
.LBB106_80:
	s_and_saveexec_b32 s42, s0
	s_cbranch_execz .LBB106_84
; %bb.81:
	v_subrev_nc_u32_e32 v92, 35, v0
	s_movk_i32 s43, 0x278
	s_mov_b32 s0, 0
.LBB106_82:                             ; =>This Inner Loop Header: Depth=1
	scratch_load_b64 v[94:95], off, s40
	v_dual_mov_b32 v93, s43 :: v_dual_add_nc_u32 v92, -1, v92
	s_add_co_i32 s43, s43, 8
	s_wait_xcnt 0x0
	s_add_co_i32 s40, s40, 8
	ds_load_b64 v[96:97], v93
	v_cmp_eq_u32_e32 vcc_lo, 0, v92
	s_or_b32 s0, vcc_lo, s0
	s_wait_loadcnt_dscnt 0x0
	v_pk_mul_f32 v[98:99], v[96:97], v[94:95] op_sel:[1,1] op_sel_hi:[0,1]
	s_delay_alu instid0(VALU_DEP_1) | instskip(SKIP_1) | instid1(VALU_DEP_2)
	v_pk_fma_f32 v[100:101], v[96:97], v[94:95], v[98:99] op_sel_hi:[1,0,1]
	v_pk_fma_f32 v[94:95], v[96:97], v[94:95], v[98:99] neg_lo:[0,0,1] neg_hi:[0,0,1]
	v_mov_b32_e32 v95, v101
	s_delay_alu instid0(VALU_DEP_1)
	v_pk_add_f32 v[90:91], v[90:91], v[94:95]
	s_and_not1_b32 exec_lo, exec_lo, s0
	s_cbranch_execnz .LBB106_82
; %bb.83:
	s_or_b32 exec_lo, exec_lo, s0
.LBB106_84:
	s_delay_alu instid0(SALU_CYCLE_1) | instskip(SKIP_4) | instid1(VALU_DEP_1)
	s_or_b32 exec_lo, exec_lo, s42
	v_mov_b32_e32 v92, 0
	ds_load_b64 v[92:93], v92 offset:272
	s_wait_dscnt 0x0
	v_pk_mul_f32 v[94:95], v[90:91], v[92:93] op_sel:[1,1] op_sel_hi:[0,1]
	v_pk_fma_f32 v[96:97], v[90:91], v[92:93], v[94:95] op_sel_hi:[1,0,1]
	v_pk_fma_f32 v[90:91], v[90:91], v[92:93], v[94:95] neg_lo:[0,0,1] neg_hi:[0,0,1]
	s_delay_alu instid0(VALU_DEP_2)
	v_mov_b32_e32 v91, v97
	scratch_store_b64 off, v[90:91], off offset:272
.LBB106_85:
	s_wait_xcnt 0x0
	s_or_b32 exec_lo, exec_lo, s41
	scratch_load_b64 v[90:91], off, off offset:264
	v_cmp_lt_u32_e64 s0, 33, v0
	s_wait_loadcnt 0x0
	ds_store_b64 v1, v[90:91]
	s_wait_storecnt_dscnt 0x0
	s_barrier_signal -1
	s_barrier_wait -1
	s_wait_xcnt 0x0
	s_and_saveexec_b32 s40, s0
	s_cbranch_execz .LBB106_95
; %bb.86:
	s_and_not1_b32 vcc_lo, exec_lo, s5
	s_cbranch_vccnz .LBB106_88
; %bb.87:
	scratch_load_b64 v[90:91], v59, off
	ds_load_b64 v[92:93], v1
	s_wait_loadcnt_dscnt 0x0
	v_pk_mul_f32 v[94:95], v[92:93], v[90:91] op_sel:[1,1] op_sel_hi:[0,1]
	s_delay_alu instid0(VALU_DEP_1) | instskip(SKIP_1) | instid1(VALU_DEP_2)
	v_pk_fma_f32 v[96:97], v[92:93], v[90:91], v[94:95] op_sel_hi:[1,0,1]
	v_pk_fma_f32 v[90:91], v[92:93], v[90:91], v[94:95] neg_lo:[0,0,1] neg_hi:[0,0,1]
	v_mov_b32_e32 v91, v97
	s_cbranch_execz .LBB106_89
	s_branch .LBB106_90
.LBB106_88:
                                        ; implicit-def: $vgpr90_vgpr91
.LBB106_89:
	ds_load_b64 v[90:91], v1
.LBB106_90:
	s_and_saveexec_b32 s41, s1
	s_cbranch_execz .LBB106_94
; %bb.91:
	v_subrev_nc_u32_e32 v92, 34, v0
	s_movk_i32 s42, 0x270
	s_mov_b32 s1, 0
.LBB106_92:                             ; =>This Inner Loop Header: Depth=1
	scratch_load_b64 v[94:95], off, s39
	v_dual_mov_b32 v93, s42 :: v_dual_add_nc_u32 v92, -1, v92
	s_add_co_i32 s42, s42, 8
	s_wait_xcnt 0x0
	s_add_co_i32 s39, s39, 8
	ds_load_b64 v[96:97], v93
	v_cmp_eq_u32_e32 vcc_lo, 0, v92
	s_or_b32 s1, vcc_lo, s1
	s_wait_loadcnt_dscnt 0x0
	v_pk_mul_f32 v[98:99], v[96:97], v[94:95] op_sel:[1,1] op_sel_hi:[0,1]
	s_delay_alu instid0(VALU_DEP_1) | instskip(SKIP_1) | instid1(VALU_DEP_2)
	v_pk_fma_f32 v[100:101], v[96:97], v[94:95], v[98:99] op_sel_hi:[1,0,1]
	v_pk_fma_f32 v[94:95], v[96:97], v[94:95], v[98:99] neg_lo:[0,0,1] neg_hi:[0,0,1]
	v_mov_b32_e32 v95, v101
	s_delay_alu instid0(VALU_DEP_1)
	v_pk_add_f32 v[90:91], v[90:91], v[94:95]
	s_and_not1_b32 exec_lo, exec_lo, s1
	s_cbranch_execnz .LBB106_92
; %bb.93:
	s_or_b32 exec_lo, exec_lo, s1
.LBB106_94:
	s_delay_alu instid0(SALU_CYCLE_1) | instskip(SKIP_4) | instid1(VALU_DEP_1)
	s_or_b32 exec_lo, exec_lo, s41
	v_mov_b32_e32 v92, 0
	ds_load_b64 v[92:93], v92 offset:264
	s_wait_dscnt 0x0
	v_pk_mul_f32 v[94:95], v[90:91], v[92:93] op_sel:[1,1] op_sel_hi:[0,1]
	v_pk_fma_f32 v[96:97], v[90:91], v[92:93], v[94:95] op_sel_hi:[1,0,1]
	v_pk_fma_f32 v[90:91], v[90:91], v[92:93], v[94:95] neg_lo:[0,0,1] neg_hi:[0,0,1]
	s_delay_alu instid0(VALU_DEP_2)
	v_mov_b32_e32 v91, v97
	scratch_store_b64 off, v[90:91], off offset:264
.LBB106_95:
	s_wait_xcnt 0x0
	s_or_b32 exec_lo, exec_lo, s40
	scratch_load_b64 v[90:91], off, off offset:256
	v_cmp_lt_u32_e64 s1, 32, v0
	s_wait_loadcnt 0x0
	ds_store_b64 v1, v[90:91]
	s_wait_storecnt_dscnt 0x0
	s_barrier_signal -1
	s_barrier_wait -1
	s_wait_xcnt 0x0
	s_and_saveexec_b32 s39, s1
	s_cbranch_execz .LBB106_105
; %bb.96:
	s_and_not1_b32 vcc_lo, exec_lo, s5
	s_cbranch_vccnz .LBB106_98
; %bb.97:
	scratch_load_b64 v[90:91], v59, off
	ds_load_b64 v[92:93], v1
	s_wait_loadcnt_dscnt 0x0
	v_pk_mul_f32 v[94:95], v[92:93], v[90:91] op_sel:[1,1] op_sel_hi:[0,1]
	s_delay_alu instid0(VALU_DEP_1) | instskip(SKIP_1) | instid1(VALU_DEP_2)
	v_pk_fma_f32 v[96:97], v[92:93], v[90:91], v[94:95] op_sel_hi:[1,0,1]
	v_pk_fma_f32 v[90:91], v[92:93], v[90:91], v[94:95] neg_lo:[0,0,1] neg_hi:[0,0,1]
	v_mov_b32_e32 v91, v97
	s_cbranch_execz .LBB106_99
	s_branch .LBB106_100
.LBB106_98:
                                        ; implicit-def: $vgpr90_vgpr91
.LBB106_99:
	ds_load_b64 v[90:91], v1
.LBB106_100:
	s_and_saveexec_b32 s40, s0
	s_cbranch_execz .LBB106_104
; %bb.101:
	v_subrev_nc_u32_e32 v92, 33, v0
	s_movk_i32 s41, 0x268
	s_mov_b32 s0, 0
.LBB106_102:                            ; =>This Inner Loop Header: Depth=1
	scratch_load_b64 v[94:95], off, s38
	v_dual_mov_b32 v93, s41 :: v_dual_add_nc_u32 v92, -1, v92
	s_add_co_i32 s41, s41, 8
	s_wait_xcnt 0x0
	s_add_co_i32 s38, s38, 8
	ds_load_b64 v[96:97], v93
	v_cmp_eq_u32_e32 vcc_lo, 0, v92
	s_or_b32 s0, vcc_lo, s0
	s_wait_loadcnt_dscnt 0x0
	v_pk_mul_f32 v[98:99], v[96:97], v[94:95] op_sel:[1,1] op_sel_hi:[0,1]
	s_delay_alu instid0(VALU_DEP_1) | instskip(SKIP_1) | instid1(VALU_DEP_2)
	v_pk_fma_f32 v[100:101], v[96:97], v[94:95], v[98:99] op_sel_hi:[1,0,1]
	v_pk_fma_f32 v[94:95], v[96:97], v[94:95], v[98:99] neg_lo:[0,0,1] neg_hi:[0,0,1]
	v_mov_b32_e32 v95, v101
	s_delay_alu instid0(VALU_DEP_1)
	v_pk_add_f32 v[90:91], v[90:91], v[94:95]
	s_and_not1_b32 exec_lo, exec_lo, s0
	s_cbranch_execnz .LBB106_102
; %bb.103:
	s_or_b32 exec_lo, exec_lo, s0
.LBB106_104:
	s_delay_alu instid0(SALU_CYCLE_1) | instskip(SKIP_4) | instid1(VALU_DEP_1)
	s_or_b32 exec_lo, exec_lo, s40
	v_mov_b32_e32 v92, 0
	ds_load_b64 v[92:93], v92 offset:256
	s_wait_dscnt 0x0
	v_pk_mul_f32 v[94:95], v[90:91], v[92:93] op_sel:[1,1] op_sel_hi:[0,1]
	v_pk_fma_f32 v[96:97], v[90:91], v[92:93], v[94:95] op_sel_hi:[1,0,1]
	v_pk_fma_f32 v[90:91], v[90:91], v[92:93], v[94:95] neg_lo:[0,0,1] neg_hi:[0,0,1]
	s_delay_alu instid0(VALU_DEP_2)
	v_mov_b32_e32 v91, v97
	scratch_store_b64 off, v[90:91], off offset:256
.LBB106_105:
	s_wait_xcnt 0x0
	s_or_b32 exec_lo, exec_lo, s39
	scratch_load_b64 v[90:91], off, off offset:248
	v_cmp_lt_u32_e64 s0, 31, v0
	s_wait_loadcnt 0x0
	ds_store_b64 v1, v[90:91]
	s_wait_storecnt_dscnt 0x0
	s_barrier_signal -1
	s_barrier_wait -1
	s_wait_xcnt 0x0
	s_and_saveexec_b32 s38, s0
	s_cbranch_execz .LBB106_115
; %bb.106:
	s_and_not1_b32 vcc_lo, exec_lo, s5
	s_cbranch_vccnz .LBB106_108
; %bb.107:
	scratch_load_b64 v[90:91], v59, off
	ds_load_b64 v[92:93], v1
	s_wait_loadcnt_dscnt 0x0
	v_pk_mul_f32 v[94:95], v[92:93], v[90:91] op_sel:[1,1] op_sel_hi:[0,1]
	s_delay_alu instid0(VALU_DEP_1) | instskip(SKIP_1) | instid1(VALU_DEP_2)
	v_pk_fma_f32 v[96:97], v[92:93], v[90:91], v[94:95] op_sel_hi:[1,0,1]
	v_pk_fma_f32 v[90:91], v[92:93], v[90:91], v[94:95] neg_lo:[0,0,1] neg_hi:[0,0,1]
	v_mov_b32_e32 v91, v97
	s_cbranch_execz .LBB106_109
	s_branch .LBB106_110
.LBB106_108:
                                        ; implicit-def: $vgpr90_vgpr91
.LBB106_109:
	ds_load_b64 v[90:91], v1
.LBB106_110:
	s_and_saveexec_b32 s39, s1
	s_cbranch_execz .LBB106_114
; %bb.111:
	v_subrev_nc_u32_e32 v92, 32, v0
	s_movk_i32 s40, 0x260
	s_mov_b32 s1, 0
.LBB106_112:                            ; =>This Inner Loop Header: Depth=1
	scratch_load_b64 v[94:95], off, s37
	v_dual_mov_b32 v93, s40 :: v_dual_add_nc_u32 v92, -1, v92
	s_add_co_i32 s40, s40, 8
	s_wait_xcnt 0x0
	s_add_co_i32 s37, s37, 8
	ds_load_b64 v[96:97], v93
	v_cmp_eq_u32_e32 vcc_lo, 0, v92
	s_or_b32 s1, vcc_lo, s1
	s_wait_loadcnt_dscnt 0x0
	v_pk_mul_f32 v[98:99], v[96:97], v[94:95] op_sel:[1,1] op_sel_hi:[0,1]
	s_delay_alu instid0(VALU_DEP_1) | instskip(SKIP_1) | instid1(VALU_DEP_2)
	v_pk_fma_f32 v[100:101], v[96:97], v[94:95], v[98:99] op_sel_hi:[1,0,1]
	v_pk_fma_f32 v[94:95], v[96:97], v[94:95], v[98:99] neg_lo:[0,0,1] neg_hi:[0,0,1]
	v_mov_b32_e32 v95, v101
	s_delay_alu instid0(VALU_DEP_1)
	v_pk_add_f32 v[90:91], v[90:91], v[94:95]
	s_and_not1_b32 exec_lo, exec_lo, s1
	s_cbranch_execnz .LBB106_112
; %bb.113:
	s_or_b32 exec_lo, exec_lo, s1
.LBB106_114:
	s_delay_alu instid0(SALU_CYCLE_1) | instskip(SKIP_4) | instid1(VALU_DEP_1)
	s_or_b32 exec_lo, exec_lo, s39
	v_mov_b32_e32 v92, 0
	ds_load_b64 v[92:93], v92 offset:248
	s_wait_dscnt 0x0
	v_pk_mul_f32 v[94:95], v[90:91], v[92:93] op_sel:[1,1] op_sel_hi:[0,1]
	v_pk_fma_f32 v[96:97], v[90:91], v[92:93], v[94:95] op_sel_hi:[1,0,1]
	v_pk_fma_f32 v[90:91], v[90:91], v[92:93], v[94:95] neg_lo:[0,0,1] neg_hi:[0,0,1]
	s_delay_alu instid0(VALU_DEP_2)
	v_mov_b32_e32 v91, v97
	scratch_store_b64 off, v[90:91], off offset:248
.LBB106_115:
	s_wait_xcnt 0x0
	s_or_b32 exec_lo, exec_lo, s38
	scratch_load_b64 v[90:91], off, off offset:240
	v_cmp_lt_u32_e64 s1, 30, v0
	s_wait_loadcnt 0x0
	ds_store_b64 v1, v[90:91]
	s_wait_storecnt_dscnt 0x0
	s_barrier_signal -1
	s_barrier_wait -1
	s_wait_xcnt 0x0
	s_and_saveexec_b32 s37, s1
	s_cbranch_execz .LBB106_125
; %bb.116:
	s_and_not1_b32 vcc_lo, exec_lo, s5
	s_cbranch_vccnz .LBB106_118
; %bb.117:
	scratch_load_b64 v[90:91], v59, off
	ds_load_b64 v[92:93], v1
	s_wait_loadcnt_dscnt 0x0
	v_pk_mul_f32 v[94:95], v[92:93], v[90:91] op_sel:[1,1] op_sel_hi:[0,1]
	s_delay_alu instid0(VALU_DEP_1) | instskip(SKIP_1) | instid1(VALU_DEP_2)
	v_pk_fma_f32 v[96:97], v[92:93], v[90:91], v[94:95] op_sel_hi:[1,0,1]
	v_pk_fma_f32 v[90:91], v[92:93], v[90:91], v[94:95] neg_lo:[0,0,1] neg_hi:[0,0,1]
	v_mov_b32_e32 v91, v97
	s_cbranch_execz .LBB106_119
	s_branch .LBB106_120
.LBB106_118:
                                        ; implicit-def: $vgpr90_vgpr91
.LBB106_119:
	ds_load_b64 v[90:91], v1
.LBB106_120:
	s_and_saveexec_b32 s38, s0
	s_cbranch_execz .LBB106_124
; %bb.121:
	v_subrev_nc_u32_e32 v92, 31, v0
	s_movk_i32 s39, 0x258
	s_mov_b32 s0, 0
.LBB106_122:                            ; =>This Inner Loop Header: Depth=1
	scratch_load_b64 v[94:95], off, s36
	v_dual_mov_b32 v93, s39 :: v_dual_add_nc_u32 v92, -1, v92
	s_add_co_i32 s39, s39, 8
	s_wait_xcnt 0x0
	s_add_co_i32 s36, s36, 8
	ds_load_b64 v[96:97], v93
	v_cmp_eq_u32_e32 vcc_lo, 0, v92
	s_or_b32 s0, vcc_lo, s0
	s_wait_loadcnt_dscnt 0x0
	v_pk_mul_f32 v[98:99], v[96:97], v[94:95] op_sel:[1,1] op_sel_hi:[0,1]
	s_delay_alu instid0(VALU_DEP_1) | instskip(SKIP_1) | instid1(VALU_DEP_2)
	v_pk_fma_f32 v[100:101], v[96:97], v[94:95], v[98:99] op_sel_hi:[1,0,1]
	v_pk_fma_f32 v[94:95], v[96:97], v[94:95], v[98:99] neg_lo:[0,0,1] neg_hi:[0,0,1]
	v_mov_b32_e32 v95, v101
	s_delay_alu instid0(VALU_DEP_1)
	v_pk_add_f32 v[90:91], v[90:91], v[94:95]
	s_and_not1_b32 exec_lo, exec_lo, s0
	s_cbranch_execnz .LBB106_122
; %bb.123:
	s_or_b32 exec_lo, exec_lo, s0
.LBB106_124:
	s_delay_alu instid0(SALU_CYCLE_1) | instskip(SKIP_4) | instid1(VALU_DEP_1)
	s_or_b32 exec_lo, exec_lo, s38
	v_mov_b32_e32 v92, 0
	ds_load_b64 v[92:93], v92 offset:240
	s_wait_dscnt 0x0
	v_pk_mul_f32 v[94:95], v[90:91], v[92:93] op_sel:[1,1] op_sel_hi:[0,1]
	v_pk_fma_f32 v[96:97], v[90:91], v[92:93], v[94:95] op_sel_hi:[1,0,1]
	v_pk_fma_f32 v[90:91], v[90:91], v[92:93], v[94:95] neg_lo:[0,0,1] neg_hi:[0,0,1]
	s_delay_alu instid0(VALU_DEP_2)
	v_mov_b32_e32 v91, v97
	scratch_store_b64 off, v[90:91], off offset:240
.LBB106_125:
	s_wait_xcnt 0x0
	s_or_b32 exec_lo, exec_lo, s37
	scratch_load_b64 v[90:91], off, off offset:232
	v_cmp_lt_u32_e64 s0, 29, v0
	s_wait_loadcnt 0x0
	ds_store_b64 v1, v[90:91]
	s_wait_storecnt_dscnt 0x0
	s_barrier_signal -1
	s_barrier_wait -1
	s_wait_xcnt 0x0
	s_and_saveexec_b32 s36, s0
	s_cbranch_execz .LBB106_135
; %bb.126:
	s_and_not1_b32 vcc_lo, exec_lo, s5
	s_cbranch_vccnz .LBB106_128
; %bb.127:
	scratch_load_b64 v[90:91], v59, off
	ds_load_b64 v[92:93], v1
	s_wait_loadcnt_dscnt 0x0
	v_pk_mul_f32 v[94:95], v[92:93], v[90:91] op_sel:[1,1] op_sel_hi:[0,1]
	s_delay_alu instid0(VALU_DEP_1) | instskip(SKIP_1) | instid1(VALU_DEP_2)
	v_pk_fma_f32 v[96:97], v[92:93], v[90:91], v[94:95] op_sel_hi:[1,0,1]
	v_pk_fma_f32 v[90:91], v[92:93], v[90:91], v[94:95] neg_lo:[0,0,1] neg_hi:[0,0,1]
	v_mov_b32_e32 v91, v97
	s_cbranch_execz .LBB106_129
	s_branch .LBB106_130
.LBB106_128:
                                        ; implicit-def: $vgpr90_vgpr91
.LBB106_129:
	ds_load_b64 v[90:91], v1
.LBB106_130:
	s_and_saveexec_b32 s37, s1
	s_cbranch_execz .LBB106_134
; %bb.131:
	v_subrev_nc_u32_e32 v92, 30, v0
	s_movk_i32 s38, 0x250
	s_mov_b32 s1, 0
.LBB106_132:                            ; =>This Inner Loop Header: Depth=1
	scratch_load_b64 v[94:95], off, s35
	v_dual_mov_b32 v93, s38 :: v_dual_add_nc_u32 v92, -1, v92
	s_add_co_i32 s38, s38, 8
	s_wait_xcnt 0x0
	s_add_co_i32 s35, s35, 8
	ds_load_b64 v[96:97], v93
	v_cmp_eq_u32_e32 vcc_lo, 0, v92
	s_or_b32 s1, vcc_lo, s1
	s_wait_loadcnt_dscnt 0x0
	v_pk_mul_f32 v[98:99], v[96:97], v[94:95] op_sel:[1,1] op_sel_hi:[0,1]
	s_delay_alu instid0(VALU_DEP_1) | instskip(SKIP_1) | instid1(VALU_DEP_2)
	v_pk_fma_f32 v[100:101], v[96:97], v[94:95], v[98:99] op_sel_hi:[1,0,1]
	v_pk_fma_f32 v[94:95], v[96:97], v[94:95], v[98:99] neg_lo:[0,0,1] neg_hi:[0,0,1]
	v_mov_b32_e32 v95, v101
	s_delay_alu instid0(VALU_DEP_1)
	v_pk_add_f32 v[90:91], v[90:91], v[94:95]
	s_and_not1_b32 exec_lo, exec_lo, s1
	s_cbranch_execnz .LBB106_132
; %bb.133:
	s_or_b32 exec_lo, exec_lo, s1
.LBB106_134:
	s_delay_alu instid0(SALU_CYCLE_1) | instskip(SKIP_4) | instid1(VALU_DEP_1)
	s_or_b32 exec_lo, exec_lo, s37
	v_mov_b32_e32 v92, 0
	ds_load_b64 v[92:93], v92 offset:232
	s_wait_dscnt 0x0
	v_pk_mul_f32 v[94:95], v[90:91], v[92:93] op_sel:[1,1] op_sel_hi:[0,1]
	v_pk_fma_f32 v[96:97], v[90:91], v[92:93], v[94:95] op_sel_hi:[1,0,1]
	v_pk_fma_f32 v[90:91], v[90:91], v[92:93], v[94:95] neg_lo:[0,0,1] neg_hi:[0,0,1]
	s_delay_alu instid0(VALU_DEP_2)
	v_mov_b32_e32 v91, v97
	scratch_store_b64 off, v[90:91], off offset:232
.LBB106_135:
	s_wait_xcnt 0x0
	s_or_b32 exec_lo, exec_lo, s36
	scratch_load_b64 v[90:91], off, off offset:224
	v_cmp_lt_u32_e64 s1, 28, v0
	s_wait_loadcnt 0x0
	ds_store_b64 v1, v[90:91]
	s_wait_storecnt_dscnt 0x0
	s_barrier_signal -1
	s_barrier_wait -1
	s_wait_xcnt 0x0
	s_and_saveexec_b32 s35, s1
	s_cbranch_execz .LBB106_145
; %bb.136:
	s_and_not1_b32 vcc_lo, exec_lo, s5
	s_cbranch_vccnz .LBB106_138
; %bb.137:
	scratch_load_b64 v[90:91], v59, off
	ds_load_b64 v[92:93], v1
	s_wait_loadcnt_dscnt 0x0
	v_pk_mul_f32 v[94:95], v[92:93], v[90:91] op_sel:[1,1] op_sel_hi:[0,1]
	s_delay_alu instid0(VALU_DEP_1) | instskip(SKIP_1) | instid1(VALU_DEP_2)
	v_pk_fma_f32 v[96:97], v[92:93], v[90:91], v[94:95] op_sel_hi:[1,0,1]
	v_pk_fma_f32 v[90:91], v[92:93], v[90:91], v[94:95] neg_lo:[0,0,1] neg_hi:[0,0,1]
	v_mov_b32_e32 v91, v97
	s_cbranch_execz .LBB106_139
	s_branch .LBB106_140
.LBB106_138:
                                        ; implicit-def: $vgpr90_vgpr91
.LBB106_139:
	ds_load_b64 v[90:91], v1
.LBB106_140:
	s_and_saveexec_b32 s36, s0
	s_cbranch_execz .LBB106_144
; %bb.141:
	v_subrev_nc_u32_e32 v92, 29, v0
	s_movk_i32 s37, 0x248
	s_mov_b32 s0, 0
.LBB106_142:                            ; =>This Inner Loop Header: Depth=1
	scratch_load_b64 v[94:95], off, s34
	v_dual_mov_b32 v93, s37 :: v_dual_add_nc_u32 v92, -1, v92
	s_add_co_i32 s37, s37, 8
	s_wait_xcnt 0x0
	s_add_co_i32 s34, s34, 8
	ds_load_b64 v[96:97], v93
	v_cmp_eq_u32_e32 vcc_lo, 0, v92
	s_or_b32 s0, vcc_lo, s0
	s_wait_loadcnt_dscnt 0x0
	v_pk_mul_f32 v[98:99], v[96:97], v[94:95] op_sel:[1,1] op_sel_hi:[0,1]
	s_delay_alu instid0(VALU_DEP_1) | instskip(SKIP_1) | instid1(VALU_DEP_2)
	v_pk_fma_f32 v[100:101], v[96:97], v[94:95], v[98:99] op_sel_hi:[1,0,1]
	v_pk_fma_f32 v[94:95], v[96:97], v[94:95], v[98:99] neg_lo:[0,0,1] neg_hi:[0,0,1]
	v_mov_b32_e32 v95, v101
	s_delay_alu instid0(VALU_DEP_1)
	v_pk_add_f32 v[90:91], v[90:91], v[94:95]
	s_and_not1_b32 exec_lo, exec_lo, s0
	s_cbranch_execnz .LBB106_142
; %bb.143:
	s_or_b32 exec_lo, exec_lo, s0
.LBB106_144:
	s_delay_alu instid0(SALU_CYCLE_1) | instskip(SKIP_4) | instid1(VALU_DEP_1)
	s_or_b32 exec_lo, exec_lo, s36
	v_mov_b32_e32 v92, 0
	ds_load_b64 v[92:93], v92 offset:224
	s_wait_dscnt 0x0
	v_pk_mul_f32 v[94:95], v[90:91], v[92:93] op_sel:[1,1] op_sel_hi:[0,1]
	v_pk_fma_f32 v[96:97], v[90:91], v[92:93], v[94:95] op_sel_hi:[1,0,1]
	v_pk_fma_f32 v[90:91], v[90:91], v[92:93], v[94:95] neg_lo:[0,0,1] neg_hi:[0,0,1]
	s_delay_alu instid0(VALU_DEP_2)
	v_mov_b32_e32 v91, v97
	scratch_store_b64 off, v[90:91], off offset:224
.LBB106_145:
	s_wait_xcnt 0x0
	s_or_b32 exec_lo, exec_lo, s35
	scratch_load_b64 v[90:91], off, off offset:216
	v_cmp_lt_u32_e64 s0, 27, v0
	s_wait_loadcnt 0x0
	ds_store_b64 v1, v[90:91]
	s_wait_storecnt_dscnt 0x0
	s_barrier_signal -1
	s_barrier_wait -1
	s_wait_xcnt 0x0
	s_and_saveexec_b32 s34, s0
	s_cbranch_execz .LBB106_155
; %bb.146:
	s_and_not1_b32 vcc_lo, exec_lo, s5
	s_cbranch_vccnz .LBB106_148
; %bb.147:
	scratch_load_b64 v[90:91], v59, off
	ds_load_b64 v[92:93], v1
	s_wait_loadcnt_dscnt 0x0
	v_pk_mul_f32 v[94:95], v[92:93], v[90:91] op_sel:[1,1] op_sel_hi:[0,1]
	s_delay_alu instid0(VALU_DEP_1) | instskip(SKIP_1) | instid1(VALU_DEP_2)
	v_pk_fma_f32 v[96:97], v[92:93], v[90:91], v[94:95] op_sel_hi:[1,0,1]
	v_pk_fma_f32 v[90:91], v[92:93], v[90:91], v[94:95] neg_lo:[0,0,1] neg_hi:[0,0,1]
	v_mov_b32_e32 v91, v97
	s_cbranch_execz .LBB106_149
	s_branch .LBB106_150
.LBB106_148:
                                        ; implicit-def: $vgpr90_vgpr91
.LBB106_149:
	ds_load_b64 v[90:91], v1
.LBB106_150:
	s_and_saveexec_b32 s35, s1
	s_cbranch_execz .LBB106_154
; %bb.151:
	v_subrev_nc_u32_e32 v92, 28, v0
	s_movk_i32 s36, 0x240
	s_mov_b32 s1, 0
.LBB106_152:                            ; =>This Inner Loop Header: Depth=1
	scratch_load_b64 v[94:95], off, s33
	v_dual_mov_b32 v93, s36 :: v_dual_add_nc_u32 v92, -1, v92
	s_add_co_i32 s36, s36, 8
	s_wait_xcnt 0x0
	s_add_co_i32 s33, s33, 8
	ds_load_b64 v[96:97], v93
	v_cmp_eq_u32_e32 vcc_lo, 0, v92
	s_or_b32 s1, vcc_lo, s1
	s_wait_loadcnt_dscnt 0x0
	v_pk_mul_f32 v[98:99], v[96:97], v[94:95] op_sel:[1,1] op_sel_hi:[0,1]
	s_delay_alu instid0(VALU_DEP_1) | instskip(SKIP_1) | instid1(VALU_DEP_2)
	v_pk_fma_f32 v[100:101], v[96:97], v[94:95], v[98:99] op_sel_hi:[1,0,1]
	v_pk_fma_f32 v[94:95], v[96:97], v[94:95], v[98:99] neg_lo:[0,0,1] neg_hi:[0,0,1]
	v_mov_b32_e32 v95, v101
	s_delay_alu instid0(VALU_DEP_1)
	v_pk_add_f32 v[90:91], v[90:91], v[94:95]
	s_and_not1_b32 exec_lo, exec_lo, s1
	s_cbranch_execnz .LBB106_152
; %bb.153:
	s_or_b32 exec_lo, exec_lo, s1
.LBB106_154:
	s_delay_alu instid0(SALU_CYCLE_1) | instskip(SKIP_4) | instid1(VALU_DEP_1)
	s_or_b32 exec_lo, exec_lo, s35
	v_mov_b32_e32 v92, 0
	ds_load_b64 v[92:93], v92 offset:216
	s_wait_dscnt 0x0
	v_pk_mul_f32 v[94:95], v[90:91], v[92:93] op_sel:[1,1] op_sel_hi:[0,1]
	v_pk_fma_f32 v[96:97], v[90:91], v[92:93], v[94:95] op_sel_hi:[1,0,1]
	v_pk_fma_f32 v[90:91], v[90:91], v[92:93], v[94:95] neg_lo:[0,0,1] neg_hi:[0,0,1]
	s_delay_alu instid0(VALU_DEP_2)
	v_mov_b32_e32 v91, v97
	scratch_store_b64 off, v[90:91], off offset:216
.LBB106_155:
	s_wait_xcnt 0x0
	s_or_b32 exec_lo, exec_lo, s34
	scratch_load_b64 v[90:91], off, off offset:208
	v_cmp_lt_u32_e64 s1, 26, v0
	s_wait_loadcnt 0x0
	ds_store_b64 v1, v[90:91]
	s_wait_storecnt_dscnt 0x0
	s_barrier_signal -1
	s_barrier_wait -1
	s_wait_xcnt 0x0
	s_and_saveexec_b32 s33, s1
	s_cbranch_execz .LBB106_165
; %bb.156:
	s_and_not1_b32 vcc_lo, exec_lo, s5
	s_cbranch_vccnz .LBB106_158
; %bb.157:
	scratch_load_b64 v[90:91], v59, off
	ds_load_b64 v[92:93], v1
	s_wait_loadcnt_dscnt 0x0
	v_pk_mul_f32 v[94:95], v[92:93], v[90:91] op_sel:[1,1] op_sel_hi:[0,1]
	s_delay_alu instid0(VALU_DEP_1) | instskip(SKIP_1) | instid1(VALU_DEP_2)
	v_pk_fma_f32 v[96:97], v[92:93], v[90:91], v[94:95] op_sel_hi:[1,0,1]
	v_pk_fma_f32 v[90:91], v[92:93], v[90:91], v[94:95] neg_lo:[0,0,1] neg_hi:[0,0,1]
	v_mov_b32_e32 v91, v97
	s_cbranch_execz .LBB106_159
	s_branch .LBB106_160
.LBB106_158:
                                        ; implicit-def: $vgpr90_vgpr91
.LBB106_159:
	ds_load_b64 v[90:91], v1
.LBB106_160:
	s_and_saveexec_b32 s34, s0
	s_cbranch_execz .LBB106_164
; %bb.161:
	v_subrev_nc_u32_e32 v92, 27, v0
	s_movk_i32 s35, 0x238
	s_mov_b32 s0, 0
.LBB106_162:                            ; =>This Inner Loop Header: Depth=1
	scratch_load_b64 v[94:95], off, s31
	v_dual_mov_b32 v93, s35 :: v_dual_add_nc_u32 v92, -1, v92
	s_add_co_i32 s35, s35, 8
	s_wait_xcnt 0x0
	s_add_co_i32 s31, s31, 8
	ds_load_b64 v[96:97], v93
	v_cmp_eq_u32_e32 vcc_lo, 0, v92
	s_or_b32 s0, vcc_lo, s0
	s_wait_loadcnt_dscnt 0x0
	v_pk_mul_f32 v[98:99], v[96:97], v[94:95] op_sel:[1,1] op_sel_hi:[0,1]
	s_delay_alu instid0(VALU_DEP_1) | instskip(SKIP_1) | instid1(VALU_DEP_2)
	v_pk_fma_f32 v[100:101], v[96:97], v[94:95], v[98:99] op_sel_hi:[1,0,1]
	v_pk_fma_f32 v[94:95], v[96:97], v[94:95], v[98:99] neg_lo:[0,0,1] neg_hi:[0,0,1]
	v_mov_b32_e32 v95, v101
	s_delay_alu instid0(VALU_DEP_1)
	v_pk_add_f32 v[90:91], v[90:91], v[94:95]
	s_and_not1_b32 exec_lo, exec_lo, s0
	s_cbranch_execnz .LBB106_162
; %bb.163:
	s_or_b32 exec_lo, exec_lo, s0
.LBB106_164:
	s_delay_alu instid0(SALU_CYCLE_1) | instskip(SKIP_4) | instid1(VALU_DEP_1)
	s_or_b32 exec_lo, exec_lo, s34
	v_mov_b32_e32 v92, 0
	ds_load_b64 v[92:93], v92 offset:208
	s_wait_dscnt 0x0
	v_pk_mul_f32 v[94:95], v[90:91], v[92:93] op_sel:[1,1] op_sel_hi:[0,1]
	v_pk_fma_f32 v[96:97], v[90:91], v[92:93], v[94:95] op_sel_hi:[1,0,1]
	v_pk_fma_f32 v[90:91], v[90:91], v[92:93], v[94:95] neg_lo:[0,0,1] neg_hi:[0,0,1]
	s_delay_alu instid0(VALU_DEP_2)
	v_mov_b32_e32 v91, v97
	scratch_store_b64 off, v[90:91], off offset:208
.LBB106_165:
	s_wait_xcnt 0x0
	s_or_b32 exec_lo, exec_lo, s33
	scratch_load_b64 v[90:91], off, off offset:200
	v_cmp_lt_u32_e64 s0, 25, v0
	s_wait_loadcnt 0x0
	ds_store_b64 v1, v[90:91]
	s_wait_storecnt_dscnt 0x0
	s_barrier_signal -1
	s_barrier_wait -1
	s_wait_xcnt 0x0
	s_and_saveexec_b32 s31, s0
	s_cbranch_execz .LBB106_175
; %bb.166:
	s_and_not1_b32 vcc_lo, exec_lo, s5
	s_cbranch_vccnz .LBB106_168
; %bb.167:
	scratch_load_b64 v[90:91], v59, off
	ds_load_b64 v[92:93], v1
	s_wait_loadcnt_dscnt 0x0
	v_pk_mul_f32 v[94:95], v[92:93], v[90:91] op_sel:[1,1] op_sel_hi:[0,1]
	s_delay_alu instid0(VALU_DEP_1) | instskip(SKIP_1) | instid1(VALU_DEP_2)
	v_pk_fma_f32 v[96:97], v[92:93], v[90:91], v[94:95] op_sel_hi:[1,0,1]
	v_pk_fma_f32 v[90:91], v[92:93], v[90:91], v[94:95] neg_lo:[0,0,1] neg_hi:[0,0,1]
	v_mov_b32_e32 v91, v97
	s_cbranch_execz .LBB106_169
	s_branch .LBB106_170
.LBB106_168:
                                        ; implicit-def: $vgpr90_vgpr91
.LBB106_169:
	ds_load_b64 v[90:91], v1
.LBB106_170:
	s_and_saveexec_b32 s33, s1
	s_cbranch_execz .LBB106_174
; %bb.171:
	v_subrev_nc_u32_e32 v92, 26, v0
	s_movk_i32 s34, 0x230
	s_mov_b32 s1, 0
.LBB106_172:                            ; =>This Inner Loop Header: Depth=1
	scratch_load_b64 v[94:95], off, s30
	v_dual_mov_b32 v93, s34 :: v_dual_add_nc_u32 v92, -1, v92
	s_add_co_i32 s34, s34, 8
	s_wait_xcnt 0x0
	s_add_co_i32 s30, s30, 8
	ds_load_b64 v[96:97], v93
	v_cmp_eq_u32_e32 vcc_lo, 0, v92
	s_or_b32 s1, vcc_lo, s1
	s_wait_loadcnt_dscnt 0x0
	v_pk_mul_f32 v[98:99], v[96:97], v[94:95] op_sel:[1,1] op_sel_hi:[0,1]
	s_delay_alu instid0(VALU_DEP_1) | instskip(SKIP_1) | instid1(VALU_DEP_2)
	v_pk_fma_f32 v[100:101], v[96:97], v[94:95], v[98:99] op_sel_hi:[1,0,1]
	v_pk_fma_f32 v[94:95], v[96:97], v[94:95], v[98:99] neg_lo:[0,0,1] neg_hi:[0,0,1]
	v_mov_b32_e32 v95, v101
	s_delay_alu instid0(VALU_DEP_1)
	v_pk_add_f32 v[90:91], v[90:91], v[94:95]
	s_and_not1_b32 exec_lo, exec_lo, s1
	s_cbranch_execnz .LBB106_172
; %bb.173:
	s_or_b32 exec_lo, exec_lo, s1
.LBB106_174:
	s_delay_alu instid0(SALU_CYCLE_1) | instskip(SKIP_4) | instid1(VALU_DEP_1)
	s_or_b32 exec_lo, exec_lo, s33
	v_mov_b32_e32 v92, 0
	ds_load_b64 v[92:93], v92 offset:200
	s_wait_dscnt 0x0
	v_pk_mul_f32 v[94:95], v[90:91], v[92:93] op_sel:[1,1] op_sel_hi:[0,1]
	v_pk_fma_f32 v[96:97], v[90:91], v[92:93], v[94:95] op_sel_hi:[1,0,1]
	v_pk_fma_f32 v[90:91], v[90:91], v[92:93], v[94:95] neg_lo:[0,0,1] neg_hi:[0,0,1]
	s_delay_alu instid0(VALU_DEP_2)
	v_mov_b32_e32 v91, v97
	scratch_store_b64 off, v[90:91], off offset:200
.LBB106_175:
	s_wait_xcnt 0x0
	s_or_b32 exec_lo, exec_lo, s31
	scratch_load_b64 v[90:91], off, off offset:192
	v_cmp_lt_u32_e64 s1, 24, v0
	s_wait_loadcnt 0x0
	ds_store_b64 v1, v[90:91]
	s_wait_storecnt_dscnt 0x0
	s_barrier_signal -1
	s_barrier_wait -1
	s_wait_xcnt 0x0
	s_and_saveexec_b32 s30, s1
	s_cbranch_execz .LBB106_185
; %bb.176:
	s_and_not1_b32 vcc_lo, exec_lo, s5
	s_cbranch_vccnz .LBB106_178
; %bb.177:
	scratch_load_b64 v[90:91], v59, off
	ds_load_b64 v[92:93], v1
	s_wait_loadcnt_dscnt 0x0
	v_pk_mul_f32 v[94:95], v[92:93], v[90:91] op_sel:[1,1] op_sel_hi:[0,1]
	s_delay_alu instid0(VALU_DEP_1) | instskip(SKIP_1) | instid1(VALU_DEP_2)
	v_pk_fma_f32 v[96:97], v[92:93], v[90:91], v[94:95] op_sel_hi:[1,0,1]
	v_pk_fma_f32 v[90:91], v[92:93], v[90:91], v[94:95] neg_lo:[0,0,1] neg_hi:[0,0,1]
	v_mov_b32_e32 v91, v97
	s_cbranch_execz .LBB106_179
	s_branch .LBB106_180
.LBB106_178:
                                        ; implicit-def: $vgpr90_vgpr91
.LBB106_179:
	ds_load_b64 v[90:91], v1
.LBB106_180:
	s_and_saveexec_b32 s31, s0
	s_cbranch_execz .LBB106_184
; %bb.181:
	v_subrev_nc_u32_e32 v92, 25, v0
	s_movk_i32 s33, 0x228
	s_mov_b32 s0, 0
.LBB106_182:                            ; =>This Inner Loop Header: Depth=1
	scratch_load_b64 v[94:95], off, s29
	v_dual_mov_b32 v93, s33 :: v_dual_add_nc_u32 v92, -1, v92
	s_add_co_i32 s33, s33, 8
	s_wait_xcnt 0x0
	s_add_co_i32 s29, s29, 8
	ds_load_b64 v[96:97], v93
	v_cmp_eq_u32_e32 vcc_lo, 0, v92
	s_or_b32 s0, vcc_lo, s0
	s_wait_loadcnt_dscnt 0x0
	v_pk_mul_f32 v[98:99], v[96:97], v[94:95] op_sel:[1,1] op_sel_hi:[0,1]
	s_delay_alu instid0(VALU_DEP_1) | instskip(SKIP_1) | instid1(VALU_DEP_2)
	v_pk_fma_f32 v[100:101], v[96:97], v[94:95], v[98:99] op_sel_hi:[1,0,1]
	v_pk_fma_f32 v[94:95], v[96:97], v[94:95], v[98:99] neg_lo:[0,0,1] neg_hi:[0,0,1]
	v_mov_b32_e32 v95, v101
	s_delay_alu instid0(VALU_DEP_1)
	v_pk_add_f32 v[90:91], v[90:91], v[94:95]
	s_and_not1_b32 exec_lo, exec_lo, s0
	s_cbranch_execnz .LBB106_182
; %bb.183:
	s_or_b32 exec_lo, exec_lo, s0
.LBB106_184:
	s_delay_alu instid0(SALU_CYCLE_1) | instskip(SKIP_4) | instid1(VALU_DEP_1)
	s_or_b32 exec_lo, exec_lo, s31
	v_mov_b32_e32 v92, 0
	ds_load_b64 v[92:93], v92 offset:192
	s_wait_dscnt 0x0
	v_pk_mul_f32 v[94:95], v[90:91], v[92:93] op_sel:[1,1] op_sel_hi:[0,1]
	v_pk_fma_f32 v[96:97], v[90:91], v[92:93], v[94:95] op_sel_hi:[1,0,1]
	v_pk_fma_f32 v[90:91], v[90:91], v[92:93], v[94:95] neg_lo:[0,0,1] neg_hi:[0,0,1]
	s_delay_alu instid0(VALU_DEP_2)
	v_mov_b32_e32 v91, v97
	scratch_store_b64 off, v[90:91], off offset:192
.LBB106_185:
	s_wait_xcnt 0x0
	s_or_b32 exec_lo, exec_lo, s30
	scratch_load_b64 v[90:91], off, off offset:184
	v_cmp_lt_u32_e64 s0, 23, v0
	s_wait_loadcnt 0x0
	ds_store_b64 v1, v[90:91]
	s_wait_storecnt_dscnt 0x0
	s_barrier_signal -1
	s_barrier_wait -1
	s_wait_xcnt 0x0
	s_and_saveexec_b32 s29, s0
	s_cbranch_execz .LBB106_195
; %bb.186:
	s_and_not1_b32 vcc_lo, exec_lo, s5
	s_cbranch_vccnz .LBB106_188
; %bb.187:
	scratch_load_b64 v[90:91], v59, off
	ds_load_b64 v[92:93], v1
	s_wait_loadcnt_dscnt 0x0
	v_pk_mul_f32 v[94:95], v[92:93], v[90:91] op_sel:[1,1] op_sel_hi:[0,1]
	s_delay_alu instid0(VALU_DEP_1) | instskip(SKIP_1) | instid1(VALU_DEP_2)
	v_pk_fma_f32 v[96:97], v[92:93], v[90:91], v[94:95] op_sel_hi:[1,0,1]
	v_pk_fma_f32 v[90:91], v[92:93], v[90:91], v[94:95] neg_lo:[0,0,1] neg_hi:[0,0,1]
	v_mov_b32_e32 v91, v97
	s_cbranch_execz .LBB106_189
	s_branch .LBB106_190
.LBB106_188:
                                        ; implicit-def: $vgpr90_vgpr91
.LBB106_189:
	ds_load_b64 v[90:91], v1
.LBB106_190:
	s_and_saveexec_b32 s30, s1
	s_cbranch_execz .LBB106_194
; %bb.191:
	v_subrev_nc_u32_e32 v92, 24, v0
	s_movk_i32 s31, 0x220
	s_mov_b32 s1, 0
.LBB106_192:                            ; =>This Inner Loop Header: Depth=1
	scratch_load_b64 v[94:95], off, s28
	v_dual_mov_b32 v93, s31 :: v_dual_add_nc_u32 v92, -1, v92
	s_add_co_i32 s31, s31, 8
	s_wait_xcnt 0x0
	s_add_co_i32 s28, s28, 8
	ds_load_b64 v[96:97], v93
	v_cmp_eq_u32_e32 vcc_lo, 0, v92
	s_or_b32 s1, vcc_lo, s1
	s_wait_loadcnt_dscnt 0x0
	v_pk_mul_f32 v[98:99], v[96:97], v[94:95] op_sel:[1,1] op_sel_hi:[0,1]
	s_delay_alu instid0(VALU_DEP_1) | instskip(SKIP_1) | instid1(VALU_DEP_2)
	v_pk_fma_f32 v[100:101], v[96:97], v[94:95], v[98:99] op_sel_hi:[1,0,1]
	v_pk_fma_f32 v[94:95], v[96:97], v[94:95], v[98:99] neg_lo:[0,0,1] neg_hi:[0,0,1]
	v_mov_b32_e32 v95, v101
	s_delay_alu instid0(VALU_DEP_1)
	v_pk_add_f32 v[90:91], v[90:91], v[94:95]
	s_and_not1_b32 exec_lo, exec_lo, s1
	s_cbranch_execnz .LBB106_192
; %bb.193:
	s_or_b32 exec_lo, exec_lo, s1
.LBB106_194:
	s_delay_alu instid0(SALU_CYCLE_1) | instskip(SKIP_4) | instid1(VALU_DEP_1)
	s_or_b32 exec_lo, exec_lo, s30
	v_mov_b32_e32 v92, 0
	ds_load_b64 v[92:93], v92 offset:184
	s_wait_dscnt 0x0
	v_pk_mul_f32 v[94:95], v[90:91], v[92:93] op_sel:[1,1] op_sel_hi:[0,1]
	v_pk_fma_f32 v[96:97], v[90:91], v[92:93], v[94:95] op_sel_hi:[1,0,1]
	v_pk_fma_f32 v[90:91], v[90:91], v[92:93], v[94:95] neg_lo:[0,0,1] neg_hi:[0,0,1]
	s_delay_alu instid0(VALU_DEP_2)
	v_mov_b32_e32 v91, v97
	scratch_store_b64 off, v[90:91], off offset:184
.LBB106_195:
	s_wait_xcnt 0x0
	s_or_b32 exec_lo, exec_lo, s29
	scratch_load_b64 v[90:91], off, off offset:176
	v_cmp_lt_u32_e64 s1, 22, v0
	s_wait_loadcnt 0x0
	ds_store_b64 v1, v[90:91]
	s_wait_storecnt_dscnt 0x0
	s_barrier_signal -1
	s_barrier_wait -1
	s_wait_xcnt 0x0
	s_and_saveexec_b32 s28, s1
	s_cbranch_execz .LBB106_205
; %bb.196:
	s_and_not1_b32 vcc_lo, exec_lo, s5
	s_cbranch_vccnz .LBB106_198
; %bb.197:
	scratch_load_b64 v[90:91], v59, off
	ds_load_b64 v[92:93], v1
	s_wait_loadcnt_dscnt 0x0
	v_pk_mul_f32 v[94:95], v[92:93], v[90:91] op_sel:[1,1] op_sel_hi:[0,1]
	s_delay_alu instid0(VALU_DEP_1) | instskip(SKIP_1) | instid1(VALU_DEP_2)
	v_pk_fma_f32 v[96:97], v[92:93], v[90:91], v[94:95] op_sel_hi:[1,0,1]
	v_pk_fma_f32 v[90:91], v[92:93], v[90:91], v[94:95] neg_lo:[0,0,1] neg_hi:[0,0,1]
	v_mov_b32_e32 v91, v97
	s_cbranch_execz .LBB106_199
	s_branch .LBB106_200
.LBB106_198:
                                        ; implicit-def: $vgpr90_vgpr91
.LBB106_199:
	ds_load_b64 v[90:91], v1
.LBB106_200:
	s_and_saveexec_b32 s29, s0
	s_cbranch_execz .LBB106_204
; %bb.201:
	v_subrev_nc_u32_e32 v92, 23, v0
	s_movk_i32 s30, 0x218
	s_mov_b32 s0, 0
.LBB106_202:                            ; =>This Inner Loop Header: Depth=1
	scratch_load_b64 v[94:95], off, s27
	v_dual_mov_b32 v93, s30 :: v_dual_add_nc_u32 v92, -1, v92
	s_add_co_i32 s30, s30, 8
	s_wait_xcnt 0x0
	s_add_co_i32 s27, s27, 8
	ds_load_b64 v[96:97], v93
	v_cmp_eq_u32_e32 vcc_lo, 0, v92
	s_or_b32 s0, vcc_lo, s0
	s_wait_loadcnt_dscnt 0x0
	v_pk_mul_f32 v[98:99], v[96:97], v[94:95] op_sel:[1,1] op_sel_hi:[0,1]
	s_delay_alu instid0(VALU_DEP_1) | instskip(SKIP_1) | instid1(VALU_DEP_2)
	v_pk_fma_f32 v[100:101], v[96:97], v[94:95], v[98:99] op_sel_hi:[1,0,1]
	v_pk_fma_f32 v[94:95], v[96:97], v[94:95], v[98:99] neg_lo:[0,0,1] neg_hi:[0,0,1]
	v_mov_b32_e32 v95, v101
	s_delay_alu instid0(VALU_DEP_1)
	v_pk_add_f32 v[90:91], v[90:91], v[94:95]
	s_and_not1_b32 exec_lo, exec_lo, s0
	s_cbranch_execnz .LBB106_202
; %bb.203:
	s_or_b32 exec_lo, exec_lo, s0
.LBB106_204:
	s_delay_alu instid0(SALU_CYCLE_1) | instskip(SKIP_4) | instid1(VALU_DEP_1)
	s_or_b32 exec_lo, exec_lo, s29
	v_mov_b32_e32 v92, 0
	ds_load_b64 v[92:93], v92 offset:176
	s_wait_dscnt 0x0
	v_pk_mul_f32 v[94:95], v[90:91], v[92:93] op_sel:[1,1] op_sel_hi:[0,1]
	v_pk_fma_f32 v[96:97], v[90:91], v[92:93], v[94:95] op_sel_hi:[1,0,1]
	v_pk_fma_f32 v[90:91], v[90:91], v[92:93], v[94:95] neg_lo:[0,0,1] neg_hi:[0,0,1]
	s_delay_alu instid0(VALU_DEP_2)
	v_mov_b32_e32 v91, v97
	scratch_store_b64 off, v[90:91], off offset:176
.LBB106_205:
	s_wait_xcnt 0x0
	s_or_b32 exec_lo, exec_lo, s28
	scratch_load_b64 v[90:91], off, off offset:168
	v_cmp_lt_u32_e64 s0, 21, v0
	s_wait_loadcnt 0x0
	ds_store_b64 v1, v[90:91]
	s_wait_storecnt_dscnt 0x0
	s_barrier_signal -1
	s_barrier_wait -1
	s_wait_xcnt 0x0
	s_and_saveexec_b32 s27, s0
	s_cbranch_execz .LBB106_215
; %bb.206:
	s_and_not1_b32 vcc_lo, exec_lo, s5
	s_cbranch_vccnz .LBB106_208
; %bb.207:
	scratch_load_b64 v[90:91], v59, off
	ds_load_b64 v[92:93], v1
	s_wait_loadcnt_dscnt 0x0
	v_pk_mul_f32 v[94:95], v[92:93], v[90:91] op_sel:[1,1] op_sel_hi:[0,1]
	s_delay_alu instid0(VALU_DEP_1) | instskip(SKIP_1) | instid1(VALU_DEP_2)
	v_pk_fma_f32 v[96:97], v[92:93], v[90:91], v[94:95] op_sel_hi:[1,0,1]
	v_pk_fma_f32 v[90:91], v[92:93], v[90:91], v[94:95] neg_lo:[0,0,1] neg_hi:[0,0,1]
	v_mov_b32_e32 v91, v97
	s_cbranch_execz .LBB106_209
	s_branch .LBB106_210
.LBB106_208:
                                        ; implicit-def: $vgpr90_vgpr91
.LBB106_209:
	ds_load_b64 v[90:91], v1
.LBB106_210:
	s_and_saveexec_b32 s28, s1
	s_cbranch_execz .LBB106_214
; %bb.211:
	v_subrev_nc_u32_e32 v92, 22, v0
	s_movk_i32 s29, 0x210
	s_mov_b32 s1, 0
.LBB106_212:                            ; =>This Inner Loop Header: Depth=1
	scratch_load_b64 v[94:95], off, s26
	v_dual_mov_b32 v93, s29 :: v_dual_add_nc_u32 v92, -1, v92
	s_add_co_i32 s29, s29, 8
	s_wait_xcnt 0x0
	s_add_co_i32 s26, s26, 8
	ds_load_b64 v[96:97], v93
	v_cmp_eq_u32_e32 vcc_lo, 0, v92
	s_or_b32 s1, vcc_lo, s1
	s_wait_loadcnt_dscnt 0x0
	v_pk_mul_f32 v[98:99], v[96:97], v[94:95] op_sel:[1,1] op_sel_hi:[0,1]
	s_delay_alu instid0(VALU_DEP_1) | instskip(SKIP_1) | instid1(VALU_DEP_2)
	v_pk_fma_f32 v[100:101], v[96:97], v[94:95], v[98:99] op_sel_hi:[1,0,1]
	v_pk_fma_f32 v[94:95], v[96:97], v[94:95], v[98:99] neg_lo:[0,0,1] neg_hi:[0,0,1]
	v_mov_b32_e32 v95, v101
	s_delay_alu instid0(VALU_DEP_1)
	v_pk_add_f32 v[90:91], v[90:91], v[94:95]
	s_and_not1_b32 exec_lo, exec_lo, s1
	s_cbranch_execnz .LBB106_212
; %bb.213:
	s_or_b32 exec_lo, exec_lo, s1
.LBB106_214:
	s_delay_alu instid0(SALU_CYCLE_1) | instskip(SKIP_4) | instid1(VALU_DEP_1)
	s_or_b32 exec_lo, exec_lo, s28
	v_mov_b32_e32 v92, 0
	ds_load_b64 v[92:93], v92 offset:168
	s_wait_dscnt 0x0
	v_pk_mul_f32 v[94:95], v[90:91], v[92:93] op_sel:[1,1] op_sel_hi:[0,1]
	v_pk_fma_f32 v[96:97], v[90:91], v[92:93], v[94:95] op_sel_hi:[1,0,1]
	v_pk_fma_f32 v[90:91], v[90:91], v[92:93], v[94:95] neg_lo:[0,0,1] neg_hi:[0,0,1]
	s_delay_alu instid0(VALU_DEP_2)
	v_mov_b32_e32 v91, v97
	scratch_store_b64 off, v[90:91], off offset:168
.LBB106_215:
	s_wait_xcnt 0x0
	s_or_b32 exec_lo, exec_lo, s27
	scratch_load_b64 v[90:91], off, off offset:160
	v_cmp_lt_u32_e64 s1, 20, v0
	s_wait_loadcnt 0x0
	ds_store_b64 v1, v[90:91]
	s_wait_storecnt_dscnt 0x0
	s_barrier_signal -1
	s_barrier_wait -1
	s_wait_xcnt 0x0
	s_and_saveexec_b32 s26, s1
	s_cbranch_execz .LBB106_225
; %bb.216:
	s_and_not1_b32 vcc_lo, exec_lo, s5
	s_cbranch_vccnz .LBB106_218
; %bb.217:
	scratch_load_b64 v[90:91], v59, off
	ds_load_b64 v[92:93], v1
	s_wait_loadcnt_dscnt 0x0
	v_pk_mul_f32 v[94:95], v[92:93], v[90:91] op_sel:[1,1] op_sel_hi:[0,1]
	s_delay_alu instid0(VALU_DEP_1) | instskip(SKIP_1) | instid1(VALU_DEP_2)
	v_pk_fma_f32 v[96:97], v[92:93], v[90:91], v[94:95] op_sel_hi:[1,0,1]
	v_pk_fma_f32 v[90:91], v[92:93], v[90:91], v[94:95] neg_lo:[0,0,1] neg_hi:[0,0,1]
	v_mov_b32_e32 v91, v97
	s_cbranch_execz .LBB106_219
	s_branch .LBB106_220
.LBB106_218:
                                        ; implicit-def: $vgpr90_vgpr91
.LBB106_219:
	ds_load_b64 v[90:91], v1
.LBB106_220:
	s_and_saveexec_b32 s27, s0
	s_cbranch_execz .LBB106_224
; %bb.221:
	v_subrev_nc_u32_e32 v92, 21, v0
	s_movk_i32 s28, 0x208
	s_mov_b32 s0, 0
.LBB106_222:                            ; =>This Inner Loop Header: Depth=1
	scratch_load_b64 v[94:95], off, s25
	v_dual_mov_b32 v93, s28 :: v_dual_add_nc_u32 v92, -1, v92
	s_add_co_i32 s28, s28, 8
	s_wait_xcnt 0x0
	s_add_co_i32 s25, s25, 8
	ds_load_b64 v[96:97], v93
	v_cmp_eq_u32_e32 vcc_lo, 0, v92
	s_or_b32 s0, vcc_lo, s0
	s_wait_loadcnt_dscnt 0x0
	v_pk_mul_f32 v[98:99], v[96:97], v[94:95] op_sel:[1,1] op_sel_hi:[0,1]
	s_delay_alu instid0(VALU_DEP_1) | instskip(SKIP_1) | instid1(VALU_DEP_2)
	v_pk_fma_f32 v[100:101], v[96:97], v[94:95], v[98:99] op_sel_hi:[1,0,1]
	v_pk_fma_f32 v[94:95], v[96:97], v[94:95], v[98:99] neg_lo:[0,0,1] neg_hi:[0,0,1]
	v_mov_b32_e32 v95, v101
	s_delay_alu instid0(VALU_DEP_1)
	v_pk_add_f32 v[90:91], v[90:91], v[94:95]
	s_and_not1_b32 exec_lo, exec_lo, s0
	s_cbranch_execnz .LBB106_222
; %bb.223:
	s_or_b32 exec_lo, exec_lo, s0
.LBB106_224:
	s_delay_alu instid0(SALU_CYCLE_1) | instskip(SKIP_4) | instid1(VALU_DEP_1)
	s_or_b32 exec_lo, exec_lo, s27
	v_mov_b32_e32 v92, 0
	ds_load_b64 v[92:93], v92 offset:160
	s_wait_dscnt 0x0
	v_pk_mul_f32 v[94:95], v[90:91], v[92:93] op_sel:[1,1] op_sel_hi:[0,1]
	v_pk_fma_f32 v[96:97], v[90:91], v[92:93], v[94:95] op_sel_hi:[1,0,1]
	v_pk_fma_f32 v[90:91], v[90:91], v[92:93], v[94:95] neg_lo:[0,0,1] neg_hi:[0,0,1]
	s_delay_alu instid0(VALU_DEP_2)
	v_mov_b32_e32 v91, v97
	scratch_store_b64 off, v[90:91], off offset:160
.LBB106_225:
	s_wait_xcnt 0x0
	s_or_b32 exec_lo, exec_lo, s26
	scratch_load_b64 v[90:91], off, off offset:152
	v_cmp_lt_u32_e64 s0, 19, v0
	s_wait_loadcnt 0x0
	ds_store_b64 v1, v[90:91]
	s_wait_storecnt_dscnt 0x0
	s_barrier_signal -1
	s_barrier_wait -1
	s_wait_xcnt 0x0
	s_and_saveexec_b32 s25, s0
	s_cbranch_execz .LBB106_235
; %bb.226:
	s_and_not1_b32 vcc_lo, exec_lo, s5
	s_cbranch_vccnz .LBB106_228
; %bb.227:
	scratch_load_b64 v[90:91], v59, off
	ds_load_b64 v[92:93], v1
	s_wait_loadcnt_dscnt 0x0
	v_pk_mul_f32 v[94:95], v[92:93], v[90:91] op_sel:[1,1] op_sel_hi:[0,1]
	s_delay_alu instid0(VALU_DEP_1) | instskip(SKIP_1) | instid1(VALU_DEP_2)
	v_pk_fma_f32 v[96:97], v[92:93], v[90:91], v[94:95] op_sel_hi:[1,0,1]
	v_pk_fma_f32 v[90:91], v[92:93], v[90:91], v[94:95] neg_lo:[0,0,1] neg_hi:[0,0,1]
	v_mov_b32_e32 v91, v97
	s_cbranch_execz .LBB106_229
	s_branch .LBB106_230
.LBB106_228:
                                        ; implicit-def: $vgpr90_vgpr91
.LBB106_229:
	ds_load_b64 v[90:91], v1
.LBB106_230:
	s_and_saveexec_b32 s26, s1
	s_cbranch_execz .LBB106_234
; %bb.231:
	v_subrev_nc_u32_e32 v92, 20, v0
	s_movk_i32 s27, 0x200
	s_mov_b32 s1, 0
.LBB106_232:                            ; =>This Inner Loop Header: Depth=1
	scratch_load_b64 v[94:95], off, s24
	v_dual_mov_b32 v93, s27 :: v_dual_add_nc_u32 v92, -1, v92
	s_add_co_i32 s27, s27, 8
	s_wait_xcnt 0x0
	s_add_co_i32 s24, s24, 8
	ds_load_b64 v[96:97], v93
	v_cmp_eq_u32_e32 vcc_lo, 0, v92
	s_or_b32 s1, vcc_lo, s1
	s_wait_loadcnt_dscnt 0x0
	v_pk_mul_f32 v[98:99], v[96:97], v[94:95] op_sel:[1,1] op_sel_hi:[0,1]
	s_delay_alu instid0(VALU_DEP_1) | instskip(SKIP_1) | instid1(VALU_DEP_2)
	v_pk_fma_f32 v[100:101], v[96:97], v[94:95], v[98:99] op_sel_hi:[1,0,1]
	v_pk_fma_f32 v[94:95], v[96:97], v[94:95], v[98:99] neg_lo:[0,0,1] neg_hi:[0,0,1]
	v_mov_b32_e32 v95, v101
	s_delay_alu instid0(VALU_DEP_1)
	v_pk_add_f32 v[90:91], v[90:91], v[94:95]
	s_and_not1_b32 exec_lo, exec_lo, s1
	s_cbranch_execnz .LBB106_232
; %bb.233:
	s_or_b32 exec_lo, exec_lo, s1
.LBB106_234:
	s_delay_alu instid0(SALU_CYCLE_1) | instskip(SKIP_4) | instid1(VALU_DEP_1)
	s_or_b32 exec_lo, exec_lo, s26
	v_mov_b32_e32 v92, 0
	ds_load_b64 v[92:93], v92 offset:152
	s_wait_dscnt 0x0
	v_pk_mul_f32 v[94:95], v[90:91], v[92:93] op_sel:[1,1] op_sel_hi:[0,1]
	v_pk_fma_f32 v[96:97], v[90:91], v[92:93], v[94:95] op_sel_hi:[1,0,1]
	v_pk_fma_f32 v[90:91], v[90:91], v[92:93], v[94:95] neg_lo:[0,0,1] neg_hi:[0,0,1]
	s_delay_alu instid0(VALU_DEP_2)
	v_mov_b32_e32 v91, v97
	scratch_store_b64 off, v[90:91], off offset:152
.LBB106_235:
	s_wait_xcnt 0x0
	s_or_b32 exec_lo, exec_lo, s25
	scratch_load_b64 v[90:91], off, off offset:144
	v_cmp_lt_u32_e64 s1, 18, v0
	s_wait_loadcnt 0x0
	ds_store_b64 v1, v[90:91]
	s_wait_storecnt_dscnt 0x0
	s_barrier_signal -1
	s_barrier_wait -1
	s_wait_xcnt 0x0
	s_and_saveexec_b32 s24, s1
	s_cbranch_execz .LBB106_245
; %bb.236:
	s_and_not1_b32 vcc_lo, exec_lo, s5
	s_cbranch_vccnz .LBB106_238
; %bb.237:
	scratch_load_b64 v[90:91], v59, off
	ds_load_b64 v[92:93], v1
	s_wait_loadcnt_dscnt 0x0
	v_pk_mul_f32 v[94:95], v[92:93], v[90:91] op_sel:[1,1] op_sel_hi:[0,1]
	s_delay_alu instid0(VALU_DEP_1) | instskip(SKIP_1) | instid1(VALU_DEP_2)
	v_pk_fma_f32 v[96:97], v[92:93], v[90:91], v[94:95] op_sel_hi:[1,0,1]
	v_pk_fma_f32 v[90:91], v[92:93], v[90:91], v[94:95] neg_lo:[0,0,1] neg_hi:[0,0,1]
	v_mov_b32_e32 v91, v97
	s_cbranch_execz .LBB106_239
	s_branch .LBB106_240
.LBB106_238:
                                        ; implicit-def: $vgpr90_vgpr91
.LBB106_239:
	ds_load_b64 v[90:91], v1
.LBB106_240:
	s_and_saveexec_b32 s25, s0
	s_cbranch_execz .LBB106_244
; %bb.241:
	v_subrev_nc_u32_e32 v92, 19, v0
	s_movk_i32 s26, 0x1f8
	s_mov_b32 s0, 0
.LBB106_242:                            ; =>This Inner Loop Header: Depth=1
	scratch_load_b64 v[94:95], off, s23
	v_dual_mov_b32 v93, s26 :: v_dual_add_nc_u32 v92, -1, v92
	s_add_co_i32 s26, s26, 8
	s_wait_xcnt 0x0
	s_add_co_i32 s23, s23, 8
	ds_load_b64 v[96:97], v93
	v_cmp_eq_u32_e32 vcc_lo, 0, v92
	s_or_b32 s0, vcc_lo, s0
	s_wait_loadcnt_dscnt 0x0
	v_pk_mul_f32 v[98:99], v[96:97], v[94:95] op_sel:[1,1] op_sel_hi:[0,1]
	s_delay_alu instid0(VALU_DEP_1) | instskip(SKIP_1) | instid1(VALU_DEP_2)
	v_pk_fma_f32 v[100:101], v[96:97], v[94:95], v[98:99] op_sel_hi:[1,0,1]
	v_pk_fma_f32 v[94:95], v[96:97], v[94:95], v[98:99] neg_lo:[0,0,1] neg_hi:[0,0,1]
	v_mov_b32_e32 v95, v101
	s_delay_alu instid0(VALU_DEP_1)
	v_pk_add_f32 v[90:91], v[90:91], v[94:95]
	s_and_not1_b32 exec_lo, exec_lo, s0
	s_cbranch_execnz .LBB106_242
; %bb.243:
	s_or_b32 exec_lo, exec_lo, s0
.LBB106_244:
	s_delay_alu instid0(SALU_CYCLE_1) | instskip(SKIP_4) | instid1(VALU_DEP_1)
	s_or_b32 exec_lo, exec_lo, s25
	v_mov_b32_e32 v92, 0
	ds_load_b64 v[92:93], v92 offset:144
	s_wait_dscnt 0x0
	v_pk_mul_f32 v[94:95], v[90:91], v[92:93] op_sel:[1,1] op_sel_hi:[0,1]
	v_pk_fma_f32 v[96:97], v[90:91], v[92:93], v[94:95] op_sel_hi:[1,0,1]
	v_pk_fma_f32 v[90:91], v[90:91], v[92:93], v[94:95] neg_lo:[0,0,1] neg_hi:[0,0,1]
	s_delay_alu instid0(VALU_DEP_2)
	v_mov_b32_e32 v91, v97
	scratch_store_b64 off, v[90:91], off offset:144
.LBB106_245:
	s_wait_xcnt 0x0
	s_or_b32 exec_lo, exec_lo, s24
	scratch_load_b64 v[90:91], off, off offset:136
	v_cmp_lt_u32_e64 s0, 17, v0
	s_wait_loadcnt 0x0
	ds_store_b64 v1, v[90:91]
	s_wait_storecnt_dscnt 0x0
	s_barrier_signal -1
	s_barrier_wait -1
	s_wait_xcnt 0x0
	s_and_saveexec_b32 s23, s0
	s_cbranch_execz .LBB106_255
; %bb.246:
	s_and_not1_b32 vcc_lo, exec_lo, s5
	s_cbranch_vccnz .LBB106_248
; %bb.247:
	scratch_load_b64 v[90:91], v59, off
	ds_load_b64 v[92:93], v1
	s_wait_loadcnt_dscnt 0x0
	v_pk_mul_f32 v[94:95], v[92:93], v[90:91] op_sel:[1,1] op_sel_hi:[0,1]
	s_delay_alu instid0(VALU_DEP_1) | instskip(SKIP_1) | instid1(VALU_DEP_2)
	v_pk_fma_f32 v[96:97], v[92:93], v[90:91], v[94:95] op_sel_hi:[1,0,1]
	v_pk_fma_f32 v[90:91], v[92:93], v[90:91], v[94:95] neg_lo:[0,0,1] neg_hi:[0,0,1]
	v_mov_b32_e32 v91, v97
	s_cbranch_execz .LBB106_249
	s_branch .LBB106_250
.LBB106_248:
                                        ; implicit-def: $vgpr90_vgpr91
.LBB106_249:
	ds_load_b64 v[90:91], v1
.LBB106_250:
	s_and_saveexec_b32 s24, s1
	s_cbranch_execz .LBB106_254
; %bb.251:
	v_subrev_nc_u32_e32 v92, 18, v0
	s_movk_i32 s25, 0x1f0
	s_mov_b32 s1, 0
.LBB106_252:                            ; =>This Inner Loop Header: Depth=1
	scratch_load_b64 v[94:95], off, s22
	v_dual_mov_b32 v93, s25 :: v_dual_add_nc_u32 v92, -1, v92
	s_add_co_i32 s25, s25, 8
	s_wait_xcnt 0x0
	s_add_co_i32 s22, s22, 8
	ds_load_b64 v[96:97], v93
	v_cmp_eq_u32_e32 vcc_lo, 0, v92
	s_or_b32 s1, vcc_lo, s1
	s_wait_loadcnt_dscnt 0x0
	v_pk_mul_f32 v[98:99], v[96:97], v[94:95] op_sel:[1,1] op_sel_hi:[0,1]
	s_delay_alu instid0(VALU_DEP_1) | instskip(SKIP_1) | instid1(VALU_DEP_2)
	v_pk_fma_f32 v[100:101], v[96:97], v[94:95], v[98:99] op_sel_hi:[1,0,1]
	v_pk_fma_f32 v[94:95], v[96:97], v[94:95], v[98:99] neg_lo:[0,0,1] neg_hi:[0,0,1]
	v_mov_b32_e32 v95, v101
	s_delay_alu instid0(VALU_DEP_1)
	v_pk_add_f32 v[90:91], v[90:91], v[94:95]
	s_and_not1_b32 exec_lo, exec_lo, s1
	s_cbranch_execnz .LBB106_252
; %bb.253:
	s_or_b32 exec_lo, exec_lo, s1
.LBB106_254:
	s_delay_alu instid0(SALU_CYCLE_1) | instskip(SKIP_4) | instid1(VALU_DEP_1)
	s_or_b32 exec_lo, exec_lo, s24
	v_mov_b32_e32 v92, 0
	ds_load_b64 v[92:93], v92 offset:136
	s_wait_dscnt 0x0
	v_pk_mul_f32 v[94:95], v[90:91], v[92:93] op_sel:[1,1] op_sel_hi:[0,1]
	v_pk_fma_f32 v[96:97], v[90:91], v[92:93], v[94:95] op_sel_hi:[1,0,1]
	v_pk_fma_f32 v[90:91], v[90:91], v[92:93], v[94:95] neg_lo:[0,0,1] neg_hi:[0,0,1]
	s_delay_alu instid0(VALU_DEP_2)
	v_mov_b32_e32 v91, v97
	scratch_store_b64 off, v[90:91], off offset:136
.LBB106_255:
	s_wait_xcnt 0x0
	s_or_b32 exec_lo, exec_lo, s23
	scratch_load_b64 v[90:91], off, off offset:128
	v_cmp_lt_u32_e64 s1, 16, v0
	s_wait_loadcnt 0x0
	ds_store_b64 v1, v[90:91]
	s_wait_storecnt_dscnt 0x0
	s_barrier_signal -1
	s_barrier_wait -1
	s_wait_xcnt 0x0
	s_and_saveexec_b32 s22, s1
	s_cbranch_execz .LBB106_265
; %bb.256:
	s_and_not1_b32 vcc_lo, exec_lo, s5
	s_cbranch_vccnz .LBB106_258
; %bb.257:
	scratch_load_b64 v[90:91], v59, off
	ds_load_b64 v[92:93], v1
	s_wait_loadcnt_dscnt 0x0
	v_pk_mul_f32 v[94:95], v[92:93], v[90:91] op_sel:[1,1] op_sel_hi:[0,1]
	s_delay_alu instid0(VALU_DEP_1) | instskip(SKIP_1) | instid1(VALU_DEP_2)
	v_pk_fma_f32 v[96:97], v[92:93], v[90:91], v[94:95] op_sel_hi:[1,0,1]
	v_pk_fma_f32 v[90:91], v[92:93], v[90:91], v[94:95] neg_lo:[0,0,1] neg_hi:[0,0,1]
	v_mov_b32_e32 v91, v97
	s_cbranch_execz .LBB106_259
	s_branch .LBB106_260
.LBB106_258:
                                        ; implicit-def: $vgpr90_vgpr91
.LBB106_259:
	ds_load_b64 v[90:91], v1
.LBB106_260:
	s_and_saveexec_b32 s23, s0
	s_cbranch_execz .LBB106_264
; %bb.261:
	v_subrev_nc_u32_e32 v92, 17, v0
	s_movk_i32 s24, 0x1e8
	s_mov_b32 s0, 0
.LBB106_262:                            ; =>This Inner Loop Header: Depth=1
	scratch_load_b64 v[94:95], off, s21
	v_dual_mov_b32 v93, s24 :: v_dual_add_nc_u32 v92, -1, v92
	s_add_co_i32 s24, s24, 8
	s_wait_xcnt 0x0
	s_add_co_i32 s21, s21, 8
	ds_load_b64 v[96:97], v93
	v_cmp_eq_u32_e32 vcc_lo, 0, v92
	s_or_b32 s0, vcc_lo, s0
	s_wait_loadcnt_dscnt 0x0
	v_pk_mul_f32 v[98:99], v[96:97], v[94:95] op_sel:[1,1] op_sel_hi:[0,1]
	s_delay_alu instid0(VALU_DEP_1) | instskip(SKIP_1) | instid1(VALU_DEP_2)
	v_pk_fma_f32 v[100:101], v[96:97], v[94:95], v[98:99] op_sel_hi:[1,0,1]
	v_pk_fma_f32 v[94:95], v[96:97], v[94:95], v[98:99] neg_lo:[0,0,1] neg_hi:[0,0,1]
	v_mov_b32_e32 v95, v101
	s_delay_alu instid0(VALU_DEP_1)
	v_pk_add_f32 v[90:91], v[90:91], v[94:95]
	s_and_not1_b32 exec_lo, exec_lo, s0
	s_cbranch_execnz .LBB106_262
; %bb.263:
	s_or_b32 exec_lo, exec_lo, s0
.LBB106_264:
	s_delay_alu instid0(SALU_CYCLE_1) | instskip(SKIP_4) | instid1(VALU_DEP_1)
	s_or_b32 exec_lo, exec_lo, s23
	v_mov_b32_e32 v92, 0
	ds_load_b64 v[92:93], v92 offset:128
	s_wait_dscnt 0x0
	v_pk_mul_f32 v[94:95], v[90:91], v[92:93] op_sel:[1,1] op_sel_hi:[0,1]
	v_pk_fma_f32 v[96:97], v[90:91], v[92:93], v[94:95] op_sel_hi:[1,0,1]
	v_pk_fma_f32 v[90:91], v[90:91], v[92:93], v[94:95] neg_lo:[0,0,1] neg_hi:[0,0,1]
	s_delay_alu instid0(VALU_DEP_2)
	v_mov_b32_e32 v91, v97
	scratch_store_b64 off, v[90:91], off offset:128
.LBB106_265:
	s_wait_xcnt 0x0
	s_or_b32 exec_lo, exec_lo, s22
	scratch_load_b64 v[90:91], off, off offset:120
	v_cmp_lt_u32_e64 s0, 15, v0
	s_wait_loadcnt 0x0
	ds_store_b64 v1, v[90:91]
	s_wait_storecnt_dscnt 0x0
	s_barrier_signal -1
	s_barrier_wait -1
	s_wait_xcnt 0x0
	s_and_saveexec_b32 s21, s0
	s_cbranch_execz .LBB106_275
; %bb.266:
	s_and_not1_b32 vcc_lo, exec_lo, s5
	s_cbranch_vccnz .LBB106_268
; %bb.267:
	scratch_load_b64 v[90:91], v59, off
	ds_load_b64 v[92:93], v1
	s_wait_loadcnt_dscnt 0x0
	v_pk_mul_f32 v[94:95], v[92:93], v[90:91] op_sel:[1,1] op_sel_hi:[0,1]
	s_delay_alu instid0(VALU_DEP_1) | instskip(SKIP_1) | instid1(VALU_DEP_2)
	v_pk_fma_f32 v[96:97], v[92:93], v[90:91], v[94:95] op_sel_hi:[1,0,1]
	v_pk_fma_f32 v[90:91], v[92:93], v[90:91], v[94:95] neg_lo:[0,0,1] neg_hi:[0,0,1]
	v_mov_b32_e32 v91, v97
	s_cbranch_execz .LBB106_269
	s_branch .LBB106_270
.LBB106_268:
                                        ; implicit-def: $vgpr90_vgpr91
.LBB106_269:
	ds_load_b64 v[90:91], v1
.LBB106_270:
	s_and_saveexec_b32 s22, s1
	s_cbranch_execz .LBB106_274
; %bb.271:
	v_add_nc_u32_e32 v92, -16, v0
	s_movk_i32 s23, 0x1e0
	s_mov_b32 s1, 0
.LBB106_272:                            ; =>This Inner Loop Header: Depth=1
	scratch_load_b64 v[94:95], off, s20
	v_dual_mov_b32 v93, s23 :: v_dual_add_nc_u32 v92, -1, v92
	s_add_co_i32 s23, s23, 8
	s_wait_xcnt 0x0
	s_add_co_i32 s20, s20, 8
	ds_load_b64 v[96:97], v93
	v_cmp_eq_u32_e32 vcc_lo, 0, v92
	s_or_b32 s1, vcc_lo, s1
	s_wait_loadcnt_dscnt 0x0
	v_pk_mul_f32 v[98:99], v[96:97], v[94:95] op_sel:[1,1] op_sel_hi:[0,1]
	s_delay_alu instid0(VALU_DEP_1) | instskip(SKIP_1) | instid1(VALU_DEP_2)
	v_pk_fma_f32 v[100:101], v[96:97], v[94:95], v[98:99] op_sel_hi:[1,0,1]
	v_pk_fma_f32 v[94:95], v[96:97], v[94:95], v[98:99] neg_lo:[0,0,1] neg_hi:[0,0,1]
	v_mov_b32_e32 v95, v101
	s_delay_alu instid0(VALU_DEP_1)
	v_pk_add_f32 v[90:91], v[90:91], v[94:95]
	s_and_not1_b32 exec_lo, exec_lo, s1
	s_cbranch_execnz .LBB106_272
; %bb.273:
	s_or_b32 exec_lo, exec_lo, s1
.LBB106_274:
	s_delay_alu instid0(SALU_CYCLE_1) | instskip(SKIP_4) | instid1(VALU_DEP_1)
	s_or_b32 exec_lo, exec_lo, s22
	v_mov_b32_e32 v92, 0
	ds_load_b64 v[92:93], v92 offset:120
	s_wait_dscnt 0x0
	v_pk_mul_f32 v[94:95], v[90:91], v[92:93] op_sel:[1,1] op_sel_hi:[0,1]
	v_pk_fma_f32 v[96:97], v[90:91], v[92:93], v[94:95] op_sel_hi:[1,0,1]
	v_pk_fma_f32 v[90:91], v[90:91], v[92:93], v[94:95] neg_lo:[0,0,1] neg_hi:[0,0,1]
	s_delay_alu instid0(VALU_DEP_2)
	v_mov_b32_e32 v91, v97
	scratch_store_b64 off, v[90:91], off offset:120
.LBB106_275:
	s_wait_xcnt 0x0
	s_or_b32 exec_lo, exec_lo, s21
	scratch_load_b64 v[90:91], off, off offset:112
	v_cmp_lt_u32_e64 s1, 14, v0
	s_wait_loadcnt 0x0
	ds_store_b64 v1, v[90:91]
	s_wait_storecnt_dscnt 0x0
	s_barrier_signal -1
	s_barrier_wait -1
	s_wait_xcnt 0x0
	s_and_saveexec_b32 s20, s1
	s_cbranch_execz .LBB106_285
; %bb.276:
	s_and_not1_b32 vcc_lo, exec_lo, s5
	s_cbranch_vccnz .LBB106_278
; %bb.277:
	scratch_load_b64 v[90:91], v59, off
	ds_load_b64 v[92:93], v1
	s_wait_loadcnt_dscnt 0x0
	v_pk_mul_f32 v[94:95], v[92:93], v[90:91] op_sel:[1,1] op_sel_hi:[0,1]
	s_delay_alu instid0(VALU_DEP_1) | instskip(SKIP_1) | instid1(VALU_DEP_2)
	v_pk_fma_f32 v[96:97], v[92:93], v[90:91], v[94:95] op_sel_hi:[1,0,1]
	v_pk_fma_f32 v[90:91], v[92:93], v[90:91], v[94:95] neg_lo:[0,0,1] neg_hi:[0,0,1]
	v_mov_b32_e32 v91, v97
	s_cbranch_execz .LBB106_279
	s_branch .LBB106_280
.LBB106_278:
                                        ; implicit-def: $vgpr90_vgpr91
.LBB106_279:
	ds_load_b64 v[90:91], v1
.LBB106_280:
	s_and_saveexec_b32 s21, s0
	s_cbranch_execz .LBB106_284
; %bb.281:
	v_add_nc_u32_e32 v92, -15, v0
	s_movk_i32 s22, 0x1d8
	s_mov_b32 s0, 0
.LBB106_282:                            ; =>This Inner Loop Header: Depth=1
	scratch_load_b64 v[94:95], off, s19
	v_dual_mov_b32 v93, s22 :: v_dual_add_nc_u32 v92, -1, v92
	s_add_co_i32 s22, s22, 8
	s_wait_xcnt 0x0
	s_add_co_i32 s19, s19, 8
	ds_load_b64 v[96:97], v93
	v_cmp_eq_u32_e32 vcc_lo, 0, v92
	s_or_b32 s0, vcc_lo, s0
	s_wait_loadcnt_dscnt 0x0
	v_pk_mul_f32 v[98:99], v[96:97], v[94:95] op_sel:[1,1] op_sel_hi:[0,1]
	s_delay_alu instid0(VALU_DEP_1) | instskip(SKIP_1) | instid1(VALU_DEP_2)
	v_pk_fma_f32 v[100:101], v[96:97], v[94:95], v[98:99] op_sel_hi:[1,0,1]
	v_pk_fma_f32 v[94:95], v[96:97], v[94:95], v[98:99] neg_lo:[0,0,1] neg_hi:[0,0,1]
	v_mov_b32_e32 v95, v101
	s_delay_alu instid0(VALU_DEP_1)
	v_pk_add_f32 v[90:91], v[90:91], v[94:95]
	s_and_not1_b32 exec_lo, exec_lo, s0
	s_cbranch_execnz .LBB106_282
; %bb.283:
	s_or_b32 exec_lo, exec_lo, s0
.LBB106_284:
	s_delay_alu instid0(SALU_CYCLE_1) | instskip(SKIP_4) | instid1(VALU_DEP_1)
	s_or_b32 exec_lo, exec_lo, s21
	v_mov_b32_e32 v92, 0
	ds_load_b64 v[92:93], v92 offset:112
	s_wait_dscnt 0x0
	v_pk_mul_f32 v[94:95], v[90:91], v[92:93] op_sel:[1,1] op_sel_hi:[0,1]
	v_pk_fma_f32 v[96:97], v[90:91], v[92:93], v[94:95] op_sel_hi:[1,0,1]
	v_pk_fma_f32 v[90:91], v[90:91], v[92:93], v[94:95] neg_lo:[0,0,1] neg_hi:[0,0,1]
	s_delay_alu instid0(VALU_DEP_2)
	v_mov_b32_e32 v91, v97
	scratch_store_b64 off, v[90:91], off offset:112
.LBB106_285:
	s_wait_xcnt 0x0
	s_or_b32 exec_lo, exec_lo, s20
	scratch_load_b64 v[90:91], off, off offset:104
	v_cmp_lt_u32_e64 s0, 13, v0
	s_wait_loadcnt 0x0
	ds_store_b64 v1, v[90:91]
	s_wait_storecnt_dscnt 0x0
	s_barrier_signal -1
	s_barrier_wait -1
	s_wait_xcnt 0x0
	s_and_saveexec_b32 s19, s0
	s_cbranch_execz .LBB106_295
; %bb.286:
	s_and_not1_b32 vcc_lo, exec_lo, s5
	s_cbranch_vccnz .LBB106_288
; %bb.287:
	scratch_load_b64 v[90:91], v59, off
	ds_load_b64 v[92:93], v1
	s_wait_loadcnt_dscnt 0x0
	v_pk_mul_f32 v[94:95], v[92:93], v[90:91] op_sel:[1,1] op_sel_hi:[0,1]
	s_delay_alu instid0(VALU_DEP_1) | instskip(SKIP_1) | instid1(VALU_DEP_2)
	v_pk_fma_f32 v[96:97], v[92:93], v[90:91], v[94:95] op_sel_hi:[1,0,1]
	v_pk_fma_f32 v[90:91], v[92:93], v[90:91], v[94:95] neg_lo:[0,0,1] neg_hi:[0,0,1]
	v_mov_b32_e32 v91, v97
	s_cbranch_execz .LBB106_289
	s_branch .LBB106_290
.LBB106_288:
                                        ; implicit-def: $vgpr90_vgpr91
.LBB106_289:
	ds_load_b64 v[90:91], v1
.LBB106_290:
	s_and_saveexec_b32 s20, s1
	s_cbranch_execz .LBB106_294
; %bb.291:
	v_add_nc_u32_e32 v92, -14, v0
	s_movk_i32 s21, 0x1d0
	s_mov_b32 s1, 0
.LBB106_292:                            ; =>This Inner Loop Header: Depth=1
	scratch_load_b64 v[94:95], off, s18
	v_dual_mov_b32 v93, s21 :: v_dual_add_nc_u32 v92, -1, v92
	s_add_co_i32 s21, s21, 8
	s_wait_xcnt 0x0
	s_add_co_i32 s18, s18, 8
	ds_load_b64 v[96:97], v93
	v_cmp_eq_u32_e32 vcc_lo, 0, v92
	s_or_b32 s1, vcc_lo, s1
	s_wait_loadcnt_dscnt 0x0
	v_pk_mul_f32 v[98:99], v[96:97], v[94:95] op_sel:[1,1] op_sel_hi:[0,1]
	s_delay_alu instid0(VALU_DEP_1) | instskip(SKIP_1) | instid1(VALU_DEP_2)
	v_pk_fma_f32 v[100:101], v[96:97], v[94:95], v[98:99] op_sel_hi:[1,0,1]
	v_pk_fma_f32 v[94:95], v[96:97], v[94:95], v[98:99] neg_lo:[0,0,1] neg_hi:[0,0,1]
	v_mov_b32_e32 v95, v101
	s_delay_alu instid0(VALU_DEP_1)
	v_pk_add_f32 v[90:91], v[90:91], v[94:95]
	s_and_not1_b32 exec_lo, exec_lo, s1
	s_cbranch_execnz .LBB106_292
; %bb.293:
	s_or_b32 exec_lo, exec_lo, s1
.LBB106_294:
	s_delay_alu instid0(SALU_CYCLE_1) | instskip(SKIP_4) | instid1(VALU_DEP_1)
	s_or_b32 exec_lo, exec_lo, s20
	v_mov_b32_e32 v92, 0
	ds_load_b64 v[92:93], v92 offset:104
	s_wait_dscnt 0x0
	v_pk_mul_f32 v[94:95], v[90:91], v[92:93] op_sel:[1,1] op_sel_hi:[0,1]
	v_pk_fma_f32 v[96:97], v[90:91], v[92:93], v[94:95] op_sel_hi:[1,0,1]
	v_pk_fma_f32 v[90:91], v[90:91], v[92:93], v[94:95] neg_lo:[0,0,1] neg_hi:[0,0,1]
	s_delay_alu instid0(VALU_DEP_2)
	v_mov_b32_e32 v91, v97
	scratch_store_b64 off, v[90:91], off offset:104
.LBB106_295:
	s_wait_xcnt 0x0
	s_or_b32 exec_lo, exec_lo, s19
	scratch_load_b64 v[90:91], off, off offset:96
	v_cmp_lt_u32_e64 s1, 12, v0
	s_wait_loadcnt 0x0
	ds_store_b64 v1, v[90:91]
	s_wait_storecnt_dscnt 0x0
	s_barrier_signal -1
	s_barrier_wait -1
	s_wait_xcnt 0x0
	s_and_saveexec_b32 s18, s1
	s_cbranch_execz .LBB106_305
; %bb.296:
	s_and_not1_b32 vcc_lo, exec_lo, s5
	s_cbranch_vccnz .LBB106_298
; %bb.297:
	scratch_load_b64 v[90:91], v59, off
	ds_load_b64 v[92:93], v1
	s_wait_loadcnt_dscnt 0x0
	v_pk_mul_f32 v[94:95], v[92:93], v[90:91] op_sel:[1,1] op_sel_hi:[0,1]
	s_delay_alu instid0(VALU_DEP_1) | instskip(SKIP_1) | instid1(VALU_DEP_2)
	v_pk_fma_f32 v[96:97], v[92:93], v[90:91], v[94:95] op_sel_hi:[1,0,1]
	v_pk_fma_f32 v[90:91], v[92:93], v[90:91], v[94:95] neg_lo:[0,0,1] neg_hi:[0,0,1]
	v_mov_b32_e32 v91, v97
	s_cbranch_execz .LBB106_299
	s_branch .LBB106_300
.LBB106_298:
                                        ; implicit-def: $vgpr90_vgpr91
.LBB106_299:
	ds_load_b64 v[90:91], v1
.LBB106_300:
	s_and_saveexec_b32 s19, s0
	s_cbranch_execz .LBB106_304
; %bb.301:
	v_add_nc_u32_e32 v92, -13, v0
	s_movk_i32 s20, 0x1c8
	s_mov_b32 s0, 0
.LBB106_302:                            ; =>This Inner Loop Header: Depth=1
	scratch_load_b64 v[94:95], off, s17
	v_dual_mov_b32 v93, s20 :: v_dual_add_nc_u32 v92, -1, v92
	s_add_co_i32 s20, s20, 8
	s_wait_xcnt 0x0
	s_add_co_i32 s17, s17, 8
	ds_load_b64 v[96:97], v93
	v_cmp_eq_u32_e32 vcc_lo, 0, v92
	s_or_b32 s0, vcc_lo, s0
	s_wait_loadcnt_dscnt 0x0
	v_pk_mul_f32 v[98:99], v[96:97], v[94:95] op_sel:[1,1] op_sel_hi:[0,1]
	s_delay_alu instid0(VALU_DEP_1) | instskip(SKIP_1) | instid1(VALU_DEP_2)
	v_pk_fma_f32 v[100:101], v[96:97], v[94:95], v[98:99] op_sel_hi:[1,0,1]
	v_pk_fma_f32 v[94:95], v[96:97], v[94:95], v[98:99] neg_lo:[0,0,1] neg_hi:[0,0,1]
	v_mov_b32_e32 v95, v101
	s_delay_alu instid0(VALU_DEP_1)
	v_pk_add_f32 v[90:91], v[90:91], v[94:95]
	s_and_not1_b32 exec_lo, exec_lo, s0
	s_cbranch_execnz .LBB106_302
; %bb.303:
	s_or_b32 exec_lo, exec_lo, s0
.LBB106_304:
	s_delay_alu instid0(SALU_CYCLE_1) | instskip(SKIP_4) | instid1(VALU_DEP_1)
	s_or_b32 exec_lo, exec_lo, s19
	v_mov_b32_e32 v92, 0
	ds_load_b64 v[92:93], v92 offset:96
	s_wait_dscnt 0x0
	v_pk_mul_f32 v[94:95], v[90:91], v[92:93] op_sel:[1,1] op_sel_hi:[0,1]
	v_pk_fma_f32 v[96:97], v[90:91], v[92:93], v[94:95] op_sel_hi:[1,0,1]
	v_pk_fma_f32 v[90:91], v[90:91], v[92:93], v[94:95] neg_lo:[0,0,1] neg_hi:[0,0,1]
	s_delay_alu instid0(VALU_DEP_2)
	v_mov_b32_e32 v91, v97
	scratch_store_b64 off, v[90:91], off offset:96
.LBB106_305:
	s_wait_xcnt 0x0
	s_or_b32 exec_lo, exec_lo, s18
	scratch_load_b64 v[90:91], off, off offset:88
	v_cmp_lt_u32_e64 s0, 11, v0
	s_wait_loadcnt 0x0
	ds_store_b64 v1, v[90:91]
	s_wait_storecnt_dscnt 0x0
	s_barrier_signal -1
	s_barrier_wait -1
	s_wait_xcnt 0x0
	s_and_saveexec_b32 s17, s0
	s_cbranch_execz .LBB106_315
; %bb.306:
	s_and_not1_b32 vcc_lo, exec_lo, s5
	s_cbranch_vccnz .LBB106_308
; %bb.307:
	scratch_load_b64 v[90:91], v59, off
	ds_load_b64 v[92:93], v1
	s_wait_loadcnt_dscnt 0x0
	v_pk_mul_f32 v[94:95], v[92:93], v[90:91] op_sel:[1,1] op_sel_hi:[0,1]
	s_delay_alu instid0(VALU_DEP_1) | instskip(SKIP_1) | instid1(VALU_DEP_2)
	v_pk_fma_f32 v[96:97], v[92:93], v[90:91], v[94:95] op_sel_hi:[1,0,1]
	v_pk_fma_f32 v[90:91], v[92:93], v[90:91], v[94:95] neg_lo:[0,0,1] neg_hi:[0,0,1]
	v_mov_b32_e32 v91, v97
	s_cbranch_execz .LBB106_309
	s_branch .LBB106_310
.LBB106_308:
                                        ; implicit-def: $vgpr90_vgpr91
.LBB106_309:
	ds_load_b64 v[90:91], v1
.LBB106_310:
	s_and_saveexec_b32 s18, s1
	s_cbranch_execz .LBB106_314
; %bb.311:
	v_add_nc_u32_e32 v92, -12, v0
	s_movk_i32 s19, 0x1c0
	s_mov_b32 s1, 0
.LBB106_312:                            ; =>This Inner Loop Header: Depth=1
	scratch_load_b64 v[94:95], off, s16
	v_dual_mov_b32 v93, s19 :: v_dual_add_nc_u32 v92, -1, v92
	s_add_co_i32 s19, s19, 8
	s_wait_xcnt 0x0
	s_add_co_i32 s16, s16, 8
	ds_load_b64 v[96:97], v93
	v_cmp_eq_u32_e32 vcc_lo, 0, v92
	s_or_b32 s1, vcc_lo, s1
	s_wait_loadcnt_dscnt 0x0
	v_pk_mul_f32 v[98:99], v[96:97], v[94:95] op_sel:[1,1] op_sel_hi:[0,1]
	s_delay_alu instid0(VALU_DEP_1) | instskip(SKIP_1) | instid1(VALU_DEP_2)
	v_pk_fma_f32 v[100:101], v[96:97], v[94:95], v[98:99] op_sel_hi:[1,0,1]
	v_pk_fma_f32 v[94:95], v[96:97], v[94:95], v[98:99] neg_lo:[0,0,1] neg_hi:[0,0,1]
	v_mov_b32_e32 v95, v101
	s_delay_alu instid0(VALU_DEP_1)
	v_pk_add_f32 v[90:91], v[90:91], v[94:95]
	s_and_not1_b32 exec_lo, exec_lo, s1
	s_cbranch_execnz .LBB106_312
; %bb.313:
	s_or_b32 exec_lo, exec_lo, s1
.LBB106_314:
	s_delay_alu instid0(SALU_CYCLE_1) | instskip(SKIP_4) | instid1(VALU_DEP_1)
	s_or_b32 exec_lo, exec_lo, s18
	v_mov_b32_e32 v92, 0
	ds_load_b64 v[92:93], v92 offset:88
	s_wait_dscnt 0x0
	v_pk_mul_f32 v[94:95], v[90:91], v[92:93] op_sel:[1,1] op_sel_hi:[0,1]
	v_pk_fma_f32 v[96:97], v[90:91], v[92:93], v[94:95] op_sel_hi:[1,0,1]
	v_pk_fma_f32 v[90:91], v[90:91], v[92:93], v[94:95] neg_lo:[0,0,1] neg_hi:[0,0,1]
	s_delay_alu instid0(VALU_DEP_2)
	v_mov_b32_e32 v91, v97
	scratch_store_b64 off, v[90:91], off offset:88
.LBB106_315:
	s_wait_xcnt 0x0
	s_or_b32 exec_lo, exec_lo, s17
	scratch_load_b64 v[90:91], off, off offset:80
	v_cmp_lt_u32_e64 s1, 10, v0
	s_wait_loadcnt 0x0
	ds_store_b64 v1, v[90:91]
	s_wait_storecnt_dscnt 0x0
	s_barrier_signal -1
	s_barrier_wait -1
	s_wait_xcnt 0x0
	s_and_saveexec_b32 s16, s1
	s_cbranch_execz .LBB106_325
; %bb.316:
	s_and_not1_b32 vcc_lo, exec_lo, s5
	s_cbranch_vccnz .LBB106_318
; %bb.317:
	scratch_load_b64 v[90:91], v59, off
	ds_load_b64 v[92:93], v1
	s_wait_loadcnt_dscnt 0x0
	v_pk_mul_f32 v[94:95], v[92:93], v[90:91] op_sel:[1,1] op_sel_hi:[0,1]
	s_delay_alu instid0(VALU_DEP_1) | instskip(SKIP_1) | instid1(VALU_DEP_2)
	v_pk_fma_f32 v[96:97], v[92:93], v[90:91], v[94:95] op_sel_hi:[1,0,1]
	v_pk_fma_f32 v[90:91], v[92:93], v[90:91], v[94:95] neg_lo:[0,0,1] neg_hi:[0,0,1]
	v_mov_b32_e32 v91, v97
	s_cbranch_execz .LBB106_319
	s_branch .LBB106_320
.LBB106_318:
                                        ; implicit-def: $vgpr90_vgpr91
.LBB106_319:
	ds_load_b64 v[90:91], v1
.LBB106_320:
	s_and_saveexec_b32 s17, s0
	s_cbranch_execz .LBB106_324
; %bb.321:
	v_add_nc_u32_e32 v92, -11, v0
	s_movk_i32 s18, 0x1b8
	s_mov_b32 s0, 0
.LBB106_322:                            ; =>This Inner Loop Header: Depth=1
	scratch_load_b64 v[94:95], off, s15
	v_dual_mov_b32 v93, s18 :: v_dual_add_nc_u32 v92, -1, v92
	s_add_co_i32 s18, s18, 8
	s_wait_xcnt 0x0
	s_add_co_i32 s15, s15, 8
	ds_load_b64 v[96:97], v93
	v_cmp_eq_u32_e32 vcc_lo, 0, v92
	s_or_b32 s0, vcc_lo, s0
	s_wait_loadcnt_dscnt 0x0
	v_pk_mul_f32 v[98:99], v[96:97], v[94:95] op_sel:[1,1] op_sel_hi:[0,1]
	s_delay_alu instid0(VALU_DEP_1) | instskip(SKIP_1) | instid1(VALU_DEP_2)
	v_pk_fma_f32 v[100:101], v[96:97], v[94:95], v[98:99] op_sel_hi:[1,0,1]
	v_pk_fma_f32 v[94:95], v[96:97], v[94:95], v[98:99] neg_lo:[0,0,1] neg_hi:[0,0,1]
	v_mov_b32_e32 v95, v101
	s_delay_alu instid0(VALU_DEP_1)
	v_pk_add_f32 v[90:91], v[90:91], v[94:95]
	s_and_not1_b32 exec_lo, exec_lo, s0
	s_cbranch_execnz .LBB106_322
; %bb.323:
	s_or_b32 exec_lo, exec_lo, s0
.LBB106_324:
	s_delay_alu instid0(SALU_CYCLE_1) | instskip(SKIP_4) | instid1(VALU_DEP_1)
	s_or_b32 exec_lo, exec_lo, s17
	v_mov_b32_e32 v92, 0
	ds_load_b64 v[92:93], v92 offset:80
	s_wait_dscnt 0x0
	v_pk_mul_f32 v[94:95], v[90:91], v[92:93] op_sel:[1,1] op_sel_hi:[0,1]
	v_pk_fma_f32 v[96:97], v[90:91], v[92:93], v[94:95] op_sel_hi:[1,0,1]
	v_pk_fma_f32 v[90:91], v[90:91], v[92:93], v[94:95] neg_lo:[0,0,1] neg_hi:[0,0,1]
	s_delay_alu instid0(VALU_DEP_2)
	v_mov_b32_e32 v91, v97
	scratch_store_b64 off, v[90:91], off offset:80
.LBB106_325:
	s_wait_xcnt 0x0
	s_or_b32 exec_lo, exec_lo, s16
	scratch_load_b64 v[90:91], off, off offset:72
	v_cmp_lt_u32_e64 s0, 9, v0
	s_wait_loadcnt 0x0
	ds_store_b64 v1, v[90:91]
	s_wait_storecnt_dscnt 0x0
	s_barrier_signal -1
	s_barrier_wait -1
	s_wait_xcnt 0x0
	s_and_saveexec_b32 s15, s0
	s_cbranch_execz .LBB106_335
; %bb.326:
	s_and_not1_b32 vcc_lo, exec_lo, s5
	s_cbranch_vccnz .LBB106_328
; %bb.327:
	scratch_load_b64 v[90:91], v59, off
	ds_load_b64 v[92:93], v1
	s_wait_loadcnt_dscnt 0x0
	v_pk_mul_f32 v[94:95], v[92:93], v[90:91] op_sel:[1,1] op_sel_hi:[0,1]
	s_delay_alu instid0(VALU_DEP_1) | instskip(SKIP_1) | instid1(VALU_DEP_2)
	v_pk_fma_f32 v[96:97], v[92:93], v[90:91], v[94:95] op_sel_hi:[1,0,1]
	v_pk_fma_f32 v[90:91], v[92:93], v[90:91], v[94:95] neg_lo:[0,0,1] neg_hi:[0,0,1]
	v_mov_b32_e32 v91, v97
	s_cbranch_execz .LBB106_329
	s_branch .LBB106_330
.LBB106_328:
                                        ; implicit-def: $vgpr90_vgpr91
.LBB106_329:
	ds_load_b64 v[90:91], v1
.LBB106_330:
	s_and_saveexec_b32 s16, s1
	s_cbranch_execz .LBB106_334
; %bb.331:
	v_add_nc_u32_e32 v92, -10, v0
	s_movk_i32 s17, 0x1b0
	s_mov_b32 s1, 0
.LBB106_332:                            ; =>This Inner Loop Header: Depth=1
	scratch_load_b64 v[94:95], off, s14
	v_dual_mov_b32 v93, s17 :: v_dual_add_nc_u32 v92, -1, v92
	s_add_co_i32 s17, s17, 8
	s_wait_xcnt 0x0
	s_add_co_i32 s14, s14, 8
	ds_load_b64 v[96:97], v93
	v_cmp_eq_u32_e32 vcc_lo, 0, v92
	s_or_b32 s1, vcc_lo, s1
	s_wait_loadcnt_dscnt 0x0
	v_pk_mul_f32 v[98:99], v[96:97], v[94:95] op_sel:[1,1] op_sel_hi:[0,1]
	s_delay_alu instid0(VALU_DEP_1) | instskip(SKIP_1) | instid1(VALU_DEP_2)
	v_pk_fma_f32 v[100:101], v[96:97], v[94:95], v[98:99] op_sel_hi:[1,0,1]
	v_pk_fma_f32 v[94:95], v[96:97], v[94:95], v[98:99] neg_lo:[0,0,1] neg_hi:[0,0,1]
	v_mov_b32_e32 v95, v101
	s_delay_alu instid0(VALU_DEP_1)
	v_pk_add_f32 v[90:91], v[90:91], v[94:95]
	s_and_not1_b32 exec_lo, exec_lo, s1
	s_cbranch_execnz .LBB106_332
; %bb.333:
	s_or_b32 exec_lo, exec_lo, s1
.LBB106_334:
	s_delay_alu instid0(SALU_CYCLE_1) | instskip(SKIP_4) | instid1(VALU_DEP_1)
	s_or_b32 exec_lo, exec_lo, s16
	v_mov_b32_e32 v92, 0
	ds_load_b64 v[92:93], v92 offset:72
	s_wait_dscnt 0x0
	v_pk_mul_f32 v[94:95], v[90:91], v[92:93] op_sel:[1,1] op_sel_hi:[0,1]
	v_pk_fma_f32 v[96:97], v[90:91], v[92:93], v[94:95] op_sel_hi:[1,0,1]
	v_pk_fma_f32 v[90:91], v[90:91], v[92:93], v[94:95] neg_lo:[0,0,1] neg_hi:[0,0,1]
	s_delay_alu instid0(VALU_DEP_2)
	v_mov_b32_e32 v91, v97
	scratch_store_b64 off, v[90:91], off offset:72
.LBB106_335:
	s_wait_xcnt 0x0
	s_or_b32 exec_lo, exec_lo, s15
	scratch_load_b64 v[90:91], off, off offset:64
	v_cmp_lt_u32_e64 s1, 8, v0
	s_wait_loadcnt 0x0
	ds_store_b64 v1, v[90:91]
	s_wait_storecnt_dscnt 0x0
	s_barrier_signal -1
	s_barrier_wait -1
	s_wait_xcnt 0x0
	s_and_saveexec_b32 s14, s1
	s_cbranch_execz .LBB106_345
; %bb.336:
	s_and_not1_b32 vcc_lo, exec_lo, s5
	s_cbranch_vccnz .LBB106_338
; %bb.337:
	scratch_load_b64 v[90:91], v59, off
	ds_load_b64 v[92:93], v1
	s_wait_loadcnt_dscnt 0x0
	v_pk_mul_f32 v[94:95], v[92:93], v[90:91] op_sel:[1,1] op_sel_hi:[0,1]
	s_delay_alu instid0(VALU_DEP_1) | instskip(SKIP_1) | instid1(VALU_DEP_2)
	v_pk_fma_f32 v[96:97], v[92:93], v[90:91], v[94:95] op_sel_hi:[1,0,1]
	v_pk_fma_f32 v[90:91], v[92:93], v[90:91], v[94:95] neg_lo:[0,0,1] neg_hi:[0,0,1]
	v_mov_b32_e32 v91, v97
	s_cbranch_execz .LBB106_339
	s_branch .LBB106_340
.LBB106_338:
                                        ; implicit-def: $vgpr90_vgpr91
.LBB106_339:
	ds_load_b64 v[90:91], v1
.LBB106_340:
	s_and_saveexec_b32 s15, s0
	s_cbranch_execz .LBB106_344
; %bb.341:
	v_add_nc_u32_e32 v92, -9, v0
	s_movk_i32 s16, 0x1a8
	s_mov_b32 s0, 0
.LBB106_342:                            ; =>This Inner Loop Header: Depth=1
	scratch_load_b64 v[94:95], off, s13
	v_dual_mov_b32 v93, s16 :: v_dual_add_nc_u32 v92, -1, v92
	s_add_co_i32 s16, s16, 8
	s_wait_xcnt 0x0
	s_add_co_i32 s13, s13, 8
	ds_load_b64 v[96:97], v93
	v_cmp_eq_u32_e32 vcc_lo, 0, v92
	s_or_b32 s0, vcc_lo, s0
	s_wait_loadcnt_dscnt 0x0
	v_pk_mul_f32 v[98:99], v[96:97], v[94:95] op_sel:[1,1] op_sel_hi:[0,1]
	s_delay_alu instid0(VALU_DEP_1) | instskip(SKIP_1) | instid1(VALU_DEP_2)
	v_pk_fma_f32 v[100:101], v[96:97], v[94:95], v[98:99] op_sel_hi:[1,0,1]
	v_pk_fma_f32 v[94:95], v[96:97], v[94:95], v[98:99] neg_lo:[0,0,1] neg_hi:[0,0,1]
	v_mov_b32_e32 v95, v101
	s_delay_alu instid0(VALU_DEP_1)
	v_pk_add_f32 v[90:91], v[90:91], v[94:95]
	s_and_not1_b32 exec_lo, exec_lo, s0
	s_cbranch_execnz .LBB106_342
; %bb.343:
	s_or_b32 exec_lo, exec_lo, s0
.LBB106_344:
	s_delay_alu instid0(SALU_CYCLE_1) | instskip(SKIP_4) | instid1(VALU_DEP_1)
	s_or_b32 exec_lo, exec_lo, s15
	v_mov_b32_e32 v92, 0
	ds_load_b64 v[92:93], v92 offset:64
	s_wait_dscnt 0x0
	v_pk_mul_f32 v[94:95], v[90:91], v[92:93] op_sel:[1,1] op_sel_hi:[0,1]
	v_pk_fma_f32 v[96:97], v[90:91], v[92:93], v[94:95] op_sel_hi:[1,0,1]
	v_pk_fma_f32 v[90:91], v[90:91], v[92:93], v[94:95] neg_lo:[0,0,1] neg_hi:[0,0,1]
	s_delay_alu instid0(VALU_DEP_2)
	v_mov_b32_e32 v91, v97
	scratch_store_b64 off, v[90:91], off offset:64
.LBB106_345:
	s_wait_xcnt 0x0
	s_or_b32 exec_lo, exec_lo, s14
	scratch_load_b64 v[90:91], off, off offset:56
	v_cmp_lt_u32_e64 s0, 7, v0
	s_wait_loadcnt 0x0
	ds_store_b64 v1, v[90:91]
	s_wait_storecnt_dscnt 0x0
	s_barrier_signal -1
	s_barrier_wait -1
	s_wait_xcnt 0x0
	s_and_saveexec_b32 s13, s0
	s_cbranch_execz .LBB106_355
; %bb.346:
	s_and_not1_b32 vcc_lo, exec_lo, s5
	s_cbranch_vccnz .LBB106_348
; %bb.347:
	scratch_load_b64 v[90:91], v59, off
	ds_load_b64 v[92:93], v1
	s_wait_loadcnt_dscnt 0x0
	v_pk_mul_f32 v[94:95], v[92:93], v[90:91] op_sel:[1,1] op_sel_hi:[0,1]
	s_delay_alu instid0(VALU_DEP_1) | instskip(SKIP_1) | instid1(VALU_DEP_2)
	v_pk_fma_f32 v[96:97], v[92:93], v[90:91], v[94:95] op_sel_hi:[1,0,1]
	v_pk_fma_f32 v[90:91], v[92:93], v[90:91], v[94:95] neg_lo:[0,0,1] neg_hi:[0,0,1]
	v_mov_b32_e32 v91, v97
	s_cbranch_execz .LBB106_349
	s_branch .LBB106_350
.LBB106_348:
                                        ; implicit-def: $vgpr90_vgpr91
.LBB106_349:
	ds_load_b64 v[90:91], v1
.LBB106_350:
	s_and_saveexec_b32 s14, s1
	s_cbranch_execz .LBB106_354
; %bb.351:
	v_add_nc_u32_e32 v92, -8, v0
	s_movk_i32 s15, 0x1a0
	s_mov_b32 s1, 0
.LBB106_352:                            ; =>This Inner Loop Header: Depth=1
	scratch_load_b64 v[94:95], off, s12
	v_dual_mov_b32 v93, s15 :: v_dual_add_nc_u32 v92, -1, v92
	s_add_co_i32 s15, s15, 8
	s_wait_xcnt 0x0
	s_add_co_i32 s12, s12, 8
	ds_load_b64 v[96:97], v93
	v_cmp_eq_u32_e32 vcc_lo, 0, v92
	s_or_b32 s1, vcc_lo, s1
	s_wait_loadcnt_dscnt 0x0
	v_pk_mul_f32 v[98:99], v[96:97], v[94:95] op_sel:[1,1] op_sel_hi:[0,1]
	s_delay_alu instid0(VALU_DEP_1) | instskip(SKIP_1) | instid1(VALU_DEP_2)
	v_pk_fma_f32 v[100:101], v[96:97], v[94:95], v[98:99] op_sel_hi:[1,0,1]
	v_pk_fma_f32 v[94:95], v[96:97], v[94:95], v[98:99] neg_lo:[0,0,1] neg_hi:[0,0,1]
	v_mov_b32_e32 v95, v101
	s_delay_alu instid0(VALU_DEP_1)
	v_pk_add_f32 v[90:91], v[90:91], v[94:95]
	s_and_not1_b32 exec_lo, exec_lo, s1
	s_cbranch_execnz .LBB106_352
; %bb.353:
	s_or_b32 exec_lo, exec_lo, s1
.LBB106_354:
	s_delay_alu instid0(SALU_CYCLE_1) | instskip(SKIP_4) | instid1(VALU_DEP_1)
	s_or_b32 exec_lo, exec_lo, s14
	v_mov_b32_e32 v92, 0
	ds_load_b64 v[92:93], v92 offset:56
	s_wait_dscnt 0x0
	v_pk_mul_f32 v[94:95], v[90:91], v[92:93] op_sel:[1,1] op_sel_hi:[0,1]
	v_pk_fma_f32 v[96:97], v[90:91], v[92:93], v[94:95] op_sel_hi:[1,0,1]
	v_pk_fma_f32 v[90:91], v[90:91], v[92:93], v[94:95] neg_lo:[0,0,1] neg_hi:[0,0,1]
	s_delay_alu instid0(VALU_DEP_2)
	v_mov_b32_e32 v91, v97
	scratch_store_b64 off, v[90:91], off offset:56
.LBB106_355:
	s_wait_xcnt 0x0
	s_or_b32 exec_lo, exec_lo, s13
	scratch_load_b64 v[90:91], off, off offset:48
	v_cmp_lt_u32_e64 s1, 6, v0
	s_wait_loadcnt 0x0
	ds_store_b64 v1, v[90:91]
	s_wait_storecnt_dscnt 0x0
	s_barrier_signal -1
	s_barrier_wait -1
	s_wait_xcnt 0x0
	s_and_saveexec_b32 s12, s1
	s_cbranch_execz .LBB106_365
; %bb.356:
	s_and_not1_b32 vcc_lo, exec_lo, s5
	s_cbranch_vccnz .LBB106_358
; %bb.357:
	scratch_load_b64 v[90:91], v59, off
	ds_load_b64 v[92:93], v1
	s_wait_loadcnt_dscnt 0x0
	v_pk_mul_f32 v[94:95], v[92:93], v[90:91] op_sel:[1,1] op_sel_hi:[0,1]
	s_delay_alu instid0(VALU_DEP_1) | instskip(SKIP_1) | instid1(VALU_DEP_2)
	v_pk_fma_f32 v[96:97], v[92:93], v[90:91], v[94:95] op_sel_hi:[1,0,1]
	v_pk_fma_f32 v[90:91], v[92:93], v[90:91], v[94:95] neg_lo:[0,0,1] neg_hi:[0,0,1]
	v_mov_b32_e32 v91, v97
	s_cbranch_execz .LBB106_359
	s_branch .LBB106_360
.LBB106_358:
                                        ; implicit-def: $vgpr90_vgpr91
.LBB106_359:
	ds_load_b64 v[90:91], v1
.LBB106_360:
	s_and_saveexec_b32 s13, s0
	s_cbranch_execz .LBB106_364
; %bb.361:
	v_add_nc_u32_e32 v92, -7, v0
	s_movk_i32 s14, 0x198
	s_mov_b32 s0, 0
.LBB106_362:                            ; =>This Inner Loop Header: Depth=1
	scratch_load_b64 v[94:95], off, s11
	v_dual_mov_b32 v93, s14 :: v_dual_add_nc_u32 v92, -1, v92
	s_add_co_i32 s14, s14, 8
	s_wait_xcnt 0x0
	s_add_co_i32 s11, s11, 8
	ds_load_b64 v[96:97], v93
	v_cmp_eq_u32_e32 vcc_lo, 0, v92
	s_or_b32 s0, vcc_lo, s0
	s_wait_loadcnt_dscnt 0x0
	v_pk_mul_f32 v[98:99], v[96:97], v[94:95] op_sel:[1,1] op_sel_hi:[0,1]
	s_delay_alu instid0(VALU_DEP_1) | instskip(SKIP_1) | instid1(VALU_DEP_2)
	v_pk_fma_f32 v[100:101], v[96:97], v[94:95], v[98:99] op_sel_hi:[1,0,1]
	v_pk_fma_f32 v[94:95], v[96:97], v[94:95], v[98:99] neg_lo:[0,0,1] neg_hi:[0,0,1]
	v_mov_b32_e32 v95, v101
	s_delay_alu instid0(VALU_DEP_1)
	v_pk_add_f32 v[90:91], v[90:91], v[94:95]
	s_and_not1_b32 exec_lo, exec_lo, s0
	s_cbranch_execnz .LBB106_362
; %bb.363:
	s_or_b32 exec_lo, exec_lo, s0
.LBB106_364:
	s_delay_alu instid0(SALU_CYCLE_1) | instskip(SKIP_4) | instid1(VALU_DEP_1)
	s_or_b32 exec_lo, exec_lo, s13
	v_mov_b32_e32 v92, 0
	ds_load_b64 v[92:93], v92 offset:48
	s_wait_dscnt 0x0
	v_pk_mul_f32 v[94:95], v[90:91], v[92:93] op_sel:[1,1] op_sel_hi:[0,1]
	v_pk_fma_f32 v[96:97], v[90:91], v[92:93], v[94:95] op_sel_hi:[1,0,1]
	v_pk_fma_f32 v[90:91], v[90:91], v[92:93], v[94:95] neg_lo:[0,0,1] neg_hi:[0,0,1]
	s_delay_alu instid0(VALU_DEP_2)
	v_mov_b32_e32 v91, v97
	scratch_store_b64 off, v[90:91], off offset:48
.LBB106_365:
	s_wait_xcnt 0x0
	s_or_b32 exec_lo, exec_lo, s12
	scratch_load_b64 v[90:91], off, off offset:40
	v_cmp_lt_u32_e64 s0, 5, v0
	s_wait_loadcnt 0x0
	ds_store_b64 v1, v[90:91]
	s_wait_storecnt_dscnt 0x0
	s_barrier_signal -1
	s_barrier_wait -1
	s_wait_xcnt 0x0
	s_and_saveexec_b32 s11, s0
	s_cbranch_execz .LBB106_375
; %bb.366:
	s_and_not1_b32 vcc_lo, exec_lo, s5
	s_cbranch_vccnz .LBB106_368
; %bb.367:
	scratch_load_b64 v[90:91], v59, off
	ds_load_b64 v[92:93], v1
	s_wait_loadcnt_dscnt 0x0
	v_pk_mul_f32 v[94:95], v[92:93], v[90:91] op_sel:[1,1] op_sel_hi:[0,1]
	s_delay_alu instid0(VALU_DEP_1) | instskip(SKIP_1) | instid1(VALU_DEP_2)
	v_pk_fma_f32 v[96:97], v[92:93], v[90:91], v[94:95] op_sel_hi:[1,0,1]
	v_pk_fma_f32 v[90:91], v[92:93], v[90:91], v[94:95] neg_lo:[0,0,1] neg_hi:[0,0,1]
	v_mov_b32_e32 v91, v97
	s_cbranch_execz .LBB106_369
	s_branch .LBB106_370
.LBB106_368:
                                        ; implicit-def: $vgpr90_vgpr91
.LBB106_369:
	ds_load_b64 v[90:91], v1
.LBB106_370:
	s_and_saveexec_b32 s12, s1
	s_cbranch_execz .LBB106_374
; %bb.371:
	v_add_nc_u32_e32 v92, -6, v0
	s_movk_i32 s13, 0x190
	s_mov_b32 s1, 0
.LBB106_372:                            ; =>This Inner Loop Header: Depth=1
	scratch_load_b64 v[94:95], off, s10
	v_dual_mov_b32 v93, s13 :: v_dual_add_nc_u32 v92, -1, v92
	s_add_co_i32 s13, s13, 8
	s_wait_xcnt 0x0
	s_add_co_i32 s10, s10, 8
	ds_load_b64 v[96:97], v93
	v_cmp_eq_u32_e32 vcc_lo, 0, v92
	s_or_b32 s1, vcc_lo, s1
	s_wait_loadcnt_dscnt 0x0
	v_pk_mul_f32 v[98:99], v[96:97], v[94:95] op_sel:[1,1] op_sel_hi:[0,1]
	s_delay_alu instid0(VALU_DEP_1) | instskip(SKIP_1) | instid1(VALU_DEP_2)
	v_pk_fma_f32 v[100:101], v[96:97], v[94:95], v[98:99] op_sel_hi:[1,0,1]
	v_pk_fma_f32 v[94:95], v[96:97], v[94:95], v[98:99] neg_lo:[0,0,1] neg_hi:[0,0,1]
	v_mov_b32_e32 v95, v101
	s_delay_alu instid0(VALU_DEP_1)
	v_pk_add_f32 v[90:91], v[90:91], v[94:95]
	s_and_not1_b32 exec_lo, exec_lo, s1
	s_cbranch_execnz .LBB106_372
; %bb.373:
	s_or_b32 exec_lo, exec_lo, s1
.LBB106_374:
	s_delay_alu instid0(SALU_CYCLE_1) | instskip(SKIP_4) | instid1(VALU_DEP_1)
	s_or_b32 exec_lo, exec_lo, s12
	v_mov_b32_e32 v92, 0
	ds_load_b64 v[92:93], v92 offset:40
	s_wait_dscnt 0x0
	v_pk_mul_f32 v[94:95], v[90:91], v[92:93] op_sel:[1,1] op_sel_hi:[0,1]
	v_pk_fma_f32 v[96:97], v[90:91], v[92:93], v[94:95] op_sel_hi:[1,0,1]
	v_pk_fma_f32 v[90:91], v[90:91], v[92:93], v[94:95] neg_lo:[0,0,1] neg_hi:[0,0,1]
	s_delay_alu instid0(VALU_DEP_2)
	v_mov_b32_e32 v91, v97
	scratch_store_b64 off, v[90:91], off offset:40
.LBB106_375:
	s_wait_xcnt 0x0
	s_or_b32 exec_lo, exec_lo, s11
	scratch_load_b64 v[90:91], off, off offset:32
	v_cmp_lt_u32_e64 s1, 4, v0
	s_wait_loadcnt 0x0
	ds_store_b64 v1, v[90:91]
	s_wait_storecnt_dscnt 0x0
	s_barrier_signal -1
	s_barrier_wait -1
	s_wait_xcnt 0x0
	s_and_saveexec_b32 s10, s1
	s_cbranch_execz .LBB106_385
; %bb.376:
	s_and_not1_b32 vcc_lo, exec_lo, s5
	s_cbranch_vccnz .LBB106_378
; %bb.377:
	scratch_load_b64 v[90:91], v59, off
	ds_load_b64 v[92:93], v1
	s_wait_loadcnt_dscnt 0x0
	v_pk_mul_f32 v[94:95], v[92:93], v[90:91] op_sel:[1,1] op_sel_hi:[0,1]
	s_delay_alu instid0(VALU_DEP_1) | instskip(SKIP_1) | instid1(VALU_DEP_2)
	v_pk_fma_f32 v[96:97], v[92:93], v[90:91], v[94:95] op_sel_hi:[1,0,1]
	v_pk_fma_f32 v[90:91], v[92:93], v[90:91], v[94:95] neg_lo:[0,0,1] neg_hi:[0,0,1]
	v_mov_b32_e32 v91, v97
	s_cbranch_execz .LBB106_379
	s_branch .LBB106_380
.LBB106_378:
                                        ; implicit-def: $vgpr90_vgpr91
.LBB106_379:
	ds_load_b64 v[90:91], v1
.LBB106_380:
	s_and_saveexec_b32 s11, s0
	s_cbranch_execz .LBB106_384
; %bb.381:
	v_add_nc_u32_e32 v92, -5, v0
	s_movk_i32 s12, 0x188
	s_mov_b32 s0, 0
.LBB106_382:                            ; =>This Inner Loop Header: Depth=1
	scratch_load_b64 v[94:95], off, s9
	v_dual_mov_b32 v93, s12 :: v_dual_add_nc_u32 v92, -1, v92
	s_add_co_i32 s12, s12, 8
	s_wait_xcnt 0x0
	s_add_co_i32 s9, s9, 8
	ds_load_b64 v[96:97], v93
	v_cmp_eq_u32_e32 vcc_lo, 0, v92
	s_or_b32 s0, vcc_lo, s0
	s_wait_loadcnt_dscnt 0x0
	v_pk_mul_f32 v[98:99], v[96:97], v[94:95] op_sel:[1,1] op_sel_hi:[0,1]
	s_delay_alu instid0(VALU_DEP_1) | instskip(SKIP_1) | instid1(VALU_DEP_2)
	v_pk_fma_f32 v[100:101], v[96:97], v[94:95], v[98:99] op_sel_hi:[1,0,1]
	v_pk_fma_f32 v[94:95], v[96:97], v[94:95], v[98:99] neg_lo:[0,0,1] neg_hi:[0,0,1]
	v_mov_b32_e32 v95, v101
	s_delay_alu instid0(VALU_DEP_1)
	v_pk_add_f32 v[90:91], v[90:91], v[94:95]
	s_and_not1_b32 exec_lo, exec_lo, s0
	s_cbranch_execnz .LBB106_382
; %bb.383:
	s_or_b32 exec_lo, exec_lo, s0
.LBB106_384:
	s_delay_alu instid0(SALU_CYCLE_1) | instskip(SKIP_4) | instid1(VALU_DEP_1)
	s_or_b32 exec_lo, exec_lo, s11
	v_mov_b32_e32 v92, 0
	ds_load_b64 v[92:93], v92 offset:32
	s_wait_dscnt 0x0
	v_pk_mul_f32 v[94:95], v[90:91], v[92:93] op_sel:[1,1] op_sel_hi:[0,1]
	v_pk_fma_f32 v[96:97], v[90:91], v[92:93], v[94:95] op_sel_hi:[1,0,1]
	v_pk_fma_f32 v[90:91], v[90:91], v[92:93], v[94:95] neg_lo:[0,0,1] neg_hi:[0,0,1]
	s_delay_alu instid0(VALU_DEP_2)
	v_mov_b32_e32 v91, v97
	scratch_store_b64 off, v[90:91], off offset:32
.LBB106_385:
	s_wait_xcnt 0x0
	s_or_b32 exec_lo, exec_lo, s10
	scratch_load_b64 v[90:91], off, off offset:24
	v_cmp_lt_u32_e64 s0, 3, v0
	s_wait_loadcnt 0x0
	ds_store_b64 v1, v[90:91]
	s_wait_storecnt_dscnt 0x0
	s_barrier_signal -1
	s_barrier_wait -1
	s_wait_xcnt 0x0
	s_and_saveexec_b32 s9, s0
	s_cbranch_execz .LBB106_395
; %bb.386:
	s_and_not1_b32 vcc_lo, exec_lo, s5
	s_cbranch_vccnz .LBB106_388
; %bb.387:
	scratch_load_b64 v[90:91], v59, off
	ds_load_b64 v[92:93], v1
	s_wait_loadcnt_dscnt 0x0
	v_pk_mul_f32 v[94:95], v[92:93], v[90:91] op_sel:[1,1] op_sel_hi:[0,1]
	s_delay_alu instid0(VALU_DEP_1) | instskip(SKIP_1) | instid1(VALU_DEP_2)
	v_pk_fma_f32 v[96:97], v[92:93], v[90:91], v[94:95] op_sel_hi:[1,0,1]
	v_pk_fma_f32 v[90:91], v[92:93], v[90:91], v[94:95] neg_lo:[0,0,1] neg_hi:[0,0,1]
	v_mov_b32_e32 v91, v97
	s_cbranch_execz .LBB106_389
	s_branch .LBB106_390
.LBB106_388:
                                        ; implicit-def: $vgpr90_vgpr91
.LBB106_389:
	ds_load_b64 v[90:91], v1
.LBB106_390:
	s_and_saveexec_b32 s10, s1
	s_cbranch_execz .LBB106_394
; %bb.391:
	v_add_nc_u32_e32 v92, -4, v0
	s_movk_i32 s11, 0x180
	s_mov_b32 s1, 0
.LBB106_392:                            ; =>This Inner Loop Header: Depth=1
	scratch_load_b64 v[94:95], off, s8
	v_dual_mov_b32 v93, s11 :: v_dual_add_nc_u32 v92, -1, v92
	s_add_co_i32 s11, s11, 8
	s_wait_xcnt 0x0
	s_add_co_i32 s8, s8, 8
	ds_load_b64 v[96:97], v93
	v_cmp_eq_u32_e32 vcc_lo, 0, v92
	s_or_b32 s1, vcc_lo, s1
	s_wait_loadcnt_dscnt 0x0
	v_pk_mul_f32 v[98:99], v[96:97], v[94:95] op_sel:[1,1] op_sel_hi:[0,1]
	s_delay_alu instid0(VALU_DEP_1) | instskip(SKIP_1) | instid1(VALU_DEP_2)
	v_pk_fma_f32 v[100:101], v[96:97], v[94:95], v[98:99] op_sel_hi:[1,0,1]
	v_pk_fma_f32 v[94:95], v[96:97], v[94:95], v[98:99] neg_lo:[0,0,1] neg_hi:[0,0,1]
	v_mov_b32_e32 v95, v101
	s_delay_alu instid0(VALU_DEP_1)
	v_pk_add_f32 v[90:91], v[90:91], v[94:95]
	s_and_not1_b32 exec_lo, exec_lo, s1
	s_cbranch_execnz .LBB106_392
; %bb.393:
	s_or_b32 exec_lo, exec_lo, s1
.LBB106_394:
	s_delay_alu instid0(SALU_CYCLE_1) | instskip(SKIP_4) | instid1(VALU_DEP_1)
	s_or_b32 exec_lo, exec_lo, s10
	v_mov_b32_e32 v92, 0
	ds_load_b64 v[92:93], v92 offset:24
	s_wait_dscnt 0x0
	v_pk_mul_f32 v[94:95], v[90:91], v[92:93] op_sel:[1,1] op_sel_hi:[0,1]
	v_pk_fma_f32 v[96:97], v[90:91], v[92:93], v[94:95] op_sel_hi:[1,0,1]
	v_pk_fma_f32 v[90:91], v[90:91], v[92:93], v[94:95] neg_lo:[0,0,1] neg_hi:[0,0,1]
	s_delay_alu instid0(VALU_DEP_2)
	v_mov_b32_e32 v91, v97
	scratch_store_b64 off, v[90:91], off offset:24
.LBB106_395:
	s_wait_xcnt 0x0
	s_or_b32 exec_lo, exec_lo, s9
	scratch_load_b64 v[90:91], off, off offset:16
	v_cmp_lt_u32_e64 s1, 2, v0
	s_wait_loadcnt 0x0
	ds_store_b64 v1, v[90:91]
	s_wait_storecnt_dscnt 0x0
	s_barrier_signal -1
	s_barrier_wait -1
	s_wait_xcnt 0x0
	s_and_saveexec_b32 s8, s1
	s_cbranch_execz .LBB106_405
; %bb.396:
	s_and_not1_b32 vcc_lo, exec_lo, s5
	s_cbranch_vccnz .LBB106_398
; %bb.397:
	scratch_load_b64 v[90:91], v59, off
	ds_load_b64 v[92:93], v1
	s_wait_loadcnt_dscnt 0x0
	v_pk_mul_f32 v[94:95], v[92:93], v[90:91] op_sel:[1,1] op_sel_hi:[0,1]
	s_delay_alu instid0(VALU_DEP_1) | instskip(SKIP_1) | instid1(VALU_DEP_2)
	v_pk_fma_f32 v[96:97], v[92:93], v[90:91], v[94:95] op_sel_hi:[1,0,1]
	v_pk_fma_f32 v[90:91], v[92:93], v[90:91], v[94:95] neg_lo:[0,0,1] neg_hi:[0,0,1]
	v_mov_b32_e32 v91, v97
	s_cbranch_execz .LBB106_399
	s_branch .LBB106_400
.LBB106_398:
                                        ; implicit-def: $vgpr90_vgpr91
.LBB106_399:
	ds_load_b64 v[90:91], v1
.LBB106_400:
	s_and_saveexec_b32 s9, s0
	s_cbranch_execz .LBB106_404
; %bb.401:
	v_add_nc_u32_e32 v92, -3, v0
	s_movk_i32 s10, 0x178
	s_mov_b32 s0, 0
.LBB106_402:                            ; =>This Inner Loop Header: Depth=1
	scratch_load_b64 v[94:95], off, s7
	v_dual_mov_b32 v93, s10 :: v_dual_add_nc_u32 v92, -1, v92
	s_add_co_i32 s10, s10, 8
	s_wait_xcnt 0x0
	s_add_co_i32 s7, s7, 8
	ds_load_b64 v[96:97], v93
	v_cmp_eq_u32_e32 vcc_lo, 0, v92
	s_or_b32 s0, vcc_lo, s0
	s_wait_loadcnt_dscnt 0x0
	v_pk_mul_f32 v[98:99], v[96:97], v[94:95] op_sel:[1,1] op_sel_hi:[0,1]
	s_delay_alu instid0(VALU_DEP_1) | instskip(SKIP_1) | instid1(VALU_DEP_2)
	v_pk_fma_f32 v[100:101], v[96:97], v[94:95], v[98:99] op_sel_hi:[1,0,1]
	v_pk_fma_f32 v[94:95], v[96:97], v[94:95], v[98:99] neg_lo:[0,0,1] neg_hi:[0,0,1]
	v_mov_b32_e32 v95, v101
	s_delay_alu instid0(VALU_DEP_1)
	v_pk_add_f32 v[90:91], v[90:91], v[94:95]
	s_and_not1_b32 exec_lo, exec_lo, s0
	s_cbranch_execnz .LBB106_402
; %bb.403:
	s_or_b32 exec_lo, exec_lo, s0
.LBB106_404:
	s_delay_alu instid0(SALU_CYCLE_1) | instskip(SKIP_4) | instid1(VALU_DEP_1)
	s_or_b32 exec_lo, exec_lo, s9
	v_mov_b32_e32 v92, 0
	ds_load_b64 v[92:93], v92 offset:16
	s_wait_dscnt 0x0
	v_pk_mul_f32 v[94:95], v[90:91], v[92:93] op_sel:[1,1] op_sel_hi:[0,1]
	v_pk_fma_f32 v[96:97], v[90:91], v[92:93], v[94:95] op_sel_hi:[1,0,1]
	v_pk_fma_f32 v[90:91], v[90:91], v[92:93], v[94:95] neg_lo:[0,0,1] neg_hi:[0,0,1]
	s_delay_alu instid0(VALU_DEP_2)
	v_mov_b32_e32 v91, v97
	scratch_store_b64 off, v[90:91], off offset:16
.LBB106_405:
	s_wait_xcnt 0x0
	s_or_b32 exec_lo, exec_lo, s8
	scratch_load_b64 v[90:91], off, off offset:8
	v_cmp_lt_u32_e64 s0, 1, v0
	s_wait_loadcnt 0x0
	ds_store_b64 v1, v[90:91]
	s_wait_storecnt_dscnt 0x0
	s_barrier_signal -1
	s_barrier_wait -1
	s_wait_xcnt 0x0
	s_and_saveexec_b32 s7, s0
	s_cbranch_execz .LBB106_415
; %bb.406:
	s_and_not1_b32 vcc_lo, exec_lo, s5
	s_cbranch_vccnz .LBB106_408
; %bb.407:
	scratch_load_b64 v[90:91], v59, off
	ds_load_b64 v[92:93], v1
	s_wait_loadcnt_dscnt 0x0
	v_pk_mul_f32 v[94:95], v[92:93], v[90:91] op_sel:[1,1] op_sel_hi:[0,1]
	s_delay_alu instid0(VALU_DEP_1) | instskip(SKIP_1) | instid1(VALU_DEP_2)
	v_pk_fma_f32 v[96:97], v[92:93], v[90:91], v[94:95] op_sel_hi:[1,0,1]
	v_pk_fma_f32 v[90:91], v[92:93], v[90:91], v[94:95] neg_lo:[0,0,1] neg_hi:[0,0,1]
	v_mov_b32_e32 v91, v97
	s_cbranch_execz .LBB106_409
	s_branch .LBB106_410
.LBB106_408:
                                        ; implicit-def: $vgpr90_vgpr91
.LBB106_409:
	ds_load_b64 v[90:91], v1
.LBB106_410:
	s_and_saveexec_b32 s8, s1
	s_cbranch_execz .LBB106_414
; %bb.411:
	v_add_nc_u32_e32 v92, -2, v0
	s_movk_i32 s9, 0x170
	s_mov_b32 s1, 0
.LBB106_412:                            ; =>This Inner Loop Header: Depth=1
	scratch_load_b64 v[94:95], off, s6
	v_dual_mov_b32 v93, s9 :: v_dual_add_nc_u32 v92, -1, v92
	s_add_co_i32 s9, s9, 8
	s_wait_xcnt 0x0
	s_add_co_i32 s6, s6, 8
	ds_load_b64 v[96:97], v93
	v_cmp_eq_u32_e32 vcc_lo, 0, v92
	s_or_b32 s1, vcc_lo, s1
	s_wait_loadcnt_dscnt 0x0
	v_pk_mul_f32 v[98:99], v[96:97], v[94:95] op_sel:[1,1] op_sel_hi:[0,1]
	s_delay_alu instid0(VALU_DEP_1) | instskip(SKIP_1) | instid1(VALU_DEP_2)
	v_pk_fma_f32 v[100:101], v[96:97], v[94:95], v[98:99] op_sel_hi:[1,0,1]
	v_pk_fma_f32 v[94:95], v[96:97], v[94:95], v[98:99] neg_lo:[0,0,1] neg_hi:[0,0,1]
	v_mov_b32_e32 v95, v101
	s_delay_alu instid0(VALU_DEP_1)
	v_pk_add_f32 v[90:91], v[90:91], v[94:95]
	s_and_not1_b32 exec_lo, exec_lo, s1
	s_cbranch_execnz .LBB106_412
; %bb.413:
	s_or_b32 exec_lo, exec_lo, s1
.LBB106_414:
	s_delay_alu instid0(SALU_CYCLE_1) | instskip(SKIP_4) | instid1(VALU_DEP_1)
	s_or_b32 exec_lo, exec_lo, s8
	v_mov_b32_e32 v92, 0
	ds_load_b64 v[92:93], v92 offset:8
	s_wait_dscnt 0x0
	v_pk_mul_f32 v[94:95], v[90:91], v[92:93] op_sel:[1,1] op_sel_hi:[0,1]
	v_pk_fma_f32 v[96:97], v[90:91], v[92:93], v[94:95] op_sel_hi:[1,0,1]
	v_pk_fma_f32 v[90:91], v[90:91], v[92:93], v[94:95] neg_lo:[0,0,1] neg_hi:[0,0,1]
	s_delay_alu instid0(VALU_DEP_2)
	v_mov_b32_e32 v91, v97
	scratch_store_b64 off, v[90:91], off offset:8
.LBB106_415:
	s_wait_xcnt 0x0
	s_or_b32 exec_lo, exec_lo, s7
	scratch_load_b64 v[90:91], off, off
	s_mov_b32 s6, 0
	s_mov_b32 s1, 0
	s_mov_b32 s8, exec_lo
                                        ; implicit-def: $vgpr128
                                        ; implicit-def: $sgpr7
	s_wait_loadcnt 0x0
	ds_store_b64 v1, v[90:91]
	s_wait_storecnt_dscnt 0x0
	s_barrier_signal -1
	s_barrier_wait -1
	s_wait_xcnt 0x0
	v_cmpx_ne_u32_e32 0, v0
	s_cbranch_execz .LBB106_425
; %bb.416:
	s_and_not1_b32 vcc_lo, exec_lo, s5
	s_cbranch_vccnz .LBB106_418
; %bb.417:
	scratch_load_b64 v[92:93], v59, off
	ds_load_b64 v[94:95], v1
	s_wait_loadcnt_dscnt 0x0
	v_dual_mul_f32 v90, v95, v93 :: v_dual_mul_f32 v91, v94, v93
	s_delay_alu instid0(VALU_DEP_1)
	v_dual_fma_f32 v90, v94, v92, -v90 :: v_dual_fmac_f32 v91, v95, v92
	s_and_not1_b32 vcc_lo, exec_lo, s1
	s_cbranch_vccz .LBB106_419
	s_branch .LBB106_420
.LBB106_418:
                                        ; implicit-def: $vgpr90
.LBB106_419:
	ds_load_b64 v[90:91], v1
.LBB106_420:
	s_and_saveexec_b32 s1, s0
	s_cbranch_execz .LBB106_424
; %bb.421:
	v_add_nc_u32_e32 v92, -1, v0
	s_movk_i32 s7, 0x168
	s_mov_b32 s0, 0
.LBB106_422:                            ; =>This Inner Loop Header: Depth=1
	scratch_load_b64 v[94:95], off, s4
	v_mov_b32_e32 v93, s7
	s_add_co_i32 s7, s7, 8
	s_wait_xcnt 0x0
	s_add_co_i32 s4, s4, 8
	v_add_nc_u32_e32 v92, -1, v92
	ds_load_b64 v[96:97], v93
	v_cmp_eq_u32_e32 vcc_lo, 0, v92
	s_or_b32 s0, vcc_lo, s0
	s_wait_loadcnt_dscnt 0x0
	v_dual_mul_f32 v93, v97, v95 :: v_dual_mul_f32 v95, v96, v95
	s_delay_alu instid0(VALU_DEP_1) | instskip(NEXT) | instid1(VALU_DEP_1)
	v_dual_fma_f32 v93, v96, v94, -v93 :: v_dual_fmac_f32 v95, v97, v94
	v_dual_add_f32 v90, v90, v93 :: v_dual_add_f32 v91, v91, v95
	s_and_not1_b32 exec_lo, exec_lo, s0
	s_cbranch_execnz .LBB106_422
; %bb.423:
	s_or_b32 exec_lo, exec_lo, s0
.LBB106_424:
	s_delay_alu instid0(SALU_CYCLE_1)
	s_or_b32 exec_lo, exec_lo, s1
	v_mov_b32_e32 v92, 0
	s_mov_b32 s1, exec_lo
	s_or_b32 s7, 0, 4
	ds_load_b64 v[92:93], v92
	s_wait_dscnt 0x0
	v_dual_mul_f32 v94, v91, v93 :: v_dual_mul_f32 v128, v90, v93
	s_delay_alu instid0(VALU_DEP_1)
	v_dual_fma_f32 v90, v90, v92, -v94 :: v_dual_fmac_f32 v128, v91, v92
	scratch_store_b32 off, v90, off
.LBB106_425:
	s_wait_xcnt 0x0
	s_or_b32 exec_lo, exec_lo, s8
	s_delay_alu instid0(SALU_CYCLE_1)
	s_and_b32 vcc_lo, exec_lo, s6
	s_cbranch_vccz .LBB106_841
.LBB106_426:
	scratch_load_b64 v[90:91], off, off offset:8
	v_cmp_eq_u32_e64 s0, 0, v0
	s_wait_loadcnt 0x0
	ds_store_b64 v1, v[90:91]
	s_wait_storecnt_dscnt 0x0
	s_barrier_signal -1
	s_barrier_wait -1
	s_wait_xcnt 0x0
	s_and_saveexec_b32 s4, s0
	s_cbranch_execz .LBB106_432
; %bb.427:
	s_and_b32 vcc_lo, exec_lo, s5
	s_cbranch_vccz .LBB106_429
; %bb.428:
	scratch_load_b64 v[90:91], v59, off
	ds_load_b64 v[92:93], v1
	s_wait_loadcnt_dscnt 0x0
	v_pk_mul_f32 v[94:95], v[92:93], v[90:91] op_sel:[1,1] op_sel_hi:[0,1]
	v_pk_mul_f32 v[96:97], v[92:93], v[90:91] op_sel_hi:[1,0]
	s_delay_alu instid0(VALU_DEP_2) | instskip(NEXT) | instid1(VALU_DEP_2)
	v_pk_fma_f32 v[90:91], v[92:93], v[90:91], v[94:95] op_sel_hi:[1,0,1]
	v_sub_f32_e32 v90, v96, v94
	s_cbranch_execz .LBB106_430
	s_branch .LBB106_431
.LBB106_429:
                                        ; implicit-def: $vgpr91
.LBB106_430:
	ds_load_b64 v[90:91], v1
.LBB106_431:
	s_wait_dscnt 0x0
	v_dual_mov_b32 v92, 0 :: v_dual_mov_b32 v94, v91
	v_mov_b32_e32 v95, v90
	ds_load_b64 v[92:93], v92 offset:8
	s_wait_dscnt 0x0
	v_pk_mul_f32 v[94:95], v[94:95], v[92:93] op_sel:[0,1]
	s_delay_alu instid0(VALU_DEP_1) | instskip(SKIP_1) | instid1(VALU_DEP_2)
	v_pk_fma_f32 v[96:97], v[90:91], v[92:93], v[94:95] op_sel_hi:[1,0,1]
	v_pk_fma_f32 v[90:91], v[90:91], v[92:93], v[94:95] neg_lo:[0,0,1] neg_hi:[0,0,1]
	v_mov_b32_e32 v91, v97
	scratch_store_b64 off, v[90:91], off offset:8
.LBB106_432:
	s_wait_xcnt 0x0
	s_or_b32 exec_lo, exec_lo, s4
	scratch_load_b64 v[90:91], off, off offset:16
	v_cndmask_b32_e64 v92, 0, 1, s5
	s_mov_b32 s4, exec_lo
	s_wait_loadcnt 0x0
	ds_store_b64 v1, v[90:91]
	s_wait_storecnt_dscnt 0x0
	s_barrier_signal -1
	s_barrier_wait -1
	s_wait_xcnt 0x0
	v_cmpx_gt_u32_e32 2, v0
	s_cbranch_execz .LBB106_440
; %bb.433:
	s_and_not1_b32 vcc_lo, exec_lo, s5
	s_cbranch_vccnz .LBB106_435
; %bb.434:
	scratch_load_b64 v[90:91], v59, off
	ds_load_b64 v[94:95], v1
	s_wait_loadcnt_dscnt 0x0
	v_pk_mul_f32 v[96:97], v[94:95], v[90:91] op_sel:[1,1] op_sel_hi:[0,1]
	s_delay_alu instid0(VALU_DEP_1) | instskip(SKIP_1) | instid1(VALU_DEP_2)
	v_pk_fma_f32 v[98:99], v[94:95], v[90:91], v[96:97] op_sel_hi:[1,0,1]
	v_pk_fma_f32 v[90:91], v[94:95], v[90:91], v[96:97] neg_lo:[0,0,1] neg_hi:[0,0,1]
	v_mov_b32_e32 v91, v99
	s_cbranch_execz .LBB106_436
	s_branch .LBB106_437
.LBB106_435:
                                        ; implicit-def: $vgpr90_vgpr91
.LBB106_436:
	ds_load_b64 v[90:91], v1
.LBB106_437:
	s_and_saveexec_b32 s5, s0
	s_cbranch_execz .LBB106_439
; %bb.438:
	scratch_load_b64 v[94:95], off, off offset:8
	v_mov_b32_e32 v93, 0
	ds_load_b64 v[96:97], v93 offset:360
	s_wait_loadcnt_dscnt 0x0
	v_pk_mul_f32 v[98:99], v[96:97], v[94:95] op_sel:[1,1] op_sel_hi:[0,1]
	s_delay_alu instid0(VALU_DEP_1) | instskip(SKIP_1) | instid1(VALU_DEP_2)
	v_pk_fma_f32 v[100:101], v[96:97], v[94:95], v[98:99] op_sel_hi:[1,0,1]
	v_pk_fma_f32 v[94:95], v[96:97], v[94:95], v[98:99] neg_lo:[0,0,1] neg_hi:[0,0,1]
	v_mov_b32_e32 v95, v101
	s_delay_alu instid0(VALU_DEP_1)
	v_pk_add_f32 v[90:91], v[90:91], v[94:95]
.LBB106_439:
	s_or_b32 exec_lo, exec_lo, s5
	v_mov_b32_e32 v93, 0
	ds_load_b64 v[94:95], v93 offset:16
	s_wait_dscnt 0x0
	v_pk_mul_f32 v[96:97], v[90:91], v[94:95] op_sel:[1,1] op_sel_hi:[0,1]
	s_delay_alu instid0(VALU_DEP_1) | instskip(SKIP_1) | instid1(VALU_DEP_2)
	v_pk_fma_f32 v[98:99], v[90:91], v[94:95], v[96:97] op_sel_hi:[1,0,1]
	v_pk_fma_f32 v[90:91], v[90:91], v[94:95], v[96:97] neg_lo:[0,0,1] neg_hi:[0,0,1]
	v_mov_b32_e32 v91, v99
	scratch_store_b64 off, v[90:91], off offset:16
.LBB106_440:
	s_wait_xcnt 0x0
	s_or_b32 exec_lo, exec_lo, s4
	scratch_load_b64 v[90:91], off, off offset:24
	s_mov_b32 s4, exec_lo
	s_wait_loadcnt 0x0
	ds_store_b64 v1, v[90:91]
	s_wait_storecnt_dscnt 0x0
	s_barrier_signal -1
	s_barrier_wait -1
	s_wait_xcnt 0x0
	v_cmpx_gt_u32_e32 3, v0
	s_cbranch_execz .LBB106_450
; %bb.441:
	v_cmp_ne_u32_e32 vcc_lo, 1, v92
	s_cbranch_vccnz .LBB106_443
; %bb.442:
	scratch_load_b64 v[90:91], v59, off
	ds_load_b64 v[94:95], v1
	s_wait_loadcnt_dscnt 0x0
	v_pk_mul_f32 v[96:97], v[94:95], v[90:91] op_sel:[1,1] op_sel_hi:[0,1]
	s_delay_alu instid0(VALU_DEP_1) | instskip(SKIP_1) | instid1(VALU_DEP_2)
	v_pk_fma_f32 v[98:99], v[94:95], v[90:91], v[96:97] op_sel_hi:[1,0,1]
	v_pk_fma_f32 v[90:91], v[94:95], v[90:91], v[96:97] neg_lo:[0,0,1] neg_hi:[0,0,1]
	v_mov_b32_e32 v91, v99
	s_cbranch_execz .LBB106_444
	s_branch .LBB106_445
.LBB106_443:
                                        ; implicit-def: $vgpr90_vgpr91
.LBB106_444:
	ds_load_b64 v[90:91], v1
.LBB106_445:
	s_mov_b32 s5, exec_lo
	v_cmpx_ne_u32_e32 2, v0
	s_cbranch_execz .LBB106_449
; %bb.446:
	scratch_load_b64 v[94:95], v59, off offset:8
	ds_load_b64 v[96:97], v1 offset:8
	s_wait_loadcnt_dscnt 0x0
	v_pk_mul_f32 v[98:99], v[96:97], v[94:95] op_sel:[1,1] op_sel_hi:[0,1]
	s_delay_alu instid0(VALU_DEP_1) | instskip(SKIP_1) | instid1(VALU_DEP_2)
	v_pk_fma_f32 v[100:101], v[96:97], v[94:95], v[98:99] op_sel_hi:[1,0,1]
	v_pk_fma_f32 v[94:95], v[96:97], v[94:95], v[98:99] neg_lo:[0,0,1] neg_hi:[0,0,1]
	v_mov_b32_e32 v95, v101
	s_delay_alu instid0(VALU_DEP_1)
	v_pk_add_f32 v[90:91], v[90:91], v[94:95]
	s_and_saveexec_b32 s6, s0
	s_cbranch_execz .LBB106_448
; %bb.447:
	scratch_load_b64 v[94:95], off, off offset:16
	v_mov_b32_e32 v93, 0
	ds_load_b64 v[96:97], v93 offset:368
	s_wait_loadcnt_dscnt 0x0
	v_pk_mul_f32 v[98:99], v[96:97], v[94:95] op_sel:[1,1] op_sel_hi:[0,1]
	s_delay_alu instid0(VALU_DEP_1) | instskip(SKIP_1) | instid1(VALU_DEP_2)
	v_pk_fma_f32 v[100:101], v[96:97], v[94:95], v[98:99] op_sel_hi:[1,0,1]
	v_pk_fma_f32 v[94:95], v[96:97], v[94:95], v[98:99] neg_lo:[0,0,1] neg_hi:[0,0,1]
	v_mov_b32_e32 v95, v101
	s_delay_alu instid0(VALU_DEP_1)
	v_pk_add_f32 v[90:91], v[90:91], v[94:95]
.LBB106_448:
	s_or_b32 exec_lo, exec_lo, s6
.LBB106_449:
	s_delay_alu instid0(SALU_CYCLE_1) | instskip(SKIP_4) | instid1(VALU_DEP_1)
	s_or_b32 exec_lo, exec_lo, s5
	v_mov_b32_e32 v93, 0
	ds_load_b64 v[94:95], v93 offset:24
	s_wait_dscnt 0x0
	v_pk_mul_f32 v[96:97], v[90:91], v[94:95] op_sel:[1,1] op_sel_hi:[0,1]
	v_pk_fma_f32 v[98:99], v[90:91], v[94:95], v[96:97] op_sel_hi:[1,0,1]
	v_pk_fma_f32 v[90:91], v[90:91], v[94:95], v[96:97] neg_lo:[0,0,1] neg_hi:[0,0,1]
	s_delay_alu instid0(VALU_DEP_2)
	v_mov_b32_e32 v91, v99
	scratch_store_b64 off, v[90:91], off offset:24
.LBB106_450:
	s_wait_xcnt 0x0
	s_or_b32 exec_lo, exec_lo, s4
	scratch_load_b64 v[90:91], off, off offset:32
	s_mov_b32 s0, exec_lo
	s_wait_loadcnt 0x0
	ds_store_b64 v1, v[90:91]
	s_wait_storecnt_dscnt 0x0
	s_barrier_signal -1
	s_barrier_wait -1
	s_wait_xcnt 0x0
	v_cmpx_gt_u32_e32 4, v0
	s_cbranch_execz .LBB106_460
; %bb.451:
	v_cmp_ne_u32_e32 vcc_lo, 1, v92
	s_cbranch_vccnz .LBB106_453
; %bb.452:
	scratch_load_b64 v[90:91], v59, off
	ds_load_b64 v[94:95], v1
	s_wait_loadcnt_dscnt 0x0
	v_pk_mul_f32 v[96:97], v[94:95], v[90:91] op_sel:[1,1] op_sel_hi:[0,1]
	s_delay_alu instid0(VALU_DEP_1) | instskip(SKIP_1) | instid1(VALU_DEP_2)
	v_pk_fma_f32 v[98:99], v[94:95], v[90:91], v[96:97] op_sel_hi:[1,0,1]
	v_pk_fma_f32 v[90:91], v[94:95], v[90:91], v[96:97] neg_lo:[0,0,1] neg_hi:[0,0,1]
	v_mov_b32_e32 v91, v99
	s_cbranch_execz .LBB106_454
	s_branch .LBB106_455
.LBB106_453:
                                        ; implicit-def: $vgpr90_vgpr91
.LBB106_454:
	ds_load_b64 v[90:91], v1
.LBB106_455:
	s_mov_b32 s4, exec_lo
	v_cmpx_ne_u32_e32 3, v0
	s_cbranch_execz .LBB106_459
; %bb.456:
	v_add_nc_u32_e32 v93, 0x168, v58
	v_add3_u32 v94, 0, v58, 8
	v_mov_b32_e32 v95, v0
	s_mov_b32 s5, 0
.LBB106_457:                            ; =>This Inner Loop Header: Depth=1
	scratch_load_b64 v[96:97], v94, off
	ds_load_b64 v[98:99], v93
	s_wait_xcnt 0x0
	v_dual_add_nc_u32 v93, 8, v93 :: v_dual_add_nc_u32 v94, 8, v94
	s_wait_loadcnt_dscnt 0x0
	v_pk_mul_f32 v[100:101], v[98:99], v[96:97] op_sel:[1,1] op_sel_hi:[0,1]
	s_delay_alu instid0(VALU_DEP_1) | instskip(SKIP_2) | instid1(VALU_DEP_3)
	v_pk_fma_f32 v[102:103], v[98:99], v[96:97], v[100:101] op_sel_hi:[1,0,1]
	v_add_nc_u32_e32 v95, 1, v95
	v_pk_fma_f32 v[96:97], v[98:99], v[96:97], v[100:101] neg_lo:[0,0,1] neg_hi:[0,0,1]
	v_mov_b32_e32 v97, v103
	s_delay_alu instid0(VALU_DEP_3) | instskip(NEXT) | instid1(VALU_DEP_2)
	v_cmp_lt_u32_e32 vcc_lo, 2, v95
	v_pk_add_f32 v[90:91], v[90:91], v[96:97]
	s_or_b32 s5, vcc_lo, s5
	s_delay_alu instid0(SALU_CYCLE_1)
	s_and_not1_b32 exec_lo, exec_lo, s5
	s_cbranch_execnz .LBB106_457
; %bb.458:
	s_or_b32 exec_lo, exec_lo, s5
.LBB106_459:
	s_delay_alu instid0(SALU_CYCLE_1) | instskip(SKIP_4) | instid1(VALU_DEP_1)
	s_or_b32 exec_lo, exec_lo, s4
	v_mov_b32_e32 v93, 0
	ds_load_b64 v[94:95], v93 offset:32
	s_wait_dscnt 0x0
	v_pk_mul_f32 v[96:97], v[90:91], v[94:95] op_sel:[1,1] op_sel_hi:[0,1]
	v_pk_fma_f32 v[98:99], v[90:91], v[94:95], v[96:97] op_sel_hi:[1,0,1]
	v_pk_fma_f32 v[90:91], v[90:91], v[94:95], v[96:97] neg_lo:[0,0,1] neg_hi:[0,0,1]
	s_delay_alu instid0(VALU_DEP_2)
	v_mov_b32_e32 v91, v99
	scratch_store_b64 off, v[90:91], off offset:32
.LBB106_460:
	s_wait_xcnt 0x0
	s_or_b32 exec_lo, exec_lo, s0
	scratch_load_b64 v[90:91], off, off offset:40
	s_mov_b32 s0, exec_lo
	s_wait_loadcnt 0x0
	ds_store_b64 v1, v[90:91]
	s_wait_storecnt_dscnt 0x0
	s_barrier_signal -1
	s_barrier_wait -1
	s_wait_xcnt 0x0
	v_cmpx_gt_u32_e32 5, v0
	s_cbranch_execz .LBB106_470
; %bb.461:
	v_cmp_ne_u32_e32 vcc_lo, 1, v92
	s_cbranch_vccnz .LBB106_463
; %bb.462:
	scratch_load_b64 v[90:91], v59, off
	ds_load_b64 v[94:95], v1
	s_wait_loadcnt_dscnt 0x0
	v_pk_mul_f32 v[96:97], v[94:95], v[90:91] op_sel:[1,1] op_sel_hi:[0,1]
	s_delay_alu instid0(VALU_DEP_1) | instskip(SKIP_1) | instid1(VALU_DEP_2)
	v_pk_fma_f32 v[98:99], v[94:95], v[90:91], v[96:97] op_sel_hi:[1,0,1]
	v_pk_fma_f32 v[90:91], v[94:95], v[90:91], v[96:97] neg_lo:[0,0,1] neg_hi:[0,0,1]
	v_mov_b32_e32 v91, v99
	s_cbranch_execz .LBB106_464
	s_branch .LBB106_465
.LBB106_463:
                                        ; implicit-def: $vgpr90_vgpr91
.LBB106_464:
	ds_load_b64 v[90:91], v1
.LBB106_465:
	s_mov_b32 s4, exec_lo
	v_cmpx_ne_u32_e32 4, v0
	s_cbranch_execz .LBB106_469
; %bb.466:
	v_add_nc_u32_e32 v93, 0x168, v58
	v_add3_u32 v94, 0, v58, 8
	v_mov_b32_e32 v95, v0
	s_mov_b32 s5, 0
.LBB106_467:                            ; =>This Inner Loop Header: Depth=1
	scratch_load_b64 v[96:97], v94, off
	ds_load_b64 v[98:99], v93
	s_wait_xcnt 0x0
	v_dual_add_nc_u32 v93, 8, v93 :: v_dual_add_nc_u32 v94, 8, v94
	s_wait_loadcnt_dscnt 0x0
	v_pk_mul_f32 v[100:101], v[98:99], v[96:97] op_sel:[1,1] op_sel_hi:[0,1]
	s_delay_alu instid0(VALU_DEP_1) | instskip(SKIP_2) | instid1(VALU_DEP_3)
	v_pk_fma_f32 v[102:103], v[98:99], v[96:97], v[100:101] op_sel_hi:[1,0,1]
	v_add_nc_u32_e32 v95, 1, v95
	v_pk_fma_f32 v[96:97], v[98:99], v[96:97], v[100:101] neg_lo:[0,0,1] neg_hi:[0,0,1]
	v_mov_b32_e32 v97, v103
	s_delay_alu instid0(VALU_DEP_3) | instskip(NEXT) | instid1(VALU_DEP_2)
	v_cmp_lt_u32_e32 vcc_lo, 3, v95
	v_pk_add_f32 v[90:91], v[90:91], v[96:97]
	s_or_b32 s5, vcc_lo, s5
	s_delay_alu instid0(SALU_CYCLE_1)
	s_and_not1_b32 exec_lo, exec_lo, s5
	s_cbranch_execnz .LBB106_467
; %bb.468:
	s_or_b32 exec_lo, exec_lo, s5
.LBB106_469:
	s_delay_alu instid0(SALU_CYCLE_1) | instskip(SKIP_4) | instid1(VALU_DEP_1)
	s_or_b32 exec_lo, exec_lo, s4
	v_mov_b32_e32 v93, 0
	ds_load_b64 v[94:95], v93 offset:40
	s_wait_dscnt 0x0
	v_pk_mul_f32 v[96:97], v[90:91], v[94:95] op_sel:[1,1] op_sel_hi:[0,1]
	v_pk_fma_f32 v[98:99], v[90:91], v[94:95], v[96:97] op_sel_hi:[1,0,1]
	v_pk_fma_f32 v[90:91], v[90:91], v[94:95], v[96:97] neg_lo:[0,0,1] neg_hi:[0,0,1]
	s_delay_alu instid0(VALU_DEP_2)
	v_mov_b32_e32 v91, v99
	scratch_store_b64 off, v[90:91], off offset:40
.LBB106_470:
	s_wait_xcnt 0x0
	s_or_b32 exec_lo, exec_lo, s0
	scratch_load_b64 v[90:91], off, off offset:48
	s_mov_b32 s0, exec_lo
	s_wait_loadcnt 0x0
	ds_store_b64 v1, v[90:91]
	s_wait_storecnt_dscnt 0x0
	s_barrier_signal -1
	s_barrier_wait -1
	s_wait_xcnt 0x0
	v_cmpx_gt_u32_e32 6, v0
	s_cbranch_execz .LBB106_480
; %bb.471:
	v_cmp_ne_u32_e32 vcc_lo, 1, v92
	s_cbranch_vccnz .LBB106_473
; %bb.472:
	scratch_load_b64 v[90:91], v59, off
	ds_load_b64 v[94:95], v1
	s_wait_loadcnt_dscnt 0x0
	v_pk_mul_f32 v[96:97], v[94:95], v[90:91] op_sel:[1,1] op_sel_hi:[0,1]
	s_delay_alu instid0(VALU_DEP_1) | instskip(SKIP_1) | instid1(VALU_DEP_2)
	v_pk_fma_f32 v[98:99], v[94:95], v[90:91], v[96:97] op_sel_hi:[1,0,1]
	v_pk_fma_f32 v[90:91], v[94:95], v[90:91], v[96:97] neg_lo:[0,0,1] neg_hi:[0,0,1]
	v_mov_b32_e32 v91, v99
	s_cbranch_execz .LBB106_474
	s_branch .LBB106_475
.LBB106_473:
                                        ; implicit-def: $vgpr90_vgpr91
.LBB106_474:
	ds_load_b64 v[90:91], v1
.LBB106_475:
	s_mov_b32 s4, exec_lo
	v_cmpx_ne_u32_e32 5, v0
	s_cbranch_execz .LBB106_479
; %bb.476:
	v_add_nc_u32_e32 v93, 0x168, v58
	v_add3_u32 v94, 0, v58, 8
	v_mov_b32_e32 v95, v0
	s_mov_b32 s5, 0
.LBB106_477:                            ; =>This Inner Loop Header: Depth=1
	scratch_load_b64 v[96:97], v94, off
	ds_load_b64 v[98:99], v93
	s_wait_xcnt 0x0
	v_dual_add_nc_u32 v93, 8, v93 :: v_dual_add_nc_u32 v94, 8, v94
	s_wait_loadcnt_dscnt 0x0
	v_pk_mul_f32 v[100:101], v[98:99], v[96:97] op_sel:[1,1] op_sel_hi:[0,1]
	s_delay_alu instid0(VALU_DEP_1) | instskip(SKIP_2) | instid1(VALU_DEP_3)
	v_pk_fma_f32 v[102:103], v[98:99], v[96:97], v[100:101] op_sel_hi:[1,0,1]
	v_add_nc_u32_e32 v95, 1, v95
	v_pk_fma_f32 v[96:97], v[98:99], v[96:97], v[100:101] neg_lo:[0,0,1] neg_hi:[0,0,1]
	v_mov_b32_e32 v97, v103
	s_delay_alu instid0(VALU_DEP_3) | instskip(NEXT) | instid1(VALU_DEP_2)
	v_cmp_lt_u32_e32 vcc_lo, 4, v95
	v_pk_add_f32 v[90:91], v[90:91], v[96:97]
	s_or_b32 s5, vcc_lo, s5
	s_delay_alu instid0(SALU_CYCLE_1)
	s_and_not1_b32 exec_lo, exec_lo, s5
	s_cbranch_execnz .LBB106_477
; %bb.478:
	s_or_b32 exec_lo, exec_lo, s5
.LBB106_479:
	s_delay_alu instid0(SALU_CYCLE_1) | instskip(SKIP_4) | instid1(VALU_DEP_1)
	s_or_b32 exec_lo, exec_lo, s4
	v_mov_b32_e32 v93, 0
	ds_load_b64 v[94:95], v93 offset:48
	s_wait_dscnt 0x0
	v_pk_mul_f32 v[96:97], v[90:91], v[94:95] op_sel:[1,1] op_sel_hi:[0,1]
	v_pk_fma_f32 v[98:99], v[90:91], v[94:95], v[96:97] op_sel_hi:[1,0,1]
	v_pk_fma_f32 v[90:91], v[90:91], v[94:95], v[96:97] neg_lo:[0,0,1] neg_hi:[0,0,1]
	s_delay_alu instid0(VALU_DEP_2)
	v_mov_b32_e32 v91, v99
	scratch_store_b64 off, v[90:91], off offset:48
.LBB106_480:
	s_wait_xcnt 0x0
	s_or_b32 exec_lo, exec_lo, s0
	scratch_load_b64 v[90:91], off, off offset:56
	s_mov_b32 s0, exec_lo
	s_wait_loadcnt 0x0
	ds_store_b64 v1, v[90:91]
	s_wait_storecnt_dscnt 0x0
	s_barrier_signal -1
	s_barrier_wait -1
	s_wait_xcnt 0x0
	v_cmpx_gt_u32_e32 7, v0
	s_cbranch_execz .LBB106_490
; %bb.481:
	v_cmp_ne_u32_e32 vcc_lo, 1, v92
	s_cbranch_vccnz .LBB106_483
; %bb.482:
	scratch_load_b64 v[90:91], v59, off
	ds_load_b64 v[94:95], v1
	s_wait_loadcnt_dscnt 0x0
	v_pk_mul_f32 v[96:97], v[94:95], v[90:91] op_sel:[1,1] op_sel_hi:[0,1]
	s_delay_alu instid0(VALU_DEP_1) | instskip(SKIP_1) | instid1(VALU_DEP_2)
	v_pk_fma_f32 v[98:99], v[94:95], v[90:91], v[96:97] op_sel_hi:[1,0,1]
	v_pk_fma_f32 v[90:91], v[94:95], v[90:91], v[96:97] neg_lo:[0,0,1] neg_hi:[0,0,1]
	v_mov_b32_e32 v91, v99
	s_cbranch_execz .LBB106_484
	s_branch .LBB106_485
.LBB106_483:
                                        ; implicit-def: $vgpr90_vgpr91
.LBB106_484:
	ds_load_b64 v[90:91], v1
.LBB106_485:
	s_mov_b32 s4, exec_lo
	v_cmpx_ne_u32_e32 6, v0
	s_cbranch_execz .LBB106_489
; %bb.486:
	v_add_nc_u32_e32 v93, 0x168, v58
	v_add3_u32 v94, 0, v58, 8
	v_mov_b32_e32 v95, v0
	s_mov_b32 s5, 0
.LBB106_487:                            ; =>This Inner Loop Header: Depth=1
	scratch_load_b64 v[96:97], v94, off
	ds_load_b64 v[98:99], v93
	s_wait_xcnt 0x0
	v_dual_add_nc_u32 v93, 8, v93 :: v_dual_add_nc_u32 v94, 8, v94
	s_wait_loadcnt_dscnt 0x0
	v_pk_mul_f32 v[100:101], v[98:99], v[96:97] op_sel:[1,1] op_sel_hi:[0,1]
	s_delay_alu instid0(VALU_DEP_1) | instskip(SKIP_2) | instid1(VALU_DEP_3)
	v_pk_fma_f32 v[102:103], v[98:99], v[96:97], v[100:101] op_sel_hi:[1,0,1]
	v_add_nc_u32_e32 v95, 1, v95
	v_pk_fma_f32 v[96:97], v[98:99], v[96:97], v[100:101] neg_lo:[0,0,1] neg_hi:[0,0,1]
	v_mov_b32_e32 v97, v103
	s_delay_alu instid0(VALU_DEP_3) | instskip(NEXT) | instid1(VALU_DEP_2)
	v_cmp_lt_u32_e32 vcc_lo, 5, v95
	v_pk_add_f32 v[90:91], v[90:91], v[96:97]
	s_or_b32 s5, vcc_lo, s5
	s_delay_alu instid0(SALU_CYCLE_1)
	s_and_not1_b32 exec_lo, exec_lo, s5
	s_cbranch_execnz .LBB106_487
; %bb.488:
	s_or_b32 exec_lo, exec_lo, s5
.LBB106_489:
	s_delay_alu instid0(SALU_CYCLE_1) | instskip(SKIP_4) | instid1(VALU_DEP_1)
	s_or_b32 exec_lo, exec_lo, s4
	v_mov_b32_e32 v93, 0
	ds_load_b64 v[94:95], v93 offset:56
	s_wait_dscnt 0x0
	v_pk_mul_f32 v[96:97], v[90:91], v[94:95] op_sel:[1,1] op_sel_hi:[0,1]
	v_pk_fma_f32 v[98:99], v[90:91], v[94:95], v[96:97] op_sel_hi:[1,0,1]
	v_pk_fma_f32 v[90:91], v[90:91], v[94:95], v[96:97] neg_lo:[0,0,1] neg_hi:[0,0,1]
	s_delay_alu instid0(VALU_DEP_2)
	v_mov_b32_e32 v91, v99
	scratch_store_b64 off, v[90:91], off offset:56
.LBB106_490:
	s_wait_xcnt 0x0
	s_or_b32 exec_lo, exec_lo, s0
	scratch_load_b64 v[90:91], off, off offset:64
	s_mov_b32 s0, exec_lo
	s_wait_loadcnt 0x0
	ds_store_b64 v1, v[90:91]
	s_wait_storecnt_dscnt 0x0
	s_barrier_signal -1
	s_barrier_wait -1
	s_wait_xcnt 0x0
	v_cmpx_gt_u32_e32 8, v0
	s_cbranch_execz .LBB106_500
; %bb.491:
	v_cmp_ne_u32_e32 vcc_lo, 1, v92
	s_cbranch_vccnz .LBB106_493
; %bb.492:
	scratch_load_b64 v[90:91], v59, off
	ds_load_b64 v[94:95], v1
	s_wait_loadcnt_dscnt 0x0
	v_pk_mul_f32 v[96:97], v[94:95], v[90:91] op_sel:[1,1] op_sel_hi:[0,1]
	s_delay_alu instid0(VALU_DEP_1) | instskip(SKIP_1) | instid1(VALU_DEP_2)
	v_pk_fma_f32 v[98:99], v[94:95], v[90:91], v[96:97] op_sel_hi:[1,0,1]
	v_pk_fma_f32 v[90:91], v[94:95], v[90:91], v[96:97] neg_lo:[0,0,1] neg_hi:[0,0,1]
	v_mov_b32_e32 v91, v99
	s_cbranch_execz .LBB106_494
	s_branch .LBB106_495
.LBB106_493:
                                        ; implicit-def: $vgpr90_vgpr91
.LBB106_494:
	ds_load_b64 v[90:91], v1
.LBB106_495:
	s_mov_b32 s4, exec_lo
	v_cmpx_ne_u32_e32 7, v0
	s_cbranch_execz .LBB106_499
; %bb.496:
	v_add_nc_u32_e32 v93, 0x168, v58
	v_add3_u32 v94, 0, v58, 8
	v_mov_b32_e32 v95, v0
	s_mov_b32 s5, 0
.LBB106_497:                            ; =>This Inner Loop Header: Depth=1
	scratch_load_b64 v[96:97], v94, off
	ds_load_b64 v[98:99], v93
	s_wait_xcnt 0x0
	v_dual_add_nc_u32 v93, 8, v93 :: v_dual_add_nc_u32 v94, 8, v94
	s_wait_loadcnt_dscnt 0x0
	v_pk_mul_f32 v[100:101], v[98:99], v[96:97] op_sel:[1,1] op_sel_hi:[0,1]
	s_delay_alu instid0(VALU_DEP_1) | instskip(SKIP_2) | instid1(VALU_DEP_3)
	v_pk_fma_f32 v[102:103], v[98:99], v[96:97], v[100:101] op_sel_hi:[1,0,1]
	v_add_nc_u32_e32 v95, 1, v95
	v_pk_fma_f32 v[96:97], v[98:99], v[96:97], v[100:101] neg_lo:[0,0,1] neg_hi:[0,0,1]
	v_mov_b32_e32 v97, v103
	s_delay_alu instid0(VALU_DEP_3) | instskip(NEXT) | instid1(VALU_DEP_2)
	v_cmp_lt_u32_e32 vcc_lo, 6, v95
	v_pk_add_f32 v[90:91], v[90:91], v[96:97]
	s_or_b32 s5, vcc_lo, s5
	s_delay_alu instid0(SALU_CYCLE_1)
	s_and_not1_b32 exec_lo, exec_lo, s5
	s_cbranch_execnz .LBB106_497
; %bb.498:
	s_or_b32 exec_lo, exec_lo, s5
.LBB106_499:
	s_delay_alu instid0(SALU_CYCLE_1) | instskip(SKIP_4) | instid1(VALU_DEP_1)
	s_or_b32 exec_lo, exec_lo, s4
	v_mov_b32_e32 v93, 0
	ds_load_b64 v[94:95], v93 offset:64
	s_wait_dscnt 0x0
	v_pk_mul_f32 v[96:97], v[90:91], v[94:95] op_sel:[1,1] op_sel_hi:[0,1]
	v_pk_fma_f32 v[98:99], v[90:91], v[94:95], v[96:97] op_sel_hi:[1,0,1]
	v_pk_fma_f32 v[90:91], v[90:91], v[94:95], v[96:97] neg_lo:[0,0,1] neg_hi:[0,0,1]
	s_delay_alu instid0(VALU_DEP_2)
	v_mov_b32_e32 v91, v99
	scratch_store_b64 off, v[90:91], off offset:64
.LBB106_500:
	s_wait_xcnt 0x0
	s_or_b32 exec_lo, exec_lo, s0
	scratch_load_b64 v[90:91], off, off offset:72
	s_mov_b32 s0, exec_lo
	s_wait_loadcnt 0x0
	ds_store_b64 v1, v[90:91]
	s_wait_storecnt_dscnt 0x0
	s_barrier_signal -1
	s_barrier_wait -1
	s_wait_xcnt 0x0
	v_cmpx_gt_u32_e32 9, v0
	s_cbranch_execz .LBB106_510
; %bb.501:
	v_cmp_ne_u32_e32 vcc_lo, 1, v92
	s_cbranch_vccnz .LBB106_503
; %bb.502:
	scratch_load_b64 v[90:91], v59, off
	ds_load_b64 v[94:95], v1
	s_wait_loadcnt_dscnt 0x0
	v_pk_mul_f32 v[96:97], v[94:95], v[90:91] op_sel:[1,1] op_sel_hi:[0,1]
	s_delay_alu instid0(VALU_DEP_1) | instskip(SKIP_1) | instid1(VALU_DEP_2)
	v_pk_fma_f32 v[98:99], v[94:95], v[90:91], v[96:97] op_sel_hi:[1,0,1]
	v_pk_fma_f32 v[90:91], v[94:95], v[90:91], v[96:97] neg_lo:[0,0,1] neg_hi:[0,0,1]
	v_mov_b32_e32 v91, v99
	s_cbranch_execz .LBB106_504
	s_branch .LBB106_505
.LBB106_503:
                                        ; implicit-def: $vgpr90_vgpr91
.LBB106_504:
	ds_load_b64 v[90:91], v1
.LBB106_505:
	s_mov_b32 s4, exec_lo
	v_cmpx_ne_u32_e32 8, v0
	s_cbranch_execz .LBB106_509
; %bb.506:
	v_add_nc_u32_e32 v93, 0x168, v58
	v_add3_u32 v94, 0, v58, 8
	v_mov_b32_e32 v95, v0
	s_mov_b32 s5, 0
.LBB106_507:                            ; =>This Inner Loop Header: Depth=1
	scratch_load_b64 v[96:97], v94, off
	ds_load_b64 v[98:99], v93
	s_wait_xcnt 0x0
	v_dual_add_nc_u32 v93, 8, v93 :: v_dual_add_nc_u32 v94, 8, v94
	s_wait_loadcnt_dscnt 0x0
	v_pk_mul_f32 v[100:101], v[98:99], v[96:97] op_sel:[1,1] op_sel_hi:[0,1]
	s_delay_alu instid0(VALU_DEP_1) | instskip(SKIP_2) | instid1(VALU_DEP_3)
	v_pk_fma_f32 v[102:103], v[98:99], v[96:97], v[100:101] op_sel_hi:[1,0,1]
	v_add_nc_u32_e32 v95, 1, v95
	v_pk_fma_f32 v[96:97], v[98:99], v[96:97], v[100:101] neg_lo:[0,0,1] neg_hi:[0,0,1]
	v_mov_b32_e32 v97, v103
	s_delay_alu instid0(VALU_DEP_3) | instskip(NEXT) | instid1(VALU_DEP_2)
	v_cmp_lt_u32_e32 vcc_lo, 7, v95
	v_pk_add_f32 v[90:91], v[90:91], v[96:97]
	s_or_b32 s5, vcc_lo, s5
	s_delay_alu instid0(SALU_CYCLE_1)
	s_and_not1_b32 exec_lo, exec_lo, s5
	s_cbranch_execnz .LBB106_507
; %bb.508:
	s_or_b32 exec_lo, exec_lo, s5
.LBB106_509:
	s_delay_alu instid0(SALU_CYCLE_1) | instskip(SKIP_4) | instid1(VALU_DEP_1)
	s_or_b32 exec_lo, exec_lo, s4
	v_mov_b32_e32 v93, 0
	ds_load_b64 v[94:95], v93 offset:72
	s_wait_dscnt 0x0
	v_pk_mul_f32 v[96:97], v[90:91], v[94:95] op_sel:[1,1] op_sel_hi:[0,1]
	v_pk_fma_f32 v[98:99], v[90:91], v[94:95], v[96:97] op_sel_hi:[1,0,1]
	v_pk_fma_f32 v[90:91], v[90:91], v[94:95], v[96:97] neg_lo:[0,0,1] neg_hi:[0,0,1]
	s_delay_alu instid0(VALU_DEP_2)
	v_mov_b32_e32 v91, v99
	scratch_store_b64 off, v[90:91], off offset:72
.LBB106_510:
	s_wait_xcnt 0x0
	s_or_b32 exec_lo, exec_lo, s0
	scratch_load_b64 v[90:91], off, off offset:80
	s_mov_b32 s0, exec_lo
	s_wait_loadcnt 0x0
	ds_store_b64 v1, v[90:91]
	s_wait_storecnt_dscnt 0x0
	s_barrier_signal -1
	s_barrier_wait -1
	s_wait_xcnt 0x0
	v_cmpx_gt_u32_e32 10, v0
	s_cbranch_execz .LBB106_520
; %bb.511:
	v_cmp_ne_u32_e32 vcc_lo, 1, v92
	s_cbranch_vccnz .LBB106_513
; %bb.512:
	scratch_load_b64 v[90:91], v59, off
	ds_load_b64 v[94:95], v1
	s_wait_loadcnt_dscnt 0x0
	v_pk_mul_f32 v[96:97], v[94:95], v[90:91] op_sel:[1,1] op_sel_hi:[0,1]
	s_delay_alu instid0(VALU_DEP_1) | instskip(SKIP_1) | instid1(VALU_DEP_2)
	v_pk_fma_f32 v[98:99], v[94:95], v[90:91], v[96:97] op_sel_hi:[1,0,1]
	v_pk_fma_f32 v[90:91], v[94:95], v[90:91], v[96:97] neg_lo:[0,0,1] neg_hi:[0,0,1]
	v_mov_b32_e32 v91, v99
	s_cbranch_execz .LBB106_514
	s_branch .LBB106_515
.LBB106_513:
                                        ; implicit-def: $vgpr90_vgpr91
.LBB106_514:
	ds_load_b64 v[90:91], v1
.LBB106_515:
	s_mov_b32 s4, exec_lo
	v_cmpx_ne_u32_e32 9, v0
	s_cbranch_execz .LBB106_519
; %bb.516:
	v_add_nc_u32_e32 v93, 0x168, v58
	v_add3_u32 v94, 0, v58, 8
	v_mov_b32_e32 v95, v0
	s_mov_b32 s5, 0
.LBB106_517:                            ; =>This Inner Loop Header: Depth=1
	scratch_load_b64 v[96:97], v94, off
	ds_load_b64 v[98:99], v93
	s_wait_xcnt 0x0
	v_dual_add_nc_u32 v93, 8, v93 :: v_dual_add_nc_u32 v94, 8, v94
	s_wait_loadcnt_dscnt 0x0
	v_pk_mul_f32 v[100:101], v[98:99], v[96:97] op_sel:[1,1] op_sel_hi:[0,1]
	s_delay_alu instid0(VALU_DEP_1) | instskip(SKIP_2) | instid1(VALU_DEP_3)
	v_pk_fma_f32 v[102:103], v[98:99], v[96:97], v[100:101] op_sel_hi:[1,0,1]
	v_add_nc_u32_e32 v95, 1, v95
	v_pk_fma_f32 v[96:97], v[98:99], v[96:97], v[100:101] neg_lo:[0,0,1] neg_hi:[0,0,1]
	v_mov_b32_e32 v97, v103
	s_delay_alu instid0(VALU_DEP_3) | instskip(NEXT) | instid1(VALU_DEP_2)
	v_cmp_lt_u32_e32 vcc_lo, 8, v95
	v_pk_add_f32 v[90:91], v[90:91], v[96:97]
	s_or_b32 s5, vcc_lo, s5
	s_delay_alu instid0(SALU_CYCLE_1)
	s_and_not1_b32 exec_lo, exec_lo, s5
	s_cbranch_execnz .LBB106_517
; %bb.518:
	s_or_b32 exec_lo, exec_lo, s5
.LBB106_519:
	s_delay_alu instid0(SALU_CYCLE_1) | instskip(SKIP_4) | instid1(VALU_DEP_1)
	s_or_b32 exec_lo, exec_lo, s4
	v_mov_b32_e32 v93, 0
	ds_load_b64 v[94:95], v93 offset:80
	s_wait_dscnt 0x0
	v_pk_mul_f32 v[96:97], v[90:91], v[94:95] op_sel:[1,1] op_sel_hi:[0,1]
	v_pk_fma_f32 v[98:99], v[90:91], v[94:95], v[96:97] op_sel_hi:[1,0,1]
	v_pk_fma_f32 v[90:91], v[90:91], v[94:95], v[96:97] neg_lo:[0,0,1] neg_hi:[0,0,1]
	s_delay_alu instid0(VALU_DEP_2)
	v_mov_b32_e32 v91, v99
	scratch_store_b64 off, v[90:91], off offset:80
.LBB106_520:
	s_wait_xcnt 0x0
	s_or_b32 exec_lo, exec_lo, s0
	scratch_load_b64 v[90:91], off, off offset:88
	s_mov_b32 s0, exec_lo
	s_wait_loadcnt 0x0
	ds_store_b64 v1, v[90:91]
	s_wait_storecnt_dscnt 0x0
	s_barrier_signal -1
	s_barrier_wait -1
	s_wait_xcnt 0x0
	v_cmpx_gt_u32_e32 11, v0
	s_cbranch_execz .LBB106_530
; %bb.521:
	v_cmp_ne_u32_e32 vcc_lo, 1, v92
	s_cbranch_vccnz .LBB106_523
; %bb.522:
	scratch_load_b64 v[90:91], v59, off
	ds_load_b64 v[94:95], v1
	s_wait_loadcnt_dscnt 0x0
	v_pk_mul_f32 v[96:97], v[94:95], v[90:91] op_sel:[1,1] op_sel_hi:[0,1]
	s_delay_alu instid0(VALU_DEP_1) | instskip(SKIP_1) | instid1(VALU_DEP_2)
	v_pk_fma_f32 v[98:99], v[94:95], v[90:91], v[96:97] op_sel_hi:[1,0,1]
	v_pk_fma_f32 v[90:91], v[94:95], v[90:91], v[96:97] neg_lo:[0,0,1] neg_hi:[0,0,1]
	v_mov_b32_e32 v91, v99
	s_cbranch_execz .LBB106_524
	s_branch .LBB106_525
.LBB106_523:
                                        ; implicit-def: $vgpr90_vgpr91
.LBB106_524:
	ds_load_b64 v[90:91], v1
.LBB106_525:
	s_mov_b32 s4, exec_lo
	v_cmpx_ne_u32_e32 10, v0
	s_cbranch_execz .LBB106_529
; %bb.526:
	v_add_nc_u32_e32 v93, 0x168, v58
	v_add3_u32 v94, 0, v58, 8
	v_mov_b32_e32 v95, v0
	s_mov_b32 s5, 0
.LBB106_527:                            ; =>This Inner Loop Header: Depth=1
	scratch_load_b64 v[96:97], v94, off
	ds_load_b64 v[98:99], v93
	s_wait_xcnt 0x0
	v_dual_add_nc_u32 v93, 8, v93 :: v_dual_add_nc_u32 v94, 8, v94
	s_wait_loadcnt_dscnt 0x0
	v_pk_mul_f32 v[100:101], v[98:99], v[96:97] op_sel:[1,1] op_sel_hi:[0,1]
	s_delay_alu instid0(VALU_DEP_1) | instskip(SKIP_2) | instid1(VALU_DEP_3)
	v_pk_fma_f32 v[102:103], v[98:99], v[96:97], v[100:101] op_sel_hi:[1,0,1]
	v_add_nc_u32_e32 v95, 1, v95
	v_pk_fma_f32 v[96:97], v[98:99], v[96:97], v[100:101] neg_lo:[0,0,1] neg_hi:[0,0,1]
	v_mov_b32_e32 v97, v103
	s_delay_alu instid0(VALU_DEP_3) | instskip(NEXT) | instid1(VALU_DEP_2)
	v_cmp_lt_u32_e32 vcc_lo, 9, v95
	v_pk_add_f32 v[90:91], v[90:91], v[96:97]
	s_or_b32 s5, vcc_lo, s5
	s_delay_alu instid0(SALU_CYCLE_1)
	s_and_not1_b32 exec_lo, exec_lo, s5
	s_cbranch_execnz .LBB106_527
; %bb.528:
	s_or_b32 exec_lo, exec_lo, s5
.LBB106_529:
	s_delay_alu instid0(SALU_CYCLE_1) | instskip(SKIP_4) | instid1(VALU_DEP_1)
	s_or_b32 exec_lo, exec_lo, s4
	v_mov_b32_e32 v93, 0
	ds_load_b64 v[94:95], v93 offset:88
	s_wait_dscnt 0x0
	v_pk_mul_f32 v[96:97], v[90:91], v[94:95] op_sel:[1,1] op_sel_hi:[0,1]
	v_pk_fma_f32 v[98:99], v[90:91], v[94:95], v[96:97] op_sel_hi:[1,0,1]
	v_pk_fma_f32 v[90:91], v[90:91], v[94:95], v[96:97] neg_lo:[0,0,1] neg_hi:[0,0,1]
	s_delay_alu instid0(VALU_DEP_2)
	v_mov_b32_e32 v91, v99
	scratch_store_b64 off, v[90:91], off offset:88
.LBB106_530:
	s_wait_xcnt 0x0
	s_or_b32 exec_lo, exec_lo, s0
	scratch_load_b64 v[90:91], off, off offset:96
	s_mov_b32 s0, exec_lo
	s_wait_loadcnt 0x0
	ds_store_b64 v1, v[90:91]
	s_wait_storecnt_dscnt 0x0
	s_barrier_signal -1
	s_barrier_wait -1
	s_wait_xcnt 0x0
	v_cmpx_gt_u32_e32 12, v0
	s_cbranch_execz .LBB106_540
; %bb.531:
	v_cmp_ne_u32_e32 vcc_lo, 1, v92
	s_cbranch_vccnz .LBB106_533
; %bb.532:
	scratch_load_b64 v[90:91], v59, off
	ds_load_b64 v[94:95], v1
	s_wait_loadcnt_dscnt 0x0
	v_pk_mul_f32 v[96:97], v[94:95], v[90:91] op_sel:[1,1] op_sel_hi:[0,1]
	s_delay_alu instid0(VALU_DEP_1) | instskip(SKIP_1) | instid1(VALU_DEP_2)
	v_pk_fma_f32 v[98:99], v[94:95], v[90:91], v[96:97] op_sel_hi:[1,0,1]
	v_pk_fma_f32 v[90:91], v[94:95], v[90:91], v[96:97] neg_lo:[0,0,1] neg_hi:[0,0,1]
	v_mov_b32_e32 v91, v99
	s_cbranch_execz .LBB106_534
	s_branch .LBB106_535
.LBB106_533:
                                        ; implicit-def: $vgpr90_vgpr91
.LBB106_534:
	ds_load_b64 v[90:91], v1
.LBB106_535:
	s_mov_b32 s4, exec_lo
	v_cmpx_ne_u32_e32 11, v0
	s_cbranch_execz .LBB106_539
; %bb.536:
	v_add_nc_u32_e32 v93, 0x168, v58
	v_add3_u32 v94, 0, v58, 8
	v_mov_b32_e32 v95, v0
	s_mov_b32 s5, 0
.LBB106_537:                            ; =>This Inner Loop Header: Depth=1
	scratch_load_b64 v[96:97], v94, off
	ds_load_b64 v[98:99], v93
	s_wait_xcnt 0x0
	v_dual_add_nc_u32 v93, 8, v93 :: v_dual_add_nc_u32 v94, 8, v94
	s_wait_loadcnt_dscnt 0x0
	v_pk_mul_f32 v[100:101], v[98:99], v[96:97] op_sel:[1,1] op_sel_hi:[0,1]
	s_delay_alu instid0(VALU_DEP_1) | instskip(SKIP_2) | instid1(VALU_DEP_3)
	v_pk_fma_f32 v[102:103], v[98:99], v[96:97], v[100:101] op_sel_hi:[1,0,1]
	v_add_nc_u32_e32 v95, 1, v95
	v_pk_fma_f32 v[96:97], v[98:99], v[96:97], v[100:101] neg_lo:[0,0,1] neg_hi:[0,0,1]
	v_mov_b32_e32 v97, v103
	s_delay_alu instid0(VALU_DEP_3) | instskip(NEXT) | instid1(VALU_DEP_2)
	v_cmp_lt_u32_e32 vcc_lo, 10, v95
	v_pk_add_f32 v[90:91], v[90:91], v[96:97]
	s_or_b32 s5, vcc_lo, s5
	s_delay_alu instid0(SALU_CYCLE_1)
	s_and_not1_b32 exec_lo, exec_lo, s5
	s_cbranch_execnz .LBB106_537
; %bb.538:
	s_or_b32 exec_lo, exec_lo, s5
.LBB106_539:
	s_delay_alu instid0(SALU_CYCLE_1) | instskip(SKIP_4) | instid1(VALU_DEP_1)
	s_or_b32 exec_lo, exec_lo, s4
	v_mov_b32_e32 v93, 0
	ds_load_b64 v[94:95], v93 offset:96
	s_wait_dscnt 0x0
	v_pk_mul_f32 v[96:97], v[90:91], v[94:95] op_sel:[1,1] op_sel_hi:[0,1]
	v_pk_fma_f32 v[98:99], v[90:91], v[94:95], v[96:97] op_sel_hi:[1,0,1]
	v_pk_fma_f32 v[90:91], v[90:91], v[94:95], v[96:97] neg_lo:[0,0,1] neg_hi:[0,0,1]
	s_delay_alu instid0(VALU_DEP_2)
	v_mov_b32_e32 v91, v99
	scratch_store_b64 off, v[90:91], off offset:96
.LBB106_540:
	s_wait_xcnt 0x0
	s_or_b32 exec_lo, exec_lo, s0
	scratch_load_b64 v[90:91], off, off offset:104
	s_mov_b32 s0, exec_lo
	s_wait_loadcnt 0x0
	ds_store_b64 v1, v[90:91]
	s_wait_storecnt_dscnt 0x0
	s_barrier_signal -1
	s_barrier_wait -1
	s_wait_xcnt 0x0
	v_cmpx_gt_u32_e32 13, v0
	s_cbranch_execz .LBB106_550
; %bb.541:
	v_cmp_ne_u32_e32 vcc_lo, 1, v92
	s_cbranch_vccnz .LBB106_543
; %bb.542:
	scratch_load_b64 v[90:91], v59, off
	ds_load_b64 v[94:95], v1
	s_wait_loadcnt_dscnt 0x0
	v_pk_mul_f32 v[96:97], v[94:95], v[90:91] op_sel:[1,1] op_sel_hi:[0,1]
	s_delay_alu instid0(VALU_DEP_1) | instskip(SKIP_1) | instid1(VALU_DEP_2)
	v_pk_fma_f32 v[98:99], v[94:95], v[90:91], v[96:97] op_sel_hi:[1,0,1]
	v_pk_fma_f32 v[90:91], v[94:95], v[90:91], v[96:97] neg_lo:[0,0,1] neg_hi:[0,0,1]
	v_mov_b32_e32 v91, v99
	s_cbranch_execz .LBB106_544
	s_branch .LBB106_545
.LBB106_543:
                                        ; implicit-def: $vgpr90_vgpr91
.LBB106_544:
	ds_load_b64 v[90:91], v1
.LBB106_545:
	s_mov_b32 s4, exec_lo
	v_cmpx_ne_u32_e32 12, v0
	s_cbranch_execz .LBB106_549
; %bb.546:
	v_add_nc_u32_e32 v93, 0x168, v58
	v_add3_u32 v94, 0, v58, 8
	v_mov_b32_e32 v95, v0
	s_mov_b32 s5, 0
.LBB106_547:                            ; =>This Inner Loop Header: Depth=1
	scratch_load_b64 v[96:97], v94, off
	ds_load_b64 v[98:99], v93
	s_wait_xcnt 0x0
	v_dual_add_nc_u32 v93, 8, v93 :: v_dual_add_nc_u32 v94, 8, v94
	s_wait_loadcnt_dscnt 0x0
	v_pk_mul_f32 v[100:101], v[98:99], v[96:97] op_sel:[1,1] op_sel_hi:[0,1]
	s_delay_alu instid0(VALU_DEP_1) | instskip(SKIP_2) | instid1(VALU_DEP_3)
	v_pk_fma_f32 v[102:103], v[98:99], v[96:97], v[100:101] op_sel_hi:[1,0,1]
	v_add_nc_u32_e32 v95, 1, v95
	v_pk_fma_f32 v[96:97], v[98:99], v[96:97], v[100:101] neg_lo:[0,0,1] neg_hi:[0,0,1]
	v_mov_b32_e32 v97, v103
	s_delay_alu instid0(VALU_DEP_3) | instskip(NEXT) | instid1(VALU_DEP_2)
	v_cmp_lt_u32_e32 vcc_lo, 11, v95
	v_pk_add_f32 v[90:91], v[90:91], v[96:97]
	s_or_b32 s5, vcc_lo, s5
	s_delay_alu instid0(SALU_CYCLE_1)
	s_and_not1_b32 exec_lo, exec_lo, s5
	s_cbranch_execnz .LBB106_547
; %bb.548:
	s_or_b32 exec_lo, exec_lo, s5
.LBB106_549:
	s_delay_alu instid0(SALU_CYCLE_1) | instskip(SKIP_4) | instid1(VALU_DEP_1)
	s_or_b32 exec_lo, exec_lo, s4
	v_mov_b32_e32 v93, 0
	ds_load_b64 v[94:95], v93 offset:104
	s_wait_dscnt 0x0
	v_pk_mul_f32 v[96:97], v[90:91], v[94:95] op_sel:[1,1] op_sel_hi:[0,1]
	v_pk_fma_f32 v[98:99], v[90:91], v[94:95], v[96:97] op_sel_hi:[1,0,1]
	v_pk_fma_f32 v[90:91], v[90:91], v[94:95], v[96:97] neg_lo:[0,0,1] neg_hi:[0,0,1]
	s_delay_alu instid0(VALU_DEP_2)
	v_mov_b32_e32 v91, v99
	scratch_store_b64 off, v[90:91], off offset:104
.LBB106_550:
	s_wait_xcnt 0x0
	s_or_b32 exec_lo, exec_lo, s0
	scratch_load_b64 v[90:91], off, off offset:112
	s_mov_b32 s0, exec_lo
	s_wait_loadcnt 0x0
	ds_store_b64 v1, v[90:91]
	s_wait_storecnt_dscnt 0x0
	s_barrier_signal -1
	s_barrier_wait -1
	s_wait_xcnt 0x0
	v_cmpx_gt_u32_e32 14, v0
	s_cbranch_execz .LBB106_560
; %bb.551:
	v_cmp_ne_u32_e32 vcc_lo, 1, v92
	s_cbranch_vccnz .LBB106_553
; %bb.552:
	scratch_load_b64 v[90:91], v59, off
	ds_load_b64 v[94:95], v1
	s_wait_loadcnt_dscnt 0x0
	v_pk_mul_f32 v[96:97], v[94:95], v[90:91] op_sel:[1,1] op_sel_hi:[0,1]
	s_delay_alu instid0(VALU_DEP_1) | instskip(SKIP_1) | instid1(VALU_DEP_2)
	v_pk_fma_f32 v[98:99], v[94:95], v[90:91], v[96:97] op_sel_hi:[1,0,1]
	v_pk_fma_f32 v[90:91], v[94:95], v[90:91], v[96:97] neg_lo:[0,0,1] neg_hi:[0,0,1]
	v_mov_b32_e32 v91, v99
	s_cbranch_execz .LBB106_554
	s_branch .LBB106_555
.LBB106_553:
                                        ; implicit-def: $vgpr90_vgpr91
.LBB106_554:
	ds_load_b64 v[90:91], v1
.LBB106_555:
	s_mov_b32 s4, exec_lo
	v_cmpx_ne_u32_e32 13, v0
	s_cbranch_execz .LBB106_559
; %bb.556:
	v_add_nc_u32_e32 v93, 0x168, v58
	v_add3_u32 v94, 0, v58, 8
	v_mov_b32_e32 v95, v0
	s_mov_b32 s5, 0
.LBB106_557:                            ; =>This Inner Loop Header: Depth=1
	scratch_load_b64 v[96:97], v94, off
	ds_load_b64 v[98:99], v93
	s_wait_xcnt 0x0
	v_dual_add_nc_u32 v93, 8, v93 :: v_dual_add_nc_u32 v94, 8, v94
	s_wait_loadcnt_dscnt 0x0
	v_pk_mul_f32 v[100:101], v[98:99], v[96:97] op_sel:[1,1] op_sel_hi:[0,1]
	s_delay_alu instid0(VALU_DEP_1) | instskip(SKIP_2) | instid1(VALU_DEP_3)
	v_pk_fma_f32 v[102:103], v[98:99], v[96:97], v[100:101] op_sel_hi:[1,0,1]
	v_add_nc_u32_e32 v95, 1, v95
	v_pk_fma_f32 v[96:97], v[98:99], v[96:97], v[100:101] neg_lo:[0,0,1] neg_hi:[0,0,1]
	v_mov_b32_e32 v97, v103
	s_delay_alu instid0(VALU_DEP_3) | instskip(NEXT) | instid1(VALU_DEP_2)
	v_cmp_lt_u32_e32 vcc_lo, 12, v95
	v_pk_add_f32 v[90:91], v[90:91], v[96:97]
	s_or_b32 s5, vcc_lo, s5
	s_delay_alu instid0(SALU_CYCLE_1)
	s_and_not1_b32 exec_lo, exec_lo, s5
	s_cbranch_execnz .LBB106_557
; %bb.558:
	s_or_b32 exec_lo, exec_lo, s5
.LBB106_559:
	s_delay_alu instid0(SALU_CYCLE_1) | instskip(SKIP_4) | instid1(VALU_DEP_1)
	s_or_b32 exec_lo, exec_lo, s4
	v_mov_b32_e32 v93, 0
	ds_load_b64 v[94:95], v93 offset:112
	s_wait_dscnt 0x0
	v_pk_mul_f32 v[96:97], v[90:91], v[94:95] op_sel:[1,1] op_sel_hi:[0,1]
	v_pk_fma_f32 v[98:99], v[90:91], v[94:95], v[96:97] op_sel_hi:[1,0,1]
	v_pk_fma_f32 v[90:91], v[90:91], v[94:95], v[96:97] neg_lo:[0,0,1] neg_hi:[0,0,1]
	s_delay_alu instid0(VALU_DEP_2)
	v_mov_b32_e32 v91, v99
	scratch_store_b64 off, v[90:91], off offset:112
.LBB106_560:
	s_wait_xcnt 0x0
	s_or_b32 exec_lo, exec_lo, s0
	scratch_load_b64 v[90:91], off, off offset:120
	s_mov_b32 s0, exec_lo
	s_wait_loadcnt 0x0
	ds_store_b64 v1, v[90:91]
	s_wait_storecnt_dscnt 0x0
	s_barrier_signal -1
	s_barrier_wait -1
	s_wait_xcnt 0x0
	v_cmpx_gt_u32_e32 15, v0
	s_cbranch_execz .LBB106_570
; %bb.561:
	v_cmp_ne_u32_e32 vcc_lo, 1, v92
	s_cbranch_vccnz .LBB106_563
; %bb.562:
	scratch_load_b64 v[90:91], v59, off
	ds_load_b64 v[94:95], v1
	s_wait_loadcnt_dscnt 0x0
	v_pk_mul_f32 v[96:97], v[94:95], v[90:91] op_sel:[1,1] op_sel_hi:[0,1]
	s_delay_alu instid0(VALU_DEP_1) | instskip(SKIP_1) | instid1(VALU_DEP_2)
	v_pk_fma_f32 v[98:99], v[94:95], v[90:91], v[96:97] op_sel_hi:[1,0,1]
	v_pk_fma_f32 v[90:91], v[94:95], v[90:91], v[96:97] neg_lo:[0,0,1] neg_hi:[0,0,1]
	v_mov_b32_e32 v91, v99
	s_cbranch_execz .LBB106_564
	s_branch .LBB106_565
.LBB106_563:
                                        ; implicit-def: $vgpr90_vgpr91
.LBB106_564:
	ds_load_b64 v[90:91], v1
.LBB106_565:
	s_mov_b32 s4, exec_lo
	v_cmpx_ne_u32_e32 14, v0
	s_cbranch_execz .LBB106_569
; %bb.566:
	v_add_nc_u32_e32 v93, 0x168, v58
	v_add3_u32 v94, 0, v58, 8
	v_mov_b32_e32 v95, v0
	s_mov_b32 s5, 0
.LBB106_567:                            ; =>This Inner Loop Header: Depth=1
	scratch_load_b64 v[96:97], v94, off
	ds_load_b64 v[98:99], v93
	s_wait_xcnt 0x0
	v_dual_add_nc_u32 v93, 8, v93 :: v_dual_add_nc_u32 v94, 8, v94
	s_wait_loadcnt_dscnt 0x0
	v_pk_mul_f32 v[100:101], v[98:99], v[96:97] op_sel:[1,1] op_sel_hi:[0,1]
	s_delay_alu instid0(VALU_DEP_1) | instskip(SKIP_2) | instid1(VALU_DEP_3)
	v_pk_fma_f32 v[102:103], v[98:99], v[96:97], v[100:101] op_sel_hi:[1,0,1]
	v_add_nc_u32_e32 v95, 1, v95
	v_pk_fma_f32 v[96:97], v[98:99], v[96:97], v[100:101] neg_lo:[0,0,1] neg_hi:[0,0,1]
	v_mov_b32_e32 v97, v103
	s_delay_alu instid0(VALU_DEP_3) | instskip(NEXT) | instid1(VALU_DEP_2)
	v_cmp_lt_u32_e32 vcc_lo, 13, v95
	v_pk_add_f32 v[90:91], v[90:91], v[96:97]
	s_or_b32 s5, vcc_lo, s5
	s_delay_alu instid0(SALU_CYCLE_1)
	s_and_not1_b32 exec_lo, exec_lo, s5
	s_cbranch_execnz .LBB106_567
; %bb.568:
	s_or_b32 exec_lo, exec_lo, s5
.LBB106_569:
	s_delay_alu instid0(SALU_CYCLE_1) | instskip(SKIP_4) | instid1(VALU_DEP_1)
	s_or_b32 exec_lo, exec_lo, s4
	v_mov_b32_e32 v93, 0
	ds_load_b64 v[94:95], v93 offset:120
	s_wait_dscnt 0x0
	v_pk_mul_f32 v[96:97], v[90:91], v[94:95] op_sel:[1,1] op_sel_hi:[0,1]
	v_pk_fma_f32 v[98:99], v[90:91], v[94:95], v[96:97] op_sel_hi:[1,0,1]
	v_pk_fma_f32 v[90:91], v[90:91], v[94:95], v[96:97] neg_lo:[0,0,1] neg_hi:[0,0,1]
	s_delay_alu instid0(VALU_DEP_2)
	v_mov_b32_e32 v91, v99
	scratch_store_b64 off, v[90:91], off offset:120
.LBB106_570:
	s_wait_xcnt 0x0
	s_or_b32 exec_lo, exec_lo, s0
	scratch_load_b64 v[90:91], off, off offset:128
	s_mov_b32 s0, exec_lo
	s_wait_loadcnt 0x0
	ds_store_b64 v1, v[90:91]
	s_wait_storecnt_dscnt 0x0
	s_barrier_signal -1
	s_barrier_wait -1
	s_wait_xcnt 0x0
	v_cmpx_gt_u32_e32 16, v0
	s_cbranch_execz .LBB106_580
; %bb.571:
	v_cmp_ne_u32_e32 vcc_lo, 1, v92
	s_cbranch_vccnz .LBB106_573
; %bb.572:
	scratch_load_b64 v[90:91], v59, off
	ds_load_b64 v[94:95], v1
	s_wait_loadcnt_dscnt 0x0
	v_pk_mul_f32 v[96:97], v[94:95], v[90:91] op_sel:[1,1] op_sel_hi:[0,1]
	s_delay_alu instid0(VALU_DEP_1) | instskip(SKIP_1) | instid1(VALU_DEP_2)
	v_pk_fma_f32 v[98:99], v[94:95], v[90:91], v[96:97] op_sel_hi:[1,0,1]
	v_pk_fma_f32 v[90:91], v[94:95], v[90:91], v[96:97] neg_lo:[0,0,1] neg_hi:[0,0,1]
	v_mov_b32_e32 v91, v99
	s_cbranch_execz .LBB106_574
	s_branch .LBB106_575
.LBB106_573:
                                        ; implicit-def: $vgpr90_vgpr91
.LBB106_574:
	ds_load_b64 v[90:91], v1
.LBB106_575:
	s_mov_b32 s4, exec_lo
	v_cmpx_ne_u32_e32 15, v0
	s_cbranch_execz .LBB106_579
; %bb.576:
	v_add_nc_u32_e32 v93, 0x168, v58
	v_add3_u32 v94, 0, v58, 8
	v_mov_b32_e32 v95, v0
	s_mov_b32 s5, 0
.LBB106_577:                            ; =>This Inner Loop Header: Depth=1
	scratch_load_b64 v[96:97], v94, off
	ds_load_b64 v[98:99], v93
	s_wait_xcnt 0x0
	v_dual_add_nc_u32 v93, 8, v93 :: v_dual_add_nc_u32 v94, 8, v94
	s_wait_loadcnt_dscnt 0x0
	v_pk_mul_f32 v[100:101], v[98:99], v[96:97] op_sel:[1,1] op_sel_hi:[0,1]
	s_delay_alu instid0(VALU_DEP_1) | instskip(SKIP_2) | instid1(VALU_DEP_3)
	v_pk_fma_f32 v[102:103], v[98:99], v[96:97], v[100:101] op_sel_hi:[1,0,1]
	v_add_nc_u32_e32 v95, 1, v95
	v_pk_fma_f32 v[96:97], v[98:99], v[96:97], v[100:101] neg_lo:[0,0,1] neg_hi:[0,0,1]
	v_mov_b32_e32 v97, v103
	s_delay_alu instid0(VALU_DEP_3) | instskip(NEXT) | instid1(VALU_DEP_2)
	v_cmp_lt_u32_e32 vcc_lo, 14, v95
	v_pk_add_f32 v[90:91], v[90:91], v[96:97]
	s_or_b32 s5, vcc_lo, s5
	s_delay_alu instid0(SALU_CYCLE_1)
	s_and_not1_b32 exec_lo, exec_lo, s5
	s_cbranch_execnz .LBB106_577
; %bb.578:
	s_or_b32 exec_lo, exec_lo, s5
.LBB106_579:
	s_delay_alu instid0(SALU_CYCLE_1) | instskip(SKIP_4) | instid1(VALU_DEP_1)
	s_or_b32 exec_lo, exec_lo, s4
	v_mov_b32_e32 v93, 0
	ds_load_b64 v[94:95], v93 offset:128
	s_wait_dscnt 0x0
	v_pk_mul_f32 v[96:97], v[90:91], v[94:95] op_sel:[1,1] op_sel_hi:[0,1]
	v_pk_fma_f32 v[98:99], v[90:91], v[94:95], v[96:97] op_sel_hi:[1,0,1]
	v_pk_fma_f32 v[90:91], v[90:91], v[94:95], v[96:97] neg_lo:[0,0,1] neg_hi:[0,0,1]
	s_delay_alu instid0(VALU_DEP_2)
	v_mov_b32_e32 v91, v99
	scratch_store_b64 off, v[90:91], off offset:128
.LBB106_580:
	s_wait_xcnt 0x0
	s_or_b32 exec_lo, exec_lo, s0
	scratch_load_b64 v[90:91], off, off offset:136
	s_mov_b32 s0, exec_lo
	s_wait_loadcnt 0x0
	ds_store_b64 v1, v[90:91]
	s_wait_storecnt_dscnt 0x0
	s_barrier_signal -1
	s_barrier_wait -1
	s_wait_xcnt 0x0
	v_cmpx_gt_u32_e32 17, v0
	s_cbranch_execz .LBB106_590
; %bb.581:
	v_cmp_ne_u32_e32 vcc_lo, 1, v92
	s_cbranch_vccnz .LBB106_583
; %bb.582:
	scratch_load_b64 v[90:91], v59, off
	ds_load_b64 v[94:95], v1
	s_wait_loadcnt_dscnt 0x0
	v_pk_mul_f32 v[96:97], v[94:95], v[90:91] op_sel:[1,1] op_sel_hi:[0,1]
	s_delay_alu instid0(VALU_DEP_1) | instskip(SKIP_1) | instid1(VALU_DEP_2)
	v_pk_fma_f32 v[98:99], v[94:95], v[90:91], v[96:97] op_sel_hi:[1,0,1]
	v_pk_fma_f32 v[90:91], v[94:95], v[90:91], v[96:97] neg_lo:[0,0,1] neg_hi:[0,0,1]
	v_mov_b32_e32 v91, v99
	s_cbranch_execz .LBB106_584
	s_branch .LBB106_585
.LBB106_583:
                                        ; implicit-def: $vgpr90_vgpr91
.LBB106_584:
	ds_load_b64 v[90:91], v1
.LBB106_585:
	s_mov_b32 s4, exec_lo
	v_cmpx_ne_u32_e32 16, v0
	s_cbranch_execz .LBB106_589
; %bb.586:
	v_add_nc_u32_e32 v93, 0x168, v58
	v_add3_u32 v94, 0, v58, 8
	v_mov_b32_e32 v95, v0
	s_mov_b32 s5, 0
.LBB106_587:                            ; =>This Inner Loop Header: Depth=1
	scratch_load_b64 v[96:97], v94, off
	ds_load_b64 v[98:99], v93
	s_wait_xcnt 0x0
	v_dual_add_nc_u32 v93, 8, v93 :: v_dual_add_nc_u32 v94, 8, v94
	s_wait_loadcnt_dscnt 0x0
	v_pk_mul_f32 v[100:101], v[98:99], v[96:97] op_sel:[1,1] op_sel_hi:[0,1]
	s_delay_alu instid0(VALU_DEP_1) | instskip(SKIP_2) | instid1(VALU_DEP_3)
	v_pk_fma_f32 v[102:103], v[98:99], v[96:97], v[100:101] op_sel_hi:[1,0,1]
	v_add_nc_u32_e32 v95, 1, v95
	v_pk_fma_f32 v[96:97], v[98:99], v[96:97], v[100:101] neg_lo:[0,0,1] neg_hi:[0,0,1]
	v_mov_b32_e32 v97, v103
	s_delay_alu instid0(VALU_DEP_3) | instskip(NEXT) | instid1(VALU_DEP_2)
	v_cmp_lt_u32_e32 vcc_lo, 15, v95
	v_pk_add_f32 v[90:91], v[90:91], v[96:97]
	s_or_b32 s5, vcc_lo, s5
	s_delay_alu instid0(SALU_CYCLE_1)
	s_and_not1_b32 exec_lo, exec_lo, s5
	s_cbranch_execnz .LBB106_587
; %bb.588:
	s_or_b32 exec_lo, exec_lo, s5
.LBB106_589:
	s_delay_alu instid0(SALU_CYCLE_1) | instskip(SKIP_4) | instid1(VALU_DEP_1)
	s_or_b32 exec_lo, exec_lo, s4
	v_mov_b32_e32 v93, 0
	ds_load_b64 v[94:95], v93 offset:136
	s_wait_dscnt 0x0
	v_pk_mul_f32 v[96:97], v[90:91], v[94:95] op_sel:[1,1] op_sel_hi:[0,1]
	v_pk_fma_f32 v[98:99], v[90:91], v[94:95], v[96:97] op_sel_hi:[1,0,1]
	v_pk_fma_f32 v[90:91], v[90:91], v[94:95], v[96:97] neg_lo:[0,0,1] neg_hi:[0,0,1]
	s_delay_alu instid0(VALU_DEP_2)
	v_mov_b32_e32 v91, v99
	scratch_store_b64 off, v[90:91], off offset:136
.LBB106_590:
	s_wait_xcnt 0x0
	s_or_b32 exec_lo, exec_lo, s0
	scratch_load_b64 v[90:91], off, off offset:144
	s_mov_b32 s0, exec_lo
	s_wait_loadcnt 0x0
	ds_store_b64 v1, v[90:91]
	s_wait_storecnt_dscnt 0x0
	s_barrier_signal -1
	s_barrier_wait -1
	s_wait_xcnt 0x0
	v_cmpx_gt_u32_e32 18, v0
	s_cbranch_execz .LBB106_600
; %bb.591:
	v_cmp_ne_u32_e32 vcc_lo, 1, v92
	s_cbranch_vccnz .LBB106_593
; %bb.592:
	scratch_load_b64 v[90:91], v59, off
	ds_load_b64 v[94:95], v1
	s_wait_loadcnt_dscnt 0x0
	v_pk_mul_f32 v[96:97], v[94:95], v[90:91] op_sel:[1,1] op_sel_hi:[0,1]
	s_delay_alu instid0(VALU_DEP_1) | instskip(SKIP_1) | instid1(VALU_DEP_2)
	v_pk_fma_f32 v[98:99], v[94:95], v[90:91], v[96:97] op_sel_hi:[1,0,1]
	v_pk_fma_f32 v[90:91], v[94:95], v[90:91], v[96:97] neg_lo:[0,0,1] neg_hi:[0,0,1]
	v_mov_b32_e32 v91, v99
	s_cbranch_execz .LBB106_594
	s_branch .LBB106_595
.LBB106_593:
                                        ; implicit-def: $vgpr90_vgpr91
.LBB106_594:
	ds_load_b64 v[90:91], v1
.LBB106_595:
	s_mov_b32 s4, exec_lo
	v_cmpx_ne_u32_e32 17, v0
	s_cbranch_execz .LBB106_599
; %bb.596:
	v_add_nc_u32_e32 v93, 0x168, v58
	v_add3_u32 v94, 0, v58, 8
	v_mov_b32_e32 v95, v0
	s_mov_b32 s5, 0
.LBB106_597:                            ; =>This Inner Loop Header: Depth=1
	scratch_load_b64 v[96:97], v94, off
	ds_load_b64 v[98:99], v93
	s_wait_xcnt 0x0
	v_dual_add_nc_u32 v93, 8, v93 :: v_dual_add_nc_u32 v94, 8, v94
	s_wait_loadcnt_dscnt 0x0
	v_pk_mul_f32 v[100:101], v[98:99], v[96:97] op_sel:[1,1] op_sel_hi:[0,1]
	s_delay_alu instid0(VALU_DEP_1) | instskip(SKIP_2) | instid1(VALU_DEP_3)
	v_pk_fma_f32 v[102:103], v[98:99], v[96:97], v[100:101] op_sel_hi:[1,0,1]
	v_add_nc_u32_e32 v95, 1, v95
	v_pk_fma_f32 v[96:97], v[98:99], v[96:97], v[100:101] neg_lo:[0,0,1] neg_hi:[0,0,1]
	v_mov_b32_e32 v97, v103
	s_delay_alu instid0(VALU_DEP_3) | instskip(NEXT) | instid1(VALU_DEP_2)
	v_cmp_lt_u32_e32 vcc_lo, 16, v95
	v_pk_add_f32 v[90:91], v[90:91], v[96:97]
	s_or_b32 s5, vcc_lo, s5
	s_delay_alu instid0(SALU_CYCLE_1)
	s_and_not1_b32 exec_lo, exec_lo, s5
	s_cbranch_execnz .LBB106_597
; %bb.598:
	s_or_b32 exec_lo, exec_lo, s5
.LBB106_599:
	s_delay_alu instid0(SALU_CYCLE_1) | instskip(SKIP_4) | instid1(VALU_DEP_1)
	s_or_b32 exec_lo, exec_lo, s4
	v_mov_b32_e32 v93, 0
	ds_load_b64 v[94:95], v93 offset:144
	s_wait_dscnt 0x0
	v_pk_mul_f32 v[96:97], v[90:91], v[94:95] op_sel:[1,1] op_sel_hi:[0,1]
	v_pk_fma_f32 v[98:99], v[90:91], v[94:95], v[96:97] op_sel_hi:[1,0,1]
	v_pk_fma_f32 v[90:91], v[90:91], v[94:95], v[96:97] neg_lo:[0,0,1] neg_hi:[0,0,1]
	s_delay_alu instid0(VALU_DEP_2)
	v_mov_b32_e32 v91, v99
	scratch_store_b64 off, v[90:91], off offset:144
.LBB106_600:
	s_wait_xcnt 0x0
	s_or_b32 exec_lo, exec_lo, s0
	scratch_load_b64 v[90:91], off, off offset:152
	s_mov_b32 s0, exec_lo
	s_wait_loadcnt 0x0
	ds_store_b64 v1, v[90:91]
	s_wait_storecnt_dscnt 0x0
	s_barrier_signal -1
	s_barrier_wait -1
	s_wait_xcnt 0x0
	v_cmpx_gt_u32_e32 19, v0
	s_cbranch_execz .LBB106_610
; %bb.601:
	v_cmp_ne_u32_e32 vcc_lo, 1, v92
	s_cbranch_vccnz .LBB106_603
; %bb.602:
	scratch_load_b64 v[90:91], v59, off
	ds_load_b64 v[94:95], v1
	s_wait_loadcnt_dscnt 0x0
	v_pk_mul_f32 v[96:97], v[94:95], v[90:91] op_sel:[1,1] op_sel_hi:[0,1]
	s_delay_alu instid0(VALU_DEP_1) | instskip(SKIP_1) | instid1(VALU_DEP_2)
	v_pk_fma_f32 v[98:99], v[94:95], v[90:91], v[96:97] op_sel_hi:[1,0,1]
	v_pk_fma_f32 v[90:91], v[94:95], v[90:91], v[96:97] neg_lo:[0,0,1] neg_hi:[0,0,1]
	v_mov_b32_e32 v91, v99
	s_cbranch_execz .LBB106_604
	s_branch .LBB106_605
.LBB106_603:
                                        ; implicit-def: $vgpr90_vgpr91
.LBB106_604:
	ds_load_b64 v[90:91], v1
.LBB106_605:
	s_mov_b32 s4, exec_lo
	v_cmpx_ne_u32_e32 18, v0
	s_cbranch_execz .LBB106_609
; %bb.606:
	v_add_nc_u32_e32 v93, 0x168, v58
	v_add3_u32 v94, 0, v58, 8
	v_mov_b32_e32 v95, v0
	s_mov_b32 s5, 0
.LBB106_607:                            ; =>This Inner Loop Header: Depth=1
	scratch_load_b64 v[96:97], v94, off
	ds_load_b64 v[98:99], v93
	s_wait_xcnt 0x0
	v_dual_add_nc_u32 v93, 8, v93 :: v_dual_add_nc_u32 v94, 8, v94
	s_wait_loadcnt_dscnt 0x0
	v_pk_mul_f32 v[100:101], v[98:99], v[96:97] op_sel:[1,1] op_sel_hi:[0,1]
	s_delay_alu instid0(VALU_DEP_1) | instskip(SKIP_2) | instid1(VALU_DEP_3)
	v_pk_fma_f32 v[102:103], v[98:99], v[96:97], v[100:101] op_sel_hi:[1,0,1]
	v_add_nc_u32_e32 v95, 1, v95
	v_pk_fma_f32 v[96:97], v[98:99], v[96:97], v[100:101] neg_lo:[0,0,1] neg_hi:[0,0,1]
	v_mov_b32_e32 v97, v103
	s_delay_alu instid0(VALU_DEP_3) | instskip(NEXT) | instid1(VALU_DEP_2)
	v_cmp_lt_u32_e32 vcc_lo, 17, v95
	v_pk_add_f32 v[90:91], v[90:91], v[96:97]
	s_or_b32 s5, vcc_lo, s5
	s_delay_alu instid0(SALU_CYCLE_1)
	s_and_not1_b32 exec_lo, exec_lo, s5
	s_cbranch_execnz .LBB106_607
; %bb.608:
	s_or_b32 exec_lo, exec_lo, s5
.LBB106_609:
	s_delay_alu instid0(SALU_CYCLE_1) | instskip(SKIP_4) | instid1(VALU_DEP_1)
	s_or_b32 exec_lo, exec_lo, s4
	v_mov_b32_e32 v93, 0
	ds_load_b64 v[94:95], v93 offset:152
	s_wait_dscnt 0x0
	v_pk_mul_f32 v[96:97], v[90:91], v[94:95] op_sel:[1,1] op_sel_hi:[0,1]
	v_pk_fma_f32 v[98:99], v[90:91], v[94:95], v[96:97] op_sel_hi:[1,0,1]
	v_pk_fma_f32 v[90:91], v[90:91], v[94:95], v[96:97] neg_lo:[0,0,1] neg_hi:[0,0,1]
	s_delay_alu instid0(VALU_DEP_2)
	v_mov_b32_e32 v91, v99
	scratch_store_b64 off, v[90:91], off offset:152
.LBB106_610:
	s_wait_xcnt 0x0
	s_or_b32 exec_lo, exec_lo, s0
	scratch_load_b64 v[90:91], off, off offset:160
	s_mov_b32 s0, exec_lo
	s_wait_loadcnt 0x0
	ds_store_b64 v1, v[90:91]
	s_wait_storecnt_dscnt 0x0
	s_barrier_signal -1
	s_barrier_wait -1
	s_wait_xcnt 0x0
	v_cmpx_gt_u32_e32 20, v0
	s_cbranch_execz .LBB106_620
; %bb.611:
	v_cmp_ne_u32_e32 vcc_lo, 1, v92
	s_cbranch_vccnz .LBB106_613
; %bb.612:
	scratch_load_b64 v[90:91], v59, off
	ds_load_b64 v[94:95], v1
	s_wait_loadcnt_dscnt 0x0
	v_pk_mul_f32 v[96:97], v[94:95], v[90:91] op_sel:[1,1] op_sel_hi:[0,1]
	s_delay_alu instid0(VALU_DEP_1) | instskip(SKIP_1) | instid1(VALU_DEP_2)
	v_pk_fma_f32 v[98:99], v[94:95], v[90:91], v[96:97] op_sel_hi:[1,0,1]
	v_pk_fma_f32 v[90:91], v[94:95], v[90:91], v[96:97] neg_lo:[0,0,1] neg_hi:[0,0,1]
	v_mov_b32_e32 v91, v99
	s_cbranch_execz .LBB106_614
	s_branch .LBB106_615
.LBB106_613:
                                        ; implicit-def: $vgpr90_vgpr91
.LBB106_614:
	ds_load_b64 v[90:91], v1
.LBB106_615:
	s_mov_b32 s4, exec_lo
	v_cmpx_ne_u32_e32 19, v0
	s_cbranch_execz .LBB106_619
; %bb.616:
	v_add_nc_u32_e32 v93, 0x168, v58
	v_add3_u32 v94, 0, v58, 8
	v_mov_b32_e32 v95, v0
	s_mov_b32 s5, 0
.LBB106_617:                            ; =>This Inner Loop Header: Depth=1
	scratch_load_b64 v[96:97], v94, off
	ds_load_b64 v[98:99], v93
	s_wait_xcnt 0x0
	v_dual_add_nc_u32 v93, 8, v93 :: v_dual_add_nc_u32 v94, 8, v94
	s_wait_loadcnt_dscnt 0x0
	v_pk_mul_f32 v[100:101], v[98:99], v[96:97] op_sel:[1,1] op_sel_hi:[0,1]
	s_delay_alu instid0(VALU_DEP_1) | instskip(SKIP_2) | instid1(VALU_DEP_3)
	v_pk_fma_f32 v[102:103], v[98:99], v[96:97], v[100:101] op_sel_hi:[1,0,1]
	v_add_nc_u32_e32 v95, 1, v95
	v_pk_fma_f32 v[96:97], v[98:99], v[96:97], v[100:101] neg_lo:[0,0,1] neg_hi:[0,0,1]
	v_mov_b32_e32 v97, v103
	s_delay_alu instid0(VALU_DEP_3) | instskip(NEXT) | instid1(VALU_DEP_2)
	v_cmp_lt_u32_e32 vcc_lo, 18, v95
	v_pk_add_f32 v[90:91], v[90:91], v[96:97]
	s_or_b32 s5, vcc_lo, s5
	s_delay_alu instid0(SALU_CYCLE_1)
	s_and_not1_b32 exec_lo, exec_lo, s5
	s_cbranch_execnz .LBB106_617
; %bb.618:
	s_or_b32 exec_lo, exec_lo, s5
.LBB106_619:
	s_delay_alu instid0(SALU_CYCLE_1) | instskip(SKIP_4) | instid1(VALU_DEP_1)
	s_or_b32 exec_lo, exec_lo, s4
	v_mov_b32_e32 v93, 0
	ds_load_b64 v[94:95], v93 offset:160
	s_wait_dscnt 0x0
	v_pk_mul_f32 v[96:97], v[90:91], v[94:95] op_sel:[1,1] op_sel_hi:[0,1]
	v_pk_fma_f32 v[98:99], v[90:91], v[94:95], v[96:97] op_sel_hi:[1,0,1]
	v_pk_fma_f32 v[90:91], v[90:91], v[94:95], v[96:97] neg_lo:[0,0,1] neg_hi:[0,0,1]
	s_delay_alu instid0(VALU_DEP_2)
	v_mov_b32_e32 v91, v99
	scratch_store_b64 off, v[90:91], off offset:160
.LBB106_620:
	s_wait_xcnt 0x0
	s_or_b32 exec_lo, exec_lo, s0
	scratch_load_b64 v[90:91], off, off offset:168
	s_mov_b32 s0, exec_lo
	s_wait_loadcnt 0x0
	ds_store_b64 v1, v[90:91]
	s_wait_storecnt_dscnt 0x0
	s_barrier_signal -1
	s_barrier_wait -1
	s_wait_xcnt 0x0
	v_cmpx_gt_u32_e32 21, v0
	s_cbranch_execz .LBB106_630
; %bb.621:
	v_cmp_ne_u32_e32 vcc_lo, 1, v92
	s_cbranch_vccnz .LBB106_623
; %bb.622:
	scratch_load_b64 v[90:91], v59, off
	ds_load_b64 v[94:95], v1
	s_wait_loadcnt_dscnt 0x0
	v_pk_mul_f32 v[96:97], v[94:95], v[90:91] op_sel:[1,1] op_sel_hi:[0,1]
	s_delay_alu instid0(VALU_DEP_1) | instskip(SKIP_1) | instid1(VALU_DEP_2)
	v_pk_fma_f32 v[98:99], v[94:95], v[90:91], v[96:97] op_sel_hi:[1,0,1]
	v_pk_fma_f32 v[90:91], v[94:95], v[90:91], v[96:97] neg_lo:[0,0,1] neg_hi:[0,0,1]
	v_mov_b32_e32 v91, v99
	s_cbranch_execz .LBB106_624
	s_branch .LBB106_625
.LBB106_623:
                                        ; implicit-def: $vgpr90_vgpr91
.LBB106_624:
	ds_load_b64 v[90:91], v1
.LBB106_625:
	s_mov_b32 s4, exec_lo
	v_cmpx_ne_u32_e32 20, v0
	s_cbranch_execz .LBB106_629
; %bb.626:
	v_add_nc_u32_e32 v93, 0x168, v58
	v_add3_u32 v94, 0, v58, 8
	v_mov_b32_e32 v95, v0
	s_mov_b32 s5, 0
.LBB106_627:                            ; =>This Inner Loop Header: Depth=1
	scratch_load_b64 v[96:97], v94, off
	ds_load_b64 v[98:99], v93
	s_wait_xcnt 0x0
	v_dual_add_nc_u32 v93, 8, v93 :: v_dual_add_nc_u32 v94, 8, v94
	s_wait_loadcnt_dscnt 0x0
	v_pk_mul_f32 v[100:101], v[98:99], v[96:97] op_sel:[1,1] op_sel_hi:[0,1]
	s_delay_alu instid0(VALU_DEP_1) | instskip(SKIP_2) | instid1(VALU_DEP_3)
	v_pk_fma_f32 v[102:103], v[98:99], v[96:97], v[100:101] op_sel_hi:[1,0,1]
	v_add_nc_u32_e32 v95, 1, v95
	v_pk_fma_f32 v[96:97], v[98:99], v[96:97], v[100:101] neg_lo:[0,0,1] neg_hi:[0,0,1]
	v_mov_b32_e32 v97, v103
	s_delay_alu instid0(VALU_DEP_3) | instskip(NEXT) | instid1(VALU_DEP_2)
	v_cmp_lt_u32_e32 vcc_lo, 19, v95
	v_pk_add_f32 v[90:91], v[90:91], v[96:97]
	s_or_b32 s5, vcc_lo, s5
	s_delay_alu instid0(SALU_CYCLE_1)
	s_and_not1_b32 exec_lo, exec_lo, s5
	s_cbranch_execnz .LBB106_627
; %bb.628:
	s_or_b32 exec_lo, exec_lo, s5
.LBB106_629:
	s_delay_alu instid0(SALU_CYCLE_1) | instskip(SKIP_4) | instid1(VALU_DEP_1)
	s_or_b32 exec_lo, exec_lo, s4
	v_mov_b32_e32 v93, 0
	ds_load_b64 v[94:95], v93 offset:168
	s_wait_dscnt 0x0
	v_pk_mul_f32 v[96:97], v[90:91], v[94:95] op_sel:[1,1] op_sel_hi:[0,1]
	v_pk_fma_f32 v[98:99], v[90:91], v[94:95], v[96:97] op_sel_hi:[1,0,1]
	v_pk_fma_f32 v[90:91], v[90:91], v[94:95], v[96:97] neg_lo:[0,0,1] neg_hi:[0,0,1]
	s_delay_alu instid0(VALU_DEP_2)
	v_mov_b32_e32 v91, v99
	scratch_store_b64 off, v[90:91], off offset:168
.LBB106_630:
	s_wait_xcnt 0x0
	s_or_b32 exec_lo, exec_lo, s0
	scratch_load_b64 v[90:91], off, off offset:176
	s_mov_b32 s0, exec_lo
	s_wait_loadcnt 0x0
	ds_store_b64 v1, v[90:91]
	s_wait_storecnt_dscnt 0x0
	s_barrier_signal -1
	s_barrier_wait -1
	s_wait_xcnt 0x0
	v_cmpx_gt_u32_e32 22, v0
	s_cbranch_execz .LBB106_640
; %bb.631:
	v_cmp_ne_u32_e32 vcc_lo, 1, v92
	s_cbranch_vccnz .LBB106_633
; %bb.632:
	scratch_load_b64 v[90:91], v59, off
	ds_load_b64 v[94:95], v1
	s_wait_loadcnt_dscnt 0x0
	v_pk_mul_f32 v[96:97], v[94:95], v[90:91] op_sel:[1,1] op_sel_hi:[0,1]
	s_delay_alu instid0(VALU_DEP_1) | instskip(SKIP_1) | instid1(VALU_DEP_2)
	v_pk_fma_f32 v[98:99], v[94:95], v[90:91], v[96:97] op_sel_hi:[1,0,1]
	v_pk_fma_f32 v[90:91], v[94:95], v[90:91], v[96:97] neg_lo:[0,0,1] neg_hi:[0,0,1]
	v_mov_b32_e32 v91, v99
	s_cbranch_execz .LBB106_634
	s_branch .LBB106_635
.LBB106_633:
                                        ; implicit-def: $vgpr90_vgpr91
.LBB106_634:
	ds_load_b64 v[90:91], v1
.LBB106_635:
	s_mov_b32 s4, exec_lo
	v_cmpx_ne_u32_e32 21, v0
	s_cbranch_execz .LBB106_639
; %bb.636:
	v_add_nc_u32_e32 v93, 0x168, v58
	v_add3_u32 v94, 0, v58, 8
	v_mov_b32_e32 v95, v0
	s_mov_b32 s5, 0
.LBB106_637:                            ; =>This Inner Loop Header: Depth=1
	scratch_load_b64 v[96:97], v94, off
	ds_load_b64 v[98:99], v93
	s_wait_xcnt 0x0
	v_dual_add_nc_u32 v93, 8, v93 :: v_dual_add_nc_u32 v94, 8, v94
	s_wait_loadcnt_dscnt 0x0
	v_pk_mul_f32 v[100:101], v[98:99], v[96:97] op_sel:[1,1] op_sel_hi:[0,1]
	s_delay_alu instid0(VALU_DEP_1) | instskip(SKIP_2) | instid1(VALU_DEP_3)
	v_pk_fma_f32 v[102:103], v[98:99], v[96:97], v[100:101] op_sel_hi:[1,0,1]
	v_add_nc_u32_e32 v95, 1, v95
	v_pk_fma_f32 v[96:97], v[98:99], v[96:97], v[100:101] neg_lo:[0,0,1] neg_hi:[0,0,1]
	v_mov_b32_e32 v97, v103
	s_delay_alu instid0(VALU_DEP_3) | instskip(NEXT) | instid1(VALU_DEP_2)
	v_cmp_lt_u32_e32 vcc_lo, 20, v95
	v_pk_add_f32 v[90:91], v[90:91], v[96:97]
	s_or_b32 s5, vcc_lo, s5
	s_delay_alu instid0(SALU_CYCLE_1)
	s_and_not1_b32 exec_lo, exec_lo, s5
	s_cbranch_execnz .LBB106_637
; %bb.638:
	s_or_b32 exec_lo, exec_lo, s5
.LBB106_639:
	s_delay_alu instid0(SALU_CYCLE_1) | instskip(SKIP_4) | instid1(VALU_DEP_1)
	s_or_b32 exec_lo, exec_lo, s4
	v_mov_b32_e32 v93, 0
	ds_load_b64 v[94:95], v93 offset:176
	s_wait_dscnt 0x0
	v_pk_mul_f32 v[96:97], v[90:91], v[94:95] op_sel:[1,1] op_sel_hi:[0,1]
	v_pk_fma_f32 v[98:99], v[90:91], v[94:95], v[96:97] op_sel_hi:[1,0,1]
	v_pk_fma_f32 v[90:91], v[90:91], v[94:95], v[96:97] neg_lo:[0,0,1] neg_hi:[0,0,1]
	s_delay_alu instid0(VALU_DEP_2)
	v_mov_b32_e32 v91, v99
	scratch_store_b64 off, v[90:91], off offset:176
.LBB106_640:
	s_wait_xcnt 0x0
	s_or_b32 exec_lo, exec_lo, s0
	scratch_load_b64 v[90:91], off, off offset:184
	s_mov_b32 s0, exec_lo
	s_wait_loadcnt 0x0
	ds_store_b64 v1, v[90:91]
	s_wait_storecnt_dscnt 0x0
	s_barrier_signal -1
	s_barrier_wait -1
	s_wait_xcnt 0x0
	v_cmpx_gt_u32_e32 23, v0
	s_cbranch_execz .LBB106_650
; %bb.641:
	v_cmp_ne_u32_e32 vcc_lo, 1, v92
	s_cbranch_vccnz .LBB106_643
; %bb.642:
	scratch_load_b64 v[90:91], v59, off
	ds_load_b64 v[94:95], v1
	s_wait_loadcnt_dscnt 0x0
	v_pk_mul_f32 v[96:97], v[94:95], v[90:91] op_sel:[1,1] op_sel_hi:[0,1]
	s_delay_alu instid0(VALU_DEP_1) | instskip(SKIP_1) | instid1(VALU_DEP_2)
	v_pk_fma_f32 v[98:99], v[94:95], v[90:91], v[96:97] op_sel_hi:[1,0,1]
	v_pk_fma_f32 v[90:91], v[94:95], v[90:91], v[96:97] neg_lo:[0,0,1] neg_hi:[0,0,1]
	v_mov_b32_e32 v91, v99
	s_cbranch_execz .LBB106_644
	s_branch .LBB106_645
.LBB106_643:
                                        ; implicit-def: $vgpr90_vgpr91
.LBB106_644:
	ds_load_b64 v[90:91], v1
.LBB106_645:
	s_mov_b32 s4, exec_lo
	v_cmpx_ne_u32_e32 22, v0
	s_cbranch_execz .LBB106_649
; %bb.646:
	v_add_nc_u32_e32 v93, 0x168, v58
	v_add3_u32 v94, 0, v58, 8
	v_mov_b32_e32 v95, v0
	s_mov_b32 s5, 0
.LBB106_647:                            ; =>This Inner Loop Header: Depth=1
	scratch_load_b64 v[96:97], v94, off
	ds_load_b64 v[98:99], v93
	s_wait_xcnt 0x0
	v_dual_add_nc_u32 v93, 8, v93 :: v_dual_add_nc_u32 v94, 8, v94
	s_wait_loadcnt_dscnt 0x0
	v_pk_mul_f32 v[100:101], v[98:99], v[96:97] op_sel:[1,1] op_sel_hi:[0,1]
	s_delay_alu instid0(VALU_DEP_1) | instskip(SKIP_2) | instid1(VALU_DEP_3)
	v_pk_fma_f32 v[102:103], v[98:99], v[96:97], v[100:101] op_sel_hi:[1,0,1]
	v_add_nc_u32_e32 v95, 1, v95
	v_pk_fma_f32 v[96:97], v[98:99], v[96:97], v[100:101] neg_lo:[0,0,1] neg_hi:[0,0,1]
	v_mov_b32_e32 v97, v103
	s_delay_alu instid0(VALU_DEP_3) | instskip(NEXT) | instid1(VALU_DEP_2)
	v_cmp_lt_u32_e32 vcc_lo, 21, v95
	v_pk_add_f32 v[90:91], v[90:91], v[96:97]
	s_or_b32 s5, vcc_lo, s5
	s_delay_alu instid0(SALU_CYCLE_1)
	s_and_not1_b32 exec_lo, exec_lo, s5
	s_cbranch_execnz .LBB106_647
; %bb.648:
	s_or_b32 exec_lo, exec_lo, s5
.LBB106_649:
	s_delay_alu instid0(SALU_CYCLE_1) | instskip(SKIP_4) | instid1(VALU_DEP_1)
	s_or_b32 exec_lo, exec_lo, s4
	v_mov_b32_e32 v93, 0
	ds_load_b64 v[94:95], v93 offset:184
	s_wait_dscnt 0x0
	v_pk_mul_f32 v[96:97], v[90:91], v[94:95] op_sel:[1,1] op_sel_hi:[0,1]
	v_pk_fma_f32 v[98:99], v[90:91], v[94:95], v[96:97] op_sel_hi:[1,0,1]
	v_pk_fma_f32 v[90:91], v[90:91], v[94:95], v[96:97] neg_lo:[0,0,1] neg_hi:[0,0,1]
	s_delay_alu instid0(VALU_DEP_2)
	v_mov_b32_e32 v91, v99
	scratch_store_b64 off, v[90:91], off offset:184
.LBB106_650:
	s_wait_xcnt 0x0
	s_or_b32 exec_lo, exec_lo, s0
	scratch_load_b64 v[90:91], off, off offset:192
	s_mov_b32 s0, exec_lo
	s_wait_loadcnt 0x0
	ds_store_b64 v1, v[90:91]
	s_wait_storecnt_dscnt 0x0
	s_barrier_signal -1
	s_barrier_wait -1
	s_wait_xcnt 0x0
	v_cmpx_gt_u32_e32 24, v0
	s_cbranch_execz .LBB106_660
; %bb.651:
	v_cmp_ne_u32_e32 vcc_lo, 1, v92
	s_cbranch_vccnz .LBB106_653
; %bb.652:
	scratch_load_b64 v[90:91], v59, off
	ds_load_b64 v[94:95], v1
	s_wait_loadcnt_dscnt 0x0
	v_pk_mul_f32 v[96:97], v[94:95], v[90:91] op_sel:[1,1] op_sel_hi:[0,1]
	s_delay_alu instid0(VALU_DEP_1) | instskip(SKIP_1) | instid1(VALU_DEP_2)
	v_pk_fma_f32 v[98:99], v[94:95], v[90:91], v[96:97] op_sel_hi:[1,0,1]
	v_pk_fma_f32 v[90:91], v[94:95], v[90:91], v[96:97] neg_lo:[0,0,1] neg_hi:[0,0,1]
	v_mov_b32_e32 v91, v99
	s_cbranch_execz .LBB106_654
	s_branch .LBB106_655
.LBB106_653:
                                        ; implicit-def: $vgpr90_vgpr91
.LBB106_654:
	ds_load_b64 v[90:91], v1
.LBB106_655:
	s_mov_b32 s4, exec_lo
	v_cmpx_ne_u32_e32 23, v0
	s_cbranch_execz .LBB106_659
; %bb.656:
	v_add_nc_u32_e32 v93, 0x168, v58
	v_add3_u32 v94, 0, v58, 8
	v_mov_b32_e32 v95, v0
	s_mov_b32 s5, 0
.LBB106_657:                            ; =>This Inner Loop Header: Depth=1
	scratch_load_b64 v[96:97], v94, off
	ds_load_b64 v[98:99], v93
	s_wait_xcnt 0x0
	v_dual_add_nc_u32 v93, 8, v93 :: v_dual_add_nc_u32 v94, 8, v94
	s_wait_loadcnt_dscnt 0x0
	v_pk_mul_f32 v[100:101], v[98:99], v[96:97] op_sel:[1,1] op_sel_hi:[0,1]
	s_delay_alu instid0(VALU_DEP_1) | instskip(SKIP_2) | instid1(VALU_DEP_3)
	v_pk_fma_f32 v[102:103], v[98:99], v[96:97], v[100:101] op_sel_hi:[1,0,1]
	v_add_nc_u32_e32 v95, 1, v95
	v_pk_fma_f32 v[96:97], v[98:99], v[96:97], v[100:101] neg_lo:[0,0,1] neg_hi:[0,0,1]
	v_mov_b32_e32 v97, v103
	s_delay_alu instid0(VALU_DEP_3) | instskip(NEXT) | instid1(VALU_DEP_2)
	v_cmp_lt_u32_e32 vcc_lo, 22, v95
	v_pk_add_f32 v[90:91], v[90:91], v[96:97]
	s_or_b32 s5, vcc_lo, s5
	s_delay_alu instid0(SALU_CYCLE_1)
	s_and_not1_b32 exec_lo, exec_lo, s5
	s_cbranch_execnz .LBB106_657
; %bb.658:
	s_or_b32 exec_lo, exec_lo, s5
.LBB106_659:
	s_delay_alu instid0(SALU_CYCLE_1) | instskip(SKIP_4) | instid1(VALU_DEP_1)
	s_or_b32 exec_lo, exec_lo, s4
	v_mov_b32_e32 v93, 0
	ds_load_b64 v[94:95], v93 offset:192
	s_wait_dscnt 0x0
	v_pk_mul_f32 v[96:97], v[90:91], v[94:95] op_sel:[1,1] op_sel_hi:[0,1]
	v_pk_fma_f32 v[98:99], v[90:91], v[94:95], v[96:97] op_sel_hi:[1,0,1]
	v_pk_fma_f32 v[90:91], v[90:91], v[94:95], v[96:97] neg_lo:[0,0,1] neg_hi:[0,0,1]
	s_delay_alu instid0(VALU_DEP_2)
	v_mov_b32_e32 v91, v99
	scratch_store_b64 off, v[90:91], off offset:192
.LBB106_660:
	s_wait_xcnt 0x0
	s_or_b32 exec_lo, exec_lo, s0
	scratch_load_b64 v[90:91], off, off offset:200
	s_mov_b32 s0, exec_lo
	s_wait_loadcnt 0x0
	ds_store_b64 v1, v[90:91]
	s_wait_storecnt_dscnt 0x0
	s_barrier_signal -1
	s_barrier_wait -1
	s_wait_xcnt 0x0
	v_cmpx_gt_u32_e32 25, v0
	s_cbranch_execz .LBB106_670
; %bb.661:
	v_cmp_ne_u32_e32 vcc_lo, 1, v92
	s_cbranch_vccnz .LBB106_663
; %bb.662:
	scratch_load_b64 v[90:91], v59, off
	ds_load_b64 v[94:95], v1
	s_wait_loadcnt_dscnt 0x0
	v_pk_mul_f32 v[96:97], v[94:95], v[90:91] op_sel:[1,1] op_sel_hi:[0,1]
	s_delay_alu instid0(VALU_DEP_1) | instskip(SKIP_1) | instid1(VALU_DEP_2)
	v_pk_fma_f32 v[98:99], v[94:95], v[90:91], v[96:97] op_sel_hi:[1,0,1]
	v_pk_fma_f32 v[90:91], v[94:95], v[90:91], v[96:97] neg_lo:[0,0,1] neg_hi:[0,0,1]
	v_mov_b32_e32 v91, v99
	s_cbranch_execz .LBB106_664
	s_branch .LBB106_665
.LBB106_663:
                                        ; implicit-def: $vgpr90_vgpr91
.LBB106_664:
	ds_load_b64 v[90:91], v1
.LBB106_665:
	s_mov_b32 s4, exec_lo
	v_cmpx_ne_u32_e32 24, v0
	s_cbranch_execz .LBB106_669
; %bb.666:
	v_add_nc_u32_e32 v93, 0x168, v58
	v_add3_u32 v94, 0, v58, 8
	v_mov_b32_e32 v95, v0
	s_mov_b32 s5, 0
.LBB106_667:                            ; =>This Inner Loop Header: Depth=1
	scratch_load_b64 v[96:97], v94, off
	ds_load_b64 v[98:99], v93
	s_wait_xcnt 0x0
	v_dual_add_nc_u32 v93, 8, v93 :: v_dual_add_nc_u32 v94, 8, v94
	s_wait_loadcnt_dscnt 0x0
	v_pk_mul_f32 v[100:101], v[98:99], v[96:97] op_sel:[1,1] op_sel_hi:[0,1]
	s_delay_alu instid0(VALU_DEP_1) | instskip(SKIP_2) | instid1(VALU_DEP_3)
	v_pk_fma_f32 v[102:103], v[98:99], v[96:97], v[100:101] op_sel_hi:[1,0,1]
	v_add_nc_u32_e32 v95, 1, v95
	v_pk_fma_f32 v[96:97], v[98:99], v[96:97], v[100:101] neg_lo:[0,0,1] neg_hi:[0,0,1]
	v_mov_b32_e32 v97, v103
	s_delay_alu instid0(VALU_DEP_3) | instskip(NEXT) | instid1(VALU_DEP_2)
	v_cmp_lt_u32_e32 vcc_lo, 23, v95
	v_pk_add_f32 v[90:91], v[90:91], v[96:97]
	s_or_b32 s5, vcc_lo, s5
	s_delay_alu instid0(SALU_CYCLE_1)
	s_and_not1_b32 exec_lo, exec_lo, s5
	s_cbranch_execnz .LBB106_667
; %bb.668:
	s_or_b32 exec_lo, exec_lo, s5
.LBB106_669:
	s_delay_alu instid0(SALU_CYCLE_1) | instskip(SKIP_4) | instid1(VALU_DEP_1)
	s_or_b32 exec_lo, exec_lo, s4
	v_mov_b32_e32 v93, 0
	ds_load_b64 v[94:95], v93 offset:200
	s_wait_dscnt 0x0
	v_pk_mul_f32 v[96:97], v[90:91], v[94:95] op_sel:[1,1] op_sel_hi:[0,1]
	v_pk_fma_f32 v[98:99], v[90:91], v[94:95], v[96:97] op_sel_hi:[1,0,1]
	v_pk_fma_f32 v[90:91], v[90:91], v[94:95], v[96:97] neg_lo:[0,0,1] neg_hi:[0,0,1]
	s_delay_alu instid0(VALU_DEP_2)
	v_mov_b32_e32 v91, v99
	scratch_store_b64 off, v[90:91], off offset:200
.LBB106_670:
	s_wait_xcnt 0x0
	s_or_b32 exec_lo, exec_lo, s0
	scratch_load_b64 v[90:91], off, off offset:208
	s_mov_b32 s0, exec_lo
	s_wait_loadcnt 0x0
	ds_store_b64 v1, v[90:91]
	s_wait_storecnt_dscnt 0x0
	s_barrier_signal -1
	s_barrier_wait -1
	s_wait_xcnt 0x0
	v_cmpx_gt_u32_e32 26, v0
	s_cbranch_execz .LBB106_680
; %bb.671:
	v_cmp_ne_u32_e32 vcc_lo, 1, v92
	s_cbranch_vccnz .LBB106_673
; %bb.672:
	scratch_load_b64 v[90:91], v59, off
	ds_load_b64 v[94:95], v1
	s_wait_loadcnt_dscnt 0x0
	v_pk_mul_f32 v[96:97], v[94:95], v[90:91] op_sel:[1,1] op_sel_hi:[0,1]
	s_delay_alu instid0(VALU_DEP_1) | instskip(SKIP_1) | instid1(VALU_DEP_2)
	v_pk_fma_f32 v[98:99], v[94:95], v[90:91], v[96:97] op_sel_hi:[1,0,1]
	v_pk_fma_f32 v[90:91], v[94:95], v[90:91], v[96:97] neg_lo:[0,0,1] neg_hi:[0,0,1]
	v_mov_b32_e32 v91, v99
	s_cbranch_execz .LBB106_674
	s_branch .LBB106_675
.LBB106_673:
                                        ; implicit-def: $vgpr90_vgpr91
.LBB106_674:
	ds_load_b64 v[90:91], v1
.LBB106_675:
	s_mov_b32 s4, exec_lo
	v_cmpx_ne_u32_e32 25, v0
	s_cbranch_execz .LBB106_679
; %bb.676:
	v_add_nc_u32_e32 v93, 0x168, v58
	v_add3_u32 v94, 0, v58, 8
	v_mov_b32_e32 v95, v0
	s_mov_b32 s5, 0
.LBB106_677:                            ; =>This Inner Loop Header: Depth=1
	scratch_load_b64 v[96:97], v94, off
	ds_load_b64 v[98:99], v93
	s_wait_xcnt 0x0
	v_dual_add_nc_u32 v93, 8, v93 :: v_dual_add_nc_u32 v94, 8, v94
	s_wait_loadcnt_dscnt 0x0
	v_pk_mul_f32 v[100:101], v[98:99], v[96:97] op_sel:[1,1] op_sel_hi:[0,1]
	s_delay_alu instid0(VALU_DEP_1) | instskip(SKIP_2) | instid1(VALU_DEP_3)
	v_pk_fma_f32 v[102:103], v[98:99], v[96:97], v[100:101] op_sel_hi:[1,0,1]
	v_add_nc_u32_e32 v95, 1, v95
	v_pk_fma_f32 v[96:97], v[98:99], v[96:97], v[100:101] neg_lo:[0,0,1] neg_hi:[0,0,1]
	v_mov_b32_e32 v97, v103
	s_delay_alu instid0(VALU_DEP_3) | instskip(NEXT) | instid1(VALU_DEP_2)
	v_cmp_lt_u32_e32 vcc_lo, 24, v95
	v_pk_add_f32 v[90:91], v[90:91], v[96:97]
	s_or_b32 s5, vcc_lo, s5
	s_delay_alu instid0(SALU_CYCLE_1)
	s_and_not1_b32 exec_lo, exec_lo, s5
	s_cbranch_execnz .LBB106_677
; %bb.678:
	s_or_b32 exec_lo, exec_lo, s5
.LBB106_679:
	s_delay_alu instid0(SALU_CYCLE_1) | instskip(SKIP_4) | instid1(VALU_DEP_1)
	s_or_b32 exec_lo, exec_lo, s4
	v_mov_b32_e32 v93, 0
	ds_load_b64 v[94:95], v93 offset:208
	s_wait_dscnt 0x0
	v_pk_mul_f32 v[96:97], v[90:91], v[94:95] op_sel:[1,1] op_sel_hi:[0,1]
	v_pk_fma_f32 v[98:99], v[90:91], v[94:95], v[96:97] op_sel_hi:[1,0,1]
	v_pk_fma_f32 v[90:91], v[90:91], v[94:95], v[96:97] neg_lo:[0,0,1] neg_hi:[0,0,1]
	s_delay_alu instid0(VALU_DEP_2)
	v_mov_b32_e32 v91, v99
	scratch_store_b64 off, v[90:91], off offset:208
.LBB106_680:
	s_wait_xcnt 0x0
	s_or_b32 exec_lo, exec_lo, s0
	scratch_load_b64 v[90:91], off, off offset:216
	s_mov_b32 s0, exec_lo
	s_wait_loadcnt 0x0
	ds_store_b64 v1, v[90:91]
	s_wait_storecnt_dscnt 0x0
	s_barrier_signal -1
	s_barrier_wait -1
	s_wait_xcnt 0x0
	v_cmpx_gt_u32_e32 27, v0
	s_cbranch_execz .LBB106_690
; %bb.681:
	v_cmp_ne_u32_e32 vcc_lo, 1, v92
	s_cbranch_vccnz .LBB106_683
; %bb.682:
	scratch_load_b64 v[90:91], v59, off
	ds_load_b64 v[94:95], v1
	s_wait_loadcnt_dscnt 0x0
	v_pk_mul_f32 v[96:97], v[94:95], v[90:91] op_sel:[1,1] op_sel_hi:[0,1]
	s_delay_alu instid0(VALU_DEP_1) | instskip(SKIP_1) | instid1(VALU_DEP_2)
	v_pk_fma_f32 v[98:99], v[94:95], v[90:91], v[96:97] op_sel_hi:[1,0,1]
	v_pk_fma_f32 v[90:91], v[94:95], v[90:91], v[96:97] neg_lo:[0,0,1] neg_hi:[0,0,1]
	v_mov_b32_e32 v91, v99
	s_cbranch_execz .LBB106_684
	s_branch .LBB106_685
.LBB106_683:
                                        ; implicit-def: $vgpr90_vgpr91
.LBB106_684:
	ds_load_b64 v[90:91], v1
.LBB106_685:
	s_mov_b32 s4, exec_lo
	v_cmpx_ne_u32_e32 26, v0
	s_cbranch_execz .LBB106_689
; %bb.686:
	v_add_nc_u32_e32 v93, 0x168, v58
	v_add3_u32 v94, 0, v58, 8
	v_mov_b32_e32 v95, v0
	s_mov_b32 s5, 0
.LBB106_687:                            ; =>This Inner Loop Header: Depth=1
	scratch_load_b64 v[96:97], v94, off
	ds_load_b64 v[98:99], v93
	s_wait_xcnt 0x0
	v_dual_add_nc_u32 v93, 8, v93 :: v_dual_add_nc_u32 v94, 8, v94
	s_wait_loadcnt_dscnt 0x0
	v_pk_mul_f32 v[100:101], v[98:99], v[96:97] op_sel:[1,1] op_sel_hi:[0,1]
	s_delay_alu instid0(VALU_DEP_1) | instskip(SKIP_2) | instid1(VALU_DEP_3)
	v_pk_fma_f32 v[102:103], v[98:99], v[96:97], v[100:101] op_sel_hi:[1,0,1]
	v_add_nc_u32_e32 v95, 1, v95
	v_pk_fma_f32 v[96:97], v[98:99], v[96:97], v[100:101] neg_lo:[0,0,1] neg_hi:[0,0,1]
	v_mov_b32_e32 v97, v103
	s_delay_alu instid0(VALU_DEP_3) | instskip(NEXT) | instid1(VALU_DEP_2)
	v_cmp_lt_u32_e32 vcc_lo, 25, v95
	v_pk_add_f32 v[90:91], v[90:91], v[96:97]
	s_or_b32 s5, vcc_lo, s5
	s_delay_alu instid0(SALU_CYCLE_1)
	s_and_not1_b32 exec_lo, exec_lo, s5
	s_cbranch_execnz .LBB106_687
; %bb.688:
	s_or_b32 exec_lo, exec_lo, s5
.LBB106_689:
	s_delay_alu instid0(SALU_CYCLE_1) | instskip(SKIP_4) | instid1(VALU_DEP_1)
	s_or_b32 exec_lo, exec_lo, s4
	v_mov_b32_e32 v93, 0
	ds_load_b64 v[94:95], v93 offset:216
	s_wait_dscnt 0x0
	v_pk_mul_f32 v[96:97], v[90:91], v[94:95] op_sel:[1,1] op_sel_hi:[0,1]
	v_pk_fma_f32 v[98:99], v[90:91], v[94:95], v[96:97] op_sel_hi:[1,0,1]
	v_pk_fma_f32 v[90:91], v[90:91], v[94:95], v[96:97] neg_lo:[0,0,1] neg_hi:[0,0,1]
	s_delay_alu instid0(VALU_DEP_2)
	v_mov_b32_e32 v91, v99
	scratch_store_b64 off, v[90:91], off offset:216
.LBB106_690:
	s_wait_xcnt 0x0
	s_or_b32 exec_lo, exec_lo, s0
	scratch_load_b64 v[90:91], off, off offset:224
	s_mov_b32 s0, exec_lo
	s_wait_loadcnt 0x0
	ds_store_b64 v1, v[90:91]
	s_wait_storecnt_dscnt 0x0
	s_barrier_signal -1
	s_barrier_wait -1
	s_wait_xcnt 0x0
	v_cmpx_gt_u32_e32 28, v0
	s_cbranch_execz .LBB106_700
; %bb.691:
	v_cmp_ne_u32_e32 vcc_lo, 1, v92
	s_cbranch_vccnz .LBB106_693
; %bb.692:
	scratch_load_b64 v[90:91], v59, off
	ds_load_b64 v[94:95], v1
	s_wait_loadcnt_dscnt 0x0
	v_pk_mul_f32 v[96:97], v[94:95], v[90:91] op_sel:[1,1] op_sel_hi:[0,1]
	s_delay_alu instid0(VALU_DEP_1) | instskip(SKIP_1) | instid1(VALU_DEP_2)
	v_pk_fma_f32 v[98:99], v[94:95], v[90:91], v[96:97] op_sel_hi:[1,0,1]
	v_pk_fma_f32 v[90:91], v[94:95], v[90:91], v[96:97] neg_lo:[0,0,1] neg_hi:[0,0,1]
	v_mov_b32_e32 v91, v99
	s_cbranch_execz .LBB106_694
	s_branch .LBB106_695
.LBB106_693:
                                        ; implicit-def: $vgpr90_vgpr91
.LBB106_694:
	ds_load_b64 v[90:91], v1
.LBB106_695:
	s_mov_b32 s4, exec_lo
	v_cmpx_ne_u32_e32 27, v0
	s_cbranch_execz .LBB106_699
; %bb.696:
	v_add_nc_u32_e32 v93, 0x168, v58
	v_add3_u32 v94, 0, v58, 8
	v_mov_b32_e32 v95, v0
	s_mov_b32 s5, 0
.LBB106_697:                            ; =>This Inner Loop Header: Depth=1
	scratch_load_b64 v[96:97], v94, off
	ds_load_b64 v[98:99], v93
	s_wait_xcnt 0x0
	v_dual_add_nc_u32 v93, 8, v93 :: v_dual_add_nc_u32 v94, 8, v94
	s_wait_loadcnt_dscnt 0x0
	v_pk_mul_f32 v[100:101], v[98:99], v[96:97] op_sel:[1,1] op_sel_hi:[0,1]
	s_delay_alu instid0(VALU_DEP_1) | instskip(SKIP_2) | instid1(VALU_DEP_3)
	v_pk_fma_f32 v[102:103], v[98:99], v[96:97], v[100:101] op_sel_hi:[1,0,1]
	v_add_nc_u32_e32 v95, 1, v95
	v_pk_fma_f32 v[96:97], v[98:99], v[96:97], v[100:101] neg_lo:[0,0,1] neg_hi:[0,0,1]
	v_mov_b32_e32 v97, v103
	s_delay_alu instid0(VALU_DEP_3) | instskip(NEXT) | instid1(VALU_DEP_2)
	v_cmp_lt_u32_e32 vcc_lo, 26, v95
	v_pk_add_f32 v[90:91], v[90:91], v[96:97]
	s_or_b32 s5, vcc_lo, s5
	s_delay_alu instid0(SALU_CYCLE_1)
	s_and_not1_b32 exec_lo, exec_lo, s5
	s_cbranch_execnz .LBB106_697
; %bb.698:
	s_or_b32 exec_lo, exec_lo, s5
.LBB106_699:
	s_delay_alu instid0(SALU_CYCLE_1) | instskip(SKIP_4) | instid1(VALU_DEP_1)
	s_or_b32 exec_lo, exec_lo, s4
	v_mov_b32_e32 v93, 0
	ds_load_b64 v[94:95], v93 offset:224
	s_wait_dscnt 0x0
	v_pk_mul_f32 v[96:97], v[90:91], v[94:95] op_sel:[1,1] op_sel_hi:[0,1]
	v_pk_fma_f32 v[98:99], v[90:91], v[94:95], v[96:97] op_sel_hi:[1,0,1]
	v_pk_fma_f32 v[90:91], v[90:91], v[94:95], v[96:97] neg_lo:[0,0,1] neg_hi:[0,0,1]
	s_delay_alu instid0(VALU_DEP_2)
	v_mov_b32_e32 v91, v99
	scratch_store_b64 off, v[90:91], off offset:224
.LBB106_700:
	s_wait_xcnt 0x0
	s_or_b32 exec_lo, exec_lo, s0
	scratch_load_b64 v[90:91], off, off offset:232
	s_mov_b32 s0, exec_lo
	s_wait_loadcnt 0x0
	ds_store_b64 v1, v[90:91]
	s_wait_storecnt_dscnt 0x0
	s_barrier_signal -1
	s_barrier_wait -1
	s_wait_xcnt 0x0
	v_cmpx_gt_u32_e32 29, v0
	s_cbranch_execz .LBB106_710
; %bb.701:
	v_cmp_ne_u32_e32 vcc_lo, 1, v92
	s_cbranch_vccnz .LBB106_703
; %bb.702:
	scratch_load_b64 v[90:91], v59, off
	ds_load_b64 v[94:95], v1
	s_wait_loadcnt_dscnt 0x0
	v_pk_mul_f32 v[96:97], v[94:95], v[90:91] op_sel:[1,1] op_sel_hi:[0,1]
	s_delay_alu instid0(VALU_DEP_1) | instskip(SKIP_1) | instid1(VALU_DEP_2)
	v_pk_fma_f32 v[98:99], v[94:95], v[90:91], v[96:97] op_sel_hi:[1,0,1]
	v_pk_fma_f32 v[90:91], v[94:95], v[90:91], v[96:97] neg_lo:[0,0,1] neg_hi:[0,0,1]
	v_mov_b32_e32 v91, v99
	s_cbranch_execz .LBB106_704
	s_branch .LBB106_705
.LBB106_703:
                                        ; implicit-def: $vgpr90_vgpr91
.LBB106_704:
	ds_load_b64 v[90:91], v1
.LBB106_705:
	s_mov_b32 s4, exec_lo
	v_cmpx_ne_u32_e32 28, v0
	s_cbranch_execz .LBB106_709
; %bb.706:
	v_add_nc_u32_e32 v93, 0x168, v58
	v_add3_u32 v94, 0, v58, 8
	v_mov_b32_e32 v95, v0
	s_mov_b32 s5, 0
.LBB106_707:                            ; =>This Inner Loop Header: Depth=1
	scratch_load_b64 v[96:97], v94, off
	ds_load_b64 v[98:99], v93
	s_wait_xcnt 0x0
	v_dual_add_nc_u32 v93, 8, v93 :: v_dual_add_nc_u32 v94, 8, v94
	s_wait_loadcnt_dscnt 0x0
	v_pk_mul_f32 v[100:101], v[98:99], v[96:97] op_sel:[1,1] op_sel_hi:[0,1]
	s_delay_alu instid0(VALU_DEP_1) | instskip(SKIP_2) | instid1(VALU_DEP_3)
	v_pk_fma_f32 v[102:103], v[98:99], v[96:97], v[100:101] op_sel_hi:[1,0,1]
	v_add_nc_u32_e32 v95, 1, v95
	v_pk_fma_f32 v[96:97], v[98:99], v[96:97], v[100:101] neg_lo:[0,0,1] neg_hi:[0,0,1]
	v_mov_b32_e32 v97, v103
	s_delay_alu instid0(VALU_DEP_3) | instskip(NEXT) | instid1(VALU_DEP_2)
	v_cmp_lt_u32_e32 vcc_lo, 27, v95
	v_pk_add_f32 v[90:91], v[90:91], v[96:97]
	s_or_b32 s5, vcc_lo, s5
	s_delay_alu instid0(SALU_CYCLE_1)
	s_and_not1_b32 exec_lo, exec_lo, s5
	s_cbranch_execnz .LBB106_707
; %bb.708:
	s_or_b32 exec_lo, exec_lo, s5
.LBB106_709:
	s_delay_alu instid0(SALU_CYCLE_1) | instskip(SKIP_4) | instid1(VALU_DEP_1)
	s_or_b32 exec_lo, exec_lo, s4
	v_mov_b32_e32 v93, 0
	ds_load_b64 v[94:95], v93 offset:232
	s_wait_dscnt 0x0
	v_pk_mul_f32 v[96:97], v[90:91], v[94:95] op_sel:[1,1] op_sel_hi:[0,1]
	v_pk_fma_f32 v[98:99], v[90:91], v[94:95], v[96:97] op_sel_hi:[1,0,1]
	v_pk_fma_f32 v[90:91], v[90:91], v[94:95], v[96:97] neg_lo:[0,0,1] neg_hi:[0,0,1]
	s_delay_alu instid0(VALU_DEP_2)
	v_mov_b32_e32 v91, v99
	scratch_store_b64 off, v[90:91], off offset:232
.LBB106_710:
	s_wait_xcnt 0x0
	s_or_b32 exec_lo, exec_lo, s0
	scratch_load_b64 v[90:91], off, off offset:240
	s_mov_b32 s0, exec_lo
	s_wait_loadcnt 0x0
	ds_store_b64 v1, v[90:91]
	s_wait_storecnt_dscnt 0x0
	s_barrier_signal -1
	s_barrier_wait -1
	s_wait_xcnt 0x0
	v_cmpx_gt_u32_e32 30, v0
	s_cbranch_execz .LBB106_720
; %bb.711:
	v_cmp_ne_u32_e32 vcc_lo, 1, v92
	s_cbranch_vccnz .LBB106_713
; %bb.712:
	scratch_load_b64 v[90:91], v59, off
	ds_load_b64 v[94:95], v1
	s_wait_loadcnt_dscnt 0x0
	v_pk_mul_f32 v[96:97], v[94:95], v[90:91] op_sel:[1,1] op_sel_hi:[0,1]
	s_delay_alu instid0(VALU_DEP_1) | instskip(SKIP_1) | instid1(VALU_DEP_2)
	v_pk_fma_f32 v[98:99], v[94:95], v[90:91], v[96:97] op_sel_hi:[1,0,1]
	v_pk_fma_f32 v[90:91], v[94:95], v[90:91], v[96:97] neg_lo:[0,0,1] neg_hi:[0,0,1]
	v_mov_b32_e32 v91, v99
	s_cbranch_execz .LBB106_714
	s_branch .LBB106_715
.LBB106_713:
                                        ; implicit-def: $vgpr90_vgpr91
.LBB106_714:
	ds_load_b64 v[90:91], v1
.LBB106_715:
	s_mov_b32 s4, exec_lo
	v_cmpx_ne_u32_e32 29, v0
	s_cbranch_execz .LBB106_719
; %bb.716:
	v_add_nc_u32_e32 v93, 0x168, v58
	v_add3_u32 v94, 0, v58, 8
	v_mov_b32_e32 v95, v0
	s_mov_b32 s5, 0
.LBB106_717:                            ; =>This Inner Loop Header: Depth=1
	scratch_load_b64 v[96:97], v94, off
	ds_load_b64 v[98:99], v93
	s_wait_xcnt 0x0
	v_dual_add_nc_u32 v93, 8, v93 :: v_dual_add_nc_u32 v94, 8, v94
	s_wait_loadcnt_dscnt 0x0
	v_pk_mul_f32 v[100:101], v[98:99], v[96:97] op_sel:[1,1] op_sel_hi:[0,1]
	s_delay_alu instid0(VALU_DEP_1) | instskip(SKIP_2) | instid1(VALU_DEP_3)
	v_pk_fma_f32 v[102:103], v[98:99], v[96:97], v[100:101] op_sel_hi:[1,0,1]
	v_add_nc_u32_e32 v95, 1, v95
	v_pk_fma_f32 v[96:97], v[98:99], v[96:97], v[100:101] neg_lo:[0,0,1] neg_hi:[0,0,1]
	v_mov_b32_e32 v97, v103
	s_delay_alu instid0(VALU_DEP_3) | instskip(NEXT) | instid1(VALU_DEP_2)
	v_cmp_lt_u32_e32 vcc_lo, 28, v95
	v_pk_add_f32 v[90:91], v[90:91], v[96:97]
	s_or_b32 s5, vcc_lo, s5
	s_delay_alu instid0(SALU_CYCLE_1)
	s_and_not1_b32 exec_lo, exec_lo, s5
	s_cbranch_execnz .LBB106_717
; %bb.718:
	s_or_b32 exec_lo, exec_lo, s5
.LBB106_719:
	s_delay_alu instid0(SALU_CYCLE_1) | instskip(SKIP_4) | instid1(VALU_DEP_1)
	s_or_b32 exec_lo, exec_lo, s4
	v_mov_b32_e32 v93, 0
	ds_load_b64 v[94:95], v93 offset:240
	s_wait_dscnt 0x0
	v_pk_mul_f32 v[96:97], v[90:91], v[94:95] op_sel:[1,1] op_sel_hi:[0,1]
	v_pk_fma_f32 v[98:99], v[90:91], v[94:95], v[96:97] op_sel_hi:[1,0,1]
	v_pk_fma_f32 v[90:91], v[90:91], v[94:95], v[96:97] neg_lo:[0,0,1] neg_hi:[0,0,1]
	s_delay_alu instid0(VALU_DEP_2)
	v_mov_b32_e32 v91, v99
	scratch_store_b64 off, v[90:91], off offset:240
.LBB106_720:
	s_wait_xcnt 0x0
	s_or_b32 exec_lo, exec_lo, s0
	scratch_load_b64 v[90:91], off, off offset:248
	s_mov_b32 s0, exec_lo
	s_wait_loadcnt 0x0
	ds_store_b64 v1, v[90:91]
	s_wait_storecnt_dscnt 0x0
	s_barrier_signal -1
	s_barrier_wait -1
	s_wait_xcnt 0x0
	v_cmpx_gt_u32_e32 31, v0
	s_cbranch_execz .LBB106_730
; %bb.721:
	v_cmp_ne_u32_e32 vcc_lo, 1, v92
	s_cbranch_vccnz .LBB106_723
; %bb.722:
	scratch_load_b64 v[90:91], v59, off
	ds_load_b64 v[94:95], v1
	s_wait_loadcnt_dscnt 0x0
	v_pk_mul_f32 v[96:97], v[94:95], v[90:91] op_sel:[1,1] op_sel_hi:[0,1]
	s_delay_alu instid0(VALU_DEP_1) | instskip(SKIP_1) | instid1(VALU_DEP_2)
	v_pk_fma_f32 v[98:99], v[94:95], v[90:91], v[96:97] op_sel_hi:[1,0,1]
	v_pk_fma_f32 v[90:91], v[94:95], v[90:91], v[96:97] neg_lo:[0,0,1] neg_hi:[0,0,1]
	v_mov_b32_e32 v91, v99
	s_cbranch_execz .LBB106_724
	s_branch .LBB106_725
.LBB106_723:
                                        ; implicit-def: $vgpr90_vgpr91
.LBB106_724:
	ds_load_b64 v[90:91], v1
.LBB106_725:
	s_mov_b32 s4, exec_lo
	v_cmpx_ne_u32_e32 30, v0
	s_cbranch_execz .LBB106_729
; %bb.726:
	v_add_nc_u32_e32 v93, 0x168, v58
	v_add3_u32 v94, 0, v58, 8
	v_mov_b32_e32 v95, v0
	s_mov_b32 s5, 0
.LBB106_727:                            ; =>This Inner Loop Header: Depth=1
	scratch_load_b64 v[96:97], v94, off
	ds_load_b64 v[98:99], v93
	s_wait_xcnt 0x0
	v_dual_add_nc_u32 v93, 8, v93 :: v_dual_add_nc_u32 v94, 8, v94
	s_wait_loadcnt_dscnt 0x0
	v_pk_mul_f32 v[100:101], v[98:99], v[96:97] op_sel:[1,1] op_sel_hi:[0,1]
	s_delay_alu instid0(VALU_DEP_1) | instskip(SKIP_2) | instid1(VALU_DEP_3)
	v_pk_fma_f32 v[102:103], v[98:99], v[96:97], v[100:101] op_sel_hi:[1,0,1]
	v_add_nc_u32_e32 v95, 1, v95
	v_pk_fma_f32 v[96:97], v[98:99], v[96:97], v[100:101] neg_lo:[0,0,1] neg_hi:[0,0,1]
	v_mov_b32_e32 v97, v103
	s_delay_alu instid0(VALU_DEP_3) | instskip(NEXT) | instid1(VALU_DEP_2)
	v_cmp_lt_u32_e32 vcc_lo, 29, v95
	v_pk_add_f32 v[90:91], v[90:91], v[96:97]
	s_or_b32 s5, vcc_lo, s5
	s_delay_alu instid0(SALU_CYCLE_1)
	s_and_not1_b32 exec_lo, exec_lo, s5
	s_cbranch_execnz .LBB106_727
; %bb.728:
	s_or_b32 exec_lo, exec_lo, s5
.LBB106_729:
	s_delay_alu instid0(SALU_CYCLE_1) | instskip(SKIP_4) | instid1(VALU_DEP_1)
	s_or_b32 exec_lo, exec_lo, s4
	v_mov_b32_e32 v93, 0
	ds_load_b64 v[94:95], v93 offset:248
	s_wait_dscnt 0x0
	v_pk_mul_f32 v[96:97], v[90:91], v[94:95] op_sel:[1,1] op_sel_hi:[0,1]
	v_pk_fma_f32 v[98:99], v[90:91], v[94:95], v[96:97] op_sel_hi:[1,0,1]
	v_pk_fma_f32 v[90:91], v[90:91], v[94:95], v[96:97] neg_lo:[0,0,1] neg_hi:[0,0,1]
	s_delay_alu instid0(VALU_DEP_2)
	v_mov_b32_e32 v91, v99
	scratch_store_b64 off, v[90:91], off offset:248
.LBB106_730:
	s_wait_xcnt 0x0
	s_or_b32 exec_lo, exec_lo, s0
	scratch_load_b64 v[90:91], off, off offset:256
	s_mov_b32 s0, exec_lo
	s_wait_loadcnt 0x0
	ds_store_b64 v1, v[90:91]
	s_wait_storecnt_dscnt 0x0
	s_barrier_signal -1
	s_barrier_wait -1
	s_wait_xcnt 0x0
	v_cmpx_gt_u32_e32 32, v0
	s_cbranch_execz .LBB106_740
; %bb.731:
	v_cmp_ne_u32_e32 vcc_lo, 1, v92
	s_cbranch_vccnz .LBB106_733
; %bb.732:
	scratch_load_b64 v[90:91], v59, off
	ds_load_b64 v[94:95], v1
	s_wait_loadcnt_dscnt 0x0
	v_pk_mul_f32 v[96:97], v[94:95], v[90:91] op_sel:[1,1] op_sel_hi:[0,1]
	s_delay_alu instid0(VALU_DEP_1) | instskip(SKIP_1) | instid1(VALU_DEP_2)
	v_pk_fma_f32 v[98:99], v[94:95], v[90:91], v[96:97] op_sel_hi:[1,0,1]
	v_pk_fma_f32 v[90:91], v[94:95], v[90:91], v[96:97] neg_lo:[0,0,1] neg_hi:[0,0,1]
	v_mov_b32_e32 v91, v99
	s_cbranch_execz .LBB106_734
	s_branch .LBB106_735
.LBB106_733:
                                        ; implicit-def: $vgpr90_vgpr91
.LBB106_734:
	ds_load_b64 v[90:91], v1
.LBB106_735:
	s_mov_b32 s4, exec_lo
	v_cmpx_ne_u32_e32 31, v0
	s_cbranch_execz .LBB106_739
; %bb.736:
	v_add_nc_u32_e32 v93, 0x168, v58
	v_add3_u32 v94, 0, v58, 8
	v_mov_b32_e32 v95, v0
	s_mov_b32 s5, 0
.LBB106_737:                            ; =>This Inner Loop Header: Depth=1
	scratch_load_b64 v[96:97], v94, off
	ds_load_b64 v[98:99], v93
	s_wait_xcnt 0x0
	v_dual_add_nc_u32 v93, 8, v93 :: v_dual_add_nc_u32 v94, 8, v94
	s_wait_loadcnt_dscnt 0x0
	v_pk_mul_f32 v[100:101], v[98:99], v[96:97] op_sel:[1,1] op_sel_hi:[0,1]
	s_delay_alu instid0(VALU_DEP_1) | instskip(SKIP_2) | instid1(VALU_DEP_3)
	v_pk_fma_f32 v[102:103], v[98:99], v[96:97], v[100:101] op_sel_hi:[1,0,1]
	v_add_nc_u32_e32 v95, 1, v95
	v_pk_fma_f32 v[96:97], v[98:99], v[96:97], v[100:101] neg_lo:[0,0,1] neg_hi:[0,0,1]
	v_mov_b32_e32 v97, v103
	s_delay_alu instid0(VALU_DEP_3) | instskip(NEXT) | instid1(VALU_DEP_2)
	v_cmp_lt_u32_e32 vcc_lo, 30, v95
	v_pk_add_f32 v[90:91], v[90:91], v[96:97]
	s_or_b32 s5, vcc_lo, s5
	s_delay_alu instid0(SALU_CYCLE_1)
	s_and_not1_b32 exec_lo, exec_lo, s5
	s_cbranch_execnz .LBB106_737
; %bb.738:
	s_or_b32 exec_lo, exec_lo, s5
.LBB106_739:
	s_delay_alu instid0(SALU_CYCLE_1) | instskip(SKIP_4) | instid1(VALU_DEP_1)
	s_or_b32 exec_lo, exec_lo, s4
	v_mov_b32_e32 v93, 0
	ds_load_b64 v[94:95], v93 offset:256
	s_wait_dscnt 0x0
	v_pk_mul_f32 v[96:97], v[90:91], v[94:95] op_sel:[1,1] op_sel_hi:[0,1]
	v_pk_fma_f32 v[98:99], v[90:91], v[94:95], v[96:97] op_sel_hi:[1,0,1]
	v_pk_fma_f32 v[90:91], v[90:91], v[94:95], v[96:97] neg_lo:[0,0,1] neg_hi:[0,0,1]
	s_delay_alu instid0(VALU_DEP_2)
	v_mov_b32_e32 v91, v99
	scratch_store_b64 off, v[90:91], off offset:256
.LBB106_740:
	s_wait_xcnt 0x0
	s_or_b32 exec_lo, exec_lo, s0
	scratch_load_b64 v[90:91], off, off offset:264
	s_mov_b32 s0, exec_lo
	s_wait_loadcnt 0x0
	ds_store_b64 v1, v[90:91]
	s_wait_storecnt_dscnt 0x0
	s_barrier_signal -1
	s_barrier_wait -1
	s_wait_xcnt 0x0
	v_cmpx_gt_u32_e32 33, v0
	s_cbranch_execz .LBB106_750
; %bb.741:
	v_cmp_ne_u32_e32 vcc_lo, 1, v92
	s_cbranch_vccnz .LBB106_743
; %bb.742:
	scratch_load_b64 v[90:91], v59, off
	ds_load_b64 v[94:95], v1
	s_wait_loadcnt_dscnt 0x0
	v_pk_mul_f32 v[96:97], v[94:95], v[90:91] op_sel:[1,1] op_sel_hi:[0,1]
	s_delay_alu instid0(VALU_DEP_1) | instskip(SKIP_1) | instid1(VALU_DEP_2)
	v_pk_fma_f32 v[98:99], v[94:95], v[90:91], v[96:97] op_sel_hi:[1,0,1]
	v_pk_fma_f32 v[90:91], v[94:95], v[90:91], v[96:97] neg_lo:[0,0,1] neg_hi:[0,0,1]
	v_mov_b32_e32 v91, v99
	s_cbranch_execz .LBB106_744
	s_branch .LBB106_745
.LBB106_743:
                                        ; implicit-def: $vgpr90_vgpr91
.LBB106_744:
	ds_load_b64 v[90:91], v1
.LBB106_745:
	s_mov_b32 s4, exec_lo
	v_cmpx_ne_u32_e32 32, v0
	s_cbranch_execz .LBB106_749
; %bb.746:
	v_add_nc_u32_e32 v93, 0x168, v58
	v_add3_u32 v94, 0, v58, 8
	v_mov_b32_e32 v95, v0
	s_mov_b32 s5, 0
.LBB106_747:                            ; =>This Inner Loop Header: Depth=1
	scratch_load_b64 v[96:97], v94, off
	ds_load_b64 v[98:99], v93
	s_wait_xcnt 0x0
	v_dual_add_nc_u32 v93, 8, v93 :: v_dual_add_nc_u32 v94, 8, v94
	s_wait_loadcnt_dscnt 0x0
	v_pk_mul_f32 v[100:101], v[98:99], v[96:97] op_sel:[1,1] op_sel_hi:[0,1]
	s_delay_alu instid0(VALU_DEP_1) | instskip(SKIP_2) | instid1(VALU_DEP_3)
	v_pk_fma_f32 v[102:103], v[98:99], v[96:97], v[100:101] op_sel_hi:[1,0,1]
	v_add_nc_u32_e32 v95, 1, v95
	v_pk_fma_f32 v[96:97], v[98:99], v[96:97], v[100:101] neg_lo:[0,0,1] neg_hi:[0,0,1]
	v_mov_b32_e32 v97, v103
	s_delay_alu instid0(VALU_DEP_3) | instskip(NEXT) | instid1(VALU_DEP_2)
	v_cmp_lt_u32_e32 vcc_lo, 31, v95
	v_pk_add_f32 v[90:91], v[90:91], v[96:97]
	s_or_b32 s5, vcc_lo, s5
	s_delay_alu instid0(SALU_CYCLE_1)
	s_and_not1_b32 exec_lo, exec_lo, s5
	s_cbranch_execnz .LBB106_747
; %bb.748:
	s_or_b32 exec_lo, exec_lo, s5
.LBB106_749:
	s_delay_alu instid0(SALU_CYCLE_1) | instskip(SKIP_4) | instid1(VALU_DEP_1)
	s_or_b32 exec_lo, exec_lo, s4
	v_mov_b32_e32 v93, 0
	ds_load_b64 v[94:95], v93 offset:264
	s_wait_dscnt 0x0
	v_pk_mul_f32 v[96:97], v[90:91], v[94:95] op_sel:[1,1] op_sel_hi:[0,1]
	v_pk_fma_f32 v[98:99], v[90:91], v[94:95], v[96:97] op_sel_hi:[1,0,1]
	v_pk_fma_f32 v[90:91], v[90:91], v[94:95], v[96:97] neg_lo:[0,0,1] neg_hi:[0,0,1]
	s_delay_alu instid0(VALU_DEP_2)
	v_mov_b32_e32 v91, v99
	scratch_store_b64 off, v[90:91], off offset:264
.LBB106_750:
	s_wait_xcnt 0x0
	s_or_b32 exec_lo, exec_lo, s0
	scratch_load_b64 v[90:91], off, off offset:272
	s_mov_b32 s0, exec_lo
	s_wait_loadcnt 0x0
	ds_store_b64 v1, v[90:91]
	s_wait_storecnt_dscnt 0x0
	s_barrier_signal -1
	s_barrier_wait -1
	s_wait_xcnt 0x0
	v_cmpx_gt_u32_e32 34, v0
	s_cbranch_execz .LBB106_760
; %bb.751:
	v_cmp_ne_u32_e32 vcc_lo, 1, v92
	s_cbranch_vccnz .LBB106_753
; %bb.752:
	scratch_load_b64 v[90:91], v59, off
	ds_load_b64 v[94:95], v1
	s_wait_loadcnt_dscnt 0x0
	v_pk_mul_f32 v[96:97], v[94:95], v[90:91] op_sel:[1,1] op_sel_hi:[0,1]
	s_delay_alu instid0(VALU_DEP_1) | instskip(SKIP_1) | instid1(VALU_DEP_2)
	v_pk_fma_f32 v[98:99], v[94:95], v[90:91], v[96:97] op_sel_hi:[1,0,1]
	v_pk_fma_f32 v[90:91], v[94:95], v[90:91], v[96:97] neg_lo:[0,0,1] neg_hi:[0,0,1]
	v_mov_b32_e32 v91, v99
	s_cbranch_execz .LBB106_754
	s_branch .LBB106_755
.LBB106_753:
                                        ; implicit-def: $vgpr90_vgpr91
.LBB106_754:
	ds_load_b64 v[90:91], v1
.LBB106_755:
	s_mov_b32 s4, exec_lo
	v_cmpx_ne_u32_e32 33, v0
	s_cbranch_execz .LBB106_759
; %bb.756:
	v_add_nc_u32_e32 v93, 0x168, v58
	v_add3_u32 v94, 0, v58, 8
	v_mov_b32_e32 v95, v0
	s_mov_b32 s5, 0
.LBB106_757:                            ; =>This Inner Loop Header: Depth=1
	scratch_load_b64 v[96:97], v94, off
	ds_load_b64 v[98:99], v93
	s_wait_xcnt 0x0
	v_dual_add_nc_u32 v93, 8, v93 :: v_dual_add_nc_u32 v94, 8, v94
	s_wait_loadcnt_dscnt 0x0
	v_pk_mul_f32 v[100:101], v[98:99], v[96:97] op_sel:[1,1] op_sel_hi:[0,1]
	s_delay_alu instid0(VALU_DEP_1) | instskip(SKIP_2) | instid1(VALU_DEP_3)
	v_pk_fma_f32 v[102:103], v[98:99], v[96:97], v[100:101] op_sel_hi:[1,0,1]
	v_add_nc_u32_e32 v95, 1, v95
	v_pk_fma_f32 v[96:97], v[98:99], v[96:97], v[100:101] neg_lo:[0,0,1] neg_hi:[0,0,1]
	v_mov_b32_e32 v97, v103
	s_delay_alu instid0(VALU_DEP_3) | instskip(NEXT) | instid1(VALU_DEP_2)
	v_cmp_lt_u32_e32 vcc_lo, 32, v95
	v_pk_add_f32 v[90:91], v[90:91], v[96:97]
	s_or_b32 s5, vcc_lo, s5
	s_delay_alu instid0(SALU_CYCLE_1)
	s_and_not1_b32 exec_lo, exec_lo, s5
	s_cbranch_execnz .LBB106_757
; %bb.758:
	s_or_b32 exec_lo, exec_lo, s5
.LBB106_759:
	s_delay_alu instid0(SALU_CYCLE_1) | instskip(SKIP_4) | instid1(VALU_DEP_1)
	s_or_b32 exec_lo, exec_lo, s4
	v_mov_b32_e32 v93, 0
	ds_load_b64 v[94:95], v93 offset:272
	s_wait_dscnt 0x0
	v_pk_mul_f32 v[96:97], v[90:91], v[94:95] op_sel:[1,1] op_sel_hi:[0,1]
	v_pk_fma_f32 v[98:99], v[90:91], v[94:95], v[96:97] op_sel_hi:[1,0,1]
	v_pk_fma_f32 v[90:91], v[90:91], v[94:95], v[96:97] neg_lo:[0,0,1] neg_hi:[0,0,1]
	s_delay_alu instid0(VALU_DEP_2)
	v_mov_b32_e32 v91, v99
	scratch_store_b64 off, v[90:91], off offset:272
.LBB106_760:
	s_wait_xcnt 0x0
	s_or_b32 exec_lo, exec_lo, s0
	scratch_load_b64 v[90:91], off, off offset:280
	s_mov_b32 s0, exec_lo
	s_wait_loadcnt 0x0
	ds_store_b64 v1, v[90:91]
	s_wait_storecnt_dscnt 0x0
	s_barrier_signal -1
	s_barrier_wait -1
	s_wait_xcnt 0x0
	v_cmpx_gt_u32_e32 35, v0
	s_cbranch_execz .LBB106_770
; %bb.761:
	v_cmp_ne_u32_e32 vcc_lo, 1, v92
	s_cbranch_vccnz .LBB106_763
; %bb.762:
	scratch_load_b64 v[90:91], v59, off
	ds_load_b64 v[94:95], v1
	s_wait_loadcnt_dscnt 0x0
	v_pk_mul_f32 v[96:97], v[94:95], v[90:91] op_sel:[1,1] op_sel_hi:[0,1]
	s_delay_alu instid0(VALU_DEP_1) | instskip(SKIP_1) | instid1(VALU_DEP_2)
	v_pk_fma_f32 v[98:99], v[94:95], v[90:91], v[96:97] op_sel_hi:[1,0,1]
	v_pk_fma_f32 v[90:91], v[94:95], v[90:91], v[96:97] neg_lo:[0,0,1] neg_hi:[0,0,1]
	v_mov_b32_e32 v91, v99
	s_cbranch_execz .LBB106_764
	s_branch .LBB106_765
.LBB106_763:
                                        ; implicit-def: $vgpr90_vgpr91
.LBB106_764:
	ds_load_b64 v[90:91], v1
.LBB106_765:
	s_mov_b32 s4, exec_lo
	v_cmpx_ne_u32_e32 34, v0
	s_cbranch_execz .LBB106_769
; %bb.766:
	v_add_nc_u32_e32 v93, 0x168, v58
	v_add3_u32 v94, 0, v58, 8
	v_mov_b32_e32 v95, v0
	s_mov_b32 s5, 0
.LBB106_767:                            ; =>This Inner Loop Header: Depth=1
	scratch_load_b64 v[96:97], v94, off
	ds_load_b64 v[98:99], v93
	s_wait_xcnt 0x0
	v_dual_add_nc_u32 v93, 8, v93 :: v_dual_add_nc_u32 v94, 8, v94
	s_wait_loadcnt_dscnt 0x0
	v_pk_mul_f32 v[100:101], v[98:99], v[96:97] op_sel:[1,1] op_sel_hi:[0,1]
	s_delay_alu instid0(VALU_DEP_1) | instskip(SKIP_2) | instid1(VALU_DEP_3)
	v_pk_fma_f32 v[102:103], v[98:99], v[96:97], v[100:101] op_sel_hi:[1,0,1]
	v_add_nc_u32_e32 v95, 1, v95
	v_pk_fma_f32 v[96:97], v[98:99], v[96:97], v[100:101] neg_lo:[0,0,1] neg_hi:[0,0,1]
	v_mov_b32_e32 v97, v103
	s_delay_alu instid0(VALU_DEP_3) | instskip(NEXT) | instid1(VALU_DEP_2)
	v_cmp_lt_u32_e32 vcc_lo, 33, v95
	v_pk_add_f32 v[90:91], v[90:91], v[96:97]
	s_or_b32 s5, vcc_lo, s5
	s_delay_alu instid0(SALU_CYCLE_1)
	s_and_not1_b32 exec_lo, exec_lo, s5
	s_cbranch_execnz .LBB106_767
; %bb.768:
	s_or_b32 exec_lo, exec_lo, s5
.LBB106_769:
	s_delay_alu instid0(SALU_CYCLE_1) | instskip(SKIP_4) | instid1(VALU_DEP_1)
	s_or_b32 exec_lo, exec_lo, s4
	v_mov_b32_e32 v93, 0
	ds_load_b64 v[94:95], v93 offset:280
	s_wait_dscnt 0x0
	v_pk_mul_f32 v[96:97], v[90:91], v[94:95] op_sel:[1,1] op_sel_hi:[0,1]
	v_pk_fma_f32 v[98:99], v[90:91], v[94:95], v[96:97] op_sel_hi:[1,0,1]
	v_pk_fma_f32 v[90:91], v[90:91], v[94:95], v[96:97] neg_lo:[0,0,1] neg_hi:[0,0,1]
	s_delay_alu instid0(VALU_DEP_2)
	v_mov_b32_e32 v91, v99
	scratch_store_b64 off, v[90:91], off offset:280
.LBB106_770:
	s_wait_xcnt 0x0
	s_or_b32 exec_lo, exec_lo, s0
	scratch_load_b64 v[90:91], off, off offset:288
	s_mov_b32 s0, exec_lo
	s_wait_loadcnt 0x0
	ds_store_b64 v1, v[90:91]
	s_wait_storecnt_dscnt 0x0
	s_barrier_signal -1
	s_barrier_wait -1
	s_wait_xcnt 0x0
	v_cmpx_gt_u32_e32 36, v0
	s_cbranch_execz .LBB106_780
; %bb.771:
	v_cmp_ne_u32_e32 vcc_lo, 1, v92
	s_cbranch_vccnz .LBB106_773
; %bb.772:
	scratch_load_b64 v[90:91], v59, off
	ds_load_b64 v[94:95], v1
	s_wait_loadcnt_dscnt 0x0
	v_pk_mul_f32 v[96:97], v[94:95], v[90:91] op_sel:[1,1] op_sel_hi:[0,1]
	s_delay_alu instid0(VALU_DEP_1) | instskip(SKIP_1) | instid1(VALU_DEP_2)
	v_pk_fma_f32 v[98:99], v[94:95], v[90:91], v[96:97] op_sel_hi:[1,0,1]
	v_pk_fma_f32 v[90:91], v[94:95], v[90:91], v[96:97] neg_lo:[0,0,1] neg_hi:[0,0,1]
	v_mov_b32_e32 v91, v99
	s_cbranch_execz .LBB106_774
	s_branch .LBB106_775
.LBB106_773:
                                        ; implicit-def: $vgpr90_vgpr91
.LBB106_774:
	ds_load_b64 v[90:91], v1
.LBB106_775:
	s_mov_b32 s4, exec_lo
	v_cmpx_ne_u32_e32 35, v0
	s_cbranch_execz .LBB106_779
; %bb.776:
	v_add_nc_u32_e32 v93, 0x168, v58
	v_add3_u32 v94, 0, v58, 8
	v_mov_b32_e32 v95, v0
	s_mov_b32 s5, 0
.LBB106_777:                            ; =>This Inner Loop Header: Depth=1
	scratch_load_b64 v[96:97], v94, off
	ds_load_b64 v[98:99], v93
	s_wait_xcnt 0x0
	v_dual_add_nc_u32 v93, 8, v93 :: v_dual_add_nc_u32 v94, 8, v94
	s_wait_loadcnt_dscnt 0x0
	v_pk_mul_f32 v[100:101], v[98:99], v[96:97] op_sel:[1,1] op_sel_hi:[0,1]
	s_delay_alu instid0(VALU_DEP_1) | instskip(SKIP_2) | instid1(VALU_DEP_3)
	v_pk_fma_f32 v[102:103], v[98:99], v[96:97], v[100:101] op_sel_hi:[1,0,1]
	v_add_nc_u32_e32 v95, 1, v95
	v_pk_fma_f32 v[96:97], v[98:99], v[96:97], v[100:101] neg_lo:[0,0,1] neg_hi:[0,0,1]
	v_mov_b32_e32 v97, v103
	s_delay_alu instid0(VALU_DEP_3) | instskip(NEXT) | instid1(VALU_DEP_2)
	v_cmp_lt_u32_e32 vcc_lo, 34, v95
	v_pk_add_f32 v[90:91], v[90:91], v[96:97]
	s_or_b32 s5, vcc_lo, s5
	s_delay_alu instid0(SALU_CYCLE_1)
	s_and_not1_b32 exec_lo, exec_lo, s5
	s_cbranch_execnz .LBB106_777
; %bb.778:
	s_or_b32 exec_lo, exec_lo, s5
.LBB106_779:
	s_delay_alu instid0(SALU_CYCLE_1) | instskip(SKIP_4) | instid1(VALU_DEP_1)
	s_or_b32 exec_lo, exec_lo, s4
	v_mov_b32_e32 v93, 0
	ds_load_b64 v[94:95], v93 offset:288
	s_wait_dscnt 0x0
	v_pk_mul_f32 v[96:97], v[90:91], v[94:95] op_sel:[1,1] op_sel_hi:[0,1]
	v_pk_fma_f32 v[98:99], v[90:91], v[94:95], v[96:97] op_sel_hi:[1,0,1]
	v_pk_fma_f32 v[90:91], v[90:91], v[94:95], v[96:97] neg_lo:[0,0,1] neg_hi:[0,0,1]
	s_delay_alu instid0(VALU_DEP_2)
	v_mov_b32_e32 v91, v99
	scratch_store_b64 off, v[90:91], off offset:288
.LBB106_780:
	s_wait_xcnt 0x0
	s_or_b32 exec_lo, exec_lo, s0
	scratch_load_b64 v[90:91], off, off offset:296
	s_mov_b32 s0, exec_lo
	s_wait_loadcnt 0x0
	ds_store_b64 v1, v[90:91]
	s_wait_storecnt_dscnt 0x0
	s_barrier_signal -1
	s_barrier_wait -1
	s_wait_xcnt 0x0
	v_cmpx_gt_u32_e32 37, v0
	s_cbranch_execz .LBB106_790
; %bb.781:
	v_cmp_ne_u32_e32 vcc_lo, 1, v92
	s_cbranch_vccnz .LBB106_783
; %bb.782:
	scratch_load_b64 v[90:91], v59, off
	ds_load_b64 v[94:95], v1
	s_wait_loadcnt_dscnt 0x0
	v_pk_mul_f32 v[96:97], v[94:95], v[90:91] op_sel:[1,1] op_sel_hi:[0,1]
	s_delay_alu instid0(VALU_DEP_1) | instskip(SKIP_1) | instid1(VALU_DEP_2)
	v_pk_fma_f32 v[98:99], v[94:95], v[90:91], v[96:97] op_sel_hi:[1,0,1]
	v_pk_fma_f32 v[90:91], v[94:95], v[90:91], v[96:97] neg_lo:[0,0,1] neg_hi:[0,0,1]
	v_mov_b32_e32 v91, v99
	s_cbranch_execz .LBB106_784
	s_branch .LBB106_785
.LBB106_783:
                                        ; implicit-def: $vgpr90_vgpr91
.LBB106_784:
	ds_load_b64 v[90:91], v1
.LBB106_785:
	s_mov_b32 s4, exec_lo
	v_cmpx_ne_u32_e32 36, v0
	s_cbranch_execz .LBB106_789
; %bb.786:
	v_add_nc_u32_e32 v93, 0x168, v58
	v_add3_u32 v94, 0, v58, 8
	v_mov_b32_e32 v95, v0
	s_mov_b32 s5, 0
.LBB106_787:                            ; =>This Inner Loop Header: Depth=1
	scratch_load_b64 v[96:97], v94, off
	ds_load_b64 v[98:99], v93
	s_wait_xcnt 0x0
	v_dual_add_nc_u32 v93, 8, v93 :: v_dual_add_nc_u32 v94, 8, v94
	s_wait_loadcnt_dscnt 0x0
	v_pk_mul_f32 v[100:101], v[98:99], v[96:97] op_sel:[1,1] op_sel_hi:[0,1]
	s_delay_alu instid0(VALU_DEP_1) | instskip(SKIP_2) | instid1(VALU_DEP_3)
	v_pk_fma_f32 v[102:103], v[98:99], v[96:97], v[100:101] op_sel_hi:[1,0,1]
	v_add_nc_u32_e32 v95, 1, v95
	v_pk_fma_f32 v[96:97], v[98:99], v[96:97], v[100:101] neg_lo:[0,0,1] neg_hi:[0,0,1]
	v_mov_b32_e32 v97, v103
	s_delay_alu instid0(VALU_DEP_3) | instskip(NEXT) | instid1(VALU_DEP_2)
	v_cmp_lt_u32_e32 vcc_lo, 35, v95
	v_pk_add_f32 v[90:91], v[90:91], v[96:97]
	s_or_b32 s5, vcc_lo, s5
	s_delay_alu instid0(SALU_CYCLE_1)
	s_and_not1_b32 exec_lo, exec_lo, s5
	s_cbranch_execnz .LBB106_787
; %bb.788:
	s_or_b32 exec_lo, exec_lo, s5
.LBB106_789:
	s_delay_alu instid0(SALU_CYCLE_1) | instskip(SKIP_4) | instid1(VALU_DEP_1)
	s_or_b32 exec_lo, exec_lo, s4
	v_mov_b32_e32 v93, 0
	ds_load_b64 v[94:95], v93 offset:296
	s_wait_dscnt 0x0
	v_pk_mul_f32 v[96:97], v[90:91], v[94:95] op_sel:[1,1] op_sel_hi:[0,1]
	v_pk_fma_f32 v[98:99], v[90:91], v[94:95], v[96:97] op_sel_hi:[1,0,1]
	v_pk_fma_f32 v[90:91], v[90:91], v[94:95], v[96:97] neg_lo:[0,0,1] neg_hi:[0,0,1]
	s_delay_alu instid0(VALU_DEP_2)
	v_mov_b32_e32 v91, v99
	scratch_store_b64 off, v[90:91], off offset:296
.LBB106_790:
	s_wait_xcnt 0x0
	s_or_b32 exec_lo, exec_lo, s0
	scratch_load_b64 v[90:91], off, off offset:304
	s_mov_b32 s0, exec_lo
	s_wait_loadcnt 0x0
	ds_store_b64 v1, v[90:91]
	s_wait_storecnt_dscnt 0x0
	s_barrier_signal -1
	s_barrier_wait -1
	s_wait_xcnt 0x0
	v_cmpx_gt_u32_e32 38, v0
	s_cbranch_execz .LBB106_800
; %bb.791:
	v_cmp_ne_u32_e32 vcc_lo, 1, v92
	s_cbranch_vccnz .LBB106_793
; %bb.792:
	scratch_load_b64 v[90:91], v59, off
	ds_load_b64 v[94:95], v1
	s_wait_loadcnt_dscnt 0x0
	v_pk_mul_f32 v[96:97], v[94:95], v[90:91] op_sel:[1,1] op_sel_hi:[0,1]
	s_delay_alu instid0(VALU_DEP_1) | instskip(SKIP_1) | instid1(VALU_DEP_2)
	v_pk_fma_f32 v[98:99], v[94:95], v[90:91], v[96:97] op_sel_hi:[1,0,1]
	v_pk_fma_f32 v[90:91], v[94:95], v[90:91], v[96:97] neg_lo:[0,0,1] neg_hi:[0,0,1]
	v_mov_b32_e32 v91, v99
	s_cbranch_execz .LBB106_794
	s_branch .LBB106_795
.LBB106_793:
                                        ; implicit-def: $vgpr90_vgpr91
.LBB106_794:
	ds_load_b64 v[90:91], v1
.LBB106_795:
	s_mov_b32 s4, exec_lo
	v_cmpx_ne_u32_e32 37, v0
	s_cbranch_execz .LBB106_799
; %bb.796:
	v_add_nc_u32_e32 v93, 0x168, v58
	v_add3_u32 v94, 0, v58, 8
	v_mov_b32_e32 v95, v0
	s_mov_b32 s5, 0
.LBB106_797:                            ; =>This Inner Loop Header: Depth=1
	scratch_load_b64 v[96:97], v94, off
	ds_load_b64 v[98:99], v93
	s_wait_xcnt 0x0
	v_dual_add_nc_u32 v93, 8, v93 :: v_dual_add_nc_u32 v94, 8, v94
	s_wait_loadcnt_dscnt 0x0
	v_pk_mul_f32 v[100:101], v[98:99], v[96:97] op_sel:[1,1] op_sel_hi:[0,1]
	s_delay_alu instid0(VALU_DEP_1) | instskip(SKIP_2) | instid1(VALU_DEP_3)
	v_pk_fma_f32 v[102:103], v[98:99], v[96:97], v[100:101] op_sel_hi:[1,0,1]
	v_add_nc_u32_e32 v95, 1, v95
	v_pk_fma_f32 v[96:97], v[98:99], v[96:97], v[100:101] neg_lo:[0,0,1] neg_hi:[0,0,1]
	v_mov_b32_e32 v97, v103
	s_delay_alu instid0(VALU_DEP_3) | instskip(NEXT) | instid1(VALU_DEP_2)
	v_cmp_lt_u32_e32 vcc_lo, 36, v95
	v_pk_add_f32 v[90:91], v[90:91], v[96:97]
	s_or_b32 s5, vcc_lo, s5
	s_delay_alu instid0(SALU_CYCLE_1)
	s_and_not1_b32 exec_lo, exec_lo, s5
	s_cbranch_execnz .LBB106_797
; %bb.798:
	s_or_b32 exec_lo, exec_lo, s5
.LBB106_799:
	s_delay_alu instid0(SALU_CYCLE_1) | instskip(SKIP_4) | instid1(VALU_DEP_1)
	s_or_b32 exec_lo, exec_lo, s4
	v_mov_b32_e32 v93, 0
	ds_load_b64 v[94:95], v93 offset:304
	s_wait_dscnt 0x0
	v_pk_mul_f32 v[96:97], v[90:91], v[94:95] op_sel:[1,1] op_sel_hi:[0,1]
	v_pk_fma_f32 v[98:99], v[90:91], v[94:95], v[96:97] op_sel_hi:[1,0,1]
	v_pk_fma_f32 v[90:91], v[90:91], v[94:95], v[96:97] neg_lo:[0,0,1] neg_hi:[0,0,1]
	s_delay_alu instid0(VALU_DEP_2)
	v_mov_b32_e32 v91, v99
	scratch_store_b64 off, v[90:91], off offset:304
.LBB106_800:
	s_wait_xcnt 0x0
	s_or_b32 exec_lo, exec_lo, s0
	scratch_load_b64 v[90:91], off, off offset:312
	s_mov_b32 s0, exec_lo
	s_wait_loadcnt 0x0
	ds_store_b64 v1, v[90:91]
	s_wait_storecnt_dscnt 0x0
	s_barrier_signal -1
	s_barrier_wait -1
	s_wait_xcnt 0x0
	v_cmpx_gt_u32_e32 39, v0
	s_cbranch_execz .LBB106_810
; %bb.801:
	v_cmp_ne_u32_e32 vcc_lo, 1, v92
	s_cbranch_vccnz .LBB106_803
; %bb.802:
	scratch_load_b64 v[90:91], v59, off
	ds_load_b64 v[94:95], v1
	s_wait_loadcnt_dscnt 0x0
	v_pk_mul_f32 v[96:97], v[94:95], v[90:91] op_sel:[1,1] op_sel_hi:[0,1]
	s_delay_alu instid0(VALU_DEP_1) | instskip(SKIP_1) | instid1(VALU_DEP_2)
	v_pk_fma_f32 v[98:99], v[94:95], v[90:91], v[96:97] op_sel_hi:[1,0,1]
	v_pk_fma_f32 v[90:91], v[94:95], v[90:91], v[96:97] neg_lo:[0,0,1] neg_hi:[0,0,1]
	v_mov_b32_e32 v91, v99
	s_cbranch_execz .LBB106_804
	s_branch .LBB106_805
.LBB106_803:
                                        ; implicit-def: $vgpr90_vgpr91
.LBB106_804:
	ds_load_b64 v[90:91], v1
.LBB106_805:
	s_mov_b32 s4, exec_lo
	v_cmpx_ne_u32_e32 38, v0
	s_cbranch_execz .LBB106_809
; %bb.806:
	v_add_nc_u32_e32 v93, 0x168, v58
	v_add3_u32 v94, 0, v58, 8
	v_mov_b32_e32 v95, v0
	s_mov_b32 s5, 0
.LBB106_807:                            ; =>This Inner Loop Header: Depth=1
	scratch_load_b64 v[96:97], v94, off
	ds_load_b64 v[98:99], v93
	s_wait_xcnt 0x0
	v_dual_add_nc_u32 v93, 8, v93 :: v_dual_add_nc_u32 v94, 8, v94
	s_wait_loadcnt_dscnt 0x0
	v_pk_mul_f32 v[100:101], v[98:99], v[96:97] op_sel:[1,1] op_sel_hi:[0,1]
	s_delay_alu instid0(VALU_DEP_1) | instskip(SKIP_2) | instid1(VALU_DEP_3)
	v_pk_fma_f32 v[102:103], v[98:99], v[96:97], v[100:101] op_sel_hi:[1,0,1]
	v_add_nc_u32_e32 v95, 1, v95
	v_pk_fma_f32 v[96:97], v[98:99], v[96:97], v[100:101] neg_lo:[0,0,1] neg_hi:[0,0,1]
	v_mov_b32_e32 v97, v103
	s_delay_alu instid0(VALU_DEP_3) | instskip(NEXT) | instid1(VALU_DEP_2)
	v_cmp_lt_u32_e32 vcc_lo, 37, v95
	v_pk_add_f32 v[90:91], v[90:91], v[96:97]
	s_or_b32 s5, vcc_lo, s5
	s_delay_alu instid0(SALU_CYCLE_1)
	s_and_not1_b32 exec_lo, exec_lo, s5
	s_cbranch_execnz .LBB106_807
; %bb.808:
	s_or_b32 exec_lo, exec_lo, s5
.LBB106_809:
	s_delay_alu instid0(SALU_CYCLE_1) | instskip(SKIP_4) | instid1(VALU_DEP_1)
	s_or_b32 exec_lo, exec_lo, s4
	v_mov_b32_e32 v93, 0
	ds_load_b64 v[94:95], v93 offset:312
	s_wait_dscnt 0x0
	v_pk_mul_f32 v[96:97], v[90:91], v[94:95] op_sel:[1,1] op_sel_hi:[0,1]
	v_pk_fma_f32 v[98:99], v[90:91], v[94:95], v[96:97] op_sel_hi:[1,0,1]
	v_pk_fma_f32 v[90:91], v[90:91], v[94:95], v[96:97] neg_lo:[0,0,1] neg_hi:[0,0,1]
	s_delay_alu instid0(VALU_DEP_2)
	v_mov_b32_e32 v91, v99
	scratch_store_b64 off, v[90:91], off offset:312
.LBB106_810:
	s_wait_xcnt 0x0
	s_or_b32 exec_lo, exec_lo, s0
	scratch_load_b64 v[90:91], off, off offset:320
	s_mov_b32 s0, exec_lo
	s_wait_loadcnt 0x0
	ds_store_b64 v1, v[90:91]
	s_wait_storecnt_dscnt 0x0
	s_barrier_signal -1
	s_barrier_wait -1
	s_wait_xcnt 0x0
	v_cmpx_gt_u32_e32 40, v0
	s_cbranch_execz .LBB106_820
; %bb.811:
	v_cmp_ne_u32_e32 vcc_lo, 1, v92
	s_cbranch_vccnz .LBB106_813
; %bb.812:
	scratch_load_b64 v[90:91], v59, off
	ds_load_b64 v[94:95], v1
	s_wait_loadcnt_dscnt 0x0
	v_pk_mul_f32 v[96:97], v[94:95], v[90:91] op_sel:[1,1] op_sel_hi:[0,1]
	s_delay_alu instid0(VALU_DEP_1) | instskip(SKIP_1) | instid1(VALU_DEP_2)
	v_pk_fma_f32 v[98:99], v[94:95], v[90:91], v[96:97] op_sel_hi:[1,0,1]
	v_pk_fma_f32 v[90:91], v[94:95], v[90:91], v[96:97] neg_lo:[0,0,1] neg_hi:[0,0,1]
	v_mov_b32_e32 v91, v99
	s_cbranch_execz .LBB106_814
	s_branch .LBB106_815
.LBB106_813:
                                        ; implicit-def: $vgpr90_vgpr91
.LBB106_814:
	ds_load_b64 v[90:91], v1
.LBB106_815:
	s_mov_b32 s4, exec_lo
	v_cmpx_ne_u32_e32 39, v0
	s_cbranch_execz .LBB106_819
; %bb.816:
	v_add_nc_u32_e32 v93, 0x168, v58
	v_add3_u32 v94, 0, v58, 8
	v_mov_b32_e32 v95, v0
	s_mov_b32 s5, 0
.LBB106_817:                            ; =>This Inner Loop Header: Depth=1
	scratch_load_b64 v[96:97], v94, off
	ds_load_b64 v[98:99], v93
	s_wait_xcnt 0x0
	v_dual_add_nc_u32 v93, 8, v93 :: v_dual_add_nc_u32 v94, 8, v94
	s_wait_loadcnt_dscnt 0x0
	v_pk_mul_f32 v[100:101], v[98:99], v[96:97] op_sel:[1,1] op_sel_hi:[0,1]
	s_delay_alu instid0(VALU_DEP_1) | instskip(SKIP_2) | instid1(VALU_DEP_3)
	v_pk_fma_f32 v[102:103], v[98:99], v[96:97], v[100:101] op_sel_hi:[1,0,1]
	v_add_nc_u32_e32 v95, 1, v95
	v_pk_fma_f32 v[96:97], v[98:99], v[96:97], v[100:101] neg_lo:[0,0,1] neg_hi:[0,0,1]
	v_mov_b32_e32 v97, v103
	s_delay_alu instid0(VALU_DEP_3) | instskip(NEXT) | instid1(VALU_DEP_2)
	v_cmp_lt_u32_e32 vcc_lo, 38, v95
	v_pk_add_f32 v[90:91], v[90:91], v[96:97]
	s_or_b32 s5, vcc_lo, s5
	s_delay_alu instid0(SALU_CYCLE_1)
	s_and_not1_b32 exec_lo, exec_lo, s5
	s_cbranch_execnz .LBB106_817
; %bb.818:
	s_or_b32 exec_lo, exec_lo, s5
.LBB106_819:
	s_delay_alu instid0(SALU_CYCLE_1) | instskip(SKIP_4) | instid1(VALU_DEP_1)
	s_or_b32 exec_lo, exec_lo, s4
	v_mov_b32_e32 v93, 0
	ds_load_b64 v[94:95], v93 offset:320
	s_wait_dscnt 0x0
	v_pk_mul_f32 v[96:97], v[90:91], v[94:95] op_sel:[1,1] op_sel_hi:[0,1]
	v_pk_fma_f32 v[98:99], v[90:91], v[94:95], v[96:97] op_sel_hi:[1,0,1]
	v_pk_fma_f32 v[90:91], v[90:91], v[94:95], v[96:97] neg_lo:[0,0,1] neg_hi:[0,0,1]
	s_delay_alu instid0(VALU_DEP_2)
	v_mov_b32_e32 v91, v99
	scratch_store_b64 off, v[90:91], off offset:320
.LBB106_820:
	s_wait_xcnt 0x0
	s_or_b32 exec_lo, exec_lo, s0
	scratch_load_b64 v[90:91], off, off offset:328
	v_cmp_gt_u32_e64 s0, 41, v0
	s_wait_loadcnt 0x0
	ds_store_b64 v1, v[90:91]
	s_wait_storecnt_dscnt 0x0
	s_barrier_signal -1
	s_barrier_wait -1
	s_wait_xcnt 0x0
	s_and_saveexec_b32 s4, s0
	s_cbranch_execz .LBB106_830
; %bb.821:
	v_cmp_ne_u32_e32 vcc_lo, 1, v92
	s_cbranch_vccnz .LBB106_823
; %bb.822:
	scratch_load_b64 v[90:91], v59, off
	ds_load_b64 v[94:95], v1
	s_wait_loadcnt_dscnt 0x0
	v_pk_mul_f32 v[96:97], v[94:95], v[90:91] op_sel:[1,1] op_sel_hi:[0,1]
	s_delay_alu instid0(VALU_DEP_1) | instskip(SKIP_1) | instid1(VALU_DEP_2)
	v_pk_fma_f32 v[98:99], v[94:95], v[90:91], v[96:97] op_sel_hi:[1,0,1]
	v_pk_fma_f32 v[90:91], v[94:95], v[90:91], v[96:97] neg_lo:[0,0,1] neg_hi:[0,0,1]
	v_mov_b32_e32 v91, v99
	s_cbranch_execz .LBB106_824
	s_branch .LBB106_825
.LBB106_823:
                                        ; implicit-def: $vgpr90_vgpr91
.LBB106_824:
	ds_load_b64 v[90:91], v1
.LBB106_825:
	s_mov_b32 s5, exec_lo
	v_cmpx_ne_u32_e32 40, v0
	s_cbranch_execz .LBB106_829
; %bb.826:
	v_add_nc_u32_e32 v93, 0x168, v58
	v_add3_u32 v94, 0, v58, 8
	v_mov_b32_e32 v95, v0
	s_mov_b32 s6, 0
.LBB106_827:                            ; =>This Inner Loop Header: Depth=1
	scratch_load_b64 v[96:97], v94, off
	ds_load_b64 v[98:99], v93
	s_wait_xcnt 0x0
	v_dual_add_nc_u32 v93, 8, v93 :: v_dual_add_nc_u32 v94, 8, v94
	s_wait_loadcnt_dscnt 0x0
	v_pk_mul_f32 v[100:101], v[98:99], v[96:97] op_sel:[1,1] op_sel_hi:[0,1]
	s_delay_alu instid0(VALU_DEP_1) | instskip(SKIP_2) | instid1(VALU_DEP_3)
	v_pk_fma_f32 v[102:103], v[98:99], v[96:97], v[100:101] op_sel_hi:[1,0,1]
	v_add_nc_u32_e32 v95, 1, v95
	v_pk_fma_f32 v[96:97], v[98:99], v[96:97], v[100:101] neg_lo:[0,0,1] neg_hi:[0,0,1]
	v_mov_b32_e32 v97, v103
	s_delay_alu instid0(VALU_DEP_3) | instskip(NEXT) | instid1(VALU_DEP_2)
	v_cmp_lt_u32_e32 vcc_lo, 39, v95
	v_pk_add_f32 v[90:91], v[90:91], v[96:97]
	s_or_b32 s6, vcc_lo, s6
	s_delay_alu instid0(SALU_CYCLE_1)
	s_and_not1_b32 exec_lo, exec_lo, s6
	s_cbranch_execnz .LBB106_827
; %bb.828:
	s_or_b32 exec_lo, exec_lo, s6
.LBB106_829:
	s_delay_alu instid0(SALU_CYCLE_1) | instskip(SKIP_4) | instid1(VALU_DEP_1)
	s_or_b32 exec_lo, exec_lo, s5
	v_mov_b32_e32 v93, 0
	ds_load_b64 v[94:95], v93 offset:328
	s_wait_dscnt 0x0
	v_pk_mul_f32 v[96:97], v[90:91], v[94:95] op_sel:[1,1] op_sel_hi:[0,1]
	v_pk_fma_f32 v[98:99], v[90:91], v[94:95], v[96:97] op_sel_hi:[1,0,1]
	v_pk_fma_f32 v[90:91], v[90:91], v[94:95], v[96:97] neg_lo:[0,0,1] neg_hi:[0,0,1]
	s_delay_alu instid0(VALU_DEP_2)
	v_mov_b32_e32 v91, v99
	scratch_store_b64 off, v[90:91], off offset:328
.LBB106_830:
	s_wait_xcnt 0x0
	s_or_b32 exec_lo, exec_lo, s4
	scratch_load_b64 v[90:91], off, off offset:336
	s_mov_b32 s4, exec_lo
                                        ; implicit-def: $vgpr128
                                        ; implicit-def: $sgpr7
	s_wait_loadcnt 0x0
	ds_store_b64 v1, v[90:91]
	s_wait_storecnt_dscnt 0x0
	s_barrier_signal -1
	s_barrier_wait -1
	s_wait_xcnt 0x0
	v_cmpx_ne_u32_e32 42, v0
	s_cbranch_execz .LBB106_840
; %bb.831:
	v_cmp_ne_u32_e32 vcc_lo, 1, v92
	s_cbranch_vccnz .LBB106_833
; %bb.832:
	scratch_load_b64 v[92:93], v59, off
	ds_load_b64 v[94:95], v1
	s_wait_loadcnt_dscnt 0x0
	v_dual_mul_f32 v59, v95, v93 :: v_dual_mul_f32 v91, v94, v93
	s_delay_alu instid0(VALU_DEP_1) | instskip(NEXT) | instid1(VALU_DEP_2)
	v_fma_f32 v90, v94, v92, -v59
	v_fmac_f32_e32 v91, v95, v92
	s_cbranch_execz .LBB106_834
	s_branch .LBB106_835
.LBB106_833:
                                        ; implicit-def: $vgpr91
.LBB106_834:
	ds_load_b64 v[90:91], v1
.LBB106_835:
	s_and_saveexec_b32 s5, s0
	s_cbranch_execz .LBB106_839
; %bb.836:
	v_add_nc_u32_e32 v1, 0x168, v58
	v_add3_u32 v58, 0, v58, 8
	s_mov_b32 s0, 0
.LBB106_837:                            ; =>This Inner Loop Header: Depth=1
	scratch_load_b64 v[92:93], v58, off
	ds_load_b64 v[94:95], v1
	v_dual_add_nc_u32 v0, 1, v0 :: v_dual_add_nc_u32 v1, 8, v1
	s_delay_alu instid0(VALU_DEP_1) | instskip(SKIP_3) | instid1(VALU_DEP_1)
	v_cmp_lt_u32_e32 vcc_lo, 40, v0
	s_or_b32 s0, vcc_lo, s0
	s_wait_loadcnt_dscnt 0x0
	v_dual_mul_f32 v59, v95, v93 :: v_dual_mul_f32 v93, v94, v93
	v_dual_fma_f32 v59, v94, v92, -v59 :: v_dual_fmac_f32 v93, v95, v92
	s_delay_alu instid0(VALU_DEP_1) | instskip(NEXT) | instid1(VALU_DEP_2)
	v_dual_add_nc_u32 v58, 8, v58 :: v_dual_add_f32 v90, v90, v59
	v_add_f32_e32 v91, v91, v93
	s_and_not1_b32 exec_lo, exec_lo, s0
	s_cbranch_execnz .LBB106_837
; %bb.838:
	s_or_b32 exec_lo, exec_lo, s0
.LBB106_839:
	s_delay_alu instid0(SALU_CYCLE_1)
	s_or_b32 exec_lo, exec_lo, s5
	v_mov_b32_e32 v0, 0
	s_movk_i32 s7, 0x154
	s_or_b32 s1, s1, exec_lo
	ds_load_b64 v[0:1], v0 offset:336
	s_wait_dscnt 0x0
	v_dual_mul_f32 v58, v91, v1 :: v_dual_mul_f32 v128, v90, v1
	s_delay_alu instid0(VALU_DEP_1)
	v_dual_fma_f32 v1, v90, v0, -v58 :: v_dual_fmac_f32 v128, v91, v0
	scratch_store_b32 off, v1, off offset:336
.LBB106_840:
	s_wait_xcnt 0x0
	s_or_b32 exec_lo, exec_lo, s4
.LBB106_841:
	v_lshl_add_u64 v[126:127], v[6:7], 3, s[2:3]
	v_lshl_add_u64 v[124:125], v[8:9], 3, s[2:3]
	;; [unrolled: 1-line block ×41, first 2 shown]
	s_and_saveexec_b32 s0, s1
	s_cbranch_execz .LBB106_843
; %bb.842:
	scratch_store_b32 off, v128, s7
.LBB106_843:
	s_wait_xcnt 0x0
	s_or_b32 exec_lo, exec_lo, s0
	scratch_load_b64 v[46:47], off, off
	s_wait_loadcnt 0x0
	flat_store_b64 v[2:3], v[46:47]
	scratch_load_b64 v[2:3], off, off offset:8
	s_wait_loadcnt 0x0
	flat_store_b64 v[4:5], v[2:3]
	scratch_load_b64 v[2:3], off, off offset:16
	;; [unrolled: 3-line block ×42, first 2 shown]
	s_wait_loadcnt 0x0
	flat_store_b64 v[0:1], v[2:3]
.LBB106_844:
	s_sendmsg sendmsg(MSG_DEALLOC_VGPRS)
	s_endpgm
	.section	.rodata,"a",@progbits
	.p2align	6, 0x0
	.amdhsa_kernel _ZN9rocsolver6v33100L18trti2_kernel_smallILi43E19rocblas_complex_numIfEPKPS3_EEv13rocblas_fill_17rocblas_diagonal_T1_iil
		.amdhsa_group_segment_fixed_size 696
		.amdhsa_private_segment_fixed_size 352
		.amdhsa_kernarg_size 32
		.amdhsa_user_sgpr_count 2
		.amdhsa_user_sgpr_dispatch_ptr 0
		.amdhsa_user_sgpr_queue_ptr 0
		.amdhsa_user_sgpr_kernarg_segment_ptr 1
		.amdhsa_user_sgpr_dispatch_id 0
		.amdhsa_user_sgpr_kernarg_preload_length 0
		.amdhsa_user_sgpr_kernarg_preload_offset 0
		.amdhsa_user_sgpr_private_segment_size 0
		.amdhsa_wavefront_size32 1
		.amdhsa_uses_dynamic_stack 0
		.amdhsa_enable_private_segment 1
		.amdhsa_system_sgpr_workgroup_id_x 1
		.amdhsa_system_sgpr_workgroup_id_y 0
		.amdhsa_system_sgpr_workgroup_id_z 0
		.amdhsa_system_sgpr_workgroup_info 0
		.amdhsa_system_vgpr_workitem_id 0
		.amdhsa_next_free_vgpr 129
		.amdhsa_next_free_sgpr 49
		.amdhsa_named_barrier_count 0
		.amdhsa_reserve_vcc 1
		.amdhsa_float_round_mode_32 0
		.amdhsa_float_round_mode_16_64 0
		.amdhsa_float_denorm_mode_32 3
		.amdhsa_float_denorm_mode_16_64 3
		.amdhsa_fp16_overflow 0
		.amdhsa_memory_ordered 1
		.amdhsa_forward_progress 1
		.amdhsa_inst_pref_size 255
		.amdhsa_round_robin_scheduling 0
		.amdhsa_exception_fp_ieee_invalid_op 0
		.amdhsa_exception_fp_denorm_src 0
		.amdhsa_exception_fp_ieee_div_zero 0
		.amdhsa_exception_fp_ieee_overflow 0
		.amdhsa_exception_fp_ieee_underflow 0
		.amdhsa_exception_fp_ieee_inexact 0
		.amdhsa_exception_int_div_zero 0
	.end_amdhsa_kernel
	.section	.text._ZN9rocsolver6v33100L18trti2_kernel_smallILi43E19rocblas_complex_numIfEPKPS3_EEv13rocblas_fill_17rocblas_diagonal_T1_iil,"axG",@progbits,_ZN9rocsolver6v33100L18trti2_kernel_smallILi43E19rocblas_complex_numIfEPKPS3_EEv13rocblas_fill_17rocblas_diagonal_T1_iil,comdat
.Lfunc_end106:
	.size	_ZN9rocsolver6v33100L18trti2_kernel_smallILi43E19rocblas_complex_numIfEPKPS3_EEv13rocblas_fill_17rocblas_diagonal_T1_iil, .Lfunc_end106-_ZN9rocsolver6v33100L18trti2_kernel_smallILi43E19rocblas_complex_numIfEPKPS3_EEv13rocblas_fill_17rocblas_diagonal_T1_iil
                                        ; -- End function
	.set _ZN9rocsolver6v33100L18trti2_kernel_smallILi43E19rocblas_complex_numIfEPKPS3_EEv13rocblas_fill_17rocblas_diagonal_T1_iil.num_vgpr, 129
	.set _ZN9rocsolver6v33100L18trti2_kernel_smallILi43E19rocblas_complex_numIfEPKPS3_EEv13rocblas_fill_17rocblas_diagonal_T1_iil.num_agpr, 0
	.set _ZN9rocsolver6v33100L18trti2_kernel_smallILi43E19rocblas_complex_numIfEPKPS3_EEv13rocblas_fill_17rocblas_diagonal_T1_iil.numbered_sgpr, 49
	.set _ZN9rocsolver6v33100L18trti2_kernel_smallILi43E19rocblas_complex_numIfEPKPS3_EEv13rocblas_fill_17rocblas_diagonal_T1_iil.num_named_barrier, 0
	.set _ZN9rocsolver6v33100L18trti2_kernel_smallILi43E19rocblas_complex_numIfEPKPS3_EEv13rocblas_fill_17rocblas_diagonal_T1_iil.private_seg_size, 352
	.set _ZN9rocsolver6v33100L18trti2_kernel_smallILi43E19rocblas_complex_numIfEPKPS3_EEv13rocblas_fill_17rocblas_diagonal_T1_iil.uses_vcc, 1
	.set _ZN9rocsolver6v33100L18trti2_kernel_smallILi43E19rocblas_complex_numIfEPKPS3_EEv13rocblas_fill_17rocblas_diagonal_T1_iil.uses_flat_scratch, 0
	.set _ZN9rocsolver6v33100L18trti2_kernel_smallILi43E19rocblas_complex_numIfEPKPS3_EEv13rocblas_fill_17rocblas_diagonal_T1_iil.has_dyn_sized_stack, 0
	.set _ZN9rocsolver6v33100L18trti2_kernel_smallILi43E19rocblas_complex_numIfEPKPS3_EEv13rocblas_fill_17rocblas_diagonal_T1_iil.has_recursion, 0
	.set _ZN9rocsolver6v33100L18trti2_kernel_smallILi43E19rocblas_complex_numIfEPKPS3_EEv13rocblas_fill_17rocblas_diagonal_T1_iil.has_indirect_call, 0
	.section	.AMDGPU.csdata,"",@progbits
; Kernel info:
; codeLenInByte = 33168
; TotalNumSgprs: 51
; NumVgprs: 129
; ScratchSize: 352
; MemoryBound: 0
; FloatMode: 240
; IeeeMode: 1
; LDSByteSize: 696 bytes/workgroup (compile time only)
; SGPRBlocks: 0
; VGPRBlocks: 8
; NumSGPRsForWavesPerEU: 51
; NumVGPRsForWavesPerEU: 129
; NamedBarCnt: 0
; Occupancy: 7
; WaveLimiterHint : 1
; COMPUTE_PGM_RSRC2:SCRATCH_EN: 1
; COMPUTE_PGM_RSRC2:USER_SGPR: 2
; COMPUTE_PGM_RSRC2:TRAP_HANDLER: 0
; COMPUTE_PGM_RSRC2:TGID_X_EN: 1
; COMPUTE_PGM_RSRC2:TGID_Y_EN: 0
; COMPUTE_PGM_RSRC2:TGID_Z_EN: 0
; COMPUTE_PGM_RSRC2:TIDIG_COMP_CNT: 0
	.section	.text._ZN9rocsolver6v33100L18trti2_kernel_smallILi44E19rocblas_complex_numIfEPKPS3_EEv13rocblas_fill_17rocblas_diagonal_T1_iil,"axG",@progbits,_ZN9rocsolver6v33100L18trti2_kernel_smallILi44E19rocblas_complex_numIfEPKPS3_EEv13rocblas_fill_17rocblas_diagonal_T1_iil,comdat
	.globl	_ZN9rocsolver6v33100L18trti2_kernel_smallILi44E19rocblas_complex_numIfEPKPS3_EEv13rocblas_fill_17rocblas_diagonal_T1_iil ; -- Begin function _ZN9rocsolver6v33100L18trti2_kernel_smallILi44E19rocblas_complex_numIfEPKPS3_EEv13rocblas_fill_17rocblas_diagonal_T1_iil
	.p2align	8
	.type	_ZN9rocsolver6v33100L18trti2_kernel_smallILi44E19rocblas_complex_numIfEPKPS3_EEv13rocblas_fill_17rocblas_diagonal_T1_iil,@function
_ZN9rocsolver6v33100L18trti2_kernel_smallILi44E19rocblas_complex_numIfEPKPS3_EEv13rocblas_fill_17rocblas_diagonal_T1_iil: ; @_ZN9rocsolver6v33100L18trti2_kernel_smallILi44E19rocblas_complex_numIfEPKPS3_EEv13rocblas_fill_17rocblas_diagonal_T1_iil
; %bb.0:
	s_mov_b32 s2, exec_lo
	v_cmpx_gt_u32_e32 44, v0
	s_cbranch_execz .LBB107_864
; %bb.1:
	s_clause 0x1
	s_load_b64 s[2:3], s[0:1], 0x10
	s_load_b128 s[4:7], s[0:1], 0x0
	s_wait_xcnt 0x0
	s_bfe_u32 s0, ttmp6, 0x4000c
	s_and_b32 s1, ttmp6, 15
	s_add_co_i32 s0, s0, 1
	s_getreg_b32 s8, hwreg(HW_REG_IB_STS2, 6, 4)
	s_mul_i32 s0, ttmp9, s0
	v_dual_mov_b32 v59, 0 :: v_dual_lshlrev_b32 v58, 3, v0
	s_add_co_i32 s0, s1, s0
	s_wait_kmcnt 0x0
	s_ashr_i32 s1, s2, 31
	s_cmp_eq_u32 s8, 0
	s_cselect_b32 s8, ttmp9, s0
	s_mov_b32 s0, s2
	s_ashr_i32 s9, s8, 31
	s_lshl_b64 s[0:1], s[0:1], 3
	s_lshl_b64 s[8:9], s[8:9], 3
	s_delay_alu instid0(SALU_CYCLE_1)
	s_add_nc_u64 s[6:7], s[6:7], s[8:9]
	s_load_b64 s[6:7], s[6:7], 0x0
	s_wait_kmcnt 0x0
	s_add_nc_u64 s[6:7], s[6:7], s[0:1]
	s_mov_b32 s0, s3
	flat_load_b64 v[6:7], v0, s[6:7] scale_offset
	v_add_nc_u64_e32 v[2:3], s[6:7], v[58:59]
	s_ashr_i32 s1, s3, 31
	s_cmp_lg_u32 s5, 0x84
	s_delay_alu instid0(VALU_DEP_1)
	v_lshl_add_u64 v[4:5], s[0:1], 3, v[2:3]
	s_mov_b32 s0, -1
	s_wait_loadcnt_dscnt 0x0
	scratch_store_b64 off, v[6:7], off
	flat_load_b64 v[8:9], v[4:5]
	s_wait_xcnt 0x1
	v_add3_u32 v6, s3, s3, v0
	s_wait_loadcnt_dscnt 0x0
	scratch_store_b64 off, v[8:9], off offset:8
	flat_load_b64 v[10:11], v6, s[6:7] scale_offset
	s_wait_xcnt 0x1
	v_add_nc_u32_e32 v8, s3, v6
	s_wait_loadcnt_dscnt 0x0
	scratch_store_b64 off, v[10:11], off offset:16
	flat_load_b64 v[12:13], v8, s[6:7] scale_offset
	s_wait_xcnt 0x1
	v_add_nc_u32_e32 v10, s3, v8
	;; [unrolled: 5-line block ×41, first 2 shown]
	s_cselect_b32 s3, -1, 0
	s_delay_alu instid0(SALU_CYCLE_1)
	s_and_b32 vcc_lo, exec_lo, s3
	s_wait_loadcnt_dscnt 0x0
	scratch_store_b64 off, v[92:93], off offset:336
	flat_load_b64 v[92:93], v90, s[6:7] scale_offset
	s_wait_loadcnt_dscnt 0x0
	scratch_store_b64 off, v[92:93], off offset:344
	s_cbranch_vccz .LBB107_7
; %bb.2:
	scratch_load_b64 v[92:93], v0, off scale_offset
                                        ; implicit-def: $vgpr97
                                        ; implicit-def: $vgpr94
	s_wait_loadcnt 0x0
	v_cmp_ngt_f32_e64 s0, |v92|, |v93|
	s_wait_xcnt 0x0
	s_and_saveexec_b32 s1, s0
	s_delay_alu instid0(SALU_CYCLE_1)
	s_xor_b32 s0, exec_lo, s1
	s_cbranch_execz .LBB107_4
; %bb.3:
	v_div_scale_f32 v1, null, v93, v93, v92
	v_div_scale_f32 v11, vcc_lo, v92, v93, v92
	s_delay_alu instid0(VALU_DEP_2) | instskip(SKIP_1) | instid1(TRANS32_DEP_1)
	v_rcp_f32_e32 v7, v1
	v_nop
	v_fma_f32 v9, -v1, v7, 1.0
	s_delay_alu instid0(VALU_DEP_1) | instskip(NEXT) | instid1(VALU_DEP_1)
	v_fmac_f32_e32 v7, v9, v7
	v_mul_f32_e32 v9, v11, v7
	s_delay_alu instid0(VALU_DEP_1) | instskip(NEXT) | instid1(VALU_DEP_1)
	v_fma_f32 v13, -v1, v9, v11
	v_fmac_f32_e32 v9, v13, v7
	s_delay_alu instid0(VALU_DEP_1) | instskip(NEXT) | instid1(VALU_DEP_1)
	v_fma_f32 v1, -v1, v9, v11
	v_div_fmas_f32 v1, v1, v7, v9
	s_delay_alu instid0(VALU_DEP_1) | instskip(NEXT) | instid1(VALU_DEP_1)
	v_div_fixup_f32 v1, v1, v93, v92
	v_fmac_f32_e32 v93, v92, v1
	s_delay_alu instid0(VALU_DEP_1) | instskip(NEXT) | instid1(VALU_DEP_1)
	v_div_scale_f32 v7, null, v93, v93, -1.0
	v_rcp_f32_e32 v9, v7
	v_nop
	s_delay_alu instid0(TRANS32_DEP_1) | instskip(NEXT) | instid1(VALU_DEP_1)
	v_fma_f32 v11, -v7, v9, 1.0
	v_fmac_f32_e32 v9, v11, v9
	v_div_scale_f32 v11, vcc_lo, -1.0, v93, -1.0
	s_delay_alu instid0(VALU_DEP_1) | instskip(NEXT) | instid1(VALU_DEP_1)
	v_mul_f32_e32 v13, v11, v9
	v_fma_f32 v15, -v7, v13, v11
	s_delay_alu instid0(VALU_DEP_1) | instskip(NEXT) | instid1(VALU_DEP_1)
	v_fmac_f32_e32 v13, v15, v9
	v_fma_f32 v7, -v7, v13, v11
	s_delay_alu instid0(VALU_DEP_1) | instskip(NEXT) | instid1(VALU_DEP_1)
	v_div_fmas_f32 v7, v7, v9, v13
	v_div_fixup_f32 v97, v7, v93, -1.0
                                        ; implicit-def: $vgpr92_vgpr93
	s_delay_alu instid0(VALU_DEP_1) | instskip(NEXT) | instid1(VALU_DEP_1)
	v_mul_f32_e32 v94, v1, v97
	v_xor_b32_e32 v96, 0x80000000, v94
.LBB107_4:
	s_or_saveexec_b32 s0, s0
	v_lshl_add_u32 v1, v0, 3, 0
	s_xor_b32 exec_lo, exec_lo, s0
	s_cbranch_execz .LBB107_6
; %bb.5:
	v_div_scale_f32 v7, null, v92, v92, v93
	v_div_scale_f32 v13, vcc_lo, v93, v92, v93
	s_delay_alu instid0(VALU_DEP_2) | instskip(SKIP_1) | instid1(TRANS32_DEP_1)
	v_rcp_f32_e32 v9, v7
	v_nop
	v_fma_f32 v11, -v7, v9, 1.0
	s_delay_alu instid0(VALU_DEP_1) | instskip(NEXT) | instid1(VALU_DEP_1)
	v_fmac_f32_e32 v9, v11, v9
	v_mul_f32_e32 v11, v13, v9
	s_delay_alu instid0(VALU_DEP_1) | instskip(NEXT) | instid1(VALU_DEP_1)
	v_fma_f32 v15, -v7, v11, v13
	v_fmac_f32_e32 v11, v15, v9
	s_delay_alu instid0(VALU_DEP_1) | instskip(NEXT) | instid1(VALU_DEP_1)
	v_fma_f32 v7, -v7, v11, v13
	v_div_fmas_f32 v7, v7, v9, v11
	s_delay_alu instid0(VALU_DEP_1) | instskip(NEXT) | instid1(VALU_DEP_1)
	v_div_fixup_f32 v7, v7, v92, v93
	v_fmac_f32_e32 v92, v93, v7
	s_delay_alu instid0(VALU_DEP_1) | instskip(SKIP_1) | instid1(VALU_DEP_2)
	v_div_scale_f32 v9, null, v92, v92, 1.0
	v_div_scale_f32 v15, vcc_lo, 1.0, v92, 1.0
	v_rcp_f32_e32 v11, v9
	v_nop
	s_delay_alu instid0(TRANS32_DEP_1) | instskip(NEXT) | instid1(VALU_DEP_1)
	v_fma_f32 v13, -v9, v11, 1.0
	v_fmac_f32_e32 v11, v13, v11
	s_delay_alu instid0(VALU_DEP_1) | instskip(NEXT) | instid1(VALU_DEP_1)
	v_mul_f32_e32 v13, v15, v11
	v_fma_f32 v17, -v9, v13, v15
	s_delay_alu instid0(VALU_DEP_1) | instskip(NEXT) | instid1(VALU_DEP_1)
	v_fmac_f32_e32 v13, v17, v11
	v_fma_f32 v9, -v9, v13, v15
	s_delay_alu instid0(VALU_DEP_1) | instskip(NEXT) | instid1(VALU_DEP_1)
	v_div_fmas_f32 v9, v9, v11, v13
	v_div_fixup_f32 v96, v9, v92, 1.0
	s_delay_alu instid0(VALU_DEP_1)
	v_xor_b32_e32 v94, 0x80000000, v96
	v_mul_f32_e64 v97, v7, -v96
.LBB107_6:
	s_or_b32 exec_lo, exec_lo, s0
	s_delay_alu instid0(VALU_DEP_1)
	v_xor_b32_e32 v95, 0x80000000, v97
	s_mov_b32 s0, 0
	scratch_store_b64 v1, v[96:97], off
	ds_store_b64 v58, v[94:95]
.LBB107_7:
	s_and_b32 vcc_lo, exec_lo, s0
	s_cbranch_vccz .LBB107_9
; %bb.8:
	s_mov_b64 s[0:1], 0xbf800000
	s_wait_xcnt 0x0
	v_mov_b64_e32 v[92:93], s[0:1]
	ds_store_b64 v58, v[92:93]
.LBB107_9:
	v_dual_ashrrev_i32 v7, 31, v6 :: v_dual_ashrrev_i32 v9, 31, v8
	v_dual_ashrrev_i32 v11, 31, v10 :: v_dual_ashrrev_i32 v13, 31, v12
	;; [unrolled: 1-line block ×21, first 2 shown]
	s_wait_xcnt 0x0
	v_add_nc_u32_e32 v1, 0x160, v58
	v_mov_b32_e32 v59, v58
	s_cmp_eq_u32 s4, 0x79
	s_cbranch_scc1 .LBB107_13
; %bb.10:
	scratch_load_b64 v[92:93], off, off offset:336
	v_cmp_eq_u32_e64 s0, 43, v0
	s_movk_i32 s1, 0x48
	s_movk_i32 s14, 0x50
	;; [unrolled: 1-line block ×33, first 2 shown]
	s_wait_loadcnt 0x0
	ds_store_b64 v1, v[92:93]
	s_wait_storecnt_dscnt 0x0
	s_barrier_signal -1
	s_barrier_wait -1
	s_wait_xcnt 0x0
	s_and_saveexec_b32 s2, s0
	s_cbranch_execz .LBB107_17
; %bb.11:
	s_and_b32 vcc_lo, exec_lo, s3
	s_cbranch_vccz .LBB107_14
; %bb.12:
	scratch_load_b64 v[92:93], v59, off
	ds_load_b64 v[94:95], v1
	s_wait_loadcnt_dscnt 0x0
	v_pk_mul_f32 v[96:97], v[94:95], v[92:93] op_sel:[1,1] op_sel_hi:[0,1]
	v_pk_mul_f32 v[98:99], v[94:95], v[92:93] op_sel_hi:[1,0]
	s_delay_alu instid0(VALU_DEP_2) | instskip(NEXT) | instid1(VALU_DEP_2)
	v_pk_fma_f32 v[92:93], v[94:95], v[92:93], v[96:97] op_sel_hi:[1,0,1]
	v_sub_f32_e32 v92, v98, v96
	s_cbranch_execz .LBB107_15
	s_branch .LBB107_16
.LBB107_13:
	s_mov_b32 s1, 0
                                        ; implicit-def: $vgpr130
                                        ; implicit-def: $sgpr5
	s_cbranch_execnz .LBB107_436
	s_branch .LBB107_861
.LBB107_14:
                                        ; implicit-def: $vgpr93
.LBB107_15:
	ds_load_b64 v[92:93], v1
.LBB107_16:
	s_wait_dscnt 0x0
	v_dual_mov_b32 v94, 0 :: v_dual_mov_b32 v96, v93
	v_mov_b32_e32 v97, v92
	ds_load_b64 v[94:95], v94 offset:336
	s_wait_dscnt 0x0
	v_pk_mul_f32 v[96:97], v[96:97], v[94:95] op_sel:[0,1]
	s_delay_alu instid0(VALU_DEP_1) | instskip(SKIP_1) | instid1(VALU_DEP_2)
	v_pk_fma_f32 v[98:99], v[92:93], v[94:95], v[96:97] op_sel_hi:[1,0,1]
	v_pk_fma_f32 v[92:93], v[92:93], v[94:95], v[96:97] neg_lo:[0,0,1] neg_hi:[0,0,1]
	v_mov_b32_e32 v93, v99
	scratch_store_b64 off, v[92:93], off offset:336
.LBB107_17:
	s_wait_xcnt 0x0
	s_or_b32 exec_lo, exec_lo, s2
	scratch_load_b64 v[92:93], off, off offset:328
	s_mov_b32 s13, s1
	v_cmp_lt_u32_e64 s1, 41, v0
	s_or_b32 s4, 0, 8
	s_mov_b32 s5, 16
	s_mov_b32 s8, 24
	s_mov_b32 s2, 32
	s_mov_b32 s9, 40
	s_mov_b32 s10, 48
	s_mov_b32 s11, 56
	s_mov_b32 s12, 64
	s_wait_loadcnt 0x0
	ds_store_b64 v1, v[92:93]
	s_wait_storecnt_dscnt 0x0
	s_barrier_signal -1
	s_barrier_wait -1
	s_wait_xcnt 0x0
	s_and_saveexec_b32 s47, s1
	s_cbranch_execz .LBB107_25
; %bb.18:
	s_and_not1_b32 vcc_lo, exec_lo, s3
	s_cbranch_vccnz .LBB107_20
; %bb.19:
	scratch_load_b64 v[92:93], v59, off
	ds_load_b64 v[94:95], v1
	s_wait_loadcnt_dscnt 0x0
	v_pk_mul_f32 v[96:97], v[94:95], v[92:93] op_sel:[1,1] op_sel_hi:[0,1]
	s_delay_alu instid0(VALU_DEP_1) | instskip(SKIP_1) | instid1(VALU_DEP_2)
	v_pk_fma_f32 v[98:99], v[94:95], v[92:93], v[96:97] op_sel_hi:[1,0,1]
	v_pk_fma_f32 v[92:93], v[94:95], v[92:93], v[96:97] neg_lo:[0,0,1] neg_hi:[0,0,1]
	v_mov_b32_e32 v93, v99
	s_cbranch_execz .LBB107_21
	s_branch .LBB107_22
.LBB107_20:
                                        ; implicit-def: $vgpr92_vgpr93
.LBB107_21:
	ds_load_b64 v[92:93], v1
.LBB107_22:
	s_and_saveexec_b32 s48, s0
	s_cbranch_execz .LBB107_24
; %bb.23:
	scratch_load_b64 v[94:95], off, off offset:336
	v_mov_b32_e32 v96, 0
	ds_load_b64 v[96:97], v96 offset:688
	s_wait_loadcnt_dscnt 0x0
	v_pk_mul_f32 v[98:99], v[96:97], v[94:95] op_sel:[1,1] op_sel_hi:[0,1]
	s_delay_alu instid0(VALU_DEP_1) | instskip(SKIP_1) | instid1(VALU_DEP_2)
	v_pk_fma_f32 v[100:101], v[96:97], v[94:95], v[98:99] op_sel_hi:[1,0,1]
	v_pk_fma_f32 v[94:95], v[96:97], v[94:95], v[98:99] neg_lo:[0,0,1] neg_hi:[0,0,1]
	v_mov_b32_e32 v95, v101
	s_delay_alu instid0(VALU_DEP_1)
	v_pk_add_f32 v[92:93], v[92:93], v[94:95]
.LBB107_24:
	s_or_b32 exec_lo, exec_lo, s48
	v_mov_b32_e32 v94, 0
	ds_load_b64 v[94:95], v94 offset:328
	s_wait_dscnt 0x0
	v_pk_mul_f32 v[96:97], v[92:93], v[94:95] op_sel:[1,1] op_sel_hi:[0,1]
	s_delay_alu instid0(VALU_DEP_1) | instskip(SKIP_1) | instid1(VALU_DEP_2)
	v_pk_fma_f32 v[98:99], v[92:93], v[94:95], v[96:97] op_sel_hi:[1,0,1]
	v_pk_fma_f32 v[92:93], v[92:93], v[94:95], v[96:97] neg_lo:[0,0,1] neg_hi:[0,0,1]
	v_mov_b32_e32 v93, v99
	scratch_store_b64 off, v[92:93], off offset:328
.LBB107_25:
	s_wait_xcnt 0x0
	s_or_b32 exec_lo, exec_lo, s47
	scratch_load_b64 v[92:93], off, off offset:320
	v_cmp_lt_u32_e64 s0, 40, v0
	s_wait_loadcnt 0x0
	ds_store_b64 v1, v[92:93]
	s_wait_storecnt_dscnt 0x0
	s_barrier_signal -1
	s_barrier_wait -1
	s_wait_xcnt 0x0
	s_and_saveexec_b32 s47, s0
	s_cbranch_execz .LBB107_35
; %bb.26:
	s_and_not1_b32 vcc_lo, exec_lo, s3
	s_cbranch_vccnz .LBB107_28
; %bb.27:
	scratch_load_b64 v[92:93], v59, off
	ds_load_b64 v[94:95], v1
	s_wait_loadcnt_dscnt 0x0
	v_pk_mul_f32 v[96:97], v[94:95], v[92:93] op_sel:[1,1] op_sel_hi:[0,1]
	s_delay_alu instid0(VALU_DEP_1) | instskip(SKIP_1) | instid1(VALU_DEP_2)
	v_pk_fma_f32 v[98:99], v[94:95], v[92:93], v[96:97] op_sel_hi:[1,0,1]
	v_pk_fma_f32 v[92:93], v[94:95], v[92:93], v[96:97] neg_lo:[0,0,1] neg_hi:[0,0,1]
	v_mov_b32_e32 v93, v99
	s_cbranch_execz .LBB107_29
	s_branch .LBB107_30
.LBB107_28:
                                        ; implicit-def: $vgpr92_vgpr93
.LBB107_29:
	ds_load_b64 v[92:93], v1
.LBB107_30:
	s_and_saveexec_b32 s48, s1
	s_cbranch_execz .LBB107_34
; %bb.31:
	v_subrev_nc_u32_e32 v94, 41, v0
	s_movk_i32 s49, 0x2a8
	s_mov_b32 s1, 0
.LBB107_32:                             ; =>This Inner Loop Header: Depth=1
	scratch_load_b64 v[96:97], off, s46
	v_dual_mov_b32 v95, s49 :: v_dual_add_nc_u32 v94, -1, v94
	s_add_co_i32 s49, s49, 8
	s_wait_xcnt 0x0
	s_add_co_i32 s46, s46, 8
	ds_load_b64 v[98:99], v95
	v_cmp_eq_u32_e32 vcc_lo, 0, v94
	s_or_b32 s1, vcc_lo, s1
	s_wait_loadcnt_dscnt 0x0
	v_pk_mul_f32 v[100:101], v[98:99], v[96:97] op_sel:[1,1] op_sel_hi:[0,1]
	s_delay_alu instid0(VALU_DEP_1) | instskip(SKIP_1) | instid1(VALU_DEP_2)
	v_pk_fma_f32 v[102:103], v[98:99], v[96:97], v[100:101] op_sel_hi:[1,0,1]
	v_pk_fma_f32 v[96:97], v[98:99], v[96:97], v[100:101] neg_lo:[0,0,1] neg_hi:[0,0,1]
	v_mov_b32_e32 v97, v103
	s_delay_alu instid0(VALU_DEP_1)
	v_pk_add_f32 v[92:93], v[92:93], v[96:97]
	s_and_not1_b32 exec_lo, exec_lo, s1
	s_cbranch_execnz .LBB107_32
; %bb.33:
	s_or_b32 exec_lo, exec_lo, s1
.LBB107_34:
	s_delay_alu instid0(SALU_CYCLE_1) | instskip(SKIP_4) | instid1(VALU_DEP_1)
	s_or_b32 exec_lo, exec_lo, s48
	v_mov_b32_e32 v94, 0
	ds_load_b64 v[94:95], v94 offset:320
	s_wait_dscnt 0x0
	v_pk_mul_f32 v[96:97], v[92:93], v[94:95] op_sel:[1,1] op_sel_hi:[0,1]
	v_pk_fma_f32 v[98:99], v[92:93], v[94:95], v[96:97] op_sel_hi:[1,0,1]
	v_pk_fma_f32 v[92:93], v[92:93], v[94:95], v[96:97] neg_lo:[0,0,1] neg_hi:[0,0,1]
	s_delay_alu instid0(VALU_DEP_2)
	v_mov_b32_e32 v93, v99
	scratch_store_b64 off, v[92:93], off offset:320
.LBB107_35:
	s_wait_xcnt 0x0
	s_or_b32 exec_lo, exec_lo, s47
	scratch_load_b64 v[92:93], off, off offset:312
	v_cmp_lt_u32_e64 s1, 39, v0
	s_wait_loadcnt 0x0
	ds_store_b64 v1, v[92:93]
	s_wait_storecnt_dscnt 0x0
	s_barrier_signal -1
	s_barrier_wait -1
	s_wait_xcnt 0x0
	s_and_saveexec_b32 s46, s1
	s_cbranch_execz .LBB107_45
; %bb.36:
	s_and_not1_b32 vcc_lo, exec_lo, s3
	s_cbranch_vccnz .LBB107_38
; %bb.37:
	scratch_load_b64 v[92:93], v59, off
	ds_load_b64 v[94:95], v1
	s_wait_loadcnt_dscnt 0x0
	v_pk_mul_f32 v[96:97], v[94:95], v[92:93] op_sel:[1,1] op_sel_hi:[0,1]
	s_delay_alu instid0(VALU_DEP_1) | instskip(SKIP_1) | instid1(VALU_DEP_2)
	v_pk_fma_f32 v[98:99], v[94:95], v[92:93], v[96:97] op_sel_hi:[1,0,1]
	v_pk_fma_f32 v[92:93], v[94:95], v[92:93], v[96:97] neg_lo:[0,0,1] neg_hi:[0,0,1]
	v_mov_b32_e32 v93, v99
	s_cbranch_execz .LBB107_39
	s_branch .LBB107_40
.LBB107_38:
                                        ; implicit-def: $vgpr92_vgpr93
.LBB107_39:
	ds_load_b64 v[92:93], v1
.LBB107_40:
	s_and_saveexec_b32 s47, s0
	s_cbranch_execz .LBB107_44
; %bb.41:
	v_subrev_nc_u32_e32 v94, 40, v0
	s_movk_i32 s48, 0x2a0
	s_mov_b32 s0, 0
.LBB107_42:                             ; =>This Inner Loop Header: Depth=1
	scratch_load_b64 v[96:97], off, s45
	v_dual_mov_b32 v95, s48 :: v_dual_add_nc_u32 v94, -1, v94
	s_add_co_i32 s48, s48, 8
	s_wait_xcnt 0x0
	s_add_co_i32 s45, s45, 8
	ds_load_b64 v[98:99], v95
	v_cmp_eq_u32_e32 vcc_lo, 0, v94
	s_or_b32 s0, vcc_lo, s0
	s_wait_loadcnt_dscnt 0x0
	v_pk_mul_f32 v[100:101], v[98:99], v[96:97] op_sel:[1,1] op_sel_hi:[0,1]
	s_delay_alu instid0(VALU_DEP_1) | instskip(SKIP_1) | instid1(VALU_DEP_2)
	v_pk_fma_f32 v[102:103], v[98:99], v[96:97], v[100:101] op_sel_hi:[1,0,1]
	v_pk_fma_f32 v[96:97], v[98:99], v[96:97], v[100:101] neg_lo:[0,0,1] neg_hi:[0,0,1]
	v_mov_b32_e32 v97, v103
	s_delay_alu instid0(VALU_DEP_1)
	v_pk_add_f32 v[92:93], v[92:93], v[96:97]
	s_and_not1_b32 exec_lo, exec_lo, s0
	s_cbranch_execnz .LBB107_42
; %bb.43:
	s_or_b32 exec_lo, exec_lo, s0
.LBB107_44:
	s_delay_alu instid0(SALU_CYCLE_1) | instskip(SKIP_4) | instid1(VALU_DEP_1)
	s_or_b32 exec_lo, exec_lo, s47
	v_mov_b32_e32 v94, 0
	ds_load_b64 v[94:95], v94 offset:312
	s_wait_dscnt 0x0
	v_pk_mul_f32 v[96:97], v[92:93], v[94:95] op_sel:[1,1] op_sel_hi:[0,1]
	v_pk_fma_f32 v[98:99], v[92:93], v[94:95], v[96:97] op_sel_hi:[1,0,1]
	v_pk_fma_f32 v[92:93], v[92:93], v[94:95], v[96:97] neg_lo:[0,0,1] neg_hi:[0,0,1]
	s_delay_alu instid0(VALU_DEP_2)
	v_mov_b32_e32 v93, v99
	scratch_store_b64 off, v[92:93], off offset:312
.LBB107_45:
	s_wait_xcnt 0x0
	s_or_b32 exec_lo, exec_lo, s46
	scratch_load_b64 v[92:93], off, off offset:304
	v_cmp_lt_u32_e64 s0, 38, v0
	s_wait_loadcnt 0x0
	ds_store_b64 v1, v[92:93]
	s_wait_storecnt_dscnt 0x0
	s_barrier_signal -1
	s_barrier_wait -1
	s_wait_xcnt 0x0
	s_and_saveexec_b32 s45, s0
	s_cbranch_execz .LBB107_55
; %bb.46:
	s_and_not1_b32 vcc_lo, exec_lo, s3
	s_cbranch_vccnz .LBB107_48
; %bb.47:
	scratch_load_b64 v[92:93], v59, off
	ds_load_b64 v[94:95], v1
	s_wait_loadcnt_dscnt 0x0
	v_pk_mul_f32 v[96:97], v[94:95], v[92:93] op_sel:[1,1] op_sel_hi:[0,1]
	s_delay_alu instid0(VALU_DEP_1) | instskip(SKIP_1) | instid1(VALU_DEP_2)
	v_pk_fma_f32 v[98:99], v[94:95], v[92:93], v[96:97] op_sel_hi:[1,0,1]
	v_pk_fma_f32 v[92:93], v[94:95], v[92:93], v[96:97] neg_lo:[0,0,1] neg_hi:[0,0,1]
	v_mov_b32_e32 v93, v99
	s_cbranch_execz .LBB107_49
	s_branch .LBB107_50
.LBB107_48:
                                        ; implicit-def: $vgpr92_vgpr93
.LBB107_49:
	ds_load_b64 v[92:93], v1
.LBB107_50:
	s_and_saveexec_b32 s46, s1
	s_cbranch_execz .LBB107_54
; %bb.51:
	v_subrev_nc_u32_e32 v94, 39, v0
	s_movk_i32 s47, 0x298
	s_mov_b32 s1, 0
.LBB107_52:                             ; =>This Inner Loop Header: Depth=1
	scratch_load_b64 v[96:97], off, s44
	v_dual_mov_b32 v95, s47 :: v_dual_add_nc_u32 v94, -1, v94
	s_add_co_i32 s47, s47, 8
	s_wait_xcnt 0x0
	s_add_co_i32 s44, s44, 8
	ds_load_b64 v[98:99], v95
	v_cmp_eq_u32_e32 vcc_lo, 0, v94
	s_or_b32 s1, vcc_lo, s1
	s_wait_loadcnt_dscnt 0x0
	v_pk_mul_f32 v[100:101], v[98:99], v[96:97] op_sel:[1,1] op_sel_hi:[0,1]
	s_delay_alu instid0(VALU_DEP_1) | instskip(SKIP_1) | instid1(VALU_DEP_2)
	v_pk_fma_f32 v[102:103], v[98:99], v[96:97], v[100:101] op_sel_hi:[1,0,1]
	v_pk_fma_f32 v[96:97], v[98:99], v[96:97], v[100:101] neg_lo:[0,0,1] neg_hi:[0,0,1]
	v_mov_b32_e32 v97, v103
	s_delay_alu instid0(VALU_DEP_1)
	v_pk_add_f32 v[92:93], v[92:93], v[96:97]
	s_and_not1_b32 exec_lo, exec_lo, s1
	s_cbranch_execnz .LBB107_52
; %bb.53:
	s_or_b32 exec_lo, exec_lo, s1
.LBB107_54:
	s_delay_alu instid0(SALU_CYCLE_1) | instskip(SKIP_4) | instid1(VALU_DEP_1)
	s_or_b32 exec_lo, exec_lo, s46
	v_mov_b32_e32 v94, 0
	ds_load_b64 v[94:95], v94 offset:304
	s_wait_dscnt 0x0
	v_pk_mul_f32 v[96:97], v[92:93], v[94:95] op_sel:[1,1] op_sel_hi:[0,1]
	v_pk_fma_f32 v[98:99], v[92:93], v[94:95], v[96:97] op_sel_hi:[1,0,1]
	v_pk_fma_f32 v[92:93], v[92:93], v[94:95], v[96:97] neg_lo:[0,0,1] neg_hi:[0,0,1]
	s_delay_alu instid0(VALU_DEP_2)
	v_mov_b32_e32 v93, v99
	scratch_store_b64 off, v[92:93], off offset:304
.LBB107_55:
	s_wait_xcnt 0x0
	s_or_b32 exec_lo, exec_lo, s45
	scratch_load_b64 v[92:93], off, off offset:296
	v_cmp_lt_u32_e64 s1, 37, v0
	s_wait_loadcnt 0x0
	ds_store_b64 v1, v[92:93]
	s_wait_storecnt_dscnt 0x0
	s_barrier_signal -1
	s_barrier_wait -1
	s_wait_xcnt 0x0
	s_and_saveexec_b32 s44, s1
	s_cbranch_execz .LBB107_65
; %bb.56:
	s_and_not1_b32 vcc_lo, exec_lo, s3
	s_cbranch_vccnz .LBB107_58
; %bb.57:
	scratch_load_b64 v[92:93], v59, off
	ds_load_b64 v[94:95], v1
	s_wait_loadcnt_dscnt 0x0
	v_pk_mul_f32 v[96:97], v[94:95], v[92:93] op_sel:[1,1] op_sel_hi:[0,1]
	s_delay_alu instid0(VALU_DEP_1) | instskip(SKIP_1) | instid1(VALU_DEP_2)
	v_pk_fma_f32 v[98:99], v[94:95], v[92:93], v[96:97] op_sel_hi:[1,0,1]
	v_pk_fma_f32 v[92:93], v[94:95], v[92:93], v[96:97] neg_lo:[0,0,1] neg_hi:[0,0,1]
	v_mov_b32_e32 v93, v99
	s_cbranch_execz .LBB107_59
	s_branch .LBB107_60
.LBB107_58:
                                        ; implicit-def: $vgpr92_vgpr93
.LBB107_59:
	ds_load_b64 v[92:93], v1
.LBB107_60:
	s_and_saveexec_b32 s45, s0
	s_cbranch_execz .LBB107_64
; %bb.61:
	v_subrev_nc_u32_e32 v94, 38, v0
	s_movk_i32 s46, 0x290
	s_mov_b32 s0, 0
.LBB107_62:                             ; =>This Inner Loop Header: Depth=1
	scratch_load_b64 v[96:97], off, s43
	v_dual_mov_b32 v95, s46 :: v_dual_add_nc_u32 v94, -1, v94
	s_add_co_i32 s46, s46, 8
	s_wait_xcnt 0x0
	s_add_co_i32 s43, s43, 8
	ds_load_b64 v[98:99], v95
	v_cmp_eq_u32_e32 vcc_lo, 0, v94
	s_or_b32 s0, vcc_lo, s0
	s_wait_loadcnt_dscnt 0x0
	v_pk_mul_f32 v[100:101], v[98:99], v[96:97] op_sel:[1,1] op_sel_hi:[0,1]
	s_delay_alu instid0(VALU_DEP_1) | instskip(SKIP_1) | instid1(VALU_DEP_2)
	v_pk_fma_f32 v[102:103], v[98:99], v[96:97], v[100:101] op_sel_hi:[1,0,1]
	v_pk_fma_f32 v[96:97], v[98:99], v[96:97], v[100:101] neg_lo:[0,0,1] neg_hi:[0,0,1]
	v_mov_b32_e32 v97, v103
	s_delay_alu instid0(VALU_DEP_1)
	v_pk_add_f32 v[92:93], v[92:93], v[96:97]
	s_and_not1_b32 exec_lo, exec_lo, s0
	s_cbranch_execnz .LBB107_62
; %bb.63:
	s_or_b32 exec_lo, exec_lo, s0
.LBB107_64:
	s_delay_alu instid0(SALU_CYCLE_1) | instskip(SKIP_4) | instid1(VALU_DEP_1)
	s_or_b32 exec_lo, exec_lo, s45
	v_mov_b32_e32 v94, 0
	ds_load_b64 v[94:95], v94 offset:296
	s_wait_dscnt 0x0
	v_pk_mul_f32 v[96:97], v[92:93], v[94:95] op_sel:[1,1] op_sel_hi:[0,1]
	v_pk_fma_f32 v[98:99], v[92:93], v[94:95], v[96:97] op_sel_hi:[1,0,1]
	v_pk_fma_f32 v[92:93], v[92:93], v[94:95], v[96:97] neg_lo:[0,0,1] neg_hi:[0,0,1]
	s_delay_alu instid0(VALU_DEP_2)
	v_mov_b32_e32 v93, v99
	scratch_store_b64 off, v[92:93], off offset:296
.LBB107_65:
	s_wait_xcnt 0x0
	s_or_b32 exec_lo, exec_lo, s44
	scratch_load_b64 v[92:93], off, off offset:288
	v_cmp_lt_u32_e64 s0, 36, v0
	s_wait_loadcnt 0x0
	ds_store_b64 v1, v[92:93]
	s_wait_storecnt_dscnt 0x0
	s_barrier_signal -1
	s_barrier_wait -1
	s_wait_xcnt 0x0
	s_and_saveexec_b32 s43, s0
	s_cbranch_execz .LBB107_75
; %bb.66:
	s_and_not1_b32 vcc_lo, exec_lo, s3
	s_cbranch_vccnz .LBB107_68
; %bb.67:
	scratch_load_b64 v[92:93], v59, off
	ds_load_b64 v[94:95], v1
	s_wait_loadcnt_dscnt 0x0
	v_pk_mul_f32 v[96:97], v[94:95], v[92:93] op_sel:[1,1] op_sel_hi:[0,1]
	s_delay_alu instid0(VALU_DEP_1) | instskip(SKIP_1) | instid1(VALU_DEP_2)
	v_pk_fma_f32 v[98:99], v[94:95], v[92:93], v[96:97] op_sel_hi:[1,0,1]
	v_pk_fma_f32 v[92:93], v[94:95], v[92:93], v[96:97] neg_lo:[0,0,1] neg_hi:[0,0,1]
	v_mov_b32_e32 v93, v99
	s_cbranch_execz .LBB107_69
	s_branch .LBB107_70
.LBB107_68:
                                        ; implicit-def: $vgpr92_vgpr93
.LBB107_69:
	ds_load_b64 v[92:93], v1
.LBB107_70:
	s_and_saveexec_b32 s44, s1
	s_cbranch_execz .LBB107_74
; %bb.71:
	v_subrev_nc_u32_e32 v94, 37, v0
	s_movk_i32 s45, 0x288
	s_mov_b32 s1, 0
.LBB107_72:                             ; =>This Inner Loop Header: Depth=1
	scratch_load_b64 v[96:97], off, s42
	v_dual_mov_b32 v95, s45 :: v_dual_add_nc_u32 v94, -1, v94
	s_add_co_i32 s45, s45, 8
	s_wait_xcnt 0x0
	s_add_co_i32 s42, s42, 8
	ds_load_b64 v[98:99], v95
	v_cmp_eq_u32_e32 vcc_lo, 0, v94
	s_or_b32 s1, vcc_lo, s1
	s_wait_loadcnt_dscnt 0x0
	v_pk_mul_f32 v[100:101], v[98:99], v[96:97] op_sel:[1,1] op_sel_hi:[0,1]
	s_delay_alu instid0(VALU_DEP_1) | instskip(SKIP_1) | instid1(VALU_DEP_2)
	v_pk_fma_f32 v[102:103], v[98:99], v[96:97], v[100:101] op_sel_hi:[1,0,1]
	v_pk_fma_f32 v[96:97], v[98:99], v[96:97], v[100:101] neg_lo:[0,0,1] neg_hi:[0,0,1]
	v_mov_b32_e32 v97, v103
	s_delay_alu instid0(VALU_DEP_1)
	v_pk_add_f32 v[92:93], v[92:93], v[96:97]
	s_and_not1_b32 exec_lo, exec_lo, s1
	s_cbranch_execnz .LBB107_72
; %bb.73:
	s_or_b32 exec_lo, exec_lo, s1
.LBB107_74:
	s_delay_alu instid0(SALU_CYCLE_1) | instskip(SKIP_4) | instid1(VALU_DEP_1)
	s_or_b32 exec_lo, exec_lo, s44
	v_mov_b32_e32 v94, 0
	ds_load_b64 v[94:95], v94 offset:288
	s_wait_dscnt 0x0
	v_pk_mul_f32 v[96:97], v[92:93], v[94:95] op_sel:[1,1] op_sel_hi:[0,1]
	v_pk_fma_f32 v[98:99], v[92:93], v[94:95], v[96:97] op_sel_hi:[1,0,1]
	v_pk_fma_f32 v[92:93], v[92:93], v[94:95], v[96:97] neg_lo:[0,0,1] neg_hi:[0,0,1]
	s_delay_alu instid0(VALU_DEP_2)
	v_mov_b32_e32 v93, v99
	scratch_store_b64 off, v[92:93], off offset:288
.LBB107_75:
	s_wait_xcnt 0x0
	s_or_b32 exec_lo, exec_lo, s43
	scratch_load_b64 v[92:93], off, off offset:280
	v_cmp_lt_u32_e64 s1, 35, v0
	s_wait_loadcnt 0x0
	ds_store_b64 v1, v[92:93]
	s_wait_storecnt_dscnt 0x0
	s_barrier_signal -1
	s_barrier_wait -1
	s_wait_xcnt 0x0
	s_and_saveexec_b32 s42, s1
	s_cbranch_execz .LBB107_85
; %bb.76:
	s_and_not1_b32 vcc_lo, exec_lo, s3
	s_cbranch_vccnz .LBB107_78
; %bb.77:
	scratch_load_b64 v[92:93], v59, off
	ds_load_b64 v[94:95], v1
	s_wait_loadcnt_dscnt 0x0
	v_pk_mul_f32 v[96:97], v[94:95], v[92:93] op_sel:[1,1] op_sel_hi:[0,1]
	s_delay_alu instid0(VALU_DEP_1) | instskip(SKIP_1) | instid1(VALU_DEP_2)
	v_pk_fma_f32 v[98:99], v[94:95], v[92:93], v[96:97] op_sel_hi:[1,0,1]
	v_pk_fma_f32 v[92:93], v[94:95], v[92:93], v[96:97] neg_lo:[0,0,1] neg_hi:[0,0,1]
	v_mov_b32_e32 v93, v99
	s_cbranch_execz .LBB107_79
	s_branch .LBB107_80
.LBB107_78:
                                        ; implicit-def: $vgpr92_vgpr93
.LBB107_79:
	ds_load_b64 v[92:93], v1
.LBB107_80:
	s_and_saveexec_b32 s43, s0
	s_cbranch_execz .LBB107_84
; %bb.81:
	v_subrev_nc_u32_e32 v94, 36, v0
	s_movk_i32 s44, 0x280
	s_mov_b32 s0, 0
.LBB107_82:                             ; =>This Inner Loop Header: Depth=1
	scratch_load_b64 v[96:97], off, s41
	v_dual_mov_b32 v95, s44 :: v_dual_add_nc_u32 v94, -1, v94
	s_add_co_i32 s44, s44, 8
	s_wait_xcnt 0x0
	s_add_co_i32 s41, s41, 8
	ds_load_b64 v[98:99], v95
	v_cmp_eq_u32_e32 vcc_lo, 0, v94
	s_or_b32 s0, vcc_lo, s0
	s_wait_loadcnt_dscnt 0x0
	v_pk_mul_f32 v[100:101], v[98:99], v[96:97] op_sel:[1,1] op_sel_hi:[0,1]
	s_delay_alu instid0(VALU_DEP_1) | instskip(SKIP_1) | instid1(VALU_DEP_2)
	v_pk_fma_f32 v[102:103], v[98:99], v[96:97], v[100:101] op_sel_hi:[1,0,1]
	v_pk_fma_f32 v[96:97], v[98:99], v[96:97], v[100:101] neg_lo:[0,0,1] neg_hi:[0,0,1]
	v_mov_b32_e32 v97, v103
	s_delay_alu instid0(VALU_DEP_1)
	v_pk_add_f32 v[92:93], v[92:93], v[96:97]
	s_and_not1_b32 exec_lo, exec_lo, s0
	s_cbranch_execnz .LBB107_82
; %bb.83:
	s_or_b32 exec_lo, exec_lo, s0
.LBB107_84:
	s_delay_alu instid0(SALU_CYCLE_1) | instskip(SKIP_4) | instid1(VALU_DEP_1)
	s_or_b32 exec_lo, exec_lo, s43
	v_mov_b32_e32 v94, 0
	ds_load_b64 v[94:95], v94 offset:280
	s_wait_dscnt 0x0
	v_pk_mul_f32 v[96:97], v[92:93], v[94:95] op_sel:[1,1] op_sel_hi:[0,1]
	v_pk_fma_f32 v[98:99], v[92:93], v[94:95], v[96:97] op_sel_hi:[1,0,1]
	v_pk_fma_f32 v[92:93], v[92:93], v[94:95], v[96:97] neg_lo:[0,0,1] neg_hi:[0,0,1]
	s_delay_alu instid0(VALU_DEP_2)
	v_mov_b32_e32 v93, v99
	scratch_store_b64 off, v[92:93], off offset:280
.LBB107_85:
	s_wait_xcnt 0x0
	s_or_b32 exec_lo, exec_lo, s42
	scratch_load_b64 v[92:93], off, off offset:272
	v_cmp_lt_u32_e64 s0, 34, v0
	s_wait_loadcnt 0x0
	ds_store_b64 v1, v[92:93]
	s_wait_storecnt_dscnt 0x0
	s_barrier_signal -1
	s_barrier_wait -1
	s_wait_xcnt 0x0
	s_and_saveexec_b32 s41, s0
	s_cbranch_execz .LBB107_95
; %bb.86:
	s_and_not1_b32 vcc_lo, exec_lo, s3
	s_cbranch_vccnz .LBB107_88
; %bb.87:
	scratch_load_b64 v[92:93], v59, off
	ds_load_b64 v[94:95], v1
	s_wait_loadcnt_dscnt 0x0
	v_pk_mul_f32 v[96:97], v[94:95], v[92:93] op_sel:[1,1] op_sel_hi:[0,1]
	s_delay_alu instid0(VALU_DEP_1) | instskip(SKIP_1) | instid1(VALU_DEP_2)
	v_pk_fma_f32 v[98:99], v[94:95], v[92:93], v[96:97] op_sel_hi:[1,0,1]
	v_pk_fma_f32 v[92:93], v[94:95], v[92:93], v[96:97] neg_lo:[0,0,1] neg_hi:[0,0,1]
	v_mov_b32_e32 v93, v99
	s_cbranch_execz .LBB107_89
	s_branch .LBB107_90
.LBB107_88:
                                        ; implicit-def: $vgpr92_vgpr93
.LBB107_89:
	ds_load_b64 v[92:93], v1
.LBB107_90:
	s_and_saveexec_b32 s42, s1
	s_cbranch_execz .LBB107_94
; %bb.91:
	v_subrev_nc_u32_e32 v94, 35, v0
	s_movk_i32 s43, 0x278
	s_mov_b32 s1, 0
.LBB107_92:                             ; =>This Inner Loop Header: Depth=1
	scratch_load_b64 v[96:97], off, s40
	v_dual_mov_b32 v95, s43 :: v_dual_add_nc_u32 v94, -1, v94
	s_add_co_i32 s43, s43, 8
	s_wait_xcnt 0x0
	s_add_co_i32 s40, s40, 8
	ds_load_b64 v[98:99], v95
	v_cmp_eq_u32_e32 vcc_lo, 0, v94
	s_or_b32 s1, vcc_lo, s1
	s_wait_loadcnt_dscnt 0x0
	v_pk_mul_f32 v[100:101], v[98:99], v[96:97] op_sel:[1,1] op_sel_hi:[0,1]
	s_delay_alu instid0(VALU_DEP_1) | instskip(SKIP_1) | instid1(VALU_DEP_2)
	v_pk_fma_f32 v[102:103], v[98:99], v[96:97], v[100:101] op_sel_hi:[1,0,1]
	v_pk_fma_f32 v[96:97], v[98:99], v[96:97], v[100:101] neg_lo:[0,0,1] neg_hi:[0,0,1]
	v_mov_b32_e32 v97, v103
	s_delay_alu instid0(VALU_DEP_1)
	v_pk_add_f32 v[92:93], v[92:93], v[96:97]
	s_and_not1_b32 exec_lo, exec_lo, s1
	s_cbranch_execnz .LBB107_92
; %bb.93:
	s_or_b32 exec_lo, exec_lo, s1
.LBB107_94:
	s_delay_alu instid0(SALU_CYCLE_1) | instskip(SKIP_4) | instid1(VALU_DEP_1)
	s_or_b32 exec_lo, exec_lo, s42
	v_mov_b32_e32 v94, 0
	ds_load_b64 v[94:95], v94 offset:272
	s_wait_dscnt 0x0
	v_pk_mul_f32 v[96:97], v[92:93], v[94:95] op_sel:[1,1] op_sel_hi:[0,1]
	v_pk_fma_f32 v[98:99], v[92:93], v[94:95], v[96:97] op_sel_hi:[1,0,1]
	v_pk_fma_f32 v[92:93], v[92:93], v[94:95], v[96:97] neg_lo:[0,0,1] neg_hi:[0,0,1]
	s_delay_alu instid0(VALU_DEP_2)
	v_mov_b32_e32 v93, v99
	scratch_store_b64 off, v[92:93], off offset:272
.LBB107_95:
	s_wait_xcnt 0x0
	s_or_b32 exec_lo, exec_lo, s41
	scratch_load_b64 v[92:93], off, off offset:264
	v_cmp_lt_u32_e64 s1, 33, v0
	s_wait_loadcnt 0x0
	ds_store_b64 v1, v[92:93]
	s_wait_storecnt_dscnt 0x0
	s_barrier_signal -1
	s_barrier_wait -1
	s_wait_xcnt 0x0
	s_and_saveexec_b32 s40, s1
	s_cbranch_execz .LBB107_105
; %bb.96:
	s_and_not1_b32 vcc_lo, exec_lo, s3
	s_cbranch_vccnz .LBB107_98
; %bb.97:
	scratch_load_b64 v[92:93], v59, off
	ds_load_b64 v[94:95], v1
	s_wait_loadcnt_dscnt 0x0
	v_pk_mul_f32 v[96:97], v[94:95], v[92:93] op_sel:[1,1] op_sel_hi:[0,1]
	s_delay_alu instid0(VALU_DEP_1) | instskip(SKIP_1) | instid1(VALU_DEP_2)
	v_pk_fma_f32 v[98:99], v[94:95], v[92:93], v[96:97] op_sel_hi:[1,0,1]
	v_pk_fma_f32 v[92:93], v[94:95], v[92:93], v[96:97] neg_lo:[0,0,1] neg_hi:[0,0,1]
	v_mov_b32_e32 v93, v99
	s_cbranch_execz .LBB107_99
	s_branch .LBB107_100
.LBB107_98:
                                        ; implicit-def: $vgpr92_vgpr93
.LBB107_99:
	ds_load_b64 v[92:93], v1
.LBB107_100:
	s_and_saveexec_b32 s41, s0
	s_cbranch_execz .LBB107_104
; %bb.101:
	v_subrev_nc_u32_e32 v94, 34, v0
	s_movk_i32 s42, 0x270
	s_mov_b32 s0, 0
.LBB107_102:                            ; =>This Inner Loop Header: Depth=1
	scratch_load_b64 v[96:97], off, s39
	v_dual_mov_b32 v95, s42 :: v_dual_add_nc_u32 v94, -1, v94
	s_add_co_i32 s42, s42, 8
	s_wait_xcnt 0x0
	s_add_co_i32 s39, s39, 8
	ds_load_b64 v[98:99], v95
	v_cmp_eq_u32_e32 vcc_lo, 0, v94
	s_or_b32 s0, vcc_lo, s0
	s_wait_loadcnt_dscnt 0x0
	v_pk_mul_f32 v[100:101], v[98:99], v[96:97] op_sel:[1,1] op_sel_hi:[0,1]
	s_delay_alu instid0(VALU_DEP_1) | instskip(SKIP_1) | instid1(VALU_DEP_2)
	v_pk_fma_f32 v[102:103], v[98:99], v[96:97], v[100:101] op_sel_hi:[1,0,1]
	v_pk_fma_f32 v[96:97], v[98:99], v[96:97], v[100:101] neg_lo:[0,0,1] neg_hi:[0,0,1]
	v_mov_b32_e32 v97, v103
	s_delay_alu instid0(VALU_DEP_1)
	v_pk_add_f32 v[92:93], v[92:93], v[96:97]
	s_and_not1_b32 exec_lo, exec_lo, s0
	s_cbranch_execnz .LBB107_102
; %bb.103:
	s_or_b32 exec_lo, exec_lo, s0
.LBB107_104:
	s_delay_alu instid0(SALU_CYCLE_1) | instskip(SKIP_4) | instid1(VALU_DEP_1)
	s_or_b32 exec_lo, exec_lo, s41
	v_mov_b32_e32 v94, 0
	ds_load_b64 v[94:95], v94 offset:264
	s_wait_dscnt 0x0
	v_pk_mul_f32 v[96:97], v[92:93], v[94:95] op_sel:[1,1] op_sel_hi:[0,1]
	v_pk_fma_f32 v[98:99], v[92:93], v[94:95], v[96:97] op_sel_hi:[1,0,1]
	v_pk_fma_f32 v[92:93], v[92:93], v[94:95], v[96:97] neg_lo:[0,0,1] neg_hi:[0,0,1]
	s_delay_alu instid0(VALU_DEP_2)
	v_mov_b32_e32 v93, v99
	scratch_store_b64 off, v[92:93], off offset:264
.LBB107_105:
	s_wait_xcnt 0x0
	s_or_b32 exec_lo, exec_lo, s40
	scratch_load_b64 v[92:93], off, off offset:256
	v_cmp_lt_u32_e64 s0, 32, v0
	s_wait_loadcnt 0x0
	ds_store_b64 v1, v[92:93]
	s_wait_storecnt_dscnt 0x0
	s_barrier_signal -1
	s_barrier_wait -1
	s_wait_xcnt 0x0
	s_and_saveexec_b32 s39, s0
	s_cbranch_execz .LBB107_115
; %bb.106:
	s_and_not1_b32 vcc_lo, exec_lo, s3
	s_cbranch_vccnz .LBB107_108
; %bb.107:
	scratch_load_b64 v[92:93], v59, off
	ds_load_b64 v[94:95], v1
	s_wait_loadcnt_dscnt 0x0
	v_pk_mul_f32 v[96:97], v[94:95], v[92:93] op_sel:[1,1] op_sel_hi:[0,1]
	s_delay_alu instid0(VALU_DEP_1) | instskip(SKIP_1) | instid1(VALU_DEP_2)
	v_pk_fma_f32 v[98:99], v[94:95], v[92:93], v[96:97] op_sel_hi:[1,0,1]
	v_pk_fma_f32 v[92:93], v[94:95], v[92:93], v[96:97] neg_lo:[0,0,1] neg_hi:[0,0,1]
	v_mov_b32_e32 v93, v99
	s_cbranch_execz .LBB107_109
	s_branch .LBB107_110
.LBB107_108:
                                        ; implicit-def: $vgpr92_vgpr93
.LBB107_109:
	ds_load_b64 v[92:93], v1
.LBB107_110:
	s_and_saveexec_b32 s40, s1
	s_cbranch_execz .LBB107_114
; %bb.111:
	v_subrev_nc_u32_e32 v94, 33, v0
	s_movk_i32 s41, 0x268
	s_mov_b32 s1, 0
.LBB107_112:                            ; =>This Inner Loop Header: Depth=1
	scratch_load_b64 v[96:97], off, s38
	v_dual_mov_b32 v95, s41 :: v_dual_add_nc_u32 v94, -1, v94
	s_add_co_i32 s41, s41, 8
	s_wait_xcnt 0x0
	s_add_co_i32 s38, s38, 8
	ds_load_b64 v[98:99], v95
	v_cmp_eq_u32_e32 vcc_lo, 0, v94
	s_or_b32 s1, vcc_lo, s1
	s_wait_loadcnt_dscnt 0x0
	v_pk_mul_f32 v[100:101], v[98:99], v[96:97] op_sel:[1,1] op_sel_hi:[0,1]
	s_delay_alu instid0(VALU_DEP_1) | instskip(SKIP_1) | instid1(VALU_DEP_2)
	v_pk_fma_f32 v[102:103], v[98:99], v[96:97], v[100:101] op_sel_hi:[1,0,1]
	v_pk_fma_f32 v[96:97], v[98:99], v[96:97], v[100:101] neg_lo:[0,0,1] neg_hi:[0,0,1]
	v_mov_b32_e32 v97, v103
	s_delay_alu instid0(VALU_DEP_1)
	v_pk_add_f32 v[92:93], v[92:93], v[96:97]
	s_and_not1_b32 exec_lo, exec_lo, s1
	s_cbranch_execnz .LBB107_112
; %bb.113:
	s_or_b32 exec_lo, exec_lo, s1
.LBB107_114:
	s_delay_alu instid0(SALU_CYCLE_1) | instskip(SKIP_4) | instid1(VALU_DEP_1)
	s_or_b32 exec_lo, exec_lo, s40
	v_mov_b32_e32 v94, 0
	ds_load_b64 v[94:95], v94 offset:256
	s_wait_dscnt 0x0
	v_pk_mul_f32 v[96:97], v[92:93], v[94:95] op_sel:[1,1] op_sel_hi:[0,1]
	v_pk_fma_f32 v[98:99], v[92:93], v[94:95], v[96:97] op_sel_hi:[1,0,1]
	v_pk_fma_f32 v[92:93], v[92:93], v[94:95], v[96:97] neg_lo:[0,0,1] neg_hi:[0,0,1]
	s_delay_alu instid0(VALU_DEP_2)
	v_mov_b32_e32 v93, v99
	scratch_store_b64 off, v[92:93], off offset:256
.LBB107_115:
	s_wait_xcnt 0x0
	s_or_b32 exec_lo, exec_lo, s39
	scratch_load_b64 v[92:93], off, off offset:248
	v_cmp_lt_u32_e64 s1, 31, v0
	s_wait_loadcnt 0x0
	ds_store_b64 v1, v[92:93]
	s_wait_storecnt_dscnt 0x0
	s_barrier_signal -1
	s_barrier_wait -1
	s_wait_xcnt 0x0
	s_and_saveexec_b32 s38, s1
	s_cbranch_execz .LBB107_125
; %bb.116:
	s_and_not1_b32 vcc_lo, exec_lo, s3
	s_cbranch_vccnz .LBB107_118
; %bb.117:
	scratch_load_b64 v[92:93], v59, off
	ds_load_b64 v[94:95], v1
	s_wait_loadcnt_dscnt 0x0
	v_pk_mul_f32 v[96:97], v[94:95], v[92:93] op_sel:[1,1] op_sel_hi:[0,1]
	s_delay_alu instid0(VALU_DEP_1) | instskip(SKIP_1) | instid1(VALU_DEP_2)
	v_pk_fma_f32 v[98:99], v[94:95], v[92:93], v[96:97] op_sel_hi:[1,0,1]
	v_pk_fma_f32 v[92:93], v[94:95], v[92:93], v[96:97] neg_lo:[0,0,1] neg_hi:[0,0,1]
	v_mov_b32_e32 v93, v99
	s_cbranch_execz .LBB107_119
	s_branch .LBB107_120
.LBB107_118:
                                        ; implicit-def: $vgpr92_vgpr93
.LBB107_119:
	ds_load_b64 v[92:93], v1
.LBB107_120:
	s_and_saveexec_b32 s39, s0
	s_cbranch_execz .LBB107_124
; %bb.121:
	v_subrev_nc_u32_e32 v94, 32, v0
	s_movk_i32 s40, 0x260
	s_mov_b32 s0, 0
.LBB107_122:                            ; =>This Inner Loop Header: Depth=1
	scratch_load_b64 v[96:97], off, s37
	v_dual_mov_b32 v95, s40 :: v_dual_add_nc_u32 v94, -1, v94
	s_add_co_i32 s40, s40, 8
	s_wait_xcnt 0x0
	s_add_co_i32 s37, s37, 8
	ds_load_b64 v[98:99], v95
	v_cmp_eq_u32_e32 vcc_lo, 0, v94
	s_or_b32 s0, vcc_lo, s0
	s_wait_loadcnt_dscnt 0x0
	v_pk_mul_f32 v[100:101], v[98:99], v[96:97] op_sel:[1,1] op_sel_hi:[0,1]
	s_delay_alu instid0(VALU_DEP_1) | instskip(SKIP_1) | instid1(VALU_DEP_2)
	v_pk_fma_f32 v[102:103], v[98:99], v[96:97], v[100:101] op_sel_hi:[1,0,1]
	v_pk_fma_f32 v[96:97], v[98:99], v[96:97], v[100:101] neg_lo:[0,0,1] neg_hi:[0,0,1]
	v_mov_b32_e32 v97, v103
	s_delay_alu instid0(VALU_DEP_1)
	v_pk_add_f32 v[92:93], v[92:93], v[96:97]
	s_and_not1_b32 exec_lo, exec_lo, s0
	s_cbranch_execnz .LBB107_122
; %bb.123:
	s_or_b32 exec_lo, exec_lo, s0
.LBB107_124:
	s_delay_alu instid0(SALU_CYCLE_1) | instskip(SKIP_4) | instid1(VALU_DEP_1)
	s_or_b32 exec_lo, exec_lo, s39
	v_mov_b32_e32 v94, 0
	ds_load_b64 v[94:95], v94 offset:248
	s_wait_dscnt 0x0
	v_pk_mul_f32 v[96:97], v[92:93], v[94:95] op_sel:[1,1] op_sel_hi:[0,1]
	v_pk_fma_f32 v[98:99], v[92:93], v[94:95], v[96:97] op_sel_hi:[1,0,1]
	v_pk_fma_f32 v[92:93], v[92:93], v[94:95], v[96:97] neg_lo:[0,0,1] neg_hi:[0,0,1]
	s_delay_alu instid0(VALU_DEP_2)
	v_mov_b32_e32 v93, v99
	scratch_store_b64 off, v[92:93], off offset:248
.LBB107_125:
	s_wait_xcnt 0x0
	s_or_b32 exec_lo, exec_lo, s38
	scratch_load_b64 v[92:93], off, off offset:240
	v_cmp_lt_u32_e64 s0, 30, v0
	s_wait_loadcnt 0x0
	ds_store_b64 v1, v[92:93]
	s_wait_storecnt_dscnt 0x0
	s_barrier_signal -1
	s_barrier_wait -1
	s_wait_xcnt 0x0
	s_and_saveexec_b32 s37, s0
	s_cbranch_execz .LBB107_135
; %bb.126:
	s_and_not1_b32 vcc_lo, exec_lo, s3
	s_cbranch_vccnz .LBB107_128
; %bb.127:
	scratch_load_b64 v[92:93], v59, off
	ds_load_b64 v[94:95], v1
	s_wait_loadcnt_dscnt 0x0
	v_pk_mul_f32 v[96:97], v[94:95], v[92:93] op_sel:[1,1] op_sel_hi:[0,1]
	s_delay_alu instid0(VALU_DEP_1) | instskip(SKIP_1) | instid1(VALU_DEP_2)
	v_pk_fma_f32 v[98:99], v[94:95], v[92:93], v[96:97] op_sel_hi:[1,0,1]
	v_pk_fma_f32 v[92:93], v[94:95], v[92:93], v[96:97] neg_lo:[0,0,1] neg_hi:[0,0,1]
	v_mov_b32_e32 v93, v99
	s_cbranch_execz .LBB107_129
	s_branch .LBB107_130
.LBB107_128:
                                        ; implicit-def: $vgpr92_vgpr93
.LBB107_129:
	ds_load_b64 v[92:93], v1
.LBB107_130:
	s_and_saveexec_b32 s38, s1
	s_cbranch_execz .LBB107_134
; %bb.131:
	v_subrev_nc_u32_e32 v94, 31, v0
	s_movk_i32 s39, 0x258
	s_mov_b32 s1, 0
.LBB107_132:                            ; =>This Inner Loop Header: Depth=1
	scratch_load_b64 v[96:97], off, s36
	v_dual_mov_b32 v95, s39 :: v_dual_add_nc_u32 v94, -1, v94
	s_add_co_i32 s39, s39, 8
	s_wait_xcnt 0x0
	s_add_co_i32 s36, s36, 8
	ds_load_b64 v[98:99], v95
	v_cmp_eq_u32_e32 vcc_lo, 0, v94
	s_or_b32 s1, vcc_lo, s1
	s_wait_loadcnt_dscnt 0x0
	v_pk_mul_f32 v[100:101], v[98:99], v[96:97] op_sel:[1,1] op_sel_hi:[0,1]
	s_delay_alu instid0(VALU_DEP_1) | instskip(SKIP_1) | instid1(VALU_DEP_2)
	v_pk_fma_f32 v[102:103], v[98:99], v[96:97], v[100:101] op_sel_hi:[1,0,1]
	v_pk_fma_f32 v[96:97], v[98:99], v[96:97], v[100:101] neg_lo:[0,0,1] neg_hi:[0,0,1]
	v_mov_b32_e32 v97, v103
	s_delay_alu instid0(VALU_DEP_1)
	v_pk_add_f32 v[92:93], v[92:93], v[96:97]
	s_and_not1_b32 exec_lo, exec_lo, s1
	s_cbranch_execnz .LBB107_132
; %bb.133:
	s_or_b32 exec_lo, exec_lo, s1
.LBB107_134:
	s_delay_alu instid0(SALU_CYCLE_1) | instskip(SKIP_4) | instid1(VALU_DEP_1)
	s_or_b32 exec_lo, exec_lo, s38
	v_mov_b32_e32 v94, 0
	ds_load_b64 v[94:95], v94 offset:240
	s_wait_dscnt 0x0
	v_pk_mul_f32 v[96:97], v[92:93], v[94:95] op_sel:[1,1] op_sel_hi:[0,1]
	v_pk_fma_f32 v[98:99], v[92:93], v[94:95], v[96:97] op_sel_hi:[1,0,1]
	v_pk_fma_f32 v[92:93], v[92:93], v[94:95], v[96:97] neg_lo:[0,0,1] neg_hi:[0,0,1]
	s_delay_alu instid0(VALU_DEP_2)
	v_mov_b32_e32 v93, v99
	scratch_store_b64 off, v[92:93], off offset:240
.LBB107_135:
	s_wait_xcnt 0x0
	s_or_b32 exec_lo, exec_lo, s37
	scratch_load_b64 v[92:93], off, off offset:232
	v_cmp_lt_u32_e64 s1, 29, v0
	s_wait_loadcnt 0x0
	ds_store_b64 v1, v[92:93]
	s_wait_storecnt_dscnt 0x0
	s_barrier_signal -1
	s_barrier_wait -1
	s_wait_xcnt 0x0
	s_and_saveexec_b32 s36, s1
	s_cbranch_execz .LBB107_145
; %bb.136:
	s_and_not1_b32 vcc_lo, exec_lo, s3
	s_cbranch_vccnz .LBB107_138
; %bb.137:
	scratch_load_b64 v[92:93], v59, off
	ds_load_b64 v[94:95], v1
	s_wait_loadcnt_dscnt 0x0
	v_pk_mul_f32 v[96:97], v[94:95], v[92:93] op_sel:[1,1] op_sel_hi:[0,1]
	s_delay_alu instid0(VALU_DEP_1) | instskip(SKIP_1) | instid1(VALU_DEP_2)
	v_pk_fma_f32 v[98:99], v[94:95], v[92:93], v[96:97] op_sel_hi:[1,0,1]
	v_pk_fma_f32 v[92:93], v[94:95], v[92:93], v[96:97] neg_lo:[0,0,1] neg_hi:[0,0,1]
	v_mov_b32_e32 v93, v99
	s_cbranch_execz .LBB107_139
	s_branch .LBB107_140
.LBB107_138:
                                        ; implicit-def: $vgpr92_vgpr93
.LBB107_139:
	ds_load_b64 v[92:93], v1
.LBB107_140:
	s_and_saveexec_b32 s37, s0
	s_cbranch_execz .LBB107_144
; %bb.141:
	v_subrev_nc_u32_e32 v94, 30, v0
	s_movk_i32 s38, 0x250
	s_mov_b32 s0, 0
.LBB107_142:                            ; =>This Inner Loop Header: Depth=1
	scratch_load_b64 v[96:97], off, s35
	v_dual_mov_b32 v95, s38 :: v_dual_add_nc_u32 v94, -1, v94
	s_add_co_i32 s38, s38, 8
	s_wait_xcnt 0x0
	s_add_co_i32 s35, s35, 8
	ds_load_b64 v[98:99], v95
	v_cmp_eq_u32_e32 vcc_lo, 0, v94
	s_or_b32 s0, vcc_lo, s0
	s_wait_loadcnt_dscnt 0x0
	v_pk_mul_f32 v[100:101], v[98:99], v[96:97] op_sel:[1,1] op_sel_hi:[0,1]
	s_delay_alu instid0(VALU_DEP_1) | instskip(SKIP_1) | instid1(VALU_DEP_2)
	v_pk_fma_f32 v[102:103], v[98:99], v[96:97], v[100:101] op_sel_hi:[1,0,1]
	v_pk_fma_f32 v[96:97], v[98:99], v[96:97], v[100:101] neg_lo:[0,0,1] neg_hi:[0,0,1]
	v_mov_b32_e32 v97, v103
	s_delay_alu instid0(VALU_DEP_1)
	v_pk_add_f32 v[92:93], v[92:93], v[96:97]
	s_and_not1_b32 exec_lo, exec_lo, s0
	s_cbranch_execnz .LBB107_142
; %bb.143:
	s_or_b32 exec_lo, exec_lo, s0
.LBB107_144:
	s_delay_alu instid0(SALU_CYCLE_1) | instskip(SKIP_4) | instid1(VALU_DEP_1)
	s_or_b32 exec_lo, exec_lo, s37
	v_mov_b32_e32 v94, 0
	ds_load_b64 v[94:95], v94 offset:232
	s_wait_dscnt 0x0
	v_pk_mul_f32 v[96:97], v[92:93], v[94:95] op_sel:[1,1] op_sel_hi:[0,1]
	v_pk_fma_f32 v[98:99], v[92:93], v[94:95], v[96:97] op_sel_hi:[1,0,1]
	v_pk_fma_f32 v[92:93], v[92:93], v[94:95], v[96:97] neg_lo:[0,0,1] neg_hi:[0,0,1]
	s_delay_alu instid0(VALU_DEP_2)
	v_mov_b32_e32 v93, v99
	scratch_store_b64 off, v[92:93], off offset:232
.LBB107_145:
	s_wait_xcnt 0x0
	s_or_b32 exec_lo, exec_lo, s36
	scratch_load_b64 v[92:93], off, off offset:224
	v_cmp_lt_u32_e64 s0, 28, v0
	s_wait_loadcnt 0x0
	ds_store_b64 v1, v[92:93]
	s_wait_storecnt_dscnt 0x0
	s_barrier_signal -1
	s_barrier_wait -1
	s_wait_xcnt 0x0
	s_and_saveexec_b32 s35, s0
	s_cbranch_execz .LBB107_155
; %bb.146:
	s_and_not1_b32 vcc_lo, exec_lo, s3
	s_cbranch_vccnz .LBB107_148
; %bb.147:
	scratch_load_b64 v[92:93], v59, off
	ds_load_b64 v[94:95], v1
	s_wait_loadcnt_dscnt 0x0
	v_pk_mul_f32 v[96:97], v[94:95], v[92:93] op_sel:[1,1] op_sel_hi:[0,1]
	s_delay_alu instid0(VALU_DEP_1) | instskip(SKIP_1) | instid1(VALU_DEP_2)
	v_pk_fma_f32 v[98:99], v[94:95], v[92:93], v[96:97] op_sel_hi:[1,0,1]
	v_pk_fma_f32 v[92:93], v[94:95], v[92:93], v[96:97] neg_lo:[0,0,1] neg_hi:[0,0,1]
	v_mov_b32_e32 v93, v99
	s_cbranch_execz .LBB107_149
	s_branch .LBB107_150
.LBB107_148:
                                        ; implicit-def: $vgpr92_vgpr93
.LBB107_149:
	ds_load_b64 v[92:93], v1
.LBB107_150:
	s_and_saveexec_b32 s36, s1
	s_cbranch_execz .LBB107_154
; %bb.151:
	v_subrev_nc_u32_e32 v94, 29, v0
	s_movk_i32 s37, 0x248
	s_mov_b32 s1, 0
.LBB107_152:                            ; =>This Inner Loop Header: Depth=1
	scratch_load_b64 v[96:97], off, s34
	v_dual_mov_b32 v95, s37 :: v_dual_add_nc_u32 v94, -1, v94
	s_add_co_i32 s37, s37, 8
	s_wait_xcnt 0x0
	s_add_co_i32 s34, s34, 8
	ds_load_b64 v[98:99], v95
	v_cmp_eq_u32_e32 vcc_lo, 0, v94
	s_or_b32 s1, vcc_lo, s1
	s_wait_loadcnt_dscnt 0x0
	v_pk_mul_f32 v[100:101], v[98:99], v[96:97] op_sel:[1,1] op_sel_hi:[0,1]
	s_delay_alu instid0(VALU_DEP_1) | instskip(SKIP_1) | instid1(VALU_DEP_2)
	v_pk_fma_f32 v[102:103], v[98:99], v[96:97], v[100:101] op_sel_hi:[1,0,1]
	v_pk_fma_f32 v[96:97], v[98:99], v[96:97], v[100:101] neg_lo:[0,0,1] neg_hi:[0,0,1]
	v_mov_b32_e32 v97, v103
	s_delay_alu instid0(VALU_DEP_1)
	v_pk_add_f32 v[92:93], v[92:93], v[96:97]
	s_and_not1_b32 exec_lo, exec_lo, s1
	s_cbranch_execnz .LBB107_152
; %bb.153:
	s_or_b32 exec_lo, exec_lo, s1
.LBB107_154:
	s_delay_alu instid0(SALU_CYCLE_1) | instskip(SKIP_4) | instid1(VALU_DEP_1)
	s_or_b32 exec_lo, exec_lo, s36
	v_mov_b32_e32 v94, 0
	ds_load_b64 v[94:95], v94 offset:224
	s_wait_dscnt 0x0
	v_pk_mul_f32 v[96:97], v[92:93], v[94:95] op_sel:[1,1] op_sel_hi:[0,1]
	v_pk_fma_f32 v[98:99], v[92:93], v[94:95], v[96:97] op_sel_hi:[1,0,1]
	v_pk_fma_f32 v[92:93], v[92:93], v[94:95], v[96:97] neg_lo:[0,0,1] neg_hi:[0,0,1]
	s_delay_alu instid0(VALU_DEP_2)
	v_mov_b32_e32 v93, v99
	scratch_store_b64 off, v[92:93], off offset:224
.LBB107_155:
	s_wait_xcnt 0x0
	s_or_b32 exec_lo, exec_lo, s35
	scratch_load_b64 v[92:93], off, off offset:216
	v_cmp_lt_u32_e64 s1, 27, v0
	s_wait_loadcnt 0x0
	ds_store_b64 v1, v[92:93]
	s_wait_storecnt_dscnt 0x0
	s_barrier_signal -1
	s_barrier_wait -1
	s_wait_xcnt 0x0
	s_and_saveexec_b32 s34, s1
	s_cbranch_execz .LBB107_165
; %bb.156:
	s_and_not1_b32 vcc_lo, exec_lo, s3
	s_cbranch_vccnz .LBB107_158
; %bb.157:
	scratch_load_b64 v[92:93], v59, off
	ds_load_b64 v[94:95], v1
	s_wait_loadcnt_dscnt 0x0
	v_pk_mul_f32 v[96:97], v[94:95], v[92:93] op_sel:[1,1] op_sel_hi:[0,1]
	s_delay_alu instid0(VALU_DEP_1) | instskip(SKIP_1) | instid1(VALU_DEP_2)
	v_pk_fma_f32 v[98:99], v[94:95], v[92:93], v[96:97] op_sel_hi:[1,0,1]
	v_pk_fma_f32 v[92:93], v[94:95], v[92:93], v[96:97] neg_lo:[0,0,1] neg_hi:[0,0,1]
	v_mov_b32_e32 v93, v99
	s_cbranch_execz .LBB107_159
	s_branch .LBB107_160
.LBB107_158:
                                        ; implicit-def: $vgpr92_vgpr93
.LBB107_159:
	ds_load_b64 v[92:93], v1
.LBB107_160:
	s_and_saveexec_b32 s35, s0
	s_cbranch_execz .LBB107_164
; %bb.161:
	v_subrev_nc_u32_e32 v94, 28, v0
	s_movk_i32 s36, 0x240
	s_mov_b32 s0, 0
.LBB107_162:                            ; =>This Inner Loop Header: Depth=1
	scratch_load_b64 v[96:97], off, s33
	v_dual_mov_b32 v95, s36 :: v_dual_add_nc_u32 v94, -1, v94
	s_add_co_i32 s36, s36, 8
	s_wait_xcnt 0x0
	s_add_co_i32 s33, s33, 8
	ds_load_b64 v[98:99], v95
	v_cmp_eq_u32_e32 vcc_lo, 0, v94
	s_or_b32 s0, vcc_lo, s0
	s_wait_loadcnt_dscnt 0x0
	v_pk_mul_f32 v[100:101], v[98:99], v[96:97] op_sel:[1,1] op_sel_hi:[0,1]
	s_delay_alu instid0(VALU_DEP_1) | instskip(SKIP_1) | instid1(VALU_DEP_2)
	v_pk_fma_f32 v[102:103], v[98:99], v[96:97], v[100:101] op_sel_hi:[1,0,1]
	v_pk_fma_f32 v[96:97], v[98:99], v[96:97], v[100:101] neg_lo:[0,0,1] neg_hi:[0,0,1]
	v_mov_b32_e32 v97, v103
	s_delay_alu instid0(VALU_DEP_1)
	v_pk_add_f32 v[92:93], v[92:93], v[96:97]
	s_and_not1_b32 exec_lo, exec_lo, s0
	s_cbranch_execnz .LBB107_162
; %bb.163:
	s_or_b32 exec_lo, exec_lo, s0
.LBB107_164:
	s_delay_alu instid0(SALU_CYCLE_1) | instskip(SKIP_4) | instid1(VALU_DEP_1)
	s_or_b32 exec_lo, exec_lo, s35
	v_mov_b32_e32 v94, 0
	ds_load_b64 v[94:95], v94 offset:216
	s_wait_dscnt 0x0
	v_pk_mul_f32 v[96:97], v[92:93], v[94:95] op_sel:[1,1] op_sel_hi:[0,1]
	v_pk_fma_f32 v[98:99], v[92:93], v[94:95], v[96:97] op_sel_hi:[1,0,1]
	v_pk_fma_f32 v[92:93], v[92:93], v[94:95], v[96:97] neg_lo:[0,0,1] neg_hi:[0,0,1]
	s_delay_alu instid0(VALU_DEP_2)
	v_mov_b32_e32 v93, v99
	scratch_store_b64 off, v[92:93], off offset:216
.LBB107_165:
	s_wait_xcnt 0x0
	s_or_b32 exec_lo, exec_lo, s34
	scratch_load_b64 v[92:93], off, off offset:208
	v_cmp_lt_u32_e64 s0, 26, v0
	s_wait_loadcnt 0x0
	ds_store_b64 v1, v[92:93]
	s_wait_storecnt_dscnt 0x0
	s_barrier_signal -1
	s_barrier_wait -1
	s_wait_xcnt 0x0
	s_and_saveexec_b32 s33, s0
	s_cbranch_execz .LBB107_175
; %bb.166:
	s_and_not1_b32 vcc_lo, exec_lo, s3
	s_cbranch_vccnz .LBB107_168
; %bb.167:
	scratch_load_b64 v[92:93], v59, off
	ds_load_b64 v[94:95], v1
	s_wait_loadcnt_dscnt 0x0
	v_pk_mul_f32 v[96:97], v[94:95], v[92:93] op_sel:[1,1] op_sel_hi:[0,1]
	s_delay_alu instid0(VALU_DEP_1) | instskip(SKIP_1) | instid1(VALU_DEP_2)
	v_pk_fma_f32 v[98:99], v[94:95], v[92:93], v[96:97] op_sel_hi:[1,0,1]
	v_pk_fma_f32 v[92:93], v[94:95], v[92:93], v[96:97] neg_lo:[0,0,1] neg_hi:[0,0,1]
	v_mov_b32_e32 v93, v99
	s_cbranch_execz .LBB107_169
	s_branch .LBB107_170
.LBB107_168:
                                        ; implicit-def: $vgpr92_vgpr93
.LBB107_169:
	ds_load_b64 v[92:93], v1
.LBB107_170:
	s_and_saveexec_b32 s34, s1
	s_cbranch_execz .LBB107_174
; %bb.171:
	v_subrev_nc_u32_e32 v94, 27, v0
	s_movk_i32 s35, 0x238
	s_mov_b32 s1, 0
.LBB107_172:                            ; =>This Inner Loop Header: Depth=1
	scratch_load_b64 v[96:97], off, s31
	v_dual_mov_b32 v95, s35 :: v_dual_add_nc_u32 v94, -1, v94
	s_add_co_i32 s35, s35, 8
	s_wait_xcnt 0x0
	s_add_co_i32 s31, s31, 8
	ds_load_b64 v[98:99], v95
	v_cmp_eq_u32_e32 vcc_lo, 0, v94
	s_or_b32 s1, vcc_lo, s1
	s_wait_loadcnt_dscnt 0x0
	v_pk_mul_f32 v[100:101], v[98:99], v[96:97] op_sel:[1,1] op_sel_hi:[0,1]
	s_delay_alu instid0(VALU_DEP_1) | instskip(SKIP_1) | instid1(VALU_DEP_2)
	v_pk_fma_f32 v[102:103], v[98:99], v[96:97], v[100:101] op_sel_hi:[1,0,1]
	v_pk_fma_f32 v[96:97], v[98:99], v[96:97], v[100:101] neg_lo:[0,0,1] neg_hi:[0,0,1]
	v_mov_b32_e32 v97, v103
	s_delay_alu instid0(VALU_DEP_1)
	v_pk_add_f32 v[92:93], v[92:93], v[96:97]
	s_and_not1_b32 exec_lo, exec_lo, s1
	s_cbranch_execnz .LBB107_172
; %bb.173:
	s_or_b32 exec_lo, exec_lo, s1
.LBB107_174:
	s_delay_alu instid0(SALU_CYCLE_1) | instskip(SKIP_4) | instid1(VALU_DEP_1)
	s_or_b32 exec_lo, exec_lo, s34
	v_mov_b32_e32 v94, 0
	ds_load_b64 v[94:95], v94 offset:208
	s_wait_dscnt 0x0
	v_pk_mul_f32 v[96:97], v[92:93], v[94:95] op_sel:[1,1] op_sel_hi:[0,1]
	v_pk_fma_f32 v[98:99], v[92:93], v[94:95], v[96:97] op_sel_hi:[1,0,1]
	v_pk_fma_f32 v[92:93], v[92:93], v[94:95], v[96:97] neg_lo:[0,0,1] neg_hi:[0,0,1]
	s_delay_alu instid0(VALU_DEP_2)
	v_mov_b32_e32 v93, v99
	scratch_store_b64 off, v[92:93], off offset:208
.LBB107_175:
	s_wait_xcnt 0x0
	s_or_b32 exec_lo, exec_lo, s33
	scratch_load_b64 v[92:93], off, off offset:200
	v_cmp_lt_u32_e64 s1, 25, v0
	s_wait_loadcnt 0x0
	ds_store_b64 v1, v[92:93]
	s_wait_storecnt_dscnt 0x0
	s_barrier_signal -1
	s_barrier_wait -1
	s_wait_xcnt 0x0
	s_and_saveexec_b32 s31, s1
	s_cbranch_execz .LBB107_185
; %bb.176:
	s_and_not1_b32 vcc_lo, exec_lo, s3
	s_cbranch_vccnz .LBB107_178
; %bb.177:
	scratch_load_b64 v[92:93], v59, off
	ds_load_b64 v[94:95], v1
	s_wait_loadcnt_dscnt 0x0
	v_pk_mul_f32 v[96:97], v[94:95], v[92:93] op_sel:[1,1] op_sel_hi:[0,1]
	s_delay_alu instid0(VALU_DEP_1) | instskip(SKIP_1) | instid1(VALU_DEP_2)
	v_pk_fma_f32 v[98:99], v[94:95], v[92:93], v[96:97] op_sel_hi:[1,0,1]
	v_pk_fma_f32 v[92:93], v[94:95], v[92:93], v[96:97] neg_lo:[0,0,1] neg_hi:[0,0,1]
	v_mov_b32_e32 v93, v99
	s_cbranch_execz .LBB107_179
	s_branch .LBB107_180
.LBB107_178:
                                        ; implicit-def: $vgpr92_vgpr93
.LBB107_179:
	ds_load_b64 v[92:93], v1
.LBB107_180:
	s_and_saveexec_b32 s33, s0
	s_cbranch_execz .LBB107_184
; %bb.181:
	v_subrev_nc_u32_e32 v94, 26, v0
	s_movk_i32 s34, 0x230
	s_mov_b32 s0, 0
.LBB107_182:                            ; =>This Inner Loop Header: Depth=1
	scratch_load_b64 v[96:97], off, s30
	v_dual_mov_b32 v95, s34 :: v_dual_add_nc_u32 v94, -1, v94
	s_add_co_i32 s34, s34, 8
	s_wait_xcnt 0x0
	s_add_co_i32 s30, s30, 8
	ds_load_b64 v[98:99], v95
	v_cmp_eq_u32_e32 vcc_lo, 0, v94
	s_or_b32 s0, vcc_lo, s0
	s_wait_loadcnt_dscnt 0x0
	v_pk_mul_f32 v[100:101], v[98:99], v[96:97] op_sel:[1,1] op_sel_hi:[0,1]
	s_delay_alu instid0(VALU_DEP_1) | instskip(SKIP_1) | instid1(VALU_DEP_2)
	v_pk_fma_f32 v[102:103], v[98:99], v[96:97], v[100:101] op_sel_hi:[1,0,1]
	v_pk_fma_f32 v[96:97], v[98:99], v[96:97], v[100:101] neg_lo:[0,0,1] neg_hi:[0,0,1]
	v_mov_b32_e32 v97, v103
	s_delay_alu instid0(VALU_DEP_1)
	v_pk_add_f32 v[92:93], v[92:93], v[96:97]
	s_and_not1_b32 exec_lo, exec_lo, s0
	s_cbranch_execnz .LBB107_182
; %bb.183:
	s_or_b32 exec_lo, exec_lo, s0
.LBB107_184:
	s_delay_alu instid0(SALU_CYCLE_1) | instskip(SKIP_4) | instid1(VALU_DEP_1)
	s_or_b32 exec_lo, exec_lo, s33
	v_mov_b32_e32 v94, 0
	ds_load_b64 v[94:95], v94 offset:200
	s_wait_dscnt 0x0
	v_pk_mul_f32 v[96:97], v[92:93], v[94:95] op_sel:[1,1] op_sel_hi:[0,1]
	v_pk_fma_f32 v[98:99], v[92:93], v[94:95], v[96:97] op_sel_hi:[1,0,1]
	v_pk_fma_f32 v[92:93], v[92:93], v[94:95], v[96:97] neg_lo:[0,0,1] neg_hi:[0,0,1]
	s_delay_alu instid0(VALU_DEP_2)
	v_mov_b32_e32 v93, v99
	scratch_store_b64 off, v[92:93], off offset:200
.LBB107_185:
	s_wait_xcnt 0x0
	s_or_b32 exec_lo, exec_lo, s31
	scratch_load_b64 v[92:93], off, off offset:192
	v_cmp_lt_u32_e64 s0, 24, v0
	s_wait_loadcnt 0x0
	ds_store_b64 v1, v[92:93]
	s_wait_storecnt_dscnt 0x0
	s_barrier_signal -1
	s_barrier_wait -1
	s_wait_xcnt 0x0
	s_and_saveexec_b32 s30, s0
	s_cbranch_execz .LBB107_195
; %bb.186:
	s_and_not1_b32 vcc_lo, exec_lo, s3
	s_cbranch_vccnz .LBB107_188
; %bb.187:
	scratch_load_b64 v[92:93], v59, off
	ds_load_b64 v[94:95], v1
	s_wait_loadcnt_dscnt 0x0
	v_pk_mul_f32 v[96:97], v[94:95], v[92:93] op_sel:[1,1] op_sel_hi:[0,1]
	s_delay_alu instid0(VALU_DEP_1) | instskip(SKIP_1) | instid1(VALU_DEP_2)
	v_pk_fma_f32 v[98:99], v[94:95], v[92:93], v[96:97] op_sel_hi:[1,0,1]
	v_pk_fma_f32 v[92:93], v[94:95], v[92:93], v[96:97] neg_lo:[0,0,1] neg_hi:[0,0,1]
	v_mov_b32_e32 v93, v99
	s_cbranch_execz .LBB107_189
	s_branch .LBB107_190
.LBB107_188:
                                        ; implicit-def: $vgpr92_vgpr93
.LBB107_189:
	ds_load_b64 v[92:93], v1
.LBB107_190:
	s_and_saveexec_b32 s31, s1
	s_cbranch_execz .LBB107_194
; %bb.191:
	v_subrev_nc_u32_e32 v94, 25, v0
	s_movk_i32 s33, 0x228
	s_mov_b32 s1, 0
.LBB107_192:                            ; =>This Inner Loop Header: Depth=1
	scratch_load_b64 v[96:97], off, s29
	v_dual_mov_b32 v95, s33 :: v_dual_add_nc_u32 v94, -1, v94
	s_add_co_i32 s33, s33, 8
	s_wait_xcnt 0x0
	s_add_co_i32 s29, s29, 8
	ds_load_b64 v[98:99], v95
	v_cmp_eq_u32_e32 vcc_lo, 0, v94
	s_or_b32 s1, vcc_lo, s1
	s_wait_loadcnt_dscnt 0x0
	v_pk_mul_f32 v[100:101], v[98:99], v[96:97] op_sel:[1,1] op_sel_hi:[0,1]
	s_delay_alu instid0(VALU_DEP_1) | instskip(SKIP_1) | instid1(VALU_DEP_2)
	v_pk_fma_f32 v[102:103], v[98:99], v[96:97], v[100:101] op_sel_hi:[1,0,1]
	v_pk_fma_f32 v[96:97], v[98:99], v[96:97], v[100:101] neg_lo:[0,0,1] neg_hi:[0,0,1]
	v_mov_b32_e32 v97, v103
	s_delay_alu instid0(VALU_DEP_1)
	v_pk_add_f32 v[92:93], v[92:93], v[96:97]
	s_and_not1_b32 exec_lo, exec_lo, s1
	s_cbranch_execnz .LBB107_192
; %bb.193:
	s_or_b32 exec_lo, exec_lo, s1
.LBB107_194:
	s_delay_alu instid0(SALU_CYCLE_1) | instskip(SKIP_4) | instid1(VALU_DEP_1)
	s_or_b32 exec_lo, exec_lo, s31
	v_mov_b32_e32 v94, 0
	ds_load_b64 v[94:95], v94 offset:192
	s_wait_dscnt 0x0
	v_pk_mul_f32 v[96:97], v[92:93], v[94:95] op_sel:[1,1] op_sel_hi:[0,1]
	v_pk_fma_f32 v[98:99], v[92:93], v[94:95], v[96:97] op_sel_hi:[1,0,1]
	v_pk_fma_f32 v[92:93], v[92:93], v[94:95], v[96:97] neg_lo:[0,0,1] neg_hi:[0,0,1]
	s_delay_alu instid0(VALU_DEP_2)
	v_mov_b32_e32 v93, v99
	scratch_store_b64 off, v[92:93], off offset:192
.LBB107_195:
	s_wait_xcnt 0x0
	s_or_b32 exec_lo, exec_lo, s30
	scratch_load_b64 v[92:93], off, off offset:184
	v_cmp_lt_u32_e64 s1, 23, v0
	s_wait_loadcnt 0x0
	ds_store_b64 v1, v[92:93]
	s_wait_storecnt_dscnt 0x0
	s_barrier_signal -1
	s_barrier_wait -1
	s_wait_xcnt 0x0
	s_and_saveexec_b32 s29, s1
	s_cbranch_execz .LBB107_205
; %bb.196:
	s_and_not1_b32 vcc_lo, exec_lo, s3
	s_cbranch_vccnz .LBB107_198
; %bb.197:
	scratch_load_b64 v[92:93], v59, off
	ds_load_b64 v[94:95], v1
	s_wait_loadcnt_dscnt 0x0
	v_pk_mul_f32 v[96:97], v[94:95], v[92:93] op_sel:[1,1] op_sel_hi:[0,1]
	s_delay_alu instid0(VALU_DEP_1) | instskip(SKIP_1) | instid1(VALU_DEP_2)
	v_pk_fma_f32 v[98:99], v[94:95], v[92:93], v[96:97] op_sel_hi:[1,0,1]
	v_pk_fma_f32 v[92:93], v[94:95], v[92:93], v[96:97] neg_lo:[0,0,1] neg_hi:[0,0,1]
	v_mov_b32_e32 v93, v99
	s_cbranch_execz .LBB107_199
	s_branch .LBB107_200
.LBB107_198:
                                        ; implicit-def: $vgpr92_vgpr93
.LBB107_199:
	ds_load_b64 v[92:93], v1
.LBB107_200:
	s_and_saveexec_b32 s30, s0
	s_cbranch_execz .LBB107_204
; %bb.201:
	v_subrev_nc_u32_e32 v94, 24, v0
	s_movk_i32 s31, 0x220
	s_mov_b32 s0, 0
.LBB107_202:                            ; =>This Inner Loop Header: Depth=1
	scratch_load_b64 v[96:97], off, s28
	v_dual_mov_b32 v95, s31 :: v_dual_add_nc_u32 v94, -1, v94
	s_add_co_i32 s31, s31, 8
	s_wait_xcnt 0x0
	s_add_co_i32 s28, s28, 8
	ds_load_b64 v[98:99], v95
	v_cmp_eq_u32_e32 vcc_lo, 0, v94
	s_or_b32 s0, vcc_lo, s0
	s_wait_loadcnt_dscnt 0x0
	v_pk_mul_f32 v[100:101], v[98:99], v[96:97] op_sel:[1,1] op_sel_hi:[0,1]
	s_delay_alu instid0(VALU_DEP_1) | instskip(SKIP_1) | instid1(VALU_DEP_2)
	v_pk_fma_f32 v[102:103], v[98:99], v[96:97], v[100:101] op_sel_hi:[1,0,1]
	v_pk_fma_f32 v[96:97], v[98:99], v[96:97], v[100:101] neg_lo:[0,0,1] neg_hi:[0,0,1]
	v_mov_b32_e32 v97, v103
	s_delay_alu instid0(VALU_DEP_1)
	v_pk_add_f32 v[92:93], v[92:93], v[96:97]
	s_and_not1_b32 exec_lo, exec_lo, s0
	s_cbranch_execnz .LBB107_202
; %bb.203:
	s_or_b32 exec_lo, exec_lo, s0
.LBB107_204:
	s_delay_alu instid0(SALU_CYCLE_1) | instskip(SKIP_4) | instid1(VALU_DEP_1)
	s_or_b32 exec_lo, exec_lo, s30
	v_mov_b32_e32 v94, 0
	ds_load_b64 v[94:95], v94 offset:184
	s_wait_dscnt 0x0
	v_pk_mul_f32 v[96:97], v[92:93], v[94:95] op_sel:[1,1] op_sel_hi:[0,1]
	v_pk_fma_f32 v[98:99], v[92:93], v[94:95], v[96:97] op_sel_hi:[1,0,1]
	v_pk_fma_f32 v[92:93], v[92:93], v[94:95], v[96:97] neg_lo:[0,0,1] neg_hi:[0,0,1]
	s_delay_alu instid0(VALU_DEP_2)
	v_mov_b32_e32 v93, v99
	scratch_store_b64 off, v[92:93], off offset:184
.LBB107_205:
	s_wait_xcnt 0x0
	s_or_b32 exec_lo, exec_lo, s29
	scratch_load_b64 v[92:93], off, off offset:176
	v_cmp_lt_u32_e64 s0, 22, v0
	s_wait_loadcnt 0x0
	ds_store_b64 v1, v[92:93]
	s_wait_storecnt_dscnt 0x0
	s_barrier_signal -1
	s_barrier_wait -1
	s_wait_xcnt 0x0
	s_and_saveexec_b32 s28, s0
	s_cbranch_execz .LBB107_215
; %bb.206:
	s_and_not1_b32 vcc_lo, exec_lo, s3
	s_cbranch_vccnz .LBB107_208
; %bb.207:
	scratch_load_b64 v[92:93], v59, off
	ds_load_b64 v[94:95], v1
	s_wait_loadcnt_dscnt 0x0
	v_pk_mul_f32 v[96:97], v[94:95], v[92:93] op_sel:[1,1] op_sel_hi:[0,1]
	s_delay_alu instid0(VALU_DEP_1) | instskip(SKIP_1) | instid1(VALU_DEP_2)
	v_pk_fma_f32 v[98:99], v[94:95], v[92:93], v[96:97] op_sel_hi:[1,0,1]
	v_pk_fma_f32 v[92:93], v[94:95], v[92:93], v[96:97] neg_lo:[0,0,1] neg_hi:[0,0,1]
	v_mov_b32_e32 v93, v99
	s_cbranch_execz .LBB107_209
	s_branch .LBB107_210
.LBB107_208:
                                        ; implicit-def: $vgpr92_vgpr93
.LBB107_209:
	ds_load_b64 v[92:93], v1
.LBB107_210:
	s_and_saveexec_b32 s29, s1
	s_cbranch_execz .LBB107_214
; %bb.211:
	v_subrev_nc_u32_e32 v94, 23, v0
	s_movk_i32 s30, 0x218
	s_mov_b32 s1, 0
.LBB107_212:                            ; =>This Inner Loop Header: Depth=1
	scratch_load_b64 v[96:97], off, s27
	v_dual_mov_b32 v95, s30 :: v_dual_add_nc_u32 v94, -1, v94
	s_add_co_i32 s30, s30, 8
	s_wait_xcnt 0x0
	s_add_co_i32 s27, s27, 8
	ds_load_b64 v[98:99], v95
	v_cmp_eq_u32_e32 vcc_lo, 0, v94
	s_or_b32 s1, vcc_lo, s1
	s_wait_loadcnt_dscnt 0x0
	v_pk_mul_f32 v[100:101], v[98:99], v[96:97] op_sel:[1,1] op_sel_hi:[0,1]
	s_delay_alu instid0(VALU_DEP_1) | instskip(SKIP_1) | instid1(VALU_DEP_2)
	v_pk_fma_f32 v[102:103], v[98:99], v[96:97], v[100:101] op_sel_hi:[1,0,1]
	v_pk_fma_f32 v[96:97], v[98:99], v[96:97], v[100:101] neg_lo:[0,0,1] neg_hi:[0,0,1]
	v_mov_b32_e32 v97, v103
	s_delay_alu instid0(VALU_DEP_1)
	v_pk_add_f32 v[92:93], v[92:93], v[96:97]
	s_and_not1_b32 exec_lo, exec_lo, s1
	s_cbranch_execnz .LBB107_212
; %bb.213:
	s_or_b32 exec_lo, exec_lo, s1
.LBB107_214:
	s_delay_alu instid0(SALU_CYCLE_1) | instskip(SKIP_4) | instid1(VALU_DEP_1)
	s_or_b32 exec_lo, exec_lo, s29
	v_mov_b32_e32 v94, 0
	ds_load_b64 v[94:95], v94 offset:176
	s_wait_dscnt 0x0
	v_pk_mul_f32 v[96:97], v[92:93], v[94:95] op_sel:[1,1] op_sel_hi:[0,1]
	v_pk_fma_f32 v[98:99], v[92:93], v[94:95], v[96:97] op_sel_hi:[1,0,1]
	v_pk_fma_f32 v[92:93], v[92:93], v[94:95], v[96:97] neg_lo:[0,0,1] neg_hi:[0,0,1]
	s_delay_alu instid0(VALU_DEP_2)
	v_mov_b32_e32 v93, v99
	scratch_store_b64 off, v[92:93], off offset:176
.LBB107_215:
	s_wait_xcnt 0x0
	s_or_b32 exec_lo, exec_lo, s28
	scratch_load_b64 v[92:93], off, off offset:168
	v_cmp_lt_u32_e64 s1, 21, v0
	s_wait_loadcnt 0x0
	ds_store_b64 v1, v[92:93]
	s_wait_storecnt_dscnt 0x0
	s_barrier_signal -1
	s_barrier_wait -1
	s_wait_xcnt 0x0
	s_and_saveexec_b32 s27, s1
	s_cbranch_execz .LBB107_225
; %bb.216:
	s_and_not1_b32 vcc_lo, exec_lo, s3
	s_cbranch_vccnz .LBB107_218
; %bb.217:
	scratch_load_b64 v[92:93], v59, off
	ds_load_b64 v[94:95], v1
	s_wait_loadcnt_dscnt 0x0
	v_pk_mul_f32 v[96:97], v[94:95], v[92:93] op_sel:[1,1] op_sel_hi:[0,1]
	s_delay_alu instid0(VALU_DEP_1) | instskip(SKIP_1) | instid1(VALU_DEP_2)
	v_pk_fma_f32 v[98:99], v[94:95], v[92:93], v[96:97] op_sel_hi:[1,0,1]
	v_pk_fma_f32 v[92:93], v[94:95], v[92:93], v[96:97] neg_lo:[0,0,1] neg_hi:[0,0,1]
	v_mov_b32_e32 v93, v99
	s_cbranch_execz .LBB107_219
	s_branch .LBB107_220
.LBB107_218:
                                        ; implicit-def: $vgpr92_vgpr93
.LBB107_219:
	ds_load_b64 v[92:93], v1
.LBB107_220:
	s_and_saveexec_b32 s28, s0
	s_cbranch_execz .LBB107_224
; %bb.221:
	v_subrev_nc_u32_e32 v94, 22, v0
	s_movk_i32 s29, 0x210
	s_mov_b32 s0, 0
.LBB107_222:                            ; =>This Inner Loop Header: Depth=1
	scratch_load_b64 v[96:97], off, s26
	v_dual_mov_b32 v95, s29 :: v_dual_add_nc_u32 v94, -1, v94
	s_add_co_i32 s29, s29, 8
	s_wait_xcnt 0x0
	s_add_co_i32 s26, s26, 8
	ds_load_b64 v[98:99], v95
	v_cmp_eq_u32_e32 vcc_lo, 0, v94
	s_or_b32 s0, vcc_lo, s0
	s_wait_loadcnt_dscnt 0x0
	v_pk_mul_f32 v[100:101], v[98:99], v[96:97] op_sel:[1,1] op_sel_hi:[0,1]
	s_delay_alu instid0(VALU_DEP_1) | instskip(SKIP_1) | instid1(VALU_DEP_2)
	v_pk_fma_f32 v[102:103], v[98:99], v[96:97], v[100:101] op_sel_hi:[1,0,1]
	v_pk_fma_f32 v[96:97], v[98:99], v[96:97], v[100:101] neg_lo:[0,0,1] neg_hi:[0,0,1]
	v_mov_b32_e32 v97, v103
	s_delay_alu instid0(VALU_DEP_1)
	v_pk_add_f32 v[92:93], v[92:93], v[96:97]
	s_and_not1_b32 exec_lo, exec_lo, s0
	s_cbranch_execnz .LBB107_222
; %bb.223:
	s_or_b32 exec_lo, exec_lo, s0
.LBB107_224:
	s_delay_alu instid0(SALU_CYCLE_1) | instskip(SKIP_4) | instid1(VALU_DEP_1)
	s_or_b32 exec_lo, exec_lo, s28
	v_mov_b32_e32 v94, 0
	ds_load_b64 v[94:95], v94 offset:168
	s_wait_dscnt 0x0
	v_pk_mul_f32 v[96:97], v[92:93], v[94:95] op_sel:[1,1] op_sel_hi:[0,1]
	v_pk_fma_f32 v[98:99], v[92:93], v[94:95], v[96:97] op_sel_hi:[1,0,1]
	v_pk_fma_f32 v[92:93], v[92:93], v[94:95], v[96:97] neg_lo:[0,0,1] neg_hi:[0,0,1]
	s_delay_alu instid0(VALU_DEP_2)
	v_mov_b32_e32 v93, v99
	scratch_store_b64 off, v[92:93], off offset:168
.LBB107_225:
	s_wait_xcnt 0x0
	s_or_b32 exec_lo, exec_lo, s27
	scratch_load_b64 v[92:93], off, off offset:160
	v_cmp_lt_u32_e64 s0, 20, v0
	s_wait_loadcnt 0x0
	ds_store_b64 v1, v[92:93]
	s_wait_storecnt_dscnt 0x0
	s_barrier_signal -1
	s_barrier_wait -1
	s_wait_xcnt 0x0
	s_and_saveexec_b32 s26, s0
	s_cbranch_execz .LBB107_235
; %bb.226:
	s_and_not1_b32 vcc_lo, exec_lo, s3
	s_cbranch_vccnz .LBB107_228
; %bb.227:
	scratch_load_b64 v[92:93], v59, off
	ds_load_b64 v[94:95], v1
	s_wait_loadcnt_dscnt 0x0
	v_pk_mul_f32 v[96:97], v[94:95], v[92:93] op_sel:[1,1] op_sel_hi:[0,1]
	s_delay_alu instid0(VALU_DEP_1) | instskip(SKIP_1) | instid1(VALU_DEP_2)
	v_pk_fma_f32 v[98:99], v[94:95], v[92:93], v[96:97] op_sel_hi:[1,0,1]
	v_pk_fma_f32 v[92:93], v[94:95], v[92:93], v[96:97] neg_lo:[0,0,1] neg_hi:[0,0,1]
	v_mov_b32_e32 v93, v99
	s_cbranch_execz .LBB107_229
	s_branch .LBB107_230
.LBB107_228:
                                        ; implicit-def: $vgpr92_vgpr93
.LBB107_229:
	ds_load_b64 v[92:93], v1
.LBB107_230:
	s_and_saveexec_b32 s27, s1
	s_cbranch_execz .LBB107_234
; %bb.231:
	v_subrev_nc_u32_e32 v94, 21, v0
	s_movk_i32 s28, 0x208
	s_mov_b32 s1, 0
.LBB107_232:                            ; =>This Inner Loop Header: Depth=1
	scratch_load_b64 v[96:97], off, s25
	v_dual_mov_b32 v95, s28 :: v_dual_add_nc_u32 v94, -1, v94
	s_add_co_i32 s28, s28, 8
	s_wait_xcnt 0x0
	s_add_co_i32 s25, s25, 8
	ds_load_b64 v[98:99], v95
	v_cmp_eq_u32_e32 vcc_lo, 0, v94
	s_or_b32 s1, vcc_lo, s1
	s_wait_loadcnt_dscnt 0x0
	v_pk_mul_f32 v[100:101], v[98:99], v[96:97] op_sel:[1,1] op_sel_hi:[0,1]
	s_delay_alu instid0(VALU_DEP_1) | instskip(SKIP_1) | instid1(VALU_DEP_2)
	v_pk_fma_f32 v[102:103], v[98:99], v[96:97], v[100:101] op_sel_hi:[1,0,1]
	v_pk_fma_f32 v[96:97], v[98:99], v[96:97], v[100:101] neg_lo:[0,0,1] neg_hi:[0,0,1]
	v_mov_b32_e32 v97, v103
	s_delay_alu instid0(VALU_DEP_1)
	v_pk_add_f32 v[92:93], v[92:93], v[96:97]
	s_and_not1_b32 exec_lo, exec_lo, s1
	s_cbranch_execnz .LBB107_232
; %bb.233:
	s_or_b32 exec_lo, exec_lo, s1
.LBB107_234:
	s_delay_alu instid0(SALU_CYCLE_1) | instskip(SKIP_4) | instid1(VALU_DEP_1)
	s_or_b32 exec_lo, exec_lo, s27
	v_mov_b32_e32 v94, 0
	ds_load_b64 v[94:95], v94 offset:160
	s_wait_dscnt 0x0
	v_pk_mul_f32 v[96:97], v[92:93], v[94:95] op_sel:[1,1] op_sel_hi:[0,1]
	v_pk_fma_f32 v[98:99], v[92:93], v[94:95], v[96:97] op_sel_hi:[1,0,1]
	v_pk_fma_f32 v[92:93], v[92:93], v[94:95], v[96:97] neg_lo:[0,0,1] neg_hi:[0,0,1]
	s_delay_alu instid0(VALU_DEP_2)
	v_mov_b32_e32 v93, v99
	scratch_store_b64 off, v[92:93], off offset:160
.LBB107_235:
	s_wait_xcnt 0x0
	s_or_b32 exec_lo, exec_lo, s26
	scratch_load_b64 v[92:93], off, off offset:152
	v_cmp_lt_u32_e64 s1, 19, v0
	s_wait_loadcnt 0x0
	ds_store_b64 v1, v[92:93]
	s_wait_storecnt_dscnt 0x0
	s_barrier_signal -1
	s_barrier_wait -1
	s_wait_xcnt 0x0
	s_and_saveexec_b32 s25, s1
	s_cbranch_execz .LBB107_245
; %bb.236:
	s_and_not1_b32 vcc_lo, exec_lo, s3
	s_cbranch_vccnz .LBB107_238
; %bb.237:
	scratch_load_b64 v[92:93], v59, off
	ds_load_b64 v[94:95], v1
	s_wait_loadcnt_dscnt 0x0
	v_pk_mul_f32 v[96:97], v[94:95], v[92:93] op_sel:[1,1] op_sel_hi:[0,1]
	s_delay_alu instid0(VALU_DEP_1) | instskip(SKIP_1) | instid1(VALU_DEP_2)
	v_pk_fma_f32 v[98:99], v[94:95], v[92:93], v[96:97] op_sel_hi:[1,0,1]
	v_pk_fma_f32 v[92:93], v[94:95], v[92:93], v[96:97] neg_lo:[0,0,1] neg_hi:[0,0,1]
	v_mov_b32_e32 v93, v99
	s_cbranch_execz .LBB107_239
	s_branch .LBB107_240
.LBB107_238:
                                        ; implicit-def: $vgpr92_vgpr93
.LBB107_239:
	ds_load_b64 v[92:93], v1
.LBB107_240:
	s_and_saveexec_b32 s26, s0
	s_cbranch_execz .LBB107_244
; %bb.241:
	v_subrev_nc_u32_e32 v94, 20, v0
	s_movk_i32 s27, 0x200
	s_mov_b32 s0, 0
.LBB107_242:                            ; =>This Inner Loop Header: Depth=1
	scratch_load_b64 v[96:97], off, s24
	v_dual_mov_b32 v95, s27 :: v_dual_add_nc_u32 v94, -1, v94
	s_add_co_i32 s27, s27, 8
	s_wait_xcnt 0x0
	s_add_co_i32 s24, s24, 8
	ds_load_b64 v[98:99], v95
	v_cmp_eq_u32_e32 vcc_lo, 0, v94
	s_or_b32 s0, vcc_lo, s0
	s_wait_loadcnt_dscnt 0x0
	v_pk_mul_f32 v[100:101], v[98:99], v[96:97] op_sel:[1,1] op_sel_hi:[0,1]
	s_delay_alu instid0(VALU_DEP_1) | instskip(SKIP_1) | instid1(VALU_DEP_2)
	v_pk_fma_f32 v[102:103], v[98:99], v[96:97], v[100:101] op_sel_hi:[1,0,1]
	v_pk_fma_f32 v[96:97], v[98:99], v[96:97], v[100:101] neg_lo:[0,0,1] neg_hi:[0,0,1]
	v_mov_b32_e32 v97, v103
	s_delay_alu instid0(VALU_DEP_1)
	v_pk_add_f32 v[92:93], v[92:93], v[96:97]
	s_and_not1_b32 exec_lo, exec_lo, s0
	s_cbranch_execnz .LBB107_242
; %bb.243:
	s_or_b32 exec_lo, exec_lo, s0
.LBB107_244:
	s_delay_alu instid0(SALU_CYCLE_1) | instskip(SKIP_4) | instid1(VALU_DEP_1)
	s_or_b32 exec_lo, exec_lo, s26
	v_mov_b32_e32 v94, 0
	ds_load_b64 v[94:95], v94 offset:152
	s_wait_dscnt 0x0
	v_pk_mul_f32 v[96:97], v[92:93], v[94:95] op_sel:[1,1] op_sel_hi:[0,1]
	v_pk_fma_f32 v[98:99], v[92:93], v[94:95], v[96:97] op_sel_hi:[1,0,1]
	v_pk_fma_f32 v[92:93], v[92:93], v[94:95], v[96:97] neg_lo:[0,0,1] neg_hi:[0,0,1]
	s_delay_alu instid0(VALU_DEP_2)
	v_mov_b32_e32 v93, v99
	scratch_store_b64 off, v[92:93], off offset:152
.LBB107_245:
	s_wait_xcnt 0x0
	s_or_b32 exec_lo, exec_lo, s25
	scratch_load_b64 v[92:93], off, off offset:144
	v_cmp_lt_u32_e64 s0, 18, v0
	s_wait_loadcnt 0x0
	ds_store_b64 v1, v[92:93]
	s_wait_storecnt_dscnt 0x0
	s_barrier_signal -1
	s_barrier_wait -1
	s_wait_xcnt 0x0
	s_and_saveexec_b32 s24, s0
	s_cbranch_execz .LBB107_255
; %bb.246:
	s_and_not1_b32 vcc_lo, exec_lo, s3
	s_cbranch_vccnz .LBB107_248
; %bb.247:
	scratch_load_b64 v[92:93], v59, off
	ds_load_b64 v[94:95], v1
	s_wait_loadcnt_dscnt 0x0
	v_pk_mul_f32 v[96:97], v[94:95], v[92:93] op_sel:[1,1] op_sel_hi:[0,1]
	s_delay_alu instid0(VALU_DEP_1) | instskip(SKIP_1) | instid1(VALU_DEP_2)
	v_pk_fma_f32 v[98:99], v[94:95], v[92:93], v[96:97] op_sel_hi:[1,0,1]
	v_pk_fma_f32 v[92:93], v[94:95], v[92:93], v[96:97] neg_lo:[0,0,1] neg_hi:[0,0,1]
	v_mov_b32_e32 v93, v99
	s_cbranch_execz .LBB107_249
	s_branch .LBB107_250
.LBB107_248:
                                        ; implicit-def: $vgpr92_vgpr93
.LBB107_249:
	ds_load_b64 v[92:93], v1
.LBB107_250:
	s_and_saveexec_b32 s25, s1
	s_cbranch_execz .LBB107_254
; %bb.251:
	v_subrev_nc_u32_e32 v94, 19, v0
	s_movk_i32 s26, 0x1f8
	s_mov_b32 s1, 0
.LBB107_252:                            ; =>This Inner Loop Header: Depth=1
	scratch_load_b64 v[96:97], off, s23
	v_dual_mov_b32 v95, s26 :: v_dual_add_nc_u32 v94, -1, v94
	s_add_co_i32 s26, s26, 8
	s_wait_xcnt 0x0
	s_add_co_i32 s23, s23, 8
	ds_load_b64 v[98:99], v95
	v_cmp_eq_u32_e32 vcc_lo, 0, v94
	s_or_b32 s1, vcc_lo, s1
	s_wait_loadcnt_dscnt 0x0
	v_pk_mul_f32 v[100:101], v[98:99], v[96:97] op_sel:[1,1] op_sel_hi:[0,1]
	s_delay_alu instid0(VALU_DEP_1) | instskip(SKIP_1) | instid1(VALU_DEP_2)
	v_pk_fma_f32 v[102:103], v[98:99], v[96:97], v[100:101] op_sel_hi:[1,0,1]
	v_pk_fma_f32 v[96:97], v[98:99], v[96:97], v[100:101] neg_lo:[0,0,1] neg_hi:[0,0,1]
	v_mov_b32_e32 v97, v103
	s_delay_alu instid0(VALU_DEP_1)
	v_pk_add_f32 v[92:93], v[92:93], v[96:97]
	s_and_not1_b32 exec_lo, exec_lo, s1
	s_cbranch_execnz .LBB107_252
; %bb.253:
	s_or_b32 exec_lo, exec_lo, s1
.LBB107_254:
	s_delay_alu instid0(SALU_CYCLE_1) | instskip(SKIP_4) | instid1(VALU_DEP_1)
	s_or_b32 exec_lo, exec_lo, s25
	v_mov_b32_e32 v94, 0
	ds_load_b64 v[94:95], v94 offset:144
	s_wait_dscnt 0x0
	v_pk_mul_f32 v[96:97], v[92:93], v[94:95] op_sel:[1,1] op_sel_hi:[0,1]
	v_pk_fma_f32 v[98:99], v[92:93], v[94:95], v[96:97] op_sel_hi:[1,0,1]
	v_pk_fma_f32 v[92:93], v[92:93], v[94:95], v[96:97] neg_lo:[0,0,1] neg_hi:[0,0,1]
	s_delay_alu instid0(VALU_DEP_2)
	v_mov_b32_e32 v93, v99
	scratch_store_b64 off, v[92:93], off offset:144
.LBB107_255:
	s_wait_xcnt 0x0
	s_or_b32 exec_lo, exec_lo, s24
	scratch_load_b64 v[92:93], off, off offset:136
	v_cmp_lt_u32_e64 s1, 17, v0
	s_wait_loadcnt 0x0
	ds_store_b64 v1, v[92:93]
	s_wait_storecnt_dscnt 0x0
	s_barrier_signal -1
	s_barrier_wait -1
	s_wait_xcnt 0x0
	s_and_saveexec_b32 s23, s1
	s_cbranch_execz .LBB107_265
; %bb.256:
	s_and_not1_b32 vcc_lo, exec_lo, s3
	s_cbranch_vccnz .LBB107_258
; %bb.257:
	scratch_load_b64 v[92:93], v59, off
	ds_load_b64 v[94:95], v1
	s_wait_loadcnt_dscnt 0x0
	v_pk_mul_f32 v[96:97], v[94:95], v[92:93] op_sel:[1,1] op_sel_hi:[0,1]
	s_delay_alu instid0(VALU_DEP_1) | instskip(SKIP_1) | instid1(VALU_DEP_2)
	v_pk_fma_f32 v[98:99], v[94:95], v[92:93], v[96:97] op_sel_hi:[1,0,1]
	v_pk_fma_f32 v[92:93], v[94:95], v[92:93], v[96:97] neg_lo:[0,0,1] neg_hi:[0,0,1]
	v_mov_b32_e32 v93, v99
	s_cbranch_execz .LBB107_259
	s_branch .LBB107_260
.LBB107_258:
                                        ; implicit-def: $vgpr92_vgpr93
.LBB107_259:
	ds_load_b64 v[92:93], v1
.LBB107_260:
	s_and_saveexec_b32 s24, s0
	s_cbranch_execz .LBB107_264
; %bb.261:
	v_subrev_nc_u32_e32 v94, 18, v0
	s_movk_i32 s25, 0x1f0
	s_mov_b32 s0, 0
.LBB107_262:                            ; =>This Inner Loop Header: Depth=1
	scratch_load_b64 v[96:97], off, s22
	v_dual_mov_b32 v95, s25 :: v_dual_add_nc_u32 v94, -1, v94
	s_add_co_i32 s25, s25, 8
	s_wait_xcnt 0x0
	s_add_co_i32 s22, s22, 8
	ds_load_b64 v[98:99], v95
	v_cmp_eq_u32_e32 vcc_lo, 0, v94
	s_or_b32 s0, vcc_lo, s0
	s_wait_loadcnt_dscnt 0x0
	v_pk_mul_f32 v[100:101], v[98:99], v[96:97] op_sel:[1,1] op_sel_hi:[0,1]
	s_delay_alu instid0(VALU_DEP_1) | instskip(SKIP_1) | instid1(VALU_DEP_2)
	v_pk_fma_f32 v[102:103], v[98:99], v[96:97], v[100:101] op_sel_hi:[1,0,1]
	v_pk_fma_f32 v[96:97], v[98:99], v[96:97], v[100:101] neg_lo:[0,0,1] neg_hi:[0,0,1]
	v_mov_b32_e32 v97, v103
	s_delay_alu instid0(VALU_DEP_1)
	v_pk_add_f32 v[92:93], v[92:93], v[96:97]
	s_and_not1_b32 exec_lo, exec_lo, s0
	s_cbranch_execnz .LBB107_262
; %bb.263:
	s_or_b32 exec_lo, exec_lo, s0
.LBB107_264:
	s_delay_alu instid0(SALU_CYCLE_1) | instskip(SKIP_4) | instid1(VALU_DEP_1)
	s_or_b32 exec_lo, exec_lo, s24
	v_mov_b32_e32 v94, 0
	ds_load_b64 v[94:95], v94 offset:136
	s_wait_dscnt 0x0
	v_pk_mul_f32 v[96:97], v[92:93], v[94:95] op_sel:[1,1] op_sel_hi:[0,1]
	v_pk_fma_f32 v[98:99], v[92:93], v[94:95], v[96:97] op_sel_hi:[1,0,1]
	v_pk_fma_f32 v[92:93], v[92:93], v[94:95], v[96:97] neg_lo:[0,0,1] neg_hi:[0,0,1]
	s_delay_alu instid0(VALU_DEP_2)
	v_mov_b32_e32 v93, v99
	scratch_store_b64 off, v[92:93], off offset:136
.LBB107_265:
	s_wait_xcnt 0x0
	s_or_b32 exec_lo, exec_lo, s23
	scratch_load_b64 v[92:93], off, off offset:128
	v_cmp_lt_u32_e64 s0, 16, v0
	s_wait_loadcnt 0x0
	ds_store_b64 v1, v[92:93]
	s_wait_storecnt_dscnt 0x0
	s_barrier_signal -1
	s_barrier_wait -1
	s_wait_xcnt 0x0
	s_and_saveexec_b32 s22, s0
	s_cbranch_execz .LBB107_275
; %bb.266:
	s_and_not1_b32 vcc_lo, exec_lo, s3
	s_cbranch_vccnz .LBB107_268
; %bb.267:
	scratch_load_b64 v[92:93], v59, off
	ds_load_b64 v[94:95], v1
	s_wait_loadcnt_dscnt 0x0
	v_pk_mul_f32 v[96:97], v[94:95], v[92:93] op_sel:[1,1] op_sel_hi:[0,1]
	s_delay_alu instid0(VALU_DEP_1) | instskip(SKIP_1) | instid1(VALU_DEP_2)
	v_pk_fma_f32 v[98:99], v[94:95], v[92:93], v[96:97] op_sel_hi:[1,0,1]
	v_pk_fma_f32 v[92:93], v[94:95], v[92:93], v[96:97] neg_lo:[0,0,1] neg_hi:[0,0,1]
	v_mov_b32_e32 v93, v99
	s_cbranch_execz .LBB107_269
	s_branch .LBB107_270
.LBB107_268:
                                        ; implicit-def: $vgpr92_vgpr93
.LBB107_269:
	ds_load_b64 v[92:93], v1
.LBB107_270:
	s_and_saveexec_b32 s23, s1
	s_cbranch_execz .LBB107_274
; %bb.271:
	v_subrev_nc_u32_e32 v94, 17, v0
	s_movk_i32 s24, 0x1e8
	s_mov_b32 s1, 0
.LBB107_272:                            ; =>This Inner Loop Header: Depth=1
	scratch_load_b64 v[96:97], off, s21
	v_dual_mov_b32 v95, s24 :: v_dual_add_nc_u32 v94, -1, v94
	s_add_co_i32 s24, s24, 8
	s_wait_xcnt 0x0
	s_add_co_i32 s21, s21, 8
	ds_load_b64 v[98:99], v95
	v_cmp_eq_u32_e32 vcc_lo, 0, v94
	s_or_b32 s1, vcc_lo, s1
	s_wait_loadcnt_dscnt 0x0
	v_pk_mul_f32 v[100:101], v[98:99], v[96:97] op_sel:[1,1] op_sel_hi:[0,1]
	s_delay_alu instid0(VALU_DEP_1) | instskip(SKIP_1) | instid1(VALU_DEP_2)
	v_pk_fma_f32 v[102:103], v[98:99], v[96:97], v[100:101] op_sel_hi:[1,0,1]
	v_pk_fma_f32 v[96:97], v[98:99], v[96:97], v[100:101] neg_lo:[0,0,1] neg_hi:[0,0,1]
	v_mov_b32_e32 v97, v103
	s_delay_alu instid0(VALU_DEP_1)
	v_pk_add_f32 v[92:93], v[92:93], v[96:97]
	s_and_not1_b32 exec_lo, exec_lo, s1
	s_cbranch_execnz .LBB107_272
; %bb.273:
	s_or_b32 exec_lo, exec_lo, s1
.LBB107_274:
	s_delay_alu instid0(SALU_CYCLE_1) | instskip(SKIP_4) | instid1(VALU_DEP_1)
	s_or_b32 exec_lo, exec_lo, s23
	v_mov_b32_e32 v94, 0
	ds_load_b64 v[94:95], v94 offset:128
	s_wait_dscnt 0x0
	v_pk_mul_f32 v[96:97], v[92:93], v[94:95] op_sel:[1,1] op_sel_hi:[0,1]
	v_pk_fma_f32 v[98:99], v[92:93], v[94:95], v[96:97] op_sel_hi:[1,0,1]
	v_pk_fma_f32 v[92:93], v[92:93], v[94:95], v[96:97] neg_lo:[0,0,1] neg_hi:[0,0,1]
	s_delay_alu instid0(VALU_DEP_2)
	v_mov_b32_e32 v93, v99
	scratch_store_b64 off, v[92:93], off offset:128
.LBB107_275:
	s_wait_xcnt 0x0
	s_or_b32 exec_lo, exec_lo, s22
	scratch_load_b64 v[92:93], off, off offset:120
	v_cmp_lt_u32_e64 s1, 15, v0
	s_wait_loadcnt 0x0
	ds_store_b64 v1, v[92:93]
	s_wait_storecnt_dscnt 0x0
	s_barrier_signal -1
	s_barrier_wait -1
	s_wait_xcnt 0x0
	s_and_saveexec_b32 s21, s1
	s_cbranch_execz .LBB107_285
; %bb.276:
	s_and_not1_b32 vcc_lo, exec_lo, s3
	s_cbranch_vccnz .LBB107_278
; %bb.277:
	scratch_load_b64 v[92:93], v59, off
	ds_load_b64 v[94:95], v1
	s_wait_loadcnt_dscnt 0x0
	v_pk_mul_f32 v[96:97], v[94:95], v[92:93] op_sel:[1,1] op_sel_hi:[0,1]
	s_delay_alu instid0(VALU_DEP_1) | instskip(SKIP_1) | instid1(VALU_DEP_2)
	v_pk_fma_f32 v[98:99], v[94:95], v[92:93], v[96:97] op_sel_hi:[1,0,1]
	v_pk_fma_f32 v[92:93], v[94:95], v[92:93], v[96:97] neg_lo:[0,0,1] neg_hi:[0,0,1]
	v_mov_b32_e32 v93, v99
	s_cbranch_execz .LBB107_279
	s_branch .LBB107_280
.LBB107_278:
                                        ; implicit-def: $vgpr92_vgpr93
.LBB107_279:
	ds_load_b64 v[92:93], v1
.LBB107_280:
	s_and_saveexec_b32 s22, s0
	s_cbranch_execz .LBB107_284
; %bb.281:
	v_add_nc_u32_e32 v94, -16, v0
	s_movk_i32 s23, 0x1e0
	s_mov_b32 s0, 0
.LBB107_282:                            ; =>This Inner Loop Header: Depth=1
	scratch_load_b64 v[96:97], off, s20
	v_dual_mov_b32 v95, s23 :: v_dual_add_nc_u32 v94, -1, v94
	s_add_co_i32 s23, s23, 8
	s_wait_xcnt 0x0
	s_add_co_i32 s20, s20, 8
	ds_load_b64 v[98:99], v95
	v_cmp_eq_u32_e32 vcc_lo, 0, v94
	s_or_b32 s0, vcc_lo, s0
	s_wait_loadcnt_dscnt 0x0
	v_pk_mul_f32 v[100:101], v[98:99], v[96:97] op_sel:[1,1] op_sel_hi:[0,1]
	s_delay_alu instid0(VALU_DEP_1) | instskip(SKIP_1) | instid1(VALU_DEP_2)
	v_pk_fma_f32 v[102:103], v[98:99], v[96:97], v[100:101] op_sel_hi:[1,0,1]
	v_pk_fma_f32 v[96:97], v[98:99], v[96:97], v[100:101] neg_lo:[0,0,1] neg_hi:[0,0,1]
	v_mov_b32_e32 v97, v103
	s_delay_alu instid0(VALU_DEP_1)
	v_pk_add_f32 v[92:93], v[92:93], v[96:97]
	s_and_not1_b32 exec_lo, exec_lo, s0
	s_cbranch_execnz .LBB107_282
; %bb.283:
	s_or_b32 exec_lo, exec_lo, s0
.LBB107_284:
	s_delay_alu instid0(SALU_CYCLE_1) | instskip(SKIP_4) | instid1(VALU_DEP_1)
	s_or_b32 exec_lo, exec_lo, s22
	v_mov_b32_e32 v94, 0
	ds_load_b64 v[94:95], v94 offset:120
	s_wait_dscnt 0x0
	v_pk_mul_f32 v[96:97], v[92:93], v[94:95] op_sel:[1,1] op_sel_hi:[0,1]
	v_pk_fma_f32 v[98:99], v[92:93], v[94:95], v[96:97] op_sel_hi:[1,0,1]
	v_pk_fma_f32 v[92:93], v[92:93], v[94:95], v[96:97] neg_lo:[0,0,1] neg_hi:[0,0,1]
	s_delay_alu instid0(VALU_DEP_2)
	v_mov_b32_e32 v93, v99
	scratch_store_b64 off, v[92:93], off offset:120
.LBB107_285:
	s_wait_xcnt 0x0
	s_or_b32 exec_lo, exec_lo, s21
	scratch_load_b64 v[92:93], off, off offset:112
	v_cmp_lt_u32_e64 s0, 14, v0
	s_wait_loadcnt 0x0
	ds_store_b64 v1, v[92:93]
	s_wait_storecnt_dscnt 0x0
	s_barrier_signal -1
	s_barrier_wait -1
	s_wait_xcnt 0x0
	s_and_saveexec_b32 s20, s0
	s_cbranch_execz .LBB107_295
; %bb.286:
	s_and_not1_b32 vcc_lo, exec_lo, s3
	s_cbranch_vccnz .LBB107_288
; %bb.287:
	scratch_load_b64 v[92:93], v59, off
	ds_load_b64 v[94:95], v1
	s_wait_loadcnt_dscnt 0x0
	v_pk_mul_f32 v[96:97], v[94:95], v[92:93] op_sel:[1,1] op_sel_hi:[0,1]
	s_delay_alu instid0(VALU_DEP_1) | instskip(SKIP_1) | instid1(VALU_DEP_2)
	v_pk_fma_f32 v[98:99], v[94:95], v[92:93], v[96:97] op_sel_hi:[1,0,1]
	v_pk_fma_f32 v[92:93], v[94:95], v[92:93], v[96:97] neg_lo:[0,0,1] neg_hi:[0,0,1]
	v_mov_b32_e32 v93, v99
	s_cbranch_execz .LBB107_289
	s_branch .LBB107_290
.LBB107_288:
                                        ; implicit-def: $vgpr92_vgpr93
.LBB107_289:
	ds_load_b64 v[92:93], v1
.LBB107_290:
	s_and_saveexec_b32 s21, s1
	s_cbranch_execz .LBB107_294
; %bb.291:
	v_add_nc_u32_e32 v94, -15, v0
	s_movk_i32 s22, 0x1d8
	s_mov_b32 s1, 0
.LBB107_292:                            ; =>This Inner Loop Header: Depth=1
	scratch_load_b64 v[96:97], off, s19
	v_dual_mov_b32 v95, s22 :: v_dual_add_nc_u32 v94, -1, v94
	s_add_co_i32 s22, s22, 8
	s_wait_xcnt 0x0
	s_add_co_i32 s19, s19, 8
	ds_load_b64 v[98:99], v95
	v_cmp_eq_u32_e32 vcc_lo, 0, v94
	s_or_b32 s1, vcc_lo, s1
	s_wait_loadcnt_dscnt 0x0
	v_pk_mul_f32 v[100:101], v[98:99], v[96:97] op_sel:[1,1] op_sel_hi:[0,1]
	s_delay_alu instid0(VALU_DEP_1) | instskip(SKIP_1) | instid1(VALU_DEP_2)
	v_pk_fma_f32 v[102:103], v[98:99], v[96:97], v[100:101] op_sel_hi:[1,0,1]
	v_pk_fma_f32 v[96:97], v[98:99], v[96:97], v[100:101] neg_lo:[0,0,1] neg_hi:[0,0,1]
	v_mov_b32_e32 v97, v103
	s_delay_alu instid0(VALU_DEP_1)
	v_pk_add_f32 v[92:93], v[92:93], v[96:97]
	s_and_not1_b32 exec_lo, exec_lo, s1
	s_cbranch_execnz .LBB107_292
; %bb.293:
	s_or_b32 exec_lo, exec_lo, s1
.LBB107_294:
	s_delay_alu instid0(SALU_CYCLE_1) | instskip(SKIP_4) | instid1(VALU_DEP_1)
	s_or_b32 exec_lo, exec_lo, s21
	v_mov_b32_e32 v94, 0
	ds_load_b64 v[94:95], v94 offset:112
	s_wait_dscnt 0x0
	v_pk_mul_f32 v[96:97], v[92:93], v[94:95] op_sel:[1,1] op_sel_hi:[0,1]
	v_pk_fma_f32 v[98:99], v[92:93], v[94:95], v[96:97] op_sel_hi:[1,0,1]
	v_pk_fma_f32 v[92:93], v[92:93], v[94:95], v[96:97] neg_lo:[0,0,1] neg_hi:[0,0,1]
	s_delay_alu instid0(VALU_DEP_2)
	v_mov_b32_e32 v93, v99
	scratch_store_b64 off, v[92:93], off offset:112
.LBB107_295:
	s_wait_xcnt 0x0
	s_or_b32 exec_lo, exec_lo, s20
	scratch_load_b64 v[92:93], off, off offset:104
	v_cmp_lt_u32_e64 s1, 13, v0
	s_wait_loadcnt 0x0
	ds_store_b64 v1, v[92:93]
	s_wait_storecnt_dscnt 0x0
	s_barrier_signal -1
	s_barrier_wait -1
	s_wait_xcnt 0x0
	s_and_saveexec_b32 s19, s1
	s_cbranch_execz .LBB107_305
; %bb.296:
	s_and_not1_b32 vcc_lo, exec_lo, s3
	s_cbranch_vccnz .LBB107_298
; %bb.297:
	scratch_load_b64 v[92:93], v59, off
	ds_load_b64 v[94:95], v1
	s_wait_loadcnt_dscnt 0x0
	v_pk_mul_f32 v[96:97], v[94:95], v[92:93] op_sel:[1,1] op_sel_hi:[0,1]
	s_delay_alu instid0(VALU_DEP_1) | instskip(SKIP_1) | instid1(VALU_DEP_2)
	v_pk_fma_f32 v[98:99], v[94:95], v[92:93], v[96:97] op_sel_hi:[1,0,1]
	v_pk_fma_f32 v[92:93], v[94:95], v[92:93], v[96:97] neg_lo:[0,0,1] neg_hi:[0,0,1]
	v_mov_b32_e32 v93, v99
	s_cbranch_execz .LBB107_299
	s_branch .LBB107_300
.LBB107_298:
                                        ; implicit-def: $vgpr92_vgpr93
.LBB107_299:
	ds_load_b64 v[92:93], v1
.LBB107_300:
	s_and_saveexec_b32 s20, s0
	s_cbranch_execz .LBB107_304
; %bb.301:
	v_add_nc_u32_e32 v94, -14, v0
	s_movk_i32 s21, 0x1d0
	s_mov_b32 s0, 0
.LBB107_302:                            ; =>This Inner Loop Header: Depth=1
	scratch_load_b64 v[96:97], off, s18
	v_dual_mov_b32 v95, s21 :: v_dual_add_nc_u32 v94, -1, v94
	s_add_co_i32 s21, s21, 8
	s_wait_xcnt 0x0
	s_add_co_i32 s18, s18, 8
	ds_load_b64 v[98:99], v95
	v_cmp_eq_u32_e32 vcc_lo, 0, v94
	s_or_b32 s0, vcc_lo, s0
	s_wait_loadcnt_dscnt 0x0
	v_pk_mul_f32 v[100:101], v[98:99], v[96:97] op_sel:[1,1] op_sel_hi:[0,1]
	s_delay_alu instid0(VALU_DEP_1) | instskip(SKIP_1) | instid1(VALU_DEP_2)
	v_pk_fma_f32 v[102:103], v[98:99], v[96:97], v[100:101] op_sel_hi:[1,0,1]
	v_pk_fma_f32 v[96:97], v[98:99], v[96:97], v[100:101] neg_lo:[0,0,1] neg_hi:[0,0,1]
	v_mov_b32_e32 v97, v103
	s_delay_alu instid0(VALU_DEP_1)
	v_pk_add_f32 v[92:93], v[92:93], v[96:97]
	s_and_not1_b32 exec_lo, exec_lo, s0
	s_cbranch_execnz .LBB107_302
; %bb.303:
	s_or_b32 exec_lo, exec_lo, s0
.LBB107_304:
	s_delay_alu instid0(SALU_CYCLE_1) | instskip(SKIP_4) | instid1(VALU_DEP_1)
	s_or_b32 exec_lo, exec_lo, s20
	v_mov_b32_e32 v94, 0
	ds_load_b64 v[94:95], v94 offset:104
	s_wait_dscnt 0x0
	v_pk_mul_f32 v[96:97], v[92:93], v[94:95] op_sel:[1,1] op_sel_hi:[0,1]
	v_pk_fma_f32 v[98:99], v[92:93], v[94:95], v[96:97] op_sel_hi:[1,0,1]
	v_pk_fma_f32 v[92:93], v[92:93], v[94:95], v[96:97] neg_lo:[0,0,1] neg_hi:[0,0,1]
	s_delay_alu instid0(VALU_DEP_2)
	v_mov_b32_e32 v93, v99
	scratch_store_b64 off, v[92:93], off offset:104
.LBB107_305:
	s_wait_xcnt 0x0
	s_or_b32 exec_lo, exec_lo, s19
	scratch_load_b64 v[92:93], off, off offset:96
	v_cmp_lt_u32_e64 s0, 12, v0
	s_wait_loadcnt 0x0
	ds_store_b64 v1, v[92:93]
	s_wait_storecnt_dscnt 0x0
	s_barrier_signal -1
	s_barrier_wait -1
	s_wait_xcnt 0x0
	s_and_saveexec_b32 s18, s0
	s_cbranch_execz .LBB107_315
; %bb.306:
	s_and_not1_b32 vcc_lo, exec_lo, s3
	s_cbranch_vccnz .LBB107_308
; %bb.307:
	scratch_load_b64 v[92:93], v59, off
	ds_load_b64 v[94:95], v1
	s_wait_loadcnt_dscnt 0x0
	v_pk_mul_f32 v[96:97], v[94:95], v[92:93] op_sel:[1,1] op_sel_hi:[0,1]
	s_delay_alu instid0(VALU_DEP_1) | instskip(SKIP_1) | instid1(VALU_DEP_2)
	v_pk_fma_f32 v[98:99], v[94:95], v[92:93], v[96:97] op_sel_hi:[1,0,1]
	v_pk_fma_f32 v[92:93], v[94:95], v[92:93], v[96:97] neg_lo:[0,0,1] neg_hi:[0,0,1]
	v_mov_b32_e32 v93, v99
	s_cbranch_execz .LBB107_309
	s_branch .LBB107_310
.LBB107_308:
                                        ; implicit-def: $vgpr92_vgpr93
.LBB107_309:
	ds_load_b64 v[92:93], v1
.LBB107_310:
	s_and_saveexec_b32 s19, s1
	s_cbranch_execz .LBB107_314
; %bb.311:
	v_add_nc_u32_e32 v94, -13, v0
	s_movk_i32 s20, 0x1c8
	s_mov_b32 s1, 0
.LBB107_312:                            ; =>This Inner Loop Header: Depth=1
	scratch_load_b64 v[96:97], off, s17
	v_dual_mov_b32 v95, s20 :: v_dual_add_nc_u32 v94, -1, v94
	s_add_co_i32 s20, s20, 8
	s_wait_xcnt 0x0
	s_add_co_i32 s17, s17, 8
	ds_load_b64 v[98:99], v95
	v_cmp_eq_u32_e32 vcc_lo, 0, v94
	s_or_b32 s1, vcc_lo, s1
	s_wait_loadcnt_dscnt 0x0
	v_pk_mul_f32 v[100:101], v[98:99], v[96:97] op_sel:[1,1] op_sel_hi:[0,1]
	s_delay_alu instid0(VALU_DEP_1) | instskip(SKIP_1) | instid1(VALU_DEP_2)
	v_pk_fma_f32 v[102:103], v[98:99], v[96:97], v[100:101] op_sel_hi:[1,0,1]
	v_pk_fma_f32 v[96:97], v[98:99], v[96:97], v[100:101] neg_lo:[0,0,1] neg_hi:[0,0,1]
	v_mov_b32_e32 v97, v103
	s_delay_alu instid0(VALU_DEP_1)
	v_pk_add_f32 v[92:93], v[92:93], v[96:97]
	s_and_not1_b32 exec_lo, exec_lo, s1
	s_cbranch_execnz .LBB107_312
; %bb.313:
	s_or_b32 exec_lo, exec_lo, s1
.LBB107_314:
	s_delay_alu instid0(SALU_CYCLE_1) | instskip(SKIP_4) | instid1(VALU_DEP_1)
	s_or_b32 exec_lo, exec_lo, s19
	v_mov_b32_e32 v94, 0
	ds_load_b64 v[94:95], v94 offset:96
	s_wait_dscnt 0x0
	v_pk_mul_f32 v[96:97], v[92:93], v[94:95] op_sel:[1,1] op_sel_hi:[0,1]
	v_pk_fma_f32 v[98:99], v[92:93], v[94:95], v[96:97] op_sel_hi:[1,0,1]
	v_pk_fma_f32 v[92:93], v[92:93], v[94:95], v[96:97] neg_lo:[0,0,1] neg_hi:[0,0,1]
	s_delay_alu instid0(VALU_DEP_2)
	v_mov_b32_e32 v93, v99
	scratch_store_b64 off, v[92:93], off offset:96
.LBB107_315:
	s_wait_xcnt 0x0
	s_or_b32 exec_lo, exec_lo, s18
	scratch_load_b64 v[92:93], off, off offset:88
	v_cmp_lt_u32_e64 s1, 11, v0
	s_wait_loadcnt 0x0
	ds_store_b64 v1, v[92:93]
	s_wait_storecnt_dscnt 0x0
	s_barrier_signal -1
	s_barrier_wait -1
	s_wait_xcnt 0x0
	s_and_saveexec_b32 s17, s1
	s_cbranch_execz .LBB107_325
; %bb.316:
	s_and_not1_b32 vcc_lo, exec_lo, s3
	s_cbranch_vccnz .LBB107_318
; %bb.317:
	scratch_load_b64 v[92:93], v59, off
	ds_load_b64 v[94:95], v1
	s_wait_loadcnt_dscnt 0x0
	v_pk_mul_f32 v[96:97], v[94:95], v[92:93] op_sel:[1,1] op_sel_hi:[0,1]
	s_delay_alu instid0(VALU_DEP_1) | instskip(SKIP_1) | instid1(VALU_DEP_2)
	v_pk_fma_f32 v[98:99], v[94:95], v[92:93], v[96:97] op_sel_hi:[1,0,1]
	v_pk_fma_f32 v[92:93], v[94:95], v[92:93], v[96:97] neg_lo:[0,0,1] neg_hi:[0,0,1]
	v_mov_b32_e32 v93, v99
	s_cbranch_execz .LBB107_319
	s_branch .LBB107_320
.LBB107_318:
                                        ; implicit-def: $vgpr92_vgpr93
.LBB107_319:
	ds_load_b64 v[92:93], v1
.LBB107_320:
	s_and_saveexec_b32 s18, s0
	s_cbranch_execz .LBB107_324
; %bb.321:
	v_add_nc_u32_e32 v94, -12, v0
	s_movk_i32 s19, 0x1c0
	s_mov_b32 s0, 0
.LBB107_322:                            ; =>This Inner Loop Header: Depth=1
	scratch_load_b64 v[96:97], off, s16
	v_dual_mov_b32 v95, s19 :: v_dual_add_nc_u32 v94, -1, v94
	s_add_co_i32 s19, s19, 8
	s_wait_xcnt 0x0
	s_add_co_i32 s16, s16, 8
	ds_load_b64 v[98:99], v95
	v_cmp_eq_u32_e32 vcc_lo, 0, v94
	s_or_b32 s0, vcc_lo, s0
	s_wait_loadcnt_dscnt 0x0
	v_pk_mul_f32 v[100:101], v[98:99], v[96:97] op_sel:[1,1] op_sel_hi:[0,1]
	s_delay_alu instid0(VALU_DEP_1) | instskip(SKIP_1) | instid1(VALU_DEP_2)
	v_pk_fma_f32 v[102:103], v[98:99], v[96:97], v[100:101] op_sel_hi:[1,0,1]
	v_pk_fma_f32 v[96:97], v[98:99], v[96:97], v[100:101] neg_lo:[0,0,1] neg_hi:[0,0,1]
	v_mov_b32_e32 v97, v103
	s_delay_alu instid0(VALU_DEP_1)
	v_pk_add_f32 v[92:93], v[92:93], v[96:97]
	s_and_not1_b32 exec_lo, exec_lo, s0
	s_cbranch_execnz .LBB107_322
; %bb.323:
	s_or_b32 exec_lo, exec_lo, s0
.LBB107_324:
	s_delay_alu instid0(SALU_CYCLE_1) | instskip(SKIP_4) | instid1(VALU_DEP_1)
	s_or_b32 exec_lo, exec_lo, s18
	v_mov_b32_e32 v94, 0
	ds_load_b64 v[94:95], v94 offset:88
	s_wait_dscnt 0x0
	v_pk_mul_f32 v[96:97], v[92:93], v[94:95] op_sel:[1,1] op_sel_hi:[0,1]
	v_pk_fma_f32 v[98:99], v[92:93], v[94:95], v[96:97] op_sel_hi:[1,0,1]
	v_pk_fma_f32 v[92:93], v[92:93], v[94:95], v[96:97] neg_lo:[0,0,1] neg_hi:[0,0,1]
	s_delay_alu instid0(VALU_DEP_2)
	v_mov_b32_e32 v93, v99
	scratch_store_b64 off, v[92:93], off offset:88
.LBB107_325:
	s_wait_xcnt 0x0
	s_or_b32 exec_lo, exec_lo, s17
	scratch_load_b64 v[92:93], off, off offset:80
	v_cmp_lt_u32_e64 s0, 10, v0
	s_wait_loadcnt 0x0
	ds_store_b64 v1, v[92:93]
	s_wait_storecnt_dscnt 0x0
	s_barrier_signal -1
	s_barrier_wait -1
	s_wait_xcnt 0x0
	s_and_saveexec_b32 s16, s0
	s_cbranch_execz .LBB107_335
; %bb.326:
	s_and_not1_b32 vcc_lo, exec_lo, s3
	s_cbranch_vccnz .LBB107_328
; %bb.327:
	scratch_load_b64 v[92:93], v59, off
	ds_load_b64 v[94:95], v1
	s_wait_loadcnt_dscnt 0x0
	v_pk_mul_f32 v[96:97], v[94:95], v[92:93] op_sel:[1,1] op_sel_hi:[0,1]
	s_delay_alu instid0(VALU_DEP_1) | instskip(SKIP_1) | instid1(VALU_DEP_2)
	v_pk_fma_f32 v[98:99], v[94:95], v[92:93], v[96:97] op_sel_hi:[1,0,1]
	v_pk_fma_f32 v[92:93], v[94:95], v[92:93], v[96:97] neg_lo:[0,0,1] neg_hi:[0,0,1]
	v_mov_b32_e32 v93, v99
	s_cbranch_execz .LBB107_329
	s_branch .LBB107_330
.LBB107_328:
                                        ; implicit-def: $vgpr92_vgpr93
.LBB107_329:
	ds_load_b64 v[92:93], v1
.LBB107_330:
	s_and_saveexec_b32 s17, s1
	s_cbranch_execz .LBB107_334
; %bb.331:
	v_add_nc_u32_e32 v94, -11, v0
	s_movk_i32 s18, 0x1b8
	s_mov_b32 s1, 0
.LBB107_332:                            ; =>This Inner Loop Header: Depth=1
	scratch_load_b64 v[96:97], off, s15
	v_dual_mov_b32 v95, s18 :: v_dual_add_nc_u32 v94, -1, v94
	s_add_co_i32 s18, s18, 8
	s_wait_xcnt 0x0
	s_add_co_i32 s15, s15, 8
	ds_load_b64 v[98:99], v95
	v_cmp_eq_u32_e32 vcc_lo, 0, v94
	s_or_b32 s1, vcc_lo, s1
	s_wait_loadcnt_dscnt 0x0
	v_pk_mul_f32 v[100:101], v[98:99], v[96:97] op_sel:[1,1] op_sel_hi:[0,1]
	s_delay_alu instid0(VALU_DEP_1) | instskip(SKIP_1) | instid1(VALU_DEP_2)
	v_pk_fma_f32 v[102:103], v[98:99], v[96:97], v[100:101] op_sel_hi:[1,0,1]
	v_pk_fma_f32 v[96:97], v[98:99], v[96:97], v[100:101] neg_lo:[0,0,1] neg_hi:[0,0,1]
	v_mov_b32_e32 v97, v103
	s_delay_alu instid0(VALU_DEP_1)
	v_pk_add_f32 v[92:93], v[92:93], v[96:97]
	s_and_not1_b32 exec_lo, exec_lo, s1
	s_cbranch_execnz .LBB107_332
; %bb.333:
	s_or_b32 exec_lo, exec_lo, s1
.LBB107_334:
	s_delay_alu instid0(SALU_CYCLE_1) | instskip(SKIP_4) | instid1(VALU_DEP_1)
	s_or_b32 exec_lo, exec_lo, s17
	v_mov_b32_e32 v94, 0
	ds_load_b64 v[94:95], v94 offset:80
	s_wait_dscnt 0x0
	v_pk_mul_f32 v[96:97], v[92:93], v[94:95] op_sel:[1,1] op_sel_hi:[0,1]
	v_pk_fma_f32 v[98:99], v[92:93], v[94:95], v[96:97] op_sel_hi:[1,0,1]
	v_pk_fma_f32 v[92:93], v[92:93], v[94:95], v[96:97] neg_lo:[0,0,1] neg_hi:[0,0,1]
	s_delay_alu instid0(VALU_DEP_2)
	v_mov_b32_e32 v93, v99
	scratch_store_b64 off, v[92:93], off offset:80
.LBB107_335:
	s_wait_xcnt 0x0
	s_or_b32 exec_lo, exec_lo, s16
	scratch_load_b64 v[92:93], off, off offset:72
	v_cmp_lt_u32_e64 s1, 9, v0
	s_wait_loadcnt 0x0
	ds_store_b64 v1, v[92:93]
	s_wait_storecnt_dscnt 0x0
	s_barrier_signal -1
	s_barrier_wait -1
	s_wait_xcnt 0x0
	s_and_saveexec_b32 s15, s1
	s_cbranch_execz .LBB107_345
; %bb.336:
	s_and_not1_b32 vcc_lo, exec_lo, s3
	s_cbranch_vccnz .LBB107_338
; %bb.337:
	scratch_load_b64 v[92:93], v59, off
	ds_load_b64 v[94:95], v1
	s_wait_loadcnt_dscnt 0x0
	v_pk_mul_f32 v[96:97], v[94:95], v[92:93] op_sel:[1,1] op_sel_hi:[0,1]
	s_delay_alu instid0(VALU_DEP_1) | instskip(SKIP_1) | instid1(VALU_DEP_2)
	v_pk_fma_f32 v[98:99], v[94:95], v[92:93], v[96:97] op_sel_hi:[1,0,1]
	v_pk_fma_f32 v[92:93], v[94:95], v[92:93], v[96:97] neg_lo:[0,0,1] neg_hi:[0,0,1]
	v_mov_b32_e32 v93, v99
	s_cbranch_execz .LBB107_339
	s_branch .LBB107_340
.LBB107_338:
                                        ; implicit-def: $vgpr92_vgpr93
.LBB107_339:
	ds_load_b64 v[92:93], v1
.LBB107_340:
	s_and_saveexec_b32 s16, s0
	s_cbranch_execz .LBB107_344
; %bb.341:
	v_add_nc_u32_e32 v94, -10, v0
	s_movk_i32 s17, 0x1b0
	s_mov_b32 s0, 0
.LBB107_342:                            ; =>This Inner Loop Header: Depth=1
	scratch_load_b64 v[96:97], off, s14
	v_dual_mov_b32 v95, s17 :: v_dual_add_nc_u32 v94, -1, v94
	s_add_co_i32 s17, s17, 8
	s_wait_xcnt 0x0
	s_add_co_i32 s14, s14, 8
	ds_load_b64 v[98:99], v95
	v_cmp_eq_u32_e32 vcc_lo, 0, v94
	s_or_b32 s0, vcc_lo, s0
	s_wait_loadcnt_dscnt 0x0
	v_pk_mul_f32 v[100:101], v[98:99], v[96:97] op_sel:[1,1] op_sel_hi:[0,1]
	s_delay_alu instid0(VALU_DEP_1) | instskip(SKIP_1) | instid1(VALU_DEP_2)
	v_pk_fma_f32 v[102:103], v[98:99], v[96:97], v[100:101] op_sel_hi:[1,0,1]
	v_pk_fma_f32 v[96:97], v[98:99], v[96:97], v[100:101] neg_lo:[0,0,1] neg_hi:[0,0,1]
	v_mov_b32_e32 v97, v103
	s_delay_alu instid0(VALU_DEP_1)
	v_pk_add_f32 v[92:93], v[92:93], v[96:97]
	s_and_not1_b32 exec_lo, exec_lo, s0
	s_cbranch_execnz .LBB107_342
; %bb.343:
	s_or_b32 exec_lo, exec_lo, s0
.LBB107_344:
	s_delay_alu instid0(SALU_CYCLE_1) | instskip(SKIP_4) | instid1(VALU_DEP_1)
	s_or_b32 exec_lo, exec_lo, s16
	v_mov_b32_e32 v94, 0
	ds_load_b64 v[94:95], v94 offset:72
	s_wait_dscnt 0x0
	v_pk_mul_f32 v[96:97], v[92:93], v[94:95] op_sel:[1,1] op_sel_hi:[0,1]
	v_pk_fma_f32 v[98:99], v[92:93], v[94:95], v[96:97] op_sel_hi:[1,0,1]
	v_pk_fma_f32 v[92:93], v[92:93], v[94:95], v[96:97] neg_lo:[0,0,1] neg_hi:[0,0,1]
	s_delay_alu instid0(VALU_DEP_2)
	v_mov_b32_e32 v93, v99
	scratch_store_b64 off, v[92:93], off offset:72
.LBB107_345:
	s_wait_xcnt 0x0
	s_or_b32 exec_lo, exec_lo, s15
	scratch_load_b64 v[92:93], off, off offset:64
	v_cmp_lt_u32_e64 s0, 8, v0
	s_wait_loadcnt 0x0
	ds_store_b64 v1, v[92:93]
	s_wait_storecnt_dscnt 0x0
	s_barrier_signal -1
	s_barrier_wait -1
	s_wait_xcnt 0x0
	s_and_saveexec_b32 s14, s0
	s_cbranch_execz .LBB107_355
; %bb.346:
	s_and_not1_b32 vcc_lo, exec_lo, s3
	s_cbranch_vccnz .LBB107_348
; %bb.347:
	scratch_load_b64 v[92:93], v59, off
	ds_load_b64 v[94:95], v1
	s_wait_loadcnt_dscnt 0x0
	v_pk_mul_f32 v[96:97], v[94:95], v[92:93] op_sel:[1,1] op_sel_hi:[0,1]
	s_delay_alu instid0(VALU_DEP_1) | instskip(SKIP_1) | instid1(VALU_DEP_2)
	v_pk_fma_f32 v[98:99], v[94:95], v[92:93], v[96:97] op_sel_hi:[1,0,1]
	v_pk_fma_f32 v[92:93], v[94:95], v[92:93], v[96:97] neg_lo:[0,0,1] neg_hi:[0,0,1]
	v_mov_b32_e32 v93, v99
	s_cbranch_execz .LBB107_349
	s_branch .LBB107_350
.LBB107_348:
                                        ; implicit-def: $vgpr92_vgpr93
.LBB107_349:
	ds_load_b64 v[92:93], v1
.LBB107_350:
	s_and_saveexec_b32 s15, s1
	s_cbranch_execz .LBB107_354
; %bb.351:
	v_add_nc_u32_e32 v94, -9, v0
	s_movk_i32 s16, 0x1a8
	s_mov_b32 s1, 0
.LBB107_352:                            ; =>This Inner Loop Header: Depth=1
	scratch_load_b64 v[96:97], off, s13
	v_dual_mov_b32 v95, s16 :: v_dual_add_nc_u32 v94, -1, v94
	s_add_co_i32 s16, s16, 8
	s_wait_xcnt 0x0
	s_add_co_i32 s13, s13, 8
	ds_load_b64 v[98:99], v95
	v_cmp_eq_u32_e32 vcc_lo, 0, v94
	s_or_b32 s1, vcc_lo, s1
	s_wait_loadcnt_dscnt 0x0
	v_pk_mul_f32 v[100:101], v[98:99], v[96:97] op_sel:[1,1] op_sel_hi:[0,1]
	s_delay_alu instid0(VALU_DEP_1) | instskip(SKIP_1) | instid1(VALU_DEP_2)
	v_pk_fma_f32 v[102:103], v[98:99], v[96:97], v[100:101] op_sel_hi:[1,0,1]
	v_pk_fma_f32 v[96:97], v[98:99], v[96:97], v[100:101] neg_lo:[0,0,1] neg_hi:[0,0,1]
	v_mov_b32_e32 v97, v103
	s_delay_alu instid0(VALU_DEP_1)
	v_pk_add_f32 v[92:93], v[92:93], v[96:97]
	s_and_not1_b32 exec_lo, exec_lo, s1
	s_cbranch_execnz .LBB107_352
; %bb.353:
	s_or_b32 exec_lo, exec_lo, s1
.LBB107_354:
	s_delay_alu instid0(SALU_CYCLE_1) | instskip(SKIP_4) | instid1(VALU_DEP_1)
	s_or_b32 exec_lo, exec_lo, s15
	v_mov_b32_e32 v94, 0
	ds_load_b64 v[94:95], v94 offset:64
	s_wait_dscnt 0x0
	v_pk_mul_f32 v[96:97], v[92:93], v[94:95] op_sel:[1,1] op_sel_hi:[0,1]
	v_pk_fma_f32 v[98:99], v[92:93], v[94:95], v[96:97] op_sel_hi:[1,0,1]
	v_pk_fma_f32 v[92:93], v[92:93], v[94:95], v[96:97] neg_lo:[0,0,1] neg_hi:[0,0,1]
	s_delay_alu instid0(VALU_DEP_2)
	v_mov_b32_e32 v93, v99
	scratch_store_b64 off, v[92:93], off offset:64
.LBB107_355:
	s_wait_xcnt 0x0
	s_or_b32 exec_lo, exec_lo, s14
	scratch_load_b64 v[92:93], off, off offset:56
	v_cmp_lt_u32_e64 s1, 7, v0
	s_wait_loadcnt 0x0
	ds_store_b64 v1, v[92:93]
	s_wait_storecnt_dscnt 0x0
	s_barrier_signal -1
	s_barrier_wait -1
	s_wait_xcnt 0x0
	s_and_saveexec_b32 s13, s1
	s_cbranch_execz .LBB107_365
; %bb.356:
	s_and_not1_b32 vcc_lo, exec_lo, s3
	s_cbranch_vccnz .LBB107_358
; %bb.357:
	scratch_load_b64 v[92:93], v59, off
	ds_load_b64 v[94:95], v1
	s_wait_loadcnt_dscnt 0x0
	v_pk_mul_f32 v[96:97], v[94:95], v[92:93] op_sel:[1,1] op_sel_hi:[0,1]
	s_delay_alu instid0(VALU_DEP_1) | instskip(SKIP_1) | instid1(VALU_DEP_2)
	v_pk_fma_f32 v[98:99], v[94:95], v[92:93], v[96:97] op_sel_hi:[1,0,1]
	v_pk_fma_f32 v[92:93], v[94:95], v[92:93], v[96:97] neg_lo:[0,0,1] neg_hi:[0,0,1]
	v_mov_b32_e32 v93, v99
	s_cbranch_execz .LBB107_359
	s_branch .LBB107_360
.LBB107_358:
                                        ; implicit-def: $vgpr92_vgpr93
.LBB107_359:
	ds_load_b64 v[92:93], v1
.LBB107_360:
	s_and_saveexec_b32 s14, s0
	s_cbranch_execz .LBB107_364
; %bb.361:
	v_add_nc_u32_e32 v94, -8, v0
	s_movk_i32 s15, 0x1a0
	s_mov_b32 s0, 0
.LBB107_362:                            ; =>This Inner Loop Header: Depth=1
	scratch_load_b64 v[96:97], off, s12
	v_dual_mov_b32 v95, s15 :: v_dual_add_nc_u32 v94, -1, v94
	s_add_co_i32 s15, s15, 8
	s_wait_xcnt 0x0
	s_add_co_i32 s12, s12, 8
	ds_load_b64 v[98:99], v95
	v_cmp_eq_u32_e32 vcc_lo, 0, v94
	s_or_b32 s0, vcc_lo, s0
	s_wait_loadcnt_dscnt 0x0
	v_pk_mul_f32 v[100:101], v[98:99], v[96:97] op_sel:[1,1] op_sel_hi:[0,1]
	s_delay_alu instid0(VALU_DEP_1) | instskip(SKIP_1) | instid1(VALU_DEP_2)
	v_pk_fma_f32 v[102:103], v[98:99], v[96:97], v[100:101] op_sel_hi:[1,0,1]
	v_pk_fma_f32 v[96:97], v[98:99], v[96:97], v[100:101] neg_lo:[0,0,1] neg_hi:[0,0,1]
	v_mov_b32_e32 v97, v103
	s_delay_alu instid0(VALU_DEP_1)
	v_pk_add_f32 v[92:93], v[92:93], v[96:97]
	s_and_not1_b32 exec_lo, exec_lo, s0
	s_cbranch_execnz .LBB107_362
; %bb.363:
	s_or_b32 exec_lo, exec_lo, s0
.LBB107_364:
	s_delay_alu instid0(SALU_CYCLE_1) | instskip(SKIP_4) | instid1(VALU_DEP_1)
	s_or_b32 exec_lo, exec_lo, s14
	v_mov_b32_e32 v94, 0
	ds_load_b64 v[94:95], v94 offset:56
	s_wait_dscnt 0x0
	v_pk_mul_f32 v[96:97], v[92:93], v[94:95] op_sel:[1,1] op_sel_hi:[0,1]
	v_pk_fma_f32 v[98:99], v[92:93], v[94:95], v[96:97] op_sel_hi:[1,0,1]
	v_pk_fma_f32 v[92:93], v[92:93], v[94:95], v[96:97] neg_lo:[0,0,1] neg_hi:[0,0,1]
	s_delay_alu instid0(VALU_DEP_2)
	v_mov_b32_e32 v93, v99
	scratch_store_b64 off, v[92:93], off offset:56
.LBB107_365:
	s_wait_xcnt 0x0
	s_or_b32 exec_lo, exec_lo, s13
	scratch_load_b64 v[92:93], off, off offset:48
	v_cmp_lt_u32_e64 s0, 6, v0
	s_wait_loadcnt 0x0
	ds_store_b64 v1, v[92:93]
	s_wait_storecnt_dscnt 0x0
	s_barrier_signal -1
	s_barrier_wait -1
	s_wait_xcnt 0x0
	s_and_saveexec_b32 s12, s0
	s_cbranch_execz .LBB107_375
; %bb.366:
	s_and_not1_b32 vcc_lo, exec_lo, s3
	s_cbranch_vccnz .LBB107_368
; %bb.367:
	scratch_load_b64 v[92:93], v59, off
	ds_load_b64 v[94:95], v1
	s_wait_loadcnt_dscnt 0x0
	v_pk_mul_f32 v[96:97], v[94:95], v[92:93] op_sel:[1,1] op_sel_hi:[0,1]
	s_delay_alu instid0(VALU_DEP_1) | instskip(SKIP_1) | instid1(VALU_DEP_2)
	v_pk_fma_f32 v[98:99], v[94:95], v[92:93], v[96:97] op_sel_hi:[1,0,1]
	v_pk_fma_f32 v[92:93], v[94:95], v[92:93], v[96:97] neg_lo:[0,0,1] neg_hi:[0,0,1]
	v_mov_b32_e32 v93, v99
	s_cbranch_execz .LBB107_369
	s_branch .LBB107_370
.LBB107_368:
                                        ; implicit-def: $vgpr92_vgpr93
.LBB107_369:
	ds_load_b64 v[92:93], v1
.LBB107_370:
	s_and_saveexec_b32 s13, s1
	s_cbranch_execz .LBB107_374
; %bb.371:
	v_add_nc_u32_e32 v94, -7, v0
	s_movk_i32 s14, 0x198
	s_mov_b32 s1, 0
.LBB107_372:                            ; =>This Inner Loop Header: Depth=1
	scratch_load_b64 v[96:97], off, s11
	v_dual_mov_b32 v95, s14 :: v_dual_add_nc_u32 v94, -1, v94
	s_add_co_i32 s14, s14, 8
	s_wait_xcnt 0x0
	s_add_co_i32 s11, s11, 8
	ds_load_b64 v[98:99], v95
	v_cmp_eq_u32_e32 vcc_lo, 0, v94
	s_or_b32 s1, vcc_lo, s1
	s_wait_loadcnt_dscnt 0x0
	v_pk_mul_f32 v[100:101], v[98:99], v[96:97] op_sel:[1,1] op_sel_hi:[0,1]
	s_delay_alu instid0(VALU_DEP_1) | instskip(SKIP_1) | instid1(VALU_DEP_2)
	v_pk_fma_f32 v[102:103], v[98:99], v[96:97], v[100:101] op_sel_hi:[1,0,1]
	v_pk_fma_f32 v[96:97], v[98:99], v[96:97], v[100:101] neg_lo:[0,0,1] neg_hi:[0,0,1]
	v_mov_b32_e32 v97, v103
	s_delay_alu instid0(VALU_DEP_1)
	v_pk_add_f32 v[92:93], v[92:93], v[96:97]
	s_and_not1_b32 exec_lo, exec_lo, s1
	s_cbranch_execnz .LBB107_372
; %bb.373:
	s_or_b32 exec_lo, exec_lo, s1
.LBB107_374:
	s_delay_alu instid0(SALU_CYCLE_1) | instskip(SKIP_4) | instid1(VALU_DEP_1)
	s_or_b32 exec_lo, exec_lo, s13
	v_mov_b32_e32 v94, 0
	ds_load_b64 v[94:95], v94 offset:48
	s_wait_dscnt 0x0
	v_pk_mul_f32 v[96:97], v[92:93], v[94:95] op_sel:[1,1] op_sel_hi:[0,1]
	v_pk_fma_f32 v[98:99], v[92:93], v[94:95], v[96:97] op_sel_hi:[1,0,1]
	v_pk_fma_f32 v[92:93], v[92:93], v[94:95], v[96:97] neg_lo:[0,0,1] neg_hi:[0,0,1]
	s_delay_alu instid0(VALU_DEP_2)
	v_mov_b32_e32 v93, v99
	scratch_store_b64 off, v[92:93], off offset:48
.LBB107_375:
	s_wait_xcnt 0x0
	s_or_b32 exec_lo, exec_lo, s12
	scratch_load_b64 v[92:93], off, off offset:40
	v_cmp_lt_u32_e64 s1, 5, v0
	s_wait_loadcnt 0x0
	ds_store_b64 v1, v[92:93]
	s_wait_storecnt_dscnt 0x0
	s_barrier_signal -1
	s_barrier_wait -1
	s_wait_xcnt 0x0
	s_and_saveexec_b32 s11, s1
	s_cbranch_execz .LBB107_385
; %bb.376:
	s_and_not1_b32 vcc_lo, exec_lo, s3
	s_cbranch_vccnz .LBB107_378
; %bb.377:
	scratch_load_b64 v[92:93], v59, off
	ds_load_b64 v[94:95], v1
	s_wait_loadcnt_dscnt 0x0
	v_pk_mul_f32 v[96:97], v[94:95], v[92:93] op_sel:[1,1] op_sel_hi:[0,1]
	s_delay_alu instid0(VALU_DEP_1) | instskip(SKIP_1) | instid1(VALU_DEP_2)
	v_pk_fma_f32 v[98:99], v[94:95], v[92:93], v[96:97] op_sel_hi:[1,0,1]
	v_pk_fma_f32 v[92:93], v[94:95], v[92:93], v[96:97] neg_lo:[0,0,1] neg_hi:[0,0,1]
	v_mov_b32_e32 v93, v99
	s_cbranch_execz .LBB107_379
	s_branch .LBB107_380
.LBB107_378:
                                        ; implicit-def: $vgpr92_vgpr93
.LBB107_379:
	ds_load_b64 v[92:93], v1
.LBB107_380:
	s_and_saveexec_b32 s12, s0
	s_cbranch_execz .LBB107_384
; %bb.381:
	v_add_nc_u32_e32 v94, -6, v0
	s_movk_i32 s13, 0x190
	s_mov_b32 s0, 0
.LBB107_382:                            ; =>This Inner Loop Header: Depth=1
	scratch_load_b64 v[96:97], off, s10
	v_dual_mov_b32 v95, s13 :: v_dual_add_nc_u32 v94, -1, v94
	s_add_co_i32 s13, s13, 8
	s_wait_xcnt 0x0
	s_add_co_i32 s10, s10, 8
	ds_load_b64 v[98:99], v95
	v_cmp_eq_u32_e32 vcc_lo, 0, v94
	s_or_b32 s0, vcc_lo, s0
	s_wait_loadcnt_dscnt 0x0
	v_pk_mul_f32 v[100:101], v[98:99], v[96:97] op_sel:[1,1] op_sel_hi:[0,1]
	s_delay_alu instid0(VALU_DEP_1) | instskip(SKIP_1) | instid1(VALU_DEP_2)
	v_pk_fma_f32 v[102:103], v[98:99], v[96:97], v[100:101] op_sel_hi:[1,0,1]
	v_pk_fma_f32 v[96:97], v[98:99], v[96:97], v[100:101] neg_lo:[0,0,1] neg_hi:[0,0,1]
	v_mov_b32_e32 v97, v103
	s_delay_alu instid0(VALU_DEP_1)
	v_pk_add_f32 v[92:93], v[92:93], v[96:97]
	s_and_not1_b32 exec_lo, exec_lo, s0
	s_cbranch_execnz .LBB107_382
; %bb.383:
	s_or_b32 exec_lo, exec_lo, s0
.LBB107_384:
	s_delay_alu instid0(SALU_CYCLE_1) | instskip(SKIP_4) | instid1(VALU_DEP_1)
	s_or_b32 exec_lo, exec_lo, s12
	v_mov_b32_e32 v94, 0
	ds_load_b64 v[94:95], v94 offset:40
	s_wait_dscnt 0x0
	v_pk_mul_f32 v[96:97], v[92:93], v[94:95] op_sel:[1,1] op_sel_hi:[0,1]
	v_pk_fma_f32 v[98:99], v[92:93], v[94:95], v[96:97] op_sel_hi:[1,0,1]
	v_pk_fma_f32 v[92:93], v[92:93], v[94:95], v[96:97] neg_lo:[0,0,1] neg_hi:[0,0,1]
	s_delay_alu instid0(VALU_DEP_2)
	v_mov_b32_e32 v93, v99
	scratch_store_b64 off, v[92:93], off offset:40
.LBB107_385:
	s_wait_xcnt 0x0
	s_or_b32 exec_lo, exec_lo, s11
	scratch_load_b64 v[92:93], off, off offset:32
	v_cmp_lt_u32_e64 s0, 4, v0
	s_wait_loadcnt 0x0
	ds_store_b64 v1, v[92:93]
	s_wait_storecnt_dscnt 0x0
	s_barrier_signal -1
	s_barrier_wait -1
	s_wait_xcnt 0x0
	s_and_saveexec_b32 s10, s0
	s_cbranch_execz .LBB107_395
; %bb.386:
	s_and_not1_b32 vcc_lo, exec_lo, s3
	s_cbranch_vccnz .LBB107_388
; %bb.387:
	scratch_load_b64 v[92:93], v59, off
	ds_load_b64 v[94:95], v1
	s_wait_loadcnt_dscnt 0x0
	v_pk_mul_f32 v[96:97], v[94:95], v[92:93] op_sel:[1,1] op_sel_hi:[0,1]
	s_delay_alu instid0(VALU_DEP_1) | instskip(SKIP_1) | instid1(VALU_DEP_2)
	v_pk_fma_f32 v[98:99], v[94:95], v[92:93], v[96:97] op_sel_hi:[1,0,1]
	v_pk_fma_f32 v[92:93], v[94:95], v[92:93], v[96:97] neg_lo:[0,0,1] neg_hi:[0,0,1]
	v_mov_b32_e32 v93, v99
	s_cbranch_execz .LBB107_389
	s_branch .LBB107_390
.LBB107_388:
                                        ; implicit-def: $vgpr92_vgpr93
.LBB107_389:
	ds_load_b64 v[92:93], v1
.LBB107_390:
	s_and_saveexec_b32 s11, s1
	s_cbranch_execz .LBB107_394
; %bb.391:
	v_add_nc_u32_e32 v94, -5, v0
	s_movk_i32 s12, 0x188
	s_mov_b32 s1, 0
.LBB107_392:                            ; =>This Inner Loop Header: Depth=1
	scratch_load_b64 v[96:97], off, s9
	v_dual_mov_b32 v95, s12 :: v_dual_add_nc_u32 v94, -1, v94
	s_add_co_i32 s12, s12, 8
	s_wait_xcnt 0x0
	s_add_co_i32 s9, s9, 8
	ds_load_b64 v[98:99], v95
	v_cmp_eq_u32_e32 vcc_lo, 0, v94
	s_or_b32 s1, vcc_lo, s1
	s_wait_loadcnt_dscnt 0x0
	v_pk_mul_f32 v[100:101], v[98:99], v[96:97] op_sel:[1,1] op_sel_hi:[0,1]
	s_delay_alu instid0(VALU_DEP_1) | instskip(SKIP_1) | instid1(VALU_DEP_2)
	v_pk_fma_f32 v[102:103], v[98:99], v[96:97], v[100:101] op_sel_hi:[1,0,1]
	v_pk_fma_f32 v[96:97], v[98:99], v[96:97], v[100:101] neg_lo:[0,0,1] neg_hi:[0,0,1]
	v_mov_b32_e32 v97, v103
	s_delay_alu instid0(VALU_DEP_1)
	v_pk_add_f32 v[92:93], v[92:93], v[96:97]
	s_and_not1_b32 exec_lo, exec_lo, s1
	s_cbranch_execnz .LBB107_392
; %bb.393:
	s_or_b32 exec_lo, exec_lo, s1
.LBB107_394:
	s_delay_alu instid0(SALU_CYCLE_1) | instskip(SKIP_4) | instid1(VALU_DEP_1)
	s_or_b32 exec_lo, exec_lo, s11
	v_mov_b32_e32 v94, 0
	ds_load_b64 v[94:95], v94 offset:32
	s_wait_dscnt 0x0
	v_pk_mul_f32 v[96:97], v[92:93], v[94:95] op_sel:[1,1] op_sel_hi:[0,1]
	v_pk_fma_f32 v[98:99], v[92:93], v[94:95], v[96:97] op_sel_hi:[1,0,1]
	v_pk_fma_f32 v[92:93], v[92:93], v[94:95], v[96:97] neg_lo:[0,0,1] neg_hi:[0,0,1]
	s_delay_alu instid0(VALU_DEP_2)
	v_mov_b32_e32 v93, v99
	scratch_store_b64 off, v[92:93], off offset:32
.LBB107_395:
	s_wait_xcnt 0x0
	s_or_b32 exec_lo, exec_lo, s10
	scratch_load_b64 v[92:93], off, off offset:24
	v_cmp_lt_u32_e64 s1, 3, v0
	s_wait_loadcnt 0x0
	ds_store_b64 v1, v[92:93]
	s_wait_storecnt_dscnt 0x0
	s_barrier_signal -1
	s_barrier_wait -1
	s_wait_xcnt 0x0
	s_and_saveexec_b32 s9, s1
	s_cbranch_execz .LBB107_405
; %bb.396:
	s_and_not1_b32 vcc_lo, exec_lo, s3
	s_cbranch_vccnz .LBB107_398
; %bb.397:
	scratch_load_b64 v[92:93], v59, off
	ds_load_b64 v[94:95], v1
	s_wait_loadcnt_dscnt 0x0
	v_pk_mul_f32 v[96:97], v[94:95], v[92:93] op_sel:[1,1] op_sel_hi:[0,1]
	s_delay_alu instid0(VALU_DEP_1) | instskip(SKIP_1) | instid1(VALU_DEP_2)
	v_pk_fma_f32 v[98:99], v[94:95], v[92:93], v[96:97] op_sel_hi:[1,0,1]
	v_pk_fma_f32 v[92:93], v[94:95], v[92:93], v[96:97] neg_lo:[0,0,1] neg_hi:[0,0,1]
	v_mov_b32_e32 v93, v99
	s_cbranch_execz .LBB107_399
	s_branch .LBB107_400
.LBB107_398:
                                        ; implicit-def: $vgpr92_vgpr93
.LBB107_399:
	ds_load_b64 v[92:93], v1
.LBB107_400:
	s_and_saveexec_b32 s10, s0
	s_cbranch_execz .LBB107_404
; %bb.401:
	v_add_nc_u32_e32 v94, -4, v0
	s_movk_i32 s11, 0x180
	s_mov_b32 s0, 0
.LBB107_402:                            ; =>This Inner Loop Header: Depth=1
	scratch_load_b64 v[96:97], off, s2
	v_dual_mov_b32 v95, s11 :: v_dual_add_nc_u32 v94, -1, v94
	s_add_co_i32 s11, s11, 8
	s_wait_xcnt 0x0
	s_add_co_i32 s2, s2, 8
	ds_load_b64 v[98:99], v95
	v_cmp_eq_u32_e32 vcc_lo, 0, v94
	s_or_b32 s0, vcc_lo, s0
	s_wait_loadcnt_dscnt 0x0
	v_pk_mul_f32 v[100:101], v[98:99], v[96:97] op_sel:[1,1] op_sel_hi:[0,1]
	s_delay_alu instid0(VALU_DEP_1) | instskip(SKIP_1) | instid1(VALU_DEP_2)
	v_pk_fma_f32 v[102:103], v[98:99], v[96:97], v[100:101] op_sel_hi:[1,0,1]
	v_pk_fma_f32 v[96:97], v[98:99], v[96:97], v[100:101] neg_lo:[0,0,1] neg_hi:[0,0,1]
	v_mov_b32_e32 v97, v103
	s_delay_alu instid0(VALU_DEP_1)
	v_pk_add_f32 v[92:93], v[92:93], v[96:97]
	s_and_not1_b32 exec_lo, exec_lo, s0
	s_cbranch_execnz .LBB107_402
; %bb.403:
	s_or_b32 exec_lo, exec_lo, s0
.LBB107_404:
	s_delay_alu instid0(SALU_CYCLE_1) | instskip(SKIP_4) | instid1(VALU_DEP_1)
	s_or_b32 exec_lo, exec_lo, s10
	v_mov_b32_e32 v94, 0
	ds_load_b64 v[94:95], v94 offset:24
	s_wait_dscnt 0x0
	v_pk_mul_f32 v[96:97], v[92:93], v[94:95] op_sel:[1,1] op_sel_hi:[0,1]
	v_pk_fma_f32 v[98:99], v[92:93], v[94:95], v[96:97] op_sel_hi:[1,0,1]
	v_pk_fma_f32 v[92:93], v[92:93], v[94:95], v[96:97] neg_lo:[0,0,1] neg_hi:[0,0,1]
	s_delay_alu instid0(VALU_DEP_2)
	v_mov_b32_e32 v93, v99
	scratch_store_b64 off, v[92:93], off offset:24
.LBB107_405:
	s_wait_xcnt 0x0
	s_or_b32 exec_lo, exec_lo, s9
	scratch_load_b64 v[92:93], off, off offset:16
	v_cmp_lt_u32_e64 s2, 2, v0
	s_wait_loadcnt 0x0
	ds_store_b64 v1, v[92:93]
	s_wait_storecnt_dscnt 0x0
	s_barrier_signal -1
	s_barrier_wait -1
	s_wait_xcnt 0x0
	s_and_saveexec_b32 s0, s2
	s_cbranch_execz .LBB107_415
; %bb.406:
	s_and_not1_b32 vcc_lo, exec_lo, s3
	s_cbranch_vccnz .LBB107_408
; %bb.407:
	scratch_load_b64 v[92:93], v59, off
	ds_load_b64 v[94:95], v1
	s_wait_loadcnt_dscnt 0x0
	v_pk_mul_f32 v[96:97], v[94:95], v[92:93] op_sel:[1,1] op_sel_hi:[0,1]
	s_delay_alu instid0(VALU_DEP_1) | instskip(SKIP_1) | instid1(VALU_DEP_2)
	v_pk_fma_f32 v[98:99], v[94:95], v[92:93], v[96:97] op_sel_hi:[1,0,1]
	v_pk_fma_f32 v[92:93], v[94:95], v[92:93], v[96:97] neg_lo:[0,0,1] neg_hi:[0,0,1]
	v_mov_b32_e32 v93, v99
	s_cbranch_execz .LBB107_409
	s_branch .LBB107_410
.LBB107_408:
                                        ; implicit-def: $vgpr92_vgpr93
.LBB107_409:
	ds_load_b64 v[92:93], v1
.LBB107_410:
	s_and_saveexec_b32 s9, s1
	s_cbranch_execz .LBB107_414
; %bb.411:
	v_add_nc_u32_e32 v94, -3, v0
	s_movk_i32 s10, 0x178
	s_mov_b32 s1, 0
.LBB107_412:                            ; =>This Inner Loop Header: Depth=1
	scratch_load_b64 v[96:97], off, s8
	v_dual_mov_b32 v95, s10 :: v_dual_add_nc_u32 v94, -1, v94
	s_add_co_i32 s10, s10, 8
	s_wait_xcnt 0x0
	s_add_co_i32 s8, s8, 8
	ds_load_b64 v[98:99], v95
	v_cmp_eq_u32_e32 vcc_lo, 0, v94
	s_or_b32 s1, vcc_lo, s1
	s_wait_loadcnt_dscnt 0x0
	v_pk_mul_f32 v[100:101], v[98:99], v[96:97] op_sel:[1,1] op_sel_hi:[0,1]
	s_delay_alu instid0(VALU_DEP_1) | instskip(SKIP_1) | instid1(VALU_DEP_2)
	v_pk_fma_f32 v[102:103], v[98:99], v[96:97], v[100:101] op_sel_hi:[1,0,1]
	v_pk_fma_f32 v[96:97], v[98:99], v[96:97], v[100:101] neg_lo:[0,0,1] neg_hi:[0,0,1]
	v_mov_b32_e32 v97, v103
	s_delay_alu instid0(VALU_DEP_1)
	v_pk_add_f32 v[92:93], v[92:93], v[96:97]
	s_and_not1_b32 exec_lo, exec_lo, s1
	s_cbranch_execnz .LBB107_412
; %bb.413:
	s_or_b32 exec_lo, exec_lo, s1
.LBB107_414:
	s_delay_alu instid0(SALU_CYCLE_1) | instskip(SKIP_4) | instid1(VALU_DEP_1)
	s_or_b32 exec_lo, exec_lo, s9
	v_mov_b32_e32 v94, 0
	ds_load_b64 v[94:95], v94 offset:16
	s_wait_dscnt 0x0
	v_pk_mul_f32 v[96:97], v[92:93], v[94:95] op_sel:[1,1] op_sel_hi:[0,1]
	v_pk_fma_f32 v[98:99], v[92:93], v[94:95], v[96:97] op_sel_hi:[1,0,1]
	v_pk_fma_f32 v[92:93], v[92:93], v[94:95], v[96:97] neg_lo:[0,0,1] neg_hi:[0,0,1]
	s_delay_alu instid0(VALU_DEP_2)
	v_mov_b32_e32 v93, v99
	scratch_store_b64 off, v[92:93], off offset:16
.LBB107_415:
	s_wait_xcnt 0x0
	s_or_b32 exec_lo, exec_lo, s0
	scratch_load_b64 v[92:93], off, off offset:8
	v_cmp_lt_u32_e64 s0, 1, v0
	s_wait_loadcnt 0x0
	ds_store_b64 v1, v[92:93]
	s_wait_storecnt_dscnt 0x0
	s_barrier_signal -1
	s_barrier_wait -1
	s_wait_xcnt 0x0
	s_and_saveexec_b32 s1, s0
	s_cbranch_execz .LBB107_425
; %bb.416:
	s_and_not1_b32 vcc_lo, exec_lo, s3
	s_cbranch_vccnz .LBB107_418
; %bb.417:
	scratch_load_b64 v[92:93], v59, off
	ds_load_b64 v[94:95], v1
	s_wait_loadcnt_dscnt 0x0
	v_pk_mul_f32 v[96:97], v[94:95], v[92:93] op_sel:[1,1] op_sel_hi:[0,1]
	s_delay_alu instid0(VALU_DEP_1) | instskip(SKIP_1) | instid1(VALU_DEP_2)
	v_pk_fma_f32 v[98:99], v[94:95], v[92:93], v[96:97] op_sel_hi:[1,0,1]
	v_pk_fma_f32 v[92:93], v[94:95], v[92:93], v[96:97] neg_lo:[0,0,1] neg_hi:[0,0,1]
	v_mov_b32_e32 v93, v99
	s_cbranch_execz .LBB107_419
	s_branch .LBB107_420
.LBB107_418:
                                        ; implicit-def: $vgpr92_vgpr93
.LBB107_419:
	ds_load_b64 v[92:93], v1
.LBB107_420:
	s_and_saveexec_b32 s8, s2
	s_cbranch_execz .LBB107_424
; %bb.421:
	v_add_nc_u32_e32 v94, -2, v0
	s_movk_i32 s9, 0x170
	s_mov_b32 s2, 0
.LBB107_422:                            ; =>This Inner Loop Header: Depth=1
	scratch_load_b64 v[96:97], off, s5
	v_dual_mov_b32 v95, s9 :: v_dual_add_nc_u32 v94, -1, v94
	s_add_co_i32 s9, s9, 8
	s_wait_xcnt 0x0
	s_add_co_i32 s5, s5, 8
	ds_load_b64 v[98:99], v95
	v_cmp_eq_u32_e32 vcc_lo, 0, v94
	s_or_b32 s2, vcc_lo, s2
	s_wait_loadcnt_dscnt 0x0
	v_pk_mul_f32 v[100:101], v[98:99], v[96:97] op_sel:[1,1] op_sel_hi:[0,1]
	s_delay_alu instid0(VALU_DEP_1) | instskip(SKIP_1) | instid1(VALU_DEP_2)
	v_pk_fma_f32 v[102:103], v[98:99], v[96:97], v[100:101] op_sel_hi:[1,0,1]
	v_pk_fma_f32 v[96:97], v[98:99], v[96:97], v[100:101] neg_lo:[0,0,1] neg_hi:[0,0,1]
	v_mov_b32_e32 v97, v103
	s_delay_alu instid0(VALU_DEP_1)
	v_pk_add_f32 v[92:93], v[92:93], v[96:97]
	s_and_not1_b32 exec_lo, exec_lo, s2
	s_cbranch_execnz .LBB107_422
; %bb.423:
	s_or_b32 exec_lo, exec_lo, s2
.LBB107_424:
	s_delay_alu instid0(SALU_CYCLE_1) | instskip(SKIP_4) | instid1(VALU_DEP_1)
	s_or_b32 exec_lo, exec_lo, s8
	v_mov_b32_e32 v94, 0
	ds_load_b64 v[94:95], v94 offset:8
	s_wait_dscnt 0x0
	v_pk_mul_f32 v[96:97], v[92:93], v[94:95] op_sel:[1,1] op_sel_hi:[0,1]
	v_pk_fma_f32 v[98:99], v[92:93], v[94:95], v[96:97] op_sel_hi:[1,0,1]
	v_pk_fma_f32 v[92:93], v[92:93], v[94:95], v[96:97] neg_lo:[0,0,1] neg_hi:[0,0,1]
	s_delay_alu instid0(VALU_DEP_2)
	v_mov_b32_e32 v93, v99
	scratch_store_b64 off, v[92:93], off offset:8
.LBB107_425:
	s_wait_xcnt 0x0
	s_or_b32 exec_lo, exec_lo, s1
	scratch_load_b64 v[92:93], off, off
	s_mov_b32 s2, 0
	s_mov_b32 s1, 0
	s_mov_b32 s8, exec_lo
                                        ; implicit-def: $vgpr130
                                        ; implicit-def: $sgpr5
	s_wait_loadcnt 0x0
	ds_store_b64 v1, v[92:93]
	s_wait_storecnt_dscnt 0x0
	s_barrier_signal -1
	s_barrier_wait -1
	s_wait_xcnt 0x0
	v_cmpx_ne_u32_e32 0, v0
	s_cbranch_execz .LBB107_435
; %bb.426:
	s_and_not1_b32 vcc_lo, exec_lo, s3
	s_cbranch_vccnz .LBB107_428
; %bb.427:
	scratch_load_b64 v[94:95], v59, off
	ds_load_b64 v[96:97], v1
	s_wait_loadcnt_dscnt 0x0
	v_dual_mul_f32 v92, v97, v95 :: v_dual_mul_f32 v93, v96, v95
	s_delay_alu instid0(VALU_DEP_1)
	v_dual_fma_f32 v92, v96, v94, -v92 :: v_dual_fmac_f32 v93, v97, v94
	s_and_not1_b32 vcc_lo, exec_lo, s1
	s_cbranch_vccz .LBB107_429
	s_branch .LBB107_430
.LBB107_428:
                                        ; implicit-def: $vgpr92
.LBB107_429:
	ds_load_b64 v[92:93], v1
.LBB107_430:
	s_and_saveexec_b32 s1, s0
	s_cbranch_execz .LBB107_434
; %bb.431:
	v_add_nc_u32_e32 v94, -1, v0
	s_movk_i32 s5, 0x168
	s_mov_b32 s0, 0
.LBB107_432:                            ; =>This Inner Loop Header: Depth=1
	scratch_load_b64 v[96:97], off, s4
	v_mov_b32_e32 v95, s5
	s_add_co_i32 s5, s5, 8
	s_wait_xcnt 0x0
	s_add_co_i32 s4, s4, 8
	v_add_nc_u32_e32 v94, -1, v94
	ds_load_b64 v[98:99], v95
	v_cmp_eq_u32_e32 vcc_lo, 0, v94
	s_or_b32 s0, vcc_lo, s0
	s_wait_loadcnt_dscnt 0x0
	v_dual_mul_f32 v95, v99, v97 :: v_dual_mul_f32 v97, v98, v97
	s_delay_alu instid0(VALU_DEP_1) | instskip(NEXT) | instid1(VALU_DEP_1)
	v_dual_fma_f32 v95, v98, v96, -v95 :: v_dual_fmac_f32 v97, v99, v96
	v_dual_add_f32 v92, v92, v95 :: v_dual_add_f32 v93, v93, v97
	s_and_not1_b32 exec_lo, exec_lo, s0
	s_cbranch_execnz .LBB107_432
; %bb.433:
	s_or_b32 exec_lo, exec_lo, s0
.LBB107_434:
	s_delay_alu instid0(SALU_CYCLE_1)
	s_or_b32 exec_lo, exec_lo, s1
	v_mov_b32_e32 v94, 0
	s_mov_b32 s1, exec_lo
	s_or_b32 s5, 0, 4
	ds_load_b64 v[94:95], v94
	s_wait_dscnt 0x0
	v_dual_mul_f32 v96, v93, v95 :: v_dual_mul_f32 v130, v92, v95
	s_delay_alu instid0(VALU_DEP_1)
	v_dual_fma_f32 v92, v92, v94, -v96 :: v_dual_fmac_f32 v130, v93, v94
	scratch_store_b32 off, v92, off
.LBB107_435:
	s_wait_xcnt 0x0
	s_or_b32 exec_lo, exec_lo, s8
	s_delay_alu instid0(SALU_CYCLE_1)
	s_and_b32 vcc_lo, exec_lo, s2
	s_cbranch_vccz .LBB107_861
.LBB107_436:
	scratch_load_b64 v[92:93], off, off offset:8
	v_cmp_eq_u32_e64 s0, 0, v0
	s_wait_loadcnt 0x0
	ds_store_b64 v1, v[92:93]
	s_wait_storecnt_dscnt 0x0
	s_barrier_signal -1
	s_barrier_wait -1
	s_wait_xcnt 0x0
	s_and_saveexec_b32 s2, s0
	s_cbranch_execz .LBB107_442
; %bb.437:
	s_and_b32 vcc_lo, exec_lo, s3
	s_cbranch_vccz .LBB107_439
; %bb.438:
	scratch_load_b64 v[92:93], v59, off
	ds_load_b64 v[94:95], v1
	s_wait_loadcnt_dscnt 0x0
	v_pk_mul_f32 v[96:97], v[94:95], v[92:93] op_sel:[1,1] op_sel_hi:[0,1]
	v_pk_mul_f32 v[98:99], v[94:95], v[92:93] op_sel_hi:[1,0]
	s_delay_alu instid0(VALU_DEP_2) | instskip(NEXT) | instid1(VALU_DEP_2)
	v_pk_fma_f32 v[92:93], v[94:95], v[92:93], v[96:97] op_sel_hi:[1,0,1]
	v_sub_f32_e32 v92, v98, v96
	s_cbranch_execz .LBB107_440
	s_branch .LBB107_441
.LBB107_439:
                                        ; implicit-def: $vgpr93
.LBB107_440:
	ds_load_b64 v[92:93], v1
.LBB107_441:
	s_wait_dscnt 0x0
	v_dual_mov_b32 v94, 0 :: v_dual_mov_b32 v96, v93
	v_mov_b32_e32 v97, v92
	ds_load_b64 v[94:95], v94 offset:8
	s_wait_dscnt 0x0
	v_pk_mul_f32 v[96:97], v[96:97], v[94:95] op_sel:[0,1]
	s_delay_alu instid0(VALU_DEP_1) | instskip(SKIP_1) | instid1(VALU_DEP_2)
	v_pk_fma_f32 v[98:99], v[92:93], v[94:95], v[96:97] op_sel_hi:[1,0,1]
	v_pk_fma_f32 v[92:93], v[92:93], v[94:95], v[96:97] neg_lo:[0,0,1] neg_hi:[0,0,1]
	v_mov_b32_e32 v93, v99
	scratch_store_b64 off, v[92:93], off offset:8
.LBB107_442:
	s_wait_xcnt 0x0
	s_or_b32 exec_lo, exec_lo, s2
	scratch_load_b64 v[92:93], off, off offset:16
	v_cndmask_b32_e64 v94, 0, 1, s3
	s_mov_b32 s2, exec_lo
	s_wait_loadcnt 0x0
	ds_store_b64 v1, v[92:93]
	s_wait_storecnt_dscnt 0x0
	s_barrier_signal -1
	s_barrier_wait -1
	s_wait_xcnt 0x0
	v_cmpx_gt_u32_e32 2, v0
	s_cbranch_execz .LBB107_450
; %bb.443:
	s_and_not1_b32 vcc_lo, exec_lo, s3
	s_cbranch_vccnz .LBB107_445
; %bb.444:
	scratch_load_b64 v[92:93], v59, off
	ds_load_b64 v[96:97], v1
	s_wait_loadcnt_dscnt 0x0
	v_pk_mul_f32 v[98:99], v[96:97], v[92:93] op_sel:[1,1] op_sel_hi:[0,1]
	s_delay_alu instid0(VALU_DEP_1) | instskip(SKIP_1) | instid1(VALU_DEP_2)
	v_pk_fma_f32 v[100:101], v[96:97], v[92:93], v[98:99] op_sel_hi:[1,0,1]
	v_pk_fma_f32 v[92:93], v[96:97], v[92:93], v[98:99] neg_lo:[0,0,1] neg_hi:[0,0,1]
	v_mov_b32_e32 v93, v101
	s_cbranch_execz .LBB107_446
	s_branch .LBB107_447
.LBB107_445:
                                        ; implicit-def: $vgpr92_vgpr93
.LBB107_446:
	ds_load_b64 v[92:93], v1
.LBB107_447:
	s_and_saveexec_b32 s3, s0
	s_cbranch_execz .LBB107_449
; %bb.448:
	scratch_load_b64 v[96:97], off, off offset:8
	v_mov_b32_e32 v95, 0
	ds_load_b64 v[98:99], v95 offset:360
	s_wait_loadcnt_dscnt 0x0
	v_pk_mul_f32 v[100:101], v[98:99], v[96:97] op_sel:[1,1] op_sel_hi:[0,1]
	s_delay_alu instid0(VALU_DEP_1) | instskip(SKIP_1) | instid1(VALU_DEP_2)
	v_pk_fma_f32 v[102:103], v[98:99], v[96:97], v[100:101] op_sel_hi:[1,0,1]
	v_pk_fma_f32 v[96:97], v[98:99], v[96:97], v[100:101] neg_lo:[0,0,1] neg_hi:[0,0,1]
	v_mov_b32_e32 v97, v103
	s_delay_alu instid0(VALU_DEP_1)
	v_pk_add_f32 v[92:93], v[92:93], v[96:97]
.LBB107_449:
	s_or_b32 exec_lo, exec_lo, s3
	v_mov_b32_e32 v95, 0
	ds_load_b64 v[96:97], v95 offset:16
	s_wait_dscnt 0x0
	v_pk_mul_f32 v[98:99], v[92:93], v[96:97] op_sel:[1,1] op_sel_hi:[0,1]
	s_delay_alu instid0(VALU_DEP_1) | instskip(SKIP_1) | instid1(VALU_DEP_2)
	v_pk_fma_f32 v[100:101], v[92:93], v[96:97], v[98:99] op_sel_hi:[1,0,1]
	v_pk_fma_f32 v[92:93], v[92:93], v[96:97], v[98:99] neg_lo:[0,0,1] neg_hi:[0,0,1]
	v_mov_b32_e32 v93, v101
	scratch_store_b64 off, v[92:93], off offset:16
.LBB107_450:
	s_wait_xcnt 0x0
	s_or_b32 exec_lo, exec_lo, s2
	scratch_load_b64 v[92:93], off, off offset:24
	s_mov_b32 s2, exec_lo
	s_wait_loadcnt 0x0
	ds_store_b64 v1, v[92:93]
	s_wait_storecnt_dscnt 0x0
	s_barrier_signal -1
	s_barrier_wait -1
	s_wait_xcnt 0x0
	v_cmpx_gt_u32_e32 3, v0
	s_cbranch_execz .LBB107_460
; %bb.451:
	v_cmp_ne_u32_e32 vcc_lo, 1, v94
	s_cbranch_vccnz .LBB107_453
; %bb.452:
	scratch_load_b64 v[92:93], v59, off
	ds_load_b64 v[96:97], v1
	s_wait_loadcnt_dscnt 0x0
	v_pk_mul_f32 v[98:99], v[96:97], v[92:93] op_sel:[1,1] op_sel_hi:[0,1]
	s_delay_alu instid0(VALU_DEP_1) | instskip(SKIP_1) | instid1(VALU_DEP_2)
	v_pk_fma_f32 v[100:101], v[96:97], v[92:93], v[98:99] op_sel_hi:[1,0,1]
	v_pk_fma_f32 v[92:93], v[96:97], v[92:93], v[98:99] neg_lo:[0,0,1] neg_hi:[0,0,1]
	v_mov_b32_e32 v93, v101
	s_cbranch_execz .LBB107_454
	s_branch .LBB107_455
.LBB107_453:
                                        ; implicit-def: $vgpr92_vgpr93
.LBB107_454:
	ds_load_b64 v[92:93], v1
.LBB107_455:
	s_mov_b32 s3, exec_lo
	v_cmpx_ne_u32_e32 2, v0
	s_cbranch_execz .LBB107_459
; %bb.456:
	scratch_load_b64 v[96:97], v59, off offset:8
	ds_load_b64 v[98:99], v1 offset:8
	s_wait_loadcnt_dscnt 0x0
	v_pk_mul_f32 v[100:101], v[98:99], v[96:97] op_sel:[1,1] op_sel_hi:[0,1]
	s_delay_alu instid0(VALU_DEP_1) | instskip(SKIP_1) | instid1(VALU_DEP_2)
	v_pk_fma_f32 v[102:103], v[98:99], v[96:97], v[100:101] op_sel_hi:[1,0,1]
	v_pk_fma_f32 v[96:97], v[98:99], v[96:97], v[100:101] neg_lo:[0,0,1] neg_hi:[0,0,1]
	v_mov_b32_e32 v97, v103
	s_delay_alu instid0(VALU_DEP_1)
	v_pk_add_f32 v[92:93], v[92:93], v[96:97]
	s_and_saveexec_b32 s4, s0
	s_cbranch_execz .LBB107_458
; %bb.457:
	scratch_load_b64 v[96:97], off, off offset:16
	v_mov_b32_e32 v95, 0
	ds_load_b64 v[98:99], v95 offset:368
	s_wait_loadcnt_dscnt 0x0
	v_pk_mul_f32 v[100:101], v[98:99], v[96:97] op_sel:[1,1] op_sel_hi:[0,1]
	s_delay_alu instid0(VALU_DEP_1) | instskip(SKIP_1) | instid1(VALU_DEP_2)
	v_pk_fma_f32 v[102:103], v[98:99], v[96:97], v[100:101] op_sel_hi:[1,0,1]
	v_pk_fma_f32 v[96:97], v[98:99], v[96:97], v[100:101] neg_lo:[0,0,1] neg_hi:[0,0,1]
	v_mov_b32_e32 v97, v103
	s_delay_alu instid0(VALU_DEP_1)
	v_pk_add_f32 v[92:93], v[92:93], v[96:97]
.LBB107_458:
	s_or_b32 exec_lo, exec_lo, s4
.LBB107_459:
	s_delay_alu instid0(SALU_CYCLE_1) | instskip(SKIP_4) | instid1(VALU_DEP_1)
	s_or_b32 exec_lo, exec_lo, s3
	v_mov_b32_e32 v95, 0
	ds_load_b64 v[96:97], v95 offset:24
	s_wait_dscnt 0x0
	v_pk_mul_f32 v[98:99], v[92:93], v[96:97] op_sel:[1,1] op_sel_hi:[0,1]
	v_pk_fma_f32 v[100:101], v[92:93], v[96:97], v[98:99] op_sel_hi:[1,0,1]
	v_pk_fma_f32 v[92:93], v[92:93], v[96:97], v[98:99] neg_lo:[0,0,1] neg_hi:[0,0,1]
	s_delay_alu instid0(VALU_DEP_2)
	v_mov_b32_e32 v93, v101
	scratch_store_b64 off, v[92:93], off offset:24
.LBB107_460:
	s_wait_xcnt 0x0
	s_or_b32 exec_lo, exec_lo, s2
	scratch_load_b64 v[92:93], off, off offset:32
	s_mov_b32 s0, exec_lo
	s_wait_loadcnt 0x0
	ds_store_b64 v1, v[92:93]
	s_wait_storecnt_dscnt 0x0
	s_barrier_signal -1
	s_barrier_wait -1
	s_wait_xcnt 0x0
	v_cmpx_gt_u32_e32 4, v0
	s_cbranch_execz .LBB107_470
; %bb.461:
	v_cmp_ne_u32_e32 vcc_lo, 1, v94
	s_cbranch_vccnz .LBB107_463
; %bb.462:
	scratch_load_b64 v[92:93], v59, off
	ds_load_b64 v[96:97], v1
	s_wait_loadcnt_dscnt 0x0
	v_pk_mul_f32 v[98:99], v[96:97], v[92:93] op_sel:[1,1] op_sel_hi:[0,1]
	s_delay_alu instid0(VALU_DEP_1) | instskip(SKIP_1) | instid1(VALU_DEP_2)
	v_pk_fma_f32 v[100:101], v[96:97], v[92:93], v[98:99] op_sel_hi:[1,0,1]
	v_pk_fma_f32 v[92:93], v[96:97], v[92:93], v[98:99] neg_lo:[0,0,1] neg_hi:[0,0,1]
	v_mov_b32_e32 v93, v101
	s_cbranch_execz .LBB107_464
	s_branch .LBB107_465
.LBB107_463:
                                        ; implicit-def: $vgpr92_vgpr93
.LBB107_464:
	ds_load_b64 v[92:93], v1
.LBB107_465:
	s_mov_b32 s2, exec_lo
	v_cmpx_ne_u32_e32 3, v0
	s_cbranch_execz .LBB107_469
; %bb.466:
	v_add_nc_u32_e32 v95, 0x168, v58
	v_add3_u32 v96, 0, v58, 8
	v_mov_b32_e32 v97, v0
	s_mov_b32 s3, 0
.LBB107_467:                            ; =>This Inner Loop Header: Depth=1
	scratch_load_b64 v[98:99], v96, off
	ds_load_b64 v[100:101], v95
	s_wait_xcnt 0x0
	v_dual_add_nc_u32 v95, 8, v95 :: v_dual_add_nc_u32 v96, 8, v96
	s_wait_loadcnt_dscnt 0x0
	v_pk_mul_f32 v[102:103], v[100:101], v[98:99] op_sel:[1,1] op_sel_hi:[0,1]
	s_delay_alu instid0(VALU_DEP_1) | instskip(SKIP_2) | instid1(VALU_DEP_3)
	v_pk_fma_f32 v[104:105], v[100:101], v[98:99], v[102:103] op_sel_hi:[1,0,1]
	v_add_nc_u32_e32 v97, 1, v97
	v_pk_fma_f32 v[98:99], v[100:101], v[98:99], v[102:103] neg_lo:[0,0,1] neg_hi:[0,0,1]
	v_mov_b32_e32 v99, v105
	s_delay_alu instid0(VALU_DEP_3) | instskip(NEXT) | instid1(VALU_DEP_2)
	v_cmp_lt_u32_e32 vcc_lo, 2, v97
	v_pk_add_f32 v[92:93], v[92:93], v[98:99]
	s_or_b32 s3, vcc_lo, s3
	s_delay_alu instid0(SALU_CYCLE_1)
	s_and_not1_b32 exec_lo, exec_lo, s3
	s_cbranch_execnz .LBB107_467
; %bb.468:
	s_or_b32 exec_lo, exec_lo, s3
.LBB107_469:
	s_delay_alu instid0(SALU_CYCLE_1) | instskip(SKIP_4) | instid1(VALU_DEP_1)
	s_or_b32 exec_lo, exec_lo, s2
	v_mov_b32_e32 v95, 0
	ds_load_b64 v[96:97], v95 offset:32
	s_wait_dscnt 0x0
	v_pk_mul_f32 v[98:99], v[92:93], v[96:97] op_sel:[1,1] op_sel_hi:[0,1]
	v_pk_fma_f32 v[100:101], v[92:93], v[96:97], v[98:99] op_sel_hi:[1,0,1]
	v_pk_fma_f32 v[92:93], v[92:93], v[96:97], v[98:99] neg_lo:[0,0,1] neg_hi:[0,0,1]
	s_delay_alu instid0(VALU_DEP_2)
	v_mov_b32_e32 v93, v101
	scratch_store_b64 off, v[92:93], off offset:32
.LBB107_470:
	s_wait_xcnt 0x0
	s_or_b32 exec_lo, exec_lo, s0
	scratch_load_b64 v[92:93], off, off offset:40
	s_mov_b32 s0, exec_lo
	s_wait_loadcnt 0x0
	ds_store_b64 v1, v[92:93]
	s_wait_storecnt_dscnt 0x0
	s_barrier_signal -1
	s_barrier_wait -1
	s_wait_xcnt 0x0
	v_cmpx_gt_u32_e32 5, v0
	s_cbranch_execz .LBB107_480
; %bb.471:
	v_cmp_ne_u32_e32 vcc_lo, 1, v94
	s_cbranch_vccnz .LBB107_473
; %bb.472:
	scratch_load_b64 v[92:93], v59, off
	ds_load_b64 v[96:97], v1
	s_wait_loadcnt_dscnt 0x0
	v_pk_mul_f32 v[98:99], v[96:97], v[92:93] op_sel:[1,1] op_sel_hi:[0,1]
	s_delay_alu instid0(VALU_DEP_1) | instskip(SKIP_1) | instid1(VALU_DEP_2)
	v_pk_fma_f32 v[100:101], v[96:97], v[92:93], v[98:99] op_sel_hi:[1,0,1]
	v_pk_fma_f32 v[92:93], v[96:97], v[92:93], v[98:99] neg_lo:[0,0,1] neg_hi:[0,0,1]
	v_mov_b32_e32 v93, v101
	s_cbranch_execz .LBB107_474
	s_branch .LBB107_475
.LBB107_473:
                                        ; implicit-def: $vgpr92_vgpr93
.LBB107_474:
	ds_load_b64 v[92:93], v1
.LBB107_475:
	s_mov_b32 s2, exec_lo
	v_cmpx_ne_u32_e32 4, v0
	s_cbranch_execz .LBB107_479
; %bb.476:
	v_add_nc_u32_e32 v95, 0x168, v58
	v_add3_u32 v96, 0, v58, 8
	v_mov_b32_e32 v97, v0
	s_mov_b32 s3, 0
.LBB107_477:                            ; =>This Inner Loop Header: Depth=1
	scratch_load_b64 v[98:99], v96, off
	ds_load_b64 v[100:101], v95
	s_wait_xcnt 0x0
	v_dual_add_nc_u32 v95, 8, v95 :: v_dual_add_nc_u32 v96, 8, v96
	s_wait_loadcnt_dscnt 0x0
	v_pk_mul_f32 v[102:103], v[100:101], v[98:99] op_sel:[1,1] op_sel_hi:[0,1]
	s_delay_alu instid0(VALU_DEP_1) | instskip(SKIP_2) | instid1(VALU_DEP_3)
	v_pk_fma_f32 v[104:105], v[100:101], v[98:99], v[102:103] op_sel_hi:[1,0,1]
	v_add_nc_u32_e32 v97, 1, v97
	v_pk_fma_f32 v[98:99], v[100:101], v[98:99], v[102:103] neg_lo:[0,0,1] neg_hi:[0,0,1]
	v_mov_b32_e32 v99, v105
	s_delay_alu instid0(VALU_DEP_3) | instskip(NEXT) | instid1(VALU_DEP_2)
	v_cmp_lt_u32_e32 vcc_lo, 3, v97
	v_pk_add_f32 v[92:93], v[92:93], v[98:99]
	s_or_b32 s3, vcc_lo, s3
	s_delay_alu instid0(SALU_CYCLE_1)
	s_and_not1_b32 exec_lo, exec_lo, s3
	s_cbranch_execnz .LBB107_477
; %bb.478:
	s_or_b32 exec_lo, exec_lo, s3
.LBB107_479:
	s_delay_alu instid0(SALU_CYCLE_1) | instskip(SKIP_4) | instid1(VALU_DEP_1)
	s_or_b32 exec_lo, exec_lo, s2
	v_mov_b32_e32 v95, 0
	ds_load_b64 v[96:97], v95 offset:40
	s_wait_dscnt 0x0
	v_pk_mul_f32 v[98:99], v[92:93], v[96:97] op_sel:[1,1] op_sel_hi:[0,1]
	v_pk_fma_f32 v[100:101], v[92:93], v[96:97], v[98:99] op_sel_hi:[1,0,1]
	v_pk_fma_f32 v[92:93], v[92:93], v[96:97], v[98:99] neg_lo:[0,0,1] neg_hi:[0,0,1]
	s_delay_alu instid0(VALU_DEP_2)
	v_mov_b32_e32 v93, v101
	scratch_store_b64 off, v[92:93], off offset:40
.LBB107_480:
	s_wait_xcnt 0x0
	s_or_b32 exec_lo, exec_lo, s0
	scratch_load_b64 v[92:93], off, off offset:48
	s_mov_b32 s0, exec_lo
	s_wait_loadcnt 0x0
	ds_store_b64 v1, v[92:93]
	s_wait_storecnt_dscnt 0x0
	s_barrier_signal -1
	s_barrier_wait -1
	s_wait_xcnt 0x0
	v_cmpx_gt_u32_e32 6, v0
	s_cbranch_execz .LBB107_490
; %bb.481:
	v_cmp_ne_u32_e32 vcc_lo, 1, v94
	s_cbranch_vccnz .LBB107_483
; %bb.482:
	scratch_load_b64 v[92:93], v59, off
	ds_load_b64 v[96:97], v1
	s_wait_loadcnt_dscnt 0x0
	v_pk_mul_f32 v[98:99], v[96:97], v[92:93] op_sel:[1,1] op_sel_hi:[0,1]
	s_delay_alu instid0(VALU_DEP_1) | instskip(SKIP_1) | instid1(VALU_DEP_2)
	v_pk_fma_f32 v[100:101], v[96:97], v[92:93], v[98:99] op_sel_hi:[1,0,1]
	v_pk_fma_f32 v[92:93], v[96:97], v[92:93], v[98:99] neg_lo:[0,0,1] neg_hi:[0,0,1]
	v_mov_b32_e32 v93, v101
	s_cbranch_execz .LBB107_484
	s_branch .LBB107_485
.LBB107_483:
                                        ; implicit-def: $vgpr92_vgpr93
.LBB107_484:
	ds_load_b64 v[92:93], v1
.LBB107_485:
	s_mov_b32 s2, exec_lo
	v_cmpx_ne_u32_e32 5, v0
	s_cbranch_execz .LBB107_489
; %bb.486:
	v_add_nc_u32_e32 v95, 0x168, v58
	v_add3_u32 v96, 0, v58, 8
	v_mov_b32_e32 v97, v0
	s_mov_b32 s3, 0
.LBB107_487:                            ; =>This Inner Loop Header: Depth=1
	scratch_load_b64 v[98:99], v96, off
	ds_load_b64 v[100:101], v95
	s_wait_xcnt 0x0
	v_dual_add_nc_u32 v95, 8, v95 :: v_dual_add_nc_u32 v96, 8, v96
	s_wait_loadcnt_dscnt 0x0
	v_pk_mul_f32 v[102:103], v[100:101], v[98:99] op_sel:[1,1] op_sel_hi:[0,1]
	s_delay_alu instid0(VALU_DEP_1) | instskip(SKIP_2) | instid1(VALU_DEP_3)
	v_pk_fma_f32 v[104:105], v[100:101], v[98:99], v[102:103] op_sel_hi:[1,0,1]
	v_add_nc_u32_e32 v97, 1, v97
	v_pk_fma_f32 v[98:99], v[100:101], v[98:99], v[102:103] neg_lo:[0,0,1] neg_hi:[0,0,1]
	v_mov_b32_e32 v99, v105
	s_delay_alu instid0(VALU_DEP_3) | instskip(NEXT) | instid1(VALU_DEP_2)
	v_cmp_lt_u32_e32 vcc_lo, 4, v97
	v_pk_add_f32 v[92:93], v[92:93], v[98:99]
	s_or_b32 s3, vcc_lo, s3
	s_delay_alu instid0(SALU_CYCLE_1)
	s_and_not1_b32 exec_lo, exec_lo, s3
	s_cbranch_execnz .LBB107_487
; %bb.488:
	s_or_b32 exec_lo, exec_lo, s3
.LBB107_489:
	s_delay_alu instid0(SALU_CYCLE_1) | instskip(SKIP_4) | instid1(VALU_DEP_1)
	s_or_b32 exec_lo, exec_lo, s2
	v_mov_b32_e32 v95, 0
	ds_load_b64 v[96:97], v95 offset:48
	s_wait_dscnt 0x0
	v_pk_mul_f32 v[98:99], v[92:93], v[96:97] op_sel:[1,1] op_sel_hi:[0,1]
	v_pk_fma_f32 v[100:101], v[92:93], v[96:97], v[98:99] op_sel_hi:[1,0,1]
	v_pk_fma_f32 v[92:93], v[92:93], v[96:97], v[98:99] neg_lo:[0,0,1] neg_hi:[0,0,1]
	s_delay_alu instid0(VALU_DEP_2)
	v_mov_b32_e32 v93, v101
	scratch_store_b64 off, v[92:93], off offset:48
.LBB107_490:
	s_wait_xcnt 0x0
	s_or_b32 exec_lo, exec_lo, s0
	scratch_load_b64 v[92:93], off, off offset:56
	s_mov_b32 s0, exec_lo
	s_wait_loadcnt 0x0
	ds_store_b64 v1, v[92:93]
	s_wait_storecnt_dscnt 0x0
	s_barrier_signal -1
	s_barrier_wait -1
	s_wait_xcnt 0x0
	v_cmpx_gt_u32_e32 7, v0
	s_cbranch_execz .LBB107_500
; %bb.491:
	v_cmp_ne_u32_e32 vcc_lo, 1, v94
	s_cbranch_vccnz .LBB107_493
; %bb.492:
	scratch_load_b64 v[92:93], v59, off
	ds_load_b64 v[96:97], v1
	s_wait_loadcnt_dscnt 0x0
	v_pk_mul_f32 v[98:99], v[96:97], v[92:93] op_sel:[1,1] op_sel_hi:[0,1]
	s_delay_alu instid0(VALU_DEP_1) | instskip(SKIP_1) | instid1(VALU_DEP_2)
	v_pk_fma_f32 v[100:101], v[96:97], v[92:93], v[98:99] op_sel_hi:[1,0,1]
	v_pk_fma_f32 v[92:93], v[96:97], v[92:93], v[98:99] neg_lo:[0,0,1] neg_hi:[0,0,1]
	v_mov_b32_e32 v93, v101
	s_cbranch_execz .LBB107_494
	s_branch .LBB107_495
.LBB107_493:
                                        ; implicit-def: $vgpr92_vgpr93
.LBB107_494:
	ds_load_b64 v[92:93], v1
.LBB107_495:
	s_mov_b32 s2, exec_lo
	v_cmpx_ne_u32_e32 6, v0
	s_cbranch_execz .LBB107_499
; %bb.496:
	v_add_nc_u32_e32 v95, 0x168, v58
	v_add3_u32 v96, 0, v58, 8
	v_mov_b32_e32 v97, v0
	s_mov_b32 s3, 0
.LBB107_497:                            ; =>This Inner Loop Header: Depth=1
	scratch_load_b64 v[98:99], v96, off
	ds_load_b64 v[100:101], v95
	s_wait_xcnt 0x0
	v_dual_add_nc_u32 v95, 8, v95 :: v_dual_add_nc_u32 v96, 8, v96
	s_wait_loadcnt_dscnt 0x0
	v_pk_mul_f32 v[102:103], v[100:101], v[98:99] op_sel:[1,1] op_sel_hi:[0,1]
	s_delay_alu instid0(VALU_DEP_1) | instskip(SKIP_2) | instid1(VALU_DEP_3)
	v_pk_fma_f32 v[104:105], v[100:101], v[98:99], v[102:103] op_sel_hi:[1,0,1]
	v_add_nc_u32_e32 v97, 1, v97
	v_pk_fma_f32 v[98:99], v[100:101], v[98:99], v[102:103] neg_lo:[0,0,1] neg_hi:[0,0,1]
	v_mov_b32_e32 v99, v105
	s_delay_alu instid0(VALU_DEP_3) | instskip(NEXT) | instid1(VALU_DEP_2)
	v_cmp_lt_u32_e32 vcc_lo, 5, v97
	v_pk_add_f32 v[92:93], v[92:93], v[98:99]
	s_or_b32 s3, vcc_lo, s3
	s_delay_alu instid0(SALU_CYCLE_1)
	s_and_not1_b32 exec_lo, exec_lo, s3
	s_cbranch_execnz .LBB107_497
; %bb.498:
	s_or_b32 exec_lo, exec_lo, s3
.LBB107_499:
	s_delay_alu instid0(SALU_CYCLE_1) | instskip(SKIP_4) | instid1(VALU_DEP_1)
	s_or_b32 exec_lo, exec_lo, s2
	v_mov_b32_e32 v95, 0
	ds_load_b64 v[96:97], v95 offset:56
	s_wait_dscnt 0x0
	v_pk_mul_f32 v[98:99], v[92:93], v[96:97] op_sel:[1,1] op_sel_hi:[0,1]
	v_pk_fma_f32 v[100:101], v[92:93], v[96:97], v[98:99] op_sel_hi:[1,0,1]
	v_pk_fma_f32 v[92:93], v[92:93], v[96:97], v[98:99] neg_lo:[0,0,1] neg_hi:[0,0,1]
	s_delay_alu instid0(VALU_DEP_2)
	v_mov_b32_e32 v93, v101
	scratch_store_b64 off, v[92:93], off offset:56
.LBB107_500:
	s_wait_xcnt 0x0
	s_or_b32 exec_lo, exec_lo, s0
	scratch_load_b64 v[92:93], off, off offset:64
	s_mov_b32 s0, exec_lo
	s_wait_loadcnt 0x0
	ds_store_b64 v1, v[92:93]
	s_wait_storecnt_dscnt 0x0
	s_barrier_signal -1
	s_barrier_wait -1
	s_wait_xcnt 0x0
	v_cmpx_gt_u32_e32 8, v0
	s_cbranch_execz .LBB107_510
; %bb.501:
	v_cmp_ne_u32_e32 vcc_lo, 1, v94
	s_cbranch_vccnz .LBB107_503
; %bb.502:
	scratch_load_b64 v[92:93], v59, off
	ds_load_b64 v[96:97], v1
	s_wait_loadcnt_dscnt 0x0
	v_pk_mul_f32 v[98:99], v[96:97], v[92:93] op_sel:[1,1] op_sel_hi:[0,1]
	s_delay_alu instid0(VALU_DEP_1) | instskip(SKIP_1) | instid1(VALU_DEP_2)
	v_pk_fma_f32 v[100:101], v[96:97], v[92:93], v[98:99] op_sel_hi:[1,0,1]
	v_pk_fma_f32 v[92:93], v[96:97], v[92:93], v[98:99] neg_lo:[0,0,1] neg_hi:[0,0,1]
	v_mov_b32_e32 v93, v101
	s_cbranch_execz .LBB107_504
	s_branch .LBB107_505
.LBB107_503:
                                        ; implicit-def: $vgpr92_vgpr93
.LBB107_504:
	ds_load_b64 v[92:93], v1
.LBB107_505:
	s_mov_b32 s2, exec_lo
	v_cmpx_ne_u32_e32 7, v0
	s_cbranch_execz .LBB107_509
; %bb.506:
	v_add_nc_u32_e32 v95, 0x168, v58
	v_add3_u32 v96, 0, v58, 8
	v_mov_b32_e32 v97, v0
	s_mov_b32 s3, 0
.LBB107_507:                            ; =>This Inner Loop Header: Depth=1
	scratch_load_b64 v[98:99], v96, off
	ds_load_b64 v[100:101], v95
	s_wait_xcnt 0x0
	v_dual_add_nc_u32 v95, 8, v95 :: v_dual_add_nc_u32 v96, 8, v96
	s_wait_loadcnt_dscnt 0x0
	v_pk_mul_f32 v[102:103], v[100:101], v[98:99] op_sel:[1,1] op_sel_hi:[0,1]
	s_delay_alu instid0(VALU_DEP_1) | instskip(SKIP_2) | instid1(VALU_DEP_3)
	v_pk_fma_f32 v[104:105], v[100:101], v[98:99], v[102:103] op_sel_hi:[1,0,1]
	v_add_nc_u32_e32 v97, 1, v97
	v_pk_fma_f32 v[98:99], v[100:101], v[98:99], v[102:103] neg_lo:[0,0,1] neg_hi:[0,0,1]
	v_mov_b32_e32 v99, v105
	s_delay_alu instid0(VALU_DEP_3) | instskip(NEXT) | instid1(VALU_DEP_2)
	v_cmp_lt_u32_e32 vcc_lo, 6, v97
	v_pk_add_f32 v[92:93], v[92:93], v[98:99]
	s_or_b32 s3, vcc_lo, s3
	s_delay_alu instid0(SALU_CYCLE_1)
	s_and_not1_b32 exec_lo, exec_lo, s3
	s_cbranch_execnz .LBB107_507
; %bb.508:
	s_or_b32 exec_lo, exec_lo, s3
.LBB107_509:
	s_delay_alu instid0(SALU_CYCLE_1) | instskip(SKIP_4) | instid1(VALU_DEP_1)
	s_or_b32 exec_lo, exec_lo, s2
	v_mov_b32_e32 v95, 0
	ds_load_b64 v[96:97], v95 offset:64
	s_wait_dscnt 0x0
	v_pk_mul_f32 v[98:99], v[92:93], v[96:97] op_sel:[1,1] op_sel_hi:[0,1]
	v_pk_fma_f32 v[100:101], v[92:93], v[96:97], v[98:99] op_sel_hi:[1,0,1]
	v_pk_fma_f32 v[92:93], v[92:93], v[96:97], v[98:99] neg_lo:[0,0,1] neg_hi:[0,0,1]
	s_delay_alu instid0(VALU_DEP_2)
	v_mov_b32_e32 v93, v101
	scratch_store_b64 off, v[92:93], off offset:64
.LBB107_510:
	s_wait_xcnt 0x0
	s_or_b32 exec_lo, exec_lo, s0
	scratch_load_b64 v[92:93], off, off offset:72
	s_mov_b32 s0, exec_lo
	s_wait_loadcnt 0x0
	ds_store_b64 v1, v[92:93]
	s_wait_storecnt_dscnt 0x0
	s_barrier_signal -1
	s_barrier_wait -1
	s_wait_xcnt 0x0
	v_cmpx_gt_u32_e32 9, v0
	s_cbranch_execz .LBB107_520
; %bb.511:
	v_cmp_ne_u32_e32 vcc_lo, 1, v94
	s_cbranch_vccnz .LBB107_513
; %bb.512:
	scratch_load_b64 v[92:93], v59, off
	ds_load_b64 v[96:97], v1
	s_wait_loadcnt_dscnt 0x0
	v_pk_mul_f32 v[98:99], v[96:97], v[92:93] op_sel:[1,1] op_sel_hi:[0,1]
	s_delay_alu instid0(VALU_DEP_1) | instskip(SKIP_1) | instid1(VALU_DEP_2)
	v_pk_fma_f32 v[100:101], v[96:97], v[92:93], v[98:99] op_sel_hi:[1,0,1]
	v_pk_fma_f32 v[92:93], v[96:97], v[92:93], v[98:99] neg_lo:[0,0,1] neg_hi:[0,0,1]
	v_mov_b32_e32 v93, v101
	s_cbranch_execz .LBB107_514
	s_branch .LBB107_515
.LBB107_513:
                                        ; implicit-def: $vgpr92_vgpr93
.LBB107_514:
	ds_load_b64 v[92:93], v1
.LBB107_515:
	s_mov_b32 s2, exec_lo
	v_cmpx_ne_u32_e32 8, v0
	s_cbranch_execz .LBB107_519
; %bb.516:
	v_add_nc_u32_e32 v95, 0x168, v58
	v_add3_u32 v96, 0, v58, 8
	v_mov_b32_e32 v97, v0
	s_mov_b32 s3, 0
.LBB107_517:                            ; =>This Inner Loop Header: Depth=1
	scratch_load_b64 v[98:99], v96, off
	ds_load_b64 v[100:101], v95
	s_wait_xcnt 0x0
	v_dual_add_nc_u32 v95, 8, v95 :: v_dual_add_nc_u32 v96, 8, v96
	s_wait_loadcnt_dscnt 0x0
	v_pk_mul_f32 v[102:103], v[100:101], v[98:99] op_sel:[1,1] op_sel_hi:[0,1]
	s_delay_alu instid0(VALU_DEP_1) | instskip(SKIP_2) | instid1(VALU_DEP_3)
	v_pk_fma_f32 v[104:105], v[100:101], v[98:99], v[102:103] op_sel_hi:[1,0,1]
	v_add_nc_u32_e32 v97, 1, v97
	v_pk_fma_f32 v[98:99], v[100:101], v[98:99], v[102:103] neg_lo:[0,0,1] neg_hi:[0,0,1]
	v_mov_b32_e32 v99, v105
	s_delay_alu instid0(VALU_DEP_3) | instskip(NEXT) | instid1(VALU_DEP_2)
	v_cmp_lt_u32_e32 vcc_lo, 7, v97
	v_pk_add_f32 v[92:93], v[92:93], v[98:99]
	s_or_b32 s3, vcc_lo, s3
	s_delay_alu instid0(SALU_CYCLE_1)
	s_and_not1_b32 exec_lo, exec_lo, s3
	s_cbranch_execnz .LBB107_517
; %bb.518:
	s_or_b32 exec_lo, exec_lo, s3
.LBB107_519:
	s_delay_alu instid0(SALU_CYCLE_1) | instskip(SKIP_4) | instid1(VALU_DEP_1)
	s_or_b32 exec_lo, exec_lo, s2
	v_mov_b32_e32 v95, 0
	ds_load_b64 v[96:97], v95 offset:72
	s_wait_dscnt 0x0
	v_pk_mul_f32 v[98:99], v[92:93], v[96:97] op_sel:[1,1] op_sel_hi:[0,1]
	v_pk_fma_f32 v[100:101], v[92:93], v[96:97], v[98:99] op_sel_hi:[1,0,1]
	v_pk_fma_f32 v[92:93], v[92:93], v[96:97], v[98:99] neg_lo:[0,0,1] neg_hi:[0,0,1]
	s_delay_alu instid0(VALU_DEP_2)
	v_mov_b32_e32 v93, v101
	scratch_store_b64 off, v[92:93], off offset:72
.LBB107_520:
	s_wait_xcnt 0x0
	s_or_b32 exec_lo, exec_lo, s0
	scratch_load_b64 v[92:93], off, off offset:80
	s_mov_b32 s0, exec_lo
	s_wait_loadcnt 0x0
	ds_store_b64 v1, v[92:93]
	s_wait_storecnt_dscnt 0x0
	s_barrier_signal -1
	s_barrier_wait -1
	s_wait_xcnt 0x0
	v_cmpx_gt_u32_e32 10, v0
	s_cbranch_execz .LBB107_530
; %bb.521:
	v_cmp_ne_u32_e32 vcc_lo, 1, v94
	s_cbranch_vccnz .LBB107_523
; %bb.522:
	scratch_load_b64 v[92:93], v59, off
	ds_load_b64 v[96:97], v1
	s_wait_loadcnt_dscnt 0x0
	v_pk_mul_f32 v[98:99], v[96:97], v[92:93] op_sel:[1,1] op_sel_hi:[0,1]
	s_delay_alu instid0(VALU_DEP_1) | instskip(SKIP_1) | instid1(VALU_DEP_2)
	v_pk_fma_f32 v[100:101], v[96:97], v[92:93], v[98:99] op_sel_hi:[1,0,1]
	v_pk_fma_f32 v[92:93], v[96:97], v[92:93], v[98:99] neg_lo:[0,0,1] neg_hi:[0,0,1]
	v_mov_b32_e32 v93, v101
	s_cbranch_execz .LBB107_524
	s_branch .LBB107_525
.LBB107_523:
                                        ; implicit-def: $vgpr92_vgpr93
.LBB107_524:
	ds_load_b64 v[92:93], v1
.LBB107_525:
	s_mov_b32 s2, exec_lo
	v_cmpx_ne_u32_e32 9, v0
	s_cbranch_execz .LBB107_529
; %bb.526:
	v_add_nc_u32_e32 v95, 0x168, v58
	v_add3_u32 v96, 0, v58, 8
	v_mov_b32_e32 v97, v0
	s_mov_b32 s3, 0
.LBB107_527:                            ; =>This Inner Loop Header: Depth=1
	scratch_load_b64 v[98:99], v96, off
	ds_load_b64 v[100:101], v95
	s_wait_xcnt 0x0
	v_dual_add_nc_u32 v95, 8, v95 :: v_dual_add_nc_u32 v96, 8, v96
	s_wait_loadcnt_dscnt 0x0
	v_pk_mul_f32 v[102:103], v[100:101], v[98:99] op_sel:[1,1] op_sel_hi:[0,1]
	s_delay_alu instid0(VALU_DEP_1) | instskip(SKIP_2) | instid1(VALU_DEP_3)
	v_pk_fma_f32 v[104:105], v[100:101], v[98:99], v[102:103] op_sel_hi:[1,0,1]
	v_add_nc_u32_e32 v97, 1, v97
	v_pk_fma_f32 v[98:99], v[100:101], v[98:99], v[102:103] neg_lo:[0,0,1] neg_hi:[0,0,1]
	v_mov_b32_e32 v99, v105
	s_delay_alu instid0(VALU_DEP_3) | instskip(NEXT) | instid1(VALU_DEP_2)
	v_cmp_lt_u32_e32 vcc_lo, 8, v97
	v_pk_add_f32 v[92:93], v[92:93], v[98:99]
	s_or_b32 s3, vcc_lo, s3
	s_delay_alu instid0(SALU_CYCLE_1)
	s_and_not1_b32 exec_lo, exec_lo, s3
	s_cbranch_execnz .LBB107_527
; %bb.528:
	s_or_b32 exec_lo, exec_lo, s3
.LBB107_529:
	s_delay_alu instid0(SALU_CYCLE_1) | instskip(SKIP_4) | instid1(VALU_DEP_1)
	s_or_b32 exec_lo, exec_lo, s2
	v_mov_b32_e32 v95, 0
	ds_load_b64 v[96:97], v95 offset:80
	s_wait_dscnt 0x0
	v_pk_mul_f32 v[98:99], v[92:93], v[96:97] op_sel:[1,1] op_sel_hi:[0,1]
	v_pk_fma_f32 v[100:101], v[92:93], v[96:97], v[98:99] op_sel_hi:[1,0,1]
	v_pk_fma_f32 v[92:93], v[92:93], v[96:97], v[98:99] neg_lo:[0,0,1] neg_hi:[0,0,1]
	s_delay_alu instid0(VALU_DEP_2)
	v_mov_b32_e32 v93, v101
	scratch_store_b64 off, v[92:93], off offset:80
.LBB107_530:
	s_wait_xcnt 0x0
	s_or_b32 exec_lo, exec_lo, s0
	scratch_load_b64 v[92:93], off, off offset:88
	s_mov_b32 s0, exec_lo
	s_wait_loadcnt 0x0
	ds_store_b64 v1, v[92:93]
	s_wait_storecnt_dscnt 0x0
	s_barrier_signal -1
	s_barrier_wait -1
	s_wait_xcnt 0x0
	v_cmpx_gt_u32_e32 11, v0
	s_cbranch_execz .LBB107_540
; %bb.531:
	v_cmp_ne_u32_e32 vcc_lo, 1, v94
	s_cbranch_vccnz .LBB107_533
; %bb.532:
	scratch_load_b64 v[92:93], v59, off
	ds_load_b64 v[96:97], v1
	s_wait_loadcnt_dscnt 0x0
	v_pk_mul_f32 v[98:99], v[96:97], v[92:93] op_sel:[1,1] op_sel_hi:[0,1]
	s_delay_alu instid0(VALU_DEP_1) | instskip(SKIP_1) | instid1(VALU_DEP_2)
	v_pk_fma_f32 v[100:101], v[96:97], v[92:93], v[98:99] op_sel_hi:[1,0,1]
	v_pk_fma_f32 v[92:93], v[96:97], v[92:93], v[98:99] neg_lo:[0,0,1] neg_hi:[0,0,1]
	v_mov_b32_e32 v93, v101
	s_cbranch_execz .LBB107_534
	s_branch .LBB107_535
.LBB107_533:
                                        ; implicit-def: $vgpr92_vgpr93
.LBB107_534:
	ds_load_b64 v[92:93], v1
.LBB107_535:
	s_mov_b32 s2, exec_lo
	v_cmpx_ne_u32_e32 10, v0
	s_cbranch_execz .LBB107_539
; %bb.536:
	v_add_nc_u32_e32 v95, 0x168, v58
	v_add3_u32 v96, 0, v58, 8
	v_mov_b32_e32 v97, v0
	s_mov_b32 s3, 0
.LBB107_537:                            ; =>This Inner Loop Header: Depth=1
	scratch_load_b64 v[98:99], v96, off
	ds_load_b64 v[100:101], v95
	s_wait_xcnt 0x0
	v_dual_add_nc_u32 v95, 8, v95 :: v_dual_add_nc_u32 v96, 8, v96
	s_wait_loadcnt_dscnt 0x0
	v_pk_mul_f32 v[102:103], v[100:101], v[98:99] op_sel:[1,1] op_sel_hi:[0,1]
	s_delay_alu instid0(VALU_DEP_1) | instskip(SKIP_2) | instid1(VALU_DEP_3)
	v_pk_fma_f32 v[104:105], v[100:101], v[98:99], v[102:103] op_sel_hi:[1,0,1]
	v_add_nc_u32_e32 v97, 1, v97
	v_pk_fma_f32 v[98:99], v[100:101], v[98:99], v[102:103] neg_lo:[0,0,1] neg_hi:[0,0,1]
	v_mov_b32_e32 v99, v105
	s_delay_alu instid0(VALU_DEP_3) | instskip(NEXT) | instid1(VALU_DEP_2)
	v_cmp_lt_u32_e32 vcc_lo, 9, v97
	v_pk_add_f32 v[92:93], v[92:93], v[98:99]
	s_or_b32 s3, vcc_lo, s3
	s_delay_alu instid0(SALU_CYCLE_1)
	s_and_not1_b32 exec_lo, exec_lo, s3
	s_cbranch_execnz .LBB107_537
; %bb.538:
	s_or_b32 exec_lo, exec_lo, s3
.LBB107_539:
	s_delay_alu instid0(SALU_CYCLE_1) | instskip(SKIP_4) | instid1(VALU_DEP_1)
	s_or_b32 exec_lo, exec_lo, s2
	v_mov_b32_e32 v95, 0
	ds_load_b64 v[96:97], v95 offset:88
	s_wait_dscnt 0x0
	v_pk_mul_f32 v[98:99], v[92:93], v[96:97] op_sel:[1,1] op_sel_hi:[0,1]
	v_pk_fma_f32 v[100:101], v[92:93], v[96:97], v[98:99] op_sel_hi:[1,0,1]
	v_pk_fma_f32 v[92:93], v[92:93], v[96:97], v[98:99] neg_lo:[0,0,1] neg_hi:[0,0,1]
	s_delay_alu instid0(VALU_DEP_2)
	v_mov_b32_e32 v93, v101
	scratch_store_b64 off, v[92:93], off offset:88
.LBB107_540:
	s_wait_xcnt 0x0
	s_or_b32 exec_lo, exec_lo, s0
	scratch_load_b64 v[92:93], off, off offset:96
	s_mov_b32 s0, exec_lo
	s_wait_loadcnt 0x0
	ds_store_b64 v1, v[92:93]
	s_wait_storecnt_dscnt 0x0
	s_barrier_signal -1
	s_barrier_wait -1
	s_wait_xcnt 0x0
	v_cmpx_gt_u32_e32 12, v0
	s_cbranch_execz .LBB107_550
; %bb.541:
	v_cmp_ne_u32_e32 vcc_lo, 1, v94
	s_cbranch_vccnz .LBB107_543
; %bb.542:
	scratch_load_b64 v[92:93], v59, off
	ds_load_b64 v[96:97], v1
	s_wait_loadcnt_dscnt 0x0
	v_pk_mul_f32 v[98:99], v[96:97], v[92:93] op_sel:[1,1] op_sel_hi:[0,1]
	s_delay_alu instid0(VALU_DEP_1) | instskip(SKIP_1) | instid1(VALU_DEP_2)
	v_pk_fma_f32 v[100:101], v[96:97], v[92:93], v[98:99] op_sel_hi:[1,0,1]
	v_pk_fma_f32 v[92:93], v[96:97], v[92:93], v[98:99] neg_lo:[0,0,1] neg_hi:[0,0,1]
	v_mov_b32_e32 v93, v101
	s_cbranch_execz .LBB107_544
	s_branch .LBB107_545
.LBB107_543:
                                        ; implicit-def: $vgpr92_vgpr93
.LBB107_544:
	ds_load_b64 v[92:93], v1
.LBB107_545:
	s_mov_b32 s2, exec_lo
	v_cmpx_ne_u32_e32 11, v0
	s_cbranch_execz .LBB107_549
; %bb.546:
	v_add_nc_u32_e32 v95, 0x168, v58
	v_add3_u32 v96, 0, v58, 8
	v_mov_b32_e32 v97, v0
	s_mov_b32 s3, 0
.LBB107_547:                            ; =>This Inner Loop Header: Depth=1
	scratch_load_b64 v[98:99], v96, off
	ds_load_b64 v[100:101], v95
	s_wait_xcnt 0x0
	v_dual_add_nc_u32 v95, 8, v95 :: v_dual_add_nc_u32 v96, 8, v96
	s_wait_loadcnt_dscnt 0x0
	v_pk_mul_f32 v[102:103], v[100:101], v[98:99] op_sel:[1,1] op_sel_hi:[0,1]
	s_delay_alu instid0(VALU_DEP_1) | instskip(SKIP_2) | instid1(VALU_DEP_3)
	v_pk_fma_f32 v[104:105], v[100:101], v[98:99], v[102:103] op_sel_hi:[1,0,1]
	v_add_nc_u32_e32 v97, 1, v97
	v_pk_fma_f32 v[98:99], v[100:101], v[98:99], v[102:103] neg_lo:[0,0,1] neg_hi:[0,0,1]
	v_mov_b32_e32 v99, v105
	s_delay_alu instid0(VALU_DEP_3) | instskip(NEXT) | instid1(VALU_DEP_2)
	v_cmp_lt_u32_e32 vcc_lo, 10, v97
	v_pk_add_f32 v[92:93], v[92:93], v[98:99]
	s_or_b32 s3, vcc_lo, s3
	s_delay_alu instid0(SALU_CYCLE_1)
	s_and_not1_b32 exec_lo, exec_lo, s3
	s_cbranch_execnz .LBB107_547
; %bb.548:
	s_or_b32 exec_lo, exec_lo, s3
.LBB107_549:
	s_delay_alu instid0(SALU_CYCLE_1) | instskip(SKIP_4) | instid1(VALU_DEP_1)
	s_or_b32 exec_lo, exec_lo, s2
	v_mov_b32_e32 v95, 0
	ds_load_b64 v[96:97], v95 offset:96
	s_wait_dscnt 0x0
	v_pk_mul_f32 v[98:99], v[92:93], v[96:97] op_sel:[1,1] op_sel_hi:[0,1]
	v_pk_fma_f32 v[100:101], v[92:93], v[96:97], v[98:99] op_sel_hi:[1,0,1]
	v_pk_fma_f32 v[92:93], v[92:93], v[96:97], v[98:99] neg_lo:[0,0,1] neg_hi:[0,0,1]
	s_delay_alu instid0(VALU_DEP_2)
	v_mov_b32_e32 v93, v101
	scratch_store_b64 off, v[92:93], off offset:96
.LBB107_550:
	s_wait_xcnt 0x0
	s_or_b32 exec_lo, exec_lo, s0
	scratch_load_b64 v[92:93], off, off offset:104
	s_mov_b32 s0, exec_lo
	s_wait_loadcnt 0x0
	ds_store_b64 v1, v[92:93]
	s_wait_storecnt_dscnt 0x0
	s_barrier_signal -1
	s_barrier_wait -1
	s_wait_xcnt 0x0
	v_cmpx_gt_u32_e32 13, v0
	s_cbranch_execz .LBB107_560
; %bb.551:
	v_cmp_ne_u32_e32 vcc_lo, 1, v94
	s_cbranch_vccnz .LBB107_553
; %bb.552:
	scratch_load_b64 v[92:93], v59, off
	ds_load_b64 v[96:97], v1
	s_wait_loadcnt_dscnt 0x0
	v_pk_mul_f32 v[98:99], v[96:97], v[92:93] op_sel:[1,1] op_sel_hi:[0,1]
	s_delay_alu instid0(VALU_DEP_1) | instskip(SKIP_1) | instid1(VALU_DEP_2)
	v_pk_fma_f32 v[100:101], v[96:97], v[92:93], v[98:99] op_sel_hi:[1,0,1]
	v_pk_fma_f32 v[92:93], v[96:97], v[92:93], v[98:99] neg_lo:[0,0,1] neg_hi:[0,0,1]
	v_mov_b32_e32 v93, v101
	s_cbranch_execz .LBB107_554
	s_branch .LBB107_555
.LBB107_553:
                                        ; implicit-def: $vgpr92_vgpr93
.LBB107_554:
	ds_load_b64 v[92:93], v1
.LBB107_555:
	s_mov_b32 s2, exec_lo
	v_cmpx_ne_u32_e32 12, v0
	s_cbranch_execz .LBB107_559
; %bb.556:
	v_add_nc_u32_e32 v95, 0x168, v58
	v_add3_u32 v96, 0, v58, 8
	v_mov_b32_e32 v97, v0
	s_mov_b32 s3, 0
.LBB107_557:                            ; =>This Inner Loop Header: Depth=1
	scratch_load_b64 v[98:99], v96, off
	ds_load_b64 v[100:101], v95
	s_wait_xcnt 0x0
	v_dual_add_nc_u32 v95, 8, v95 :: v_dual_add_nc_u32 v96, 8, v96
	s_wait_loadcnt_dscnt 0x0
	v_pk_mul_f32 v[102:103], v[100:101], v[98:99] op_sel:[1,1] op_sel_hi:[0,1]
	s_delay_alu instid0(VALU_DEP_1) | instskip(SKIP_2) | instid1(VALU_DEP_3)
	v_pk_fma_f32 v[104:105], v[100:101], v[98:99], v[102:103] op_sel_hi:[1,0,1]
	v_add_nc_u32_e32 v97, 1, v97
	v_pk_fma_f32 v[98:99], v[100:101], v[98:99], v[102:103] neg_lo:[0,0,1] neg_hi:[0,0,1]
	v_mov_b32_e32 v99, v105
	s_delay_alu instid0(VALU_DEP_3) | instskip(NEXT) | instid1(VALU_DEP_2)
	v_cmp_lt_u32_e32 vcc_lo, 11, v97
	v_pk_add_f32 v[92:93], v[92:93], v[98:99]
	s_or_b32 s3, vcc_lo, s3
	s_delay_alu instid0(SALU_CYCLE_1)
	s_and_not1_b32 exec_lo, exec_lo, s3
	s_cbranch_execnz .LBB107_557
; %bb.558:
	s_or_b32 exec_lo, exec_lo, s3
.LBB107_559:
	s_delay_alu instid0(SALU_CYCLE_1) | instskip(SKIP_4) | instid1(VALU_DEP_1)
	s_or_b32 exec_lo, exec_lo, s2
	v_mov_b32_e32 v95, 0
	ds_load_b64 v[96:97], v95 offset:104
	s_wait_dscnt 0x0
	v_pk_mul_f32 v[98:99], v[92:93], v[96:97] op_sel:[1,1] op_sel_hi:[0,1]
	v_pk_fma_f32 v[100:101], v[92:93], v[96:97], v[98:99] op_sel_hi:[1,0,1]
	v_pk_fma_f32 v[92:93], v[92:93], v[96:97], v[98:99] neg_lo:[0,0,1] neg_hi:[0,0,1]
	s_delay_alu instid0(VALU_DEP_2)
	v_mov_b32_e32 v93, v101
	scratch_store_b64 off, v[92:93], off offset:104
.LBB107_560:
	s_wait_xcnt 0x0
	s_or_b32 exec_lo, exec_lo, s0
	scratch_load_b64 v[92:93], off, off offset:112
	s_mov_b32 s0, exec_lo
	s_wait_loadcnt 0x0
	ds_store_b64 v1, v[92:93]
	s_wait_storecnt_dscnt 0x0
	s_barrier_signal -1
	s_barrier_wait -1
	s_wait_xcnt 0x0
	v_cmpx_gt_u32_e32 14, v0
	s_cbranch_execz .LBB107_570
; %bb.561:
	v_cmp_ne_u32_e32 vcc_lo, 1, v94
	s_cbranch_vccnz .LBB107_563
; %bb.562:
	scratch_load_b64 v[92:93], v59, off
	ds_load_b64 v[96:97], v1
	s_wait_loadcnt_dscnt 0x0
	v_pk_mul_f32 v[98:99], v[96:97], v[92:93] op_sel:[1,1] op_sel_hi:[0,1]
	s_delay_alu instid0(VALU_DEP_1) | instskip(SKIP_1) | instid1(VALU_DEP_2)
	v_pk_fma_f32 v[100:101], v[96:97], v[92:93], v[98:99] op_sel_hi:[1,0,1]
	v_pk_fma_f32 v[92:93], v[96:97], v[92:93], v[98:99] neg_lo:[0,0,1] neg_hi:[0,0,1]
	v_mov_b32_e32 v93, v101
	s_cbranch_execz .LBB107_564
	s_branch .LBB107_565
.LBB107_563:
                                        ; implicit-def: $vgpr92_vgpr93
.LBB107_564:
	ds_load_b64 v[92:93], v1
.LBB107_565:
	s_mov_b32 s2, exec_lo
	v_cmpx_ne_u32_e32 13, v0
	s_cbranch_execz .LBB107_569
; %bb.566:
	v_add_nc_u32_e32 v95, 0x168, v58
	v_add3_u32 v96, 0, v58, 8
	v_mov_b32_e32 v97, v0
	s_mov_b32 s3, 0
.LBB107_567:                            ; =>This Inner Loop Header: Depth=1
	scratch_load_b64 v[98:99], v96, off
	ds_load_b64 v[100:101], v95
	s_wait_xcnt 0x0
	v_dual_add_nc_u32 v95, 8, v95 :: v_dual_add_nc_u32 v96, 8, v96
	s_wait_loadcnt_dscnt 0x0
	v_pk_mul_f32 v[102:103], v[100:101], v[98:99] op_sel:[1,1] op_sel_hi:[0,1]
	s_delay_alu instid0(VALU_DEP_1) | instskip(SKIP_2) | instid1(VALU_DEP_3)
	v_pk_fma_f32 v[104:105], v[100:101], v[98:99], v[102:103] op_sel_hi:[1,0,1]
	v_add_nc_u32_e32 v97, 1, v97
	v_pk_fma_f32 v[98:99], v[100:101], v[98:99], v[102:103] neg_lo:[0,0,1] neg_hi:[0,0,1]
	v_mov_b32_e32 v99, v105
	s_delay_alu instid0(VALU_DEP_3) | instskip(NEXT) | instid1(VALU_DEP_2)
	v_cmp_lt_u32_e32 vcc_lo, 12, v97
	v_pk_add_f32 v[92:93], v[92:93], v[98:99]
	s_or_b32 s3, vcc_lo, s3
	s_delay_alu instid0(SALU_CYCLE_1)
	s_and_not1_b32 exec_lo, exec_lo, s3
	s_cbranch_execnz .LBB107_567
; %bb.568:
	s_or_b32 exec_lo, exec_lo, s3
.LBB107_569:
	s_delay_alu instid0(SALU_CYCLE_1) | instskip(SKIP_4) | instid1(VALU_DEP_1)
	s_or_b32 exec_lo, exec_lo, s2
	v_mov_b32_e32 v95, 0
	ds_load_b64 v[96:97], v95 offset:112
	s_wait_dscnt 0x0
	v_pk_mul_f32 v[98:99], v[92:93], v[96:97] op_sel:[1,1] op_sel_hi:[0,1]
	v_pk_fma_f32 v[100:101], v[92:93], v[96:97], v[98:99] op_sel_hi:[1,0,1]
	v_pk_fma_f32 v[92:93], v[92:93], v[96:97], v[98:99] neg_lo:[0,0,1] neg_hi:[0,0,1]
	s_delay_alu instid0(VALU_DEP_2)
	v_mov_b32_e32 v93, v101
	scratch_store_b64 off, v[92:93], off offset:112
.LBB107_570:
	s_wait_xcnt 0x0
	s_or_b32 exec_lo, exec_lo, s0
	scratch_load_b64 v[92:93], off, off offset:120
	s_mov_b32 s0, exec_lo
	s_wait_loadcnt 0x0
	ds_store_b64 v1, v[92:93]
	s_wait_storecnt_dscnt 0x0
	s_barrier_signal -1
	s_barrier_wait -1
	s_wait_xcnt 0x0
	v_cmpx_gt_u32_e32 15, v0
	s_cbranch_execz .LBB107_580
; %bb.571:
	v_cmp_ne_u32_e32 vcc_lo, 1, v94
	s_cbranch_vccnz .LBB107_573
; %bb.572:
	scratch_load_b64 v[92:93], v59, off
	ds_load_b64 v[96:97], v1
	s_wait_loadcnt_dscnt 0x0
	v_pk_mul_f32 v[98:99], v[96:97], v[92:93] op_sel:[1,1] op_sel_hi:[0,1]
	s_delay_alu instid0(VALU_DEP_1) | instskip(SKIP_1) | instid1(VALU_DEP_2)
	v_pk_fma_f32 v[100:101], v[96:97], v[92:93], v[98:99] op_sel_hi:[1,0,1]
	v_pk_fma_f32 v[92:93], v[96:97], v[92:93], v[98:99] neg_lo:[0,0,1] neg_hi:[0,0,1]
	v_mov_b32_e32 v93, v101
	s_cbranch_execz .LBB107_574
	s_branch .LBB107_575
.LBB107_573:
                                        ; implicit-def: $vgpr92_vgpr93
.LBB107_574:
	ds_load_b64 v[92:93], v1
.LBB107_575:
	s_mov_b32 s2, exec_lo
	v_cmpx_ne_u32_e32 14, v0
	s_cbranch_execz .LBB107_579
; %bb.576:
	v_add_nc_u32_e32 v95, 0x168, v58
	v_add3_u32 v96, 0, v58, 8
	v_mov_b32_e32 v97, v0
	s_mov_b32 s3, 0
.LBB107_577:                            ; =>This Inner Loop Header: Depth=1
	scratch_load_b64 v[98:99], v96, off
	ds_load_b64 v[100:101], v95
	s_wait_xcnt 0x0
	v_dual_add_nc_u32 v95, 8, v95 :: v_dual_add_nc_u32 v96, 8, v96
	s_wait_loadcnt_dscnt 0x0
	v_pk_mul_f32 v[102:103], v[100:101], v[98:99] op_sel:[1,1] op_sel_hi:[0,1]
	s_delay_alu instid0(VALU_DEP_1) | instskip(SKIP_2) | instid1(VALU_DEP_3)
	v_pk_fma_f32 v[104:105], v[100:101], v[98:99], v[102:103] op_sel_hi:[1,0,1]
	v_add_nc_u32_e32 v97, 1, v97
	v_pk_fma_f32 v[98:99], v[100:101], v[98:99], v[102:103] neg_lo:[0,0,1] neg_hi:[0,0,1]
	v_mov_b32_e32 v99, v105
	s_delay_alu instid0(VALU_DEP_3) | instskip(NEXT) | instid1(VALU_DEP_2)
	v_cmp_lt_u32_e32 vcc_lo, 13, v97
	v_pk_add_f32 v[92:93], v[92:93], v[98:99]
	s_or_b32 s3, vcc_lo, s3
	s_delay_alu instid0(SALU_CYCLE_1)
	s_and_not1_b32 exec_lo, exec_lo, s3
	s_cbranch_execnz .LBB107_577
; %bb.578:
	s_or_b32 exec_lo, exec_lo, s3
.LBB107_579:
	s_delay_alu instid0(SALU_CYCLE_1) | instskip(SKIP_4) | instid1(VALU_DEP_1)
	s_or_b32 exec_lo, exec_lo, s2
	v_mov_b32_e32 v95, 0
	ds_load_b64 v[96:97], v95 offset:120
	s_wait_dscnt 0x0
	v_pk_mul_f32 v[98:99], v[92:93], v[96:97] op_sel:[1,1] op_sel_hi:[0,1]
	v_pk_fma_f32 v[100:101], v[92:93], v[96:97], v[98:99] op_sel_hi:[1,0,1]
	v_pk_fma_f32 v[92:93], v[92:93], v[96:97], v[98:99] neg_lo:[0,0,1] neg_hi:[0,0,1]
	s_delay_alu instid0(VALU_DEP_2)
	v_mov_b32_e32 v93, v101
	scratch_store_b64 off, v[92:93], off offset:120
.LBB107_580:
	s_wait_xcnt 0x0
	s_or_b32 exec_lo, exec_lo, s0
	scratch_load_b64 v[92:93], off, off offset:128
	s_mov_b32 s0, exec_lo
	s_wait_loadcnt 0x0
	ds_store_b64 v1, v[92:93]
	s_wait_storecnt_dscnt 0x0
	s_barrier_signal -1
	s_barrier_wait -1
	s_wait_xcnt 0x0
	v_cmpx_gt_u32_e32 16, v0
	s_cbranch_execz .LBB107_590
; %bb.581:
	v_cmp_ne_u32_e32 vcc_lo, 1, v94
	s_cbranch_vccnz .LBB107_583
; %bb.582:
	scratch_load_b64 v[92:93], v59, off
	ds_load_b64 v[96:97], v1
	s_wait_loadcnt_dscnt 0x0
	v_pk_mul_f32 v[98:99], v[96:97], v[92:93] op_sel:[1,1] op_sel_hi:[0,1]
	s_delay_alu instid0(VALU_DEP_1) | instskip(SKIP_1) | instid1(VALU_DEP_2)
	v_pk_fma_f32 v[100:101], v[96:97], v[92:93], v[98:99] op_sel_hi:[1,0,1]
	v_pk_fma_f32 v[92:93], v[96:97], v[92:93], v[98:99] neg_lo:[0,0,1] neg_hi:[0,0,1]
	v_mov_b32_e32 v93, v101
	s_cbranch_execz .LBB107_584
	s_branch .LBB107_585
.LBB107_583:
                                        ; implicit-def: $vgpr92_vgpr93
.LBB107_584:
	ds_load_b64 v[92:93], v1
.LBB107_585:
	s_mov_b32 s2, exec_lo
	v_cmpx_ne_u32_e32 15, v0
	s_cbranch_execz .LBB107_589
; %bb.586:
	v_add_nc_u32_e32 v95, 0x168, v58
	v_add3_u32 v96, 0, v58, 8
	v_mov_b32_e32 v97, v0
	s_mov_b32 s3, 0
.LBB107_587:                            ; =>This Inner Loop Header: Depth=1
	scratch_load_b64 v[98:99], v96, off
	ds_load_b64 v[100:101], v95
	s_wait_xcnt 0x0
	v_dual_add_nc_u32 v95, 8, v95 :: v_dual_add_nc_u32 v96, 8, v96
	s_wait_loadcnt_dscnt 0x0
	v_pk_mul_f32 v[102:103], v[100:101], v[98:99] op_sel:[1,1] op_sel_hi:[0,1]
	s_delay_alu instid0(VALU_DEP_1) | instskip(SKIP_2) | instid1(VALU_DEP_3)
	v_pk_fma_f32 v[104:105], v[100:101], v[98:99], v[102:103] op_sel_hi:[1,0,1]
	v_add_nc_u32_e32 v97, 1, v97
	v_pk_fma_f32 v[98:99], v[100:101], v[98:99], v[102:103] neg_lo:[0,0,1] neg_hi:[0,0,1]
	v_mov_b32_e32 v99, v105
	s_delay_alu instid0(VALU_DEP_3) | instskip(NEXT) | instid1(VALU_DEP_2)
	v_cmp_lt_u32_e32 vcc_lo, 14, v97
	v_pk_add_f32 v[92:93], v[92:93], v[98:99]
	s_or_b32 s3, vcc_lo, s3
	s_delay_alu instid0(SALU_CYCLE_1)
	s_and_not1_b32 exec_lo, exec_lo, s3
	s_cbranch_execnz .LBB107_587
; %bb.588:
	s_or_b32 exec_lo, exec_lo, s3
.LBB107_589:
	s_delay_alu instid0(SALU_CYCLE_1) | instskip(SKIP_4) | instid1(VALU_DEP_1)
	s_or_b32 exec_lo, exec_lo, s2
	v_mov_b32_e32 v95, 0
	ds_load_b64 v[96:97], v95 offset:128
	s_wait_dscnt 0x0
	v_pk_mul_f32 v[98:99], v[92:93], v[96:97] op_sel:[1,1] op_sel_hi:[0,1]
	v_pk_fma_f32 v[100:101], v[92:93], v[96:97], v[98:99] op_sel_hi:[1,0,1]
	v_pk_fma_f32 v[92:93], v[92:93], v[96:97], v[98:99] neg_lo:[0,0,1] neg_hi:[0,0,1]
	s_delay_alu instid0(VALU_DEP_2)
	v_mov_b32_e32 v93, v101
	scratch_store_b64 off, v[92:93], off offset:128
.LBB107_590:
	s_wait_xcnt 0x0
	s_or_b32 exec_lo, exec_lo, s0
	scratch_load_b64 v[92:93], off, off offset:136
	s_mov_b32 s0, exec_lo
	s_wait_loadcnt 0x0
	ds_store_b64 v1, v[92:93]
	s_wait_storecnt_dscnt 0x0
	s_barrier_signal -1
	s_barrier_wait -1
	s_wait_xcnt 0x0
	v_cmpx_gt_u32_e32 17, v0
	s_cbranch_execz .LBB107_600
; %bb.591:
	v_cmp_ne_u32_e32 vcc_lo, 1, v94
	s_cbranch_vccnz .LBB107_593
; %bb.592:
	scratch_load_b64 v[92:93], v59, off
	ds_load_b64 v[96:97], v1
	s_wait_loadcnt_dscnt 0x0
	v_pk_mul_f32 v[98:99], v[96:97], v[92:93] op_sel:[1,1] op_sel_hi:[0,1]
	s_delay_alu instid0(VALU_DEP_1) | instskip(SKIP_1) | instid1(VALU_DEP_2)
	v_pk_fma_f32 v[100:101], v[96:97], v[92:93], v[98:99] op_sel_hi:[1,0,1]
	v_pk_fma_f32 v[92:93], v[96:97], v[92:93], v[98:99] neg_lo:[0,0,1] neg_hi:[0,0,1]
	v_mov_b32_e32 v93, v101
	s_cbranch_execz .LBB107_594
	s_branch .LBB107_595
.LBB107_593:
                                        ; implicit-def: $vgpr92_vgpr93
.LBB107_594:
	ds_load_b64 v[92:93], v1
.LBB107_595:
	s_mov_b32 s2, exec_lo
	v_cmpx_ne_u32_e32 16, v0
	s_cbranch_execz .LBB107_599
; %bb.596:
	v_add_nc_u32_e32 v95, 0x168, v58
	v_add3_u32 v96, 0, v58, 8
	v_mov_b32_e32 v97, v0
	s_mov_b32 s3, 0
.LBB107_597:                            ; =>This Inner Loop Header: Depth=1
	scratch_load_b64 v[98:99], v96, off
	ds_load_b64 v[100:101], v95
	s_wait_xcnt 0x0
	v_dual_add_nc_u32 v95, 8, v95 :: v_dual_add_nc_u32 v96, 8, v96
	s_wait_loadcnt_dscnt 0x0
	v_pk_mul_f32 v[102:103], v[100:101], v[98:99] op_sel:[1,1] op_sel_hi:[0,1]
	s_delay_alu instid0(VALU_DEP_1) | instskip(SKIP_2) | instid1(VALU_DEP_3)
	v_pk_fma_f32 v[104:105], v[100:101], v[98:99], v[102:103] op_sel_hi:[1,0,1]
	v_add_nc_u32_e32 v97, 1, v97
	v_pk_fma_f32 v[98:99], v[100:101], v[98:99], v[102:103] neg_lo:[0,0,1] neg_hi:[0,0,1]
	v_mov_b32_e32 v99, v105
	s_delay_alu instid0(VALU_DEP_3) | instskip(NEXT) | instid1(VALU_DEP_2)
	v_cmp_lt_u32_e32 vcc_lo, 15, v97
	v_pk_add_f32 v[92:93], v[92:93], v[98:99]
	s_or_b32 s3, vcc_lo, s3
	s_delay_alu instid0(SALU_CYCLE_1)
	s_and_not1_b32 exec_lo, exec_lo, s3
	s_cbranch_execnz .LBB107_597
; %bb.598:
	s_or_b32 exec_lo, exec_lo, s3
.LBB107_599:
	s_delay_alu instid0(SALU_CYCLE_1) | instskip(SKIP_4) | instid1(VALU_DEP_1)
	s_or_b32 exec_lo, exec_lo, s2
	v_mov_b32_e32 v95, 0
	ds_load_b64 v[96:97], v95 offset:136
	s_wait_dscnt 0x0
	v_pk_mul_f32 v[98:99], v[92:93], v[96:97] op_sel:[1,1] op_sel_hi:[0,1]
	v_pk_fma_f32 v[100:101], v[92:93], v[96:97], v[98:99] op_sel_hi:[1,0,1]
	v_pk_fma_f32 v[92:93], v[92:93], v[96:97], v[98:99] neg_lo:[0,0,1] neg_hi:[0,0,1]
	s_delay_alu instid0(VALU_DEP_2)
	v_mov_b32_e32 v93, v101
	scratch_store_b64 off, v[92:93], off offset:136
.LBB107_600:
	s_wait_xcnt 0x0
	s_or_b32 exec_lo, exec_lo, s0
	scratch_load_b64 v[92:93], off, off offset:144
	s_mov_b32 s0, exec_lo
	s_wait_loadcnt 0x0
	ds_store_b64 v1, v[92:93]
	s_wait_storecnt_dscnt 0x0
	s_barrier_signal -1
	s_barrier_wait -1
	s_wait_xcnt 0x0
	v_cmpx_gt_u32_e32 18, v0
	s_cbranch_execz .LBB107_610
; %bb.601:
	v_cmp_ne_u32_e32 vcc_lo, 1, v94
	s_cbranch_vccnz .LBB107_603
; %bb.602:
	scratch_load_b64 v[92:93], v59, off
	ds_load_b64 v[96:97], v1
	s_wait_loadcnt_dscnt 0x0
	v_pk_mul_f32 v[98:99], v[96:97], v[92:93] op_sel:[1,1] op_sel_hi:[0,1]
	s_delay_alu instid0(VALU_DEP_1) | instskip(SKIP_1) | instid1(VALU_DEP_2)
	v_pk_fma_f32 v[100:101], v[96:97], v[92:93], v[98:99] op_sel_hi:[1,0,1]
	v_pk_fma_f32 v[92:93], v[96:97], v[92:93], v[98:99] neg_lo:[0,0,1] neg_hi:[0,0,1]
	v_mov_b32_e32 v93, v101
	s_cbranch_execz .LBB107_604
	s_branch .LBB107_605
.LBB107_603:
                                        ; implicit-def: $vgpr92_vgpr93
.LBB107_604:
	ds_load_b64 v[92:93], v1
.LBB107_605:
	s_mov_b32 s2, exec_lo
	v_cmpx_ne_u32_e32 17, v0
	s_cbranch_execz .LBB107_609
; %bb.606:
	v_add_nc_u32_e32 v95, 0x168, v58
	v_add3_u32 v96, 0, v58, 8
	v_mov_b32_e32 v97, v0
	s_mov_b32 s3, 0
.LBB107_607:                            ; =>This Inner Loop Header: Depth=1
	scratch_load_b64 v[98:99], v96, off
	ds_load_b64 v[100:101], v95
	s_wait_xcnt 0x0
	v_dual_add_nc_u32 v95, 8, v95 :: v_dual_add_nc_u32 v96, 8, v96
	s_wait_loadcnt_dscnt 0x0
	v_pk_mul_f32 v[102:103], v[100:101], v[98:99] op_sel:[1,1] op_sel_hi:[0,1]
	s_delay_alu instid0(VALU_DEP_1) | instskip(SKIP_2) | instid1(VALU_DEP_3)
	v_pk_fma_f32 v[104:105], v[100:101], v[98:99], v[102:103] op_sel_hi:[1,0,1]
	v_add_nc_u32_e32 v97, 1, v97
	v_pk_fma_f32 v[98:99], v[100:101], v[98:99], v[102:103] neg_lo:[0,0,1] neg_hi:[0,0,1]
	v_mov_b32_e32 v99, v105
	s_delay_alu instid0(VALU_DEP_3) | instskip(NEXT) | instid1(VALU_DEP_2)
	v_cmp_lt_u32_e32 vcc_lo, 16, v97
	v_pk_add_f32 v[92:93], v[92:93], v[98:99]
	s_or_b32 s3, vcc_lo, s3
	s_delay_alu instid0(SALU_CYCLE_1)
	s_and_not1_b32 exec_lo, exec_lo, s3
	s_cbranch_execnz .LBB107_607
; %bb.608:
	s_or_b32 exec_lo, exec_lo, s3
.LBB107_609:
	s_delay_alu instid0(SALU_CYCLE_1) | instskip(SKIP_4) | instid1(VALU_DEP_1)
	s_or_b32 exec_lo, exec_lo, s2
	v_mov_b32_e32 v95, 0
	ds_load_b64 v[96:97], v95 offset:144
	s_wait_dscnt 0x0
	v_pk_mul_f32 v[98:99], v[92:93], v[96:97] op_sel:[1,1] op_sel_hi:[0,1]
	v_pk_fma_f32 v[100:101], v[92:93], v[96:97], v[98:99] op_sel_hi:[1,0,1]
	v_pk_fma_f32 v[92:93], v[92:93], v[96:97], v[98:99] neg_lo:[0,0,1] neg_hi:[0,0,1]
	s_delay_alu instid0(VALU_DEP_2)
	v_mov_b32_e32 v93, v101
	scratch_store_b64 off, v[92:93], off offset:144
.LBB107_610:
	s_wait_xcnt 0x0
	s_or_b32 exec_lo, exec_lo, s0
	scratch_load_b64 v[92:93], off, off offset:152
	s_mov_b32 s0, exec_lo
	s_wait_loadcnt 0x0
	ds_store_b64 v1, v[92:93]
	s_wait_storecnt_dscnt 0x0
	s_barrier_signal -1
	s_barrier_wait -1
	s_wait_xcnt 0x0
	v_cmpx_gt_u32_e32 19, v0
	s_cbranch_execz .LBB107_620
; %bb.611:
	v_cmp_ne_u32_e32 vcc_lo, 1, v94
	s_cbranch_vccnz .LBB107_613
; %bb.612:
	scratch_load_b64 v[92:93], v59, off
	ds_load_b64 v[96:97], v1
	s_wait_loadcnt_dscnt 0x0
	v_pk_mul_f32 v[98:99], v[96:97], v[92:93] op_sel:[1,1] op_sel_hi:[0,1]
	s_delay_alu instid0(VALU_DEP_1) | instskip(SKIP_1) | instid1(VALU_DEP_2)
	v_pk_fma_f32 v[100:101], v[96:97], v[92:93], v[98:99] op_sel_hi:[1,0,1]
	v_pk_fma_f32 v[92:93], v[96:97], v[92:93], v[98:99] neg_lo:[0,0,1] neg_hi:[0,0,1]
	v_mov_b32_e32 v93, v101
	s_cbranch_execz .LBB107_614
	s_branch .LBB107_615
.LBB107_613:
                                        ; implicit-def: $vgpr92_vgpr93
.LBB107_614:
	ds_load_b64 v[92:93], v1
.LBB107_615:
	s_mov_b32 s2, exec_lo
	v_cmpx_ne_u32_e32 18, v0
	s_cbranch_execz .LBB107_619
; %bb.616:
	v_add_nc_u32_e32 v95, 0x168, v58
	v_add3_u32 v96, 0, v58, 8
	v_mov_b32_e32 v97, v0
	s_mov_b32 s3, 0
.LBB107_617:                            ; =>This Inner Loop Header: Depth=1
	scratch_load_b64 v[98:99], v96, off
	ds_load_b64 v[100:101], v95
	s_wait_xcnt 0x0
	v_dual_add_nc_u32 v95, 8, v95 :: v_dual_add_nc_u32 v96, 8, v96
	s_wait_loadcnt_dscnt 0x0
	v_pk_mul_f32 v[102:103], v[100:101], v[98:99] op_sel:[1,1] op_sel_hi:[0,1]
	s_delay_alu instid0(VALU_DEP_1) | instskip(SKIP_2) | instid1(VALU_DEP_3)
	v_pk_fma_f32 v[104:105], v[100:101], v[98:99], v[102:103] op_sel_hi:[1,0,1]
	v_add_nc_u32_e32 v97, 1, v97
	v_pk_fma_f32 v[98:99], v[100:101], v[98:99], v[102:103] neg_lo:[0,0,1] neg_hi:[0,0,1]
	v_mov_b32_e32 v99, v105
	s_delay_alu instid0(VALU_DEP_3) | instskip(NEXT) | instid1(VALU_DEP_2)
	v_cmp_lt_u32_e32 vcc_lo, 17, v97
	v_pk_add_f32 v[92:93], v[92:93], v[98:99]
	s_or_b32 s3, vcc_lo, s3
	s_delay_alu instid0(SALU_CYCLE_1)
	s_and_not1_b32 exec_lo, exec_lo, s3
	s_cbranch_execnz .LBB107_617
; %bb.618:
	s_or_b32 exec_lo, exec_lo, s3
.LBB107_619:
	s_delay_alu instid0(SALU_CYCLE_1) | instskip(SKIP_4) | instid1(VALU_DEP_1)
	s_or_b32 exec_lo, exec_lo, s2
	v_mov_b32_e32 v95, 0
	ds_load_b64 v[96:97], v95 offset:152
	s_wait_dscnt 0x0
	v_pk_mul_f32 v[98:99], v[92:93], v[96:97] op_sel:[1,1] op_sel_hi:[0,1]
	v_pk_fma_f32 v[100:101], v[92:93], v[96:97], v[98:99] op_sel_hi:[1,0,1]
	v_pk_fma_f32 v[92:93], v[92:93], v[96:97], v[98:99] neg_lo:[0,0,1] neg_hi:[0,0,1]
	s_delay_alu instid0(VALU_DEP_2)
	v_mov_b32_e32 v93, v101
	scratch_store_b64 off, v[92:93], off offset:152
.LBB107_620:
	s_wait_xcnt 0x0
	s_or_b32 exec_lo, exec_lo, s0
	scratch_load_b64 v[92:93], off, off offset:160
	s_mov_b32 s0, exec_lo
	s_wait_loadcnt 0x0
	ds_store_b64 v1, v[92:93]
	s_wait_storecnt_dscnt 0x0
	s_barrier_signal -1
	s_barrier_wait -1
	s_wait_xcnt 0x0
	v_cmpx_gt_u32_e32 20, v0
	s_cbranch_execz .LBB107_630
; %bb.621:
	v_cmp_ne_u32_e32 vcc_lo, 1, v94
	s_cbranch_vccnz .LBB107_623
; %bb.622:
	scratch_load_b64 v[92:93], v59, off
	ds_load_b64 v[96:97], v1
	s_wait_loadcnt_dscnt 0x0
	v_pk_mul_f32 v[98:99], v[96:97], v[92:93] op_sel:[1,1] op_sel_hi:[0,1]
	s_delay_alu instid0(VALU_DEP_1) | instskip(SKIP_1) | instid1(VALU_DEP_2)
	v_pk_fma_f32 v[100:101], v[96:97], v[92:93], v[98:99] op_sel_hi:[1,0,1]
	v_pk_fma_f32 v[92:93], v[96:97], v[92:93], v[98:99] neg_lo:[0,0,1] neg_hi:[0,0,1]
	v_mov_b32_e32 v93, v101
	s_cbranch_execz .LBB107_624
	s_branch .LBB107_625
.LBB107_623:
                                        ; implicit-def: $vgpr92_vgpr93
.LBB107_624:
	ds_load_b64 v[92:93], v1
.LBB107_625:
	s_mov_b32 s2, exec_lo
	v_cmpx_ne_u32_e32 19, v0
	s_cbranch_execz .LBB107_629
; %bb.626:
	v_add_nc_u32_e32 v95, 0x168, v58
	v_add3_u32 v96, 0, v58, 8
	v_mov_b32_e32 v97, v0
	s_mov_b32 s3, 0
.LBB107_627:                            ; =>This Inner Loop Header: Depth=1
	scratch_load_b64 v[98:99], v96, off
	ds_load_b64 v[100:101], v95
	s_wait_xcnt 0x0
	v_dual_add_nc_u32 v95, 8, v95 :: v_dual_add_nc_u32 v96, 8, v96
	s_wait_loadcnt_dscnt 0x0
	v_pk_mul_f32 v[102:103], v[100:101], v[98:99] op_sel:[1,1] op_sel_hi:[0,1]
	s_delay_alu instid0(VALU_DEP_1) | instskip(SKIP_2) | instid1(VALU_DEP_3)
	v_pk_fma_f32 v[104:105], v[100:101], v[98:99], v[102:103] op_sel_hi:[1,0,1]
	v_add_nc_u32_e32 v97, 1, v97
	v_pk_fma_f32 v[98:99], v[100:101], v[98:99], v[102:103] neg_lo:[0,0,1] neg_hi:[0,0,1]
	v_mov_b32_e32 v99, v105
	s_delay_alu instid0(VALU_DEP_3) | instskip(NEXT) | instid1(VALU_DEP_2)
	v_cmp_lt_u32_e32 vcc_lo, 18, v97
	v_pk_add_f32 v[92:93], v[92:93], v[98:99]
	s_or_b32 s3, vcc_lo, s3
	s_delay_alu instid0(SALU_CYCLE_1)
	s_and_not1_b32 exec_lo, exec_lo, s3
	s_cbranch_execnz .LBB107_627
; %bb.628:
	s_or_b32 exec_lo, exec_lo, s3
.LBB107_629:
	s_delay_alu instid0(SALU_CYCLE_1) | instskip(SKIP_4) | instid1(VALU_DEP_1)
	s_or_b32 exec_lo, exec_lo, s2
	v_mov_b32_e32 v95, 0
	ds_load_b64 v[96:97], v95 offset:160
	s_wait_dscnt 0x0
	v_pk_mul_f32 v[98:99], v[92:93], v[96:97] op_sel:[1,1] op_sel_hi:[0,1]
	v_pk_fma_f32 v[100:101], v[92:93], v[96:97], v[98:99] op_sel_hi:[1,0,1]
	v_pk_fma_f32 v[92:93], v[92:93], v[96:97], v[98:99] neg_lo:[0,0,1] neg_hi:[0,0,1]
	s_delay_alu instid0(VALU_DEP_2)
	v_mov_b32_e32 v93, v101
	scratch_store_b64 off, v[92:93], off offset:160
.LBB107_630:
	s_wait_xcnt 0x0
	s_or_b32 exec_lo, exec_lo, s0
	scratch_load_b64 v[92:93], off, off offset:168
	s_mov_b32 s0, exec_lo
	s_wait_loadcnt 0x0
	ds_store_b64 v1, v[92:93]
	s_wait_storecnt_dscnt 0x0
	s_barrier_signal -1
	s_barrier_wait -1
	s_wait_xcnt 0x0
	v_cmpx_gt_u32_e32 21, v0
	s_cbranch_execz .LBB107_640
; %bb.631:
	v_cmp_ne_u32_e32 vcc_lo, 1, v94
	s_cbranch_vccnz .LBB107_633
; %bb.632:
	scratch_load_b64 v[92:93], v59, off
	ds_load_b64 v[96:97], v1
	s_wait_loadcnt_dscnt 0x0
	v_pk_mul_f32 v[98:99], v[96:97], v[92:93] op_sel:[1,1] op_sel_hi:[0,1]
	s_delay_alu instid0(VALU_DEP_1) | instskip(SKIP_1) | instid1(VALU_DEP_2)
	v_pk_fma_f32 v[100:101], v[96:97], v[92:93], v[98:99] op_sel_hi:[1,0,1]
	v_pk_fma_f32 v[92:93], v[96:97], v[92:93], v[98:99] neg_lo:[0,0,1] neg_hi:[0,0,1]
	v_mov_b32_e32 v93, v101
	s_cbranch_execz .LBB107_634
	s_branch .LBB107_635
.LBB107_633:
                                        ; implicit-def: $vgpr92_vgpr93
.LBB107_634:
	ds_load_b64 v[92:93], v1
.LBB107_635:
	s_mov_b32 s2, exec_lo
	v_cmpx_ne_u32_e32 20, v0
	s_cbranch_execz .LBB107_639
; %bb.636:
	v_add_nc_u32_e32 v95, 0x168, v58
	v_add3_u32 v96, 0, v58, 8
	v_mov_b32_e32 v97, v0
	s_mov_b32 s3, 0
.LBB107_637:                            ; =>This Inner Loop Header: Depth=1
	scratch_load_b64 v[98:99], v96, off
	ds_load_b64 v[100:101], v95
	s_wait_xcnt 0x0
	v_dual_add_nc_u32 v95, 8, v95 :: v_dual_add_nc_u32 v96, 8, v96
	s_wait_loadcnt_dscnt 0x0
	v_pk_mul_f32 v[102:103], v[100:101], v[98:99] op_sel:[1,1] op_sel_hi:[0,1]
	s_delay_alu instid0(VALU_DEP_1) | instskip(SKIP_2) | instid1(VALU_DEP_3)
	v_pk_fma_f32 v[104:105], v[100:101], v[98:99], v[102:103] op_sel_hi:[1,0,1]
	v_add_nc_u32_e32 v97, 1, v97
	v_pk_fma_f32 v[98:99], v[100:101], v[98:99], v[102:103] neg_lo:[0,0,1] neg_hi:[0,0,1]
	v_mov_b32_e32 v99, v105
	s_delay_alu instid0(VALU_DEP_3) | instskip(NEXT) | instid1(VALU_DEP_2)
	v_cmp_lt_u32_e32 vcc_lo, 19, v97
	v_pk_add_f32 v[92:93], v[92:93], v[98:99]
	s_or_b32 s3, vcc_lo, s3
	s_delay_alu instid0(SALU_CYCLE_1)
	s_and_not1_b32 exec_lo, exec_lo, s3
	s_cbranch_execnz .LBB107_637
; %bb.638:
	s_or_b32 exec_lo, exec_lo, s3
.LBB107_639:
	s_delay_alu instid0(SALU_CYCLE_1) | instskip(SKIP_4) | instid1(VALU_DEP_1)
	s_or_b32 exec_lo, exec_lo, s2
	v_mov_b32_e32 v95, 0
	ds_load_b64 v[96:97], v95 offset:168
	s_wait_dscnt 0x0
	v_pk_mul_f32 v[98:99], v[92:93], v[96:97] op_sel:[1,1] op_sel_hi:[0,1]
	v_pk_fma_f32 v[100:101], v[92:93], v[96:97], v[98:99] op_sel_hi:[1,0,1]
	v_pk_fma_f32 v[92:93], v[92:93], v[96:97], v[98:99] neg_lo:[0,0,1] neg_hi:[0,0,1]
	s_delay_alu instid0(VALU_DEP_2)
	v_mov_b32_e32 v93, v101
	scratch_store_b64 off, v[92:93], off offset:168
.LBB107_640:
	s_wait_xcnt 0x0
	s_or_b32 exec_lo, exec_lo, s0
	scratch_load_b64 v[92:93], off, off offset:176
	s_mov_b32 s0, exec_lo
	s_wait_loadcnt 0x0
	ds_store_b64 v1, v[92:93]
	s_wait_storecnt_dscnt 0x0
	s_barrier_signal -1
	s_barrier_wait -1
	s_wait_xcnt 0x0
	v_cmpx_gt_u32_e32 22, v0
	s_cbranch_execz .LBB107_650
; %bb.641:
	v_cmp_ne_u32_e32 vcc_lo, 1, v94
	s_cbranch_vccnz .LBB107_643
; %bb.642:
	scratch_load_b64 v[92:93], v59, off
	ds_load_b64 v[96:97], v1
	s_wait_loadcnt_dscnt 0x0
	v_pk_mul_f32 v[98:99], v[96:97], v[92:93] op_sel:[1,1] op_sel_hi:[0,1]
	s_delay_alu instid0(VALU_DEP_1) | instskip(SKIP_1) | instid1(VALU_DEP_2)
	v_pk_fma_f32 v[100:101], v[96:97], v[92:93], v[98:99] op_sel_hi:[1,0,1]
	v_pk_fma_f32 v[92:93], v[96:97], v[92:93], v[98:99] neg_lo:[0,0,1] neg_hi:[0,0,1]
	v_mov_b32_e32 v93, v101
	s_cbranch_execz .LBB107_644
	s_branch .LBB107_645
.LBB107_643:
                                        ; implicit-def: $vgpr92_vgpr93
.LBB107_644:
	ds_load_b64 v[92:93], v1
.LBB107_645:
	s_mov_b32 s2, exec_lo
	v_cmpx_ne_u32_e32 21, v0
	s_cbranch_execz .LBB107_649
; %bb.646:
	v_add_nc_u32_e32 v95, 0x168, v58
	v_add3_u32 v96, 0, v58, 8
	v_mov_b32_e32 v97, v0
	s_mov_b32 s3, 0
.LBB107_647:                            ; =>This Inner Loop Header: Depth=1
	scratch_load_b64 v[98:99], v96, off
	ds_load_b64 v[100:101], v95
	s_wait_xcnt 0x0
	v_dual_add_nc_u32 v95, 8, v95 :: v_dual_add_nc_u32 v96, 8, v96
	s_wait_loadcnt_dscnt 0x0
	v_pk_mul_f32 v[102:103], v[100:101], v[98:99] op_sel:[1,1] op_sel_hi:[0,1]
	s_delay_alu instid0(VALU_DEP_1) | instskip(SKIP_2) | instid1(VALU_DEP_3)
	v_pk_fma_f32 v[104:105], v[100:101], v[98:99], v[102:103] op_sel_hi:[1,0,1]
	v_add_nc_u32_e32 v97, 1, v97
	v_pk_fma_f32 v[98:99], v[100:101], v[98:99], v[102:103] neg_lo:[0,0,1] neg_hi:[0,0,1]
	v_mov_b32_e32 v99, v105
	s_delay_alu instid0(VALU_DEP_3) | instskip(NEXT) | instid1(VALU_DEP_2)
	v_cmp_lt_u32_e32 vcc_lo, 20, v97
	v_pk_add_f32 v[92:93], v[92:93], v[98:99]
	s_or_b32 s3, vcc_lo, s3
	s_delay_alu instid0(SALU_CYCLE_1)
	s_and_not1_b32 exec_lo, exec_lo, s3
	s_cbranch_execnz .LBB107_647
; %bb.648:
	s_or_b32 exec_lo, exec_lo, s3
.LBB107_649:
	s_delay_alu instid0(SALU_CYCLE_1) | instskip(SKIP_4) | instid1(VALU_DEP_1)
	s_or_b32 exec_lo, exec_lo, s2
	v_mov_b32_e32 v95, 0
	ds_load_b64 v[96:97], v95 offset:176
	s_wait_dscnt 0x0
	v_pk_mul_f32 v[98:99], v[92:93], v[96:97] op_sel:[1,1] op_sel_hi:[0,1]
	v_pk_fma_f32 v[100:101], v[92:93], v[96:97], v[98:99] op_sel_hi:[1,0,1]
	v_pk_fma_f32 v[92:93], v[92:93], v[96:97], v[98:99] neg_lo:[0,0,1] neg_hi:[0,0,1]
	s_delay_alu instid0(VALU_DEP_2)
	v_mov_b32_e32 v93, v101
	scratch_store_b64 off, v[92:93], off offset:176
.LBB107_650:
	s_wait_xcnt 0x0
	s_or_b32 exec_lo, exec_lo, s0
	scratch_load_b64 v[92:93], off, off offset:184
	s_mov_b32 s0, exec_lo
	s_wait_loadcnt 0x0
	ds_store_b64 v1, v[92:93]
	s_wait_storecnt_dscnt 0x0
	s_barrier_signal -1
	s_barrier_wait -1
	s_wait_xcnt 0x0
	v_cmpx_gt_u32_e32 23, v0
	s_cbranch_execz .LBB107_660
; %bb.651:
	v_cmp_ne_u32_e32 vcc_lo, 1, v94
	s_cbranch_vccnz .LBB107_653
; %bb.652:
	scratch_load_b64 v[92:93], v59, off
	ds_load_b64 v[96:97], v1
	s_wait_loadcnt_dscnt 0x0
	v_pk_mul_f32 v[98:99], v[96:97], v[92:93] op_sel:[1,1] op_sel_hi:[0,1]
	s_delay_alu instid0(VALU_DEP_1) | instskip(SKIP_1) | instid1(VALU_DEP_2)
	v_pk_fma_f32 v[100:101], v[96:97], v[92:93], v[98:99] op_sel_hi:[1,0,1]
	v_pk_fma_f32 v[92:93], v[96:97], v[92:93], v[98:99] neg_lo:[0,0,1] neg_hi:[0,0,1]
	v_mov_b32_e32 v93, v101
	s_cbranch_execz .LBB107_654
	s_branch .LBB107_655
.LBB107_653:
                                        ; implicit-def: $vgpr92_vgpr93
.LBB107_654:
	ds_load_b64 v[92:93], v1
.LBB107_655:
	s_mov_b32 s2, exec_lo
	v_cmpx_ne_u32_e32 22, v0
	s_cbranch_execz .LBB107_659
; %bb.656:
	v_add_nc_u32_e32 v95, 0x168, v58
	v_add3_u32 v96, 0, v58, 8
	v_mov_b32_e32 v97, v0
	s_mov_b32 s3, 0
.LBB107_657:                            ; =>This Inner Loop Header: Depth=1
	scratch_load_b64 v[98:99], v96, off
	ds_load_b64 v[100:101], v95
	s_wait_xcnt 0x0
	v_dual_add_nc_u32 v95, 8, v95 :: v_dual_add_nc_u32 v96, 8, v96
	s_wait_loadcnt_dscnt 0x0
	v_pk_mul_f32 v[102:103], v[100:101], v[98:99] op_sel:[1,1] op_sel_hi:[0,1]
	s_delay_alu instid0(VALU_DEP_1) | instskip(SKIP_2) | instid1(VALU_DEP_3)
	v_pk_fma_f32 v[104:105], v[100:101], v[98:99], v[102:103] op_sel_hi:[1,0,1]
	v_add_nc_u32_e32 v97, 1, v97
	v_pk_fma_f32 v[98:99], v[100:101], v[98:99], v[102:103] neg_lo:[0,0,1] neg_hi:[0,0,1]
	v_mov_b32_e32 v99, v105
	s_delay_alu instid0(VALU_DEP_3) | instskip(NEXT) | instid1(VALU_DEP_2)
	v_cmp_lt_u32_e32 vcc_lo, 21, v97
	v_pk_add_f32 v[92:93], v[92:93], v[98:99]
	s_or_b32 s3, vcc_lo, s3
	s_delay_alu instid0(SALU_CYCLE_1)
	s_and_not1_b32 exec_lo, exec_lo, s3
	s_cbranch_execnz .LBB107_657
; %bb.658:
	s_or_b32 exec_lo, exec_lo, s3
.LBB107_659:
	s_delay_alu instid0(SALU_CYCLE_1) | instskip(SKIP_4) | instid1(VALU_DEP_1)
	s_or_b32 exec_lo, exec_lo, s2
	v_mov_b32_e32 v95, 0
	ds_load_b64 v[96:97], v95 offset:184
	s_wait_dscnt 0x0
	v_pk_mul_f32 v[98:99], v[92:93], v[96:97] op_sel:[1,1] op_sel_hi:[0,1]
	v_pk_fma_f32 v[100:101], v[92:93], v[96:97], v[98:99] op_sel_hi:[1,0,1]
	v_pk_fma_f32 v[92:93], v[92:93], v[96:97], v[98:99] neg_lo:[0,0,1] neg_hi:[0,0,1]
	s_delay_alu instid0(VALU_DEP_2)
	v_mov_b32_e32 v93, v101
	scratch_store_b64 off, v[92:93], off offset:184
.LBB107_660:
	s_wait_xcnt 0x0
	s_or_b32 exec_lo, exec_lo, s0
	scratch_load_b64 v[92:93], off, off offset:192
	s_mov_b32 s0, exec_lo
	s_wait_loadcnt 0x0
	ds_store_b64 v1, v[92:93]
	s_wait_storecnt_dscnt 0x0
	s_barrier_signal -1
	s_barrier_wait -1
	s_wait_xcnt 0x0
	v_cmpx_gt_u32_e32 24, v0
	s_cbranch_execz .LBB107_670
; %bb.661:
	v_cmp_ne_u32_e32 vcc_lo, 1, v94
	s_cbranch_vccnz .LBB107_663
; %bb.662:
	scratch_load_b64 v[92:93], v59, off
	ds_load_b64 v[96:97], v1
	s_wait_loadcnt_dscnt 0x0
	v_pk_mul_f32 v[98:99], v[96:97], v[92:93] op_sel:[1,1] op_sel_hi:[0,1]
	s_delay_alu instid0(VALU_DEP_1) | instskip(SKIP_1) | instid1(VALU_DEP_2)
	v_pk_fma_f32 v[100:101], v[96:97], v[92:93], v[98:99] op_sel_hi:[1,0,1]
	v_pk_fma_f32 v[92:93], v[96:97], v[92:93], v[98:99] neg_lo:[0,0,1] neg_hi:[0,0,1]
	v_mov_b32_e32 v93, v101
	s_cbranch_execz .LBB107_664
	s_branch .LBB107_665
.LBB107_663:
                                        ; implicit-def: $vgpr92_vgpr93
.LBB107_664:
	ds_load_b64 v[92:93], v1
.LBB107_665:
	s_mov_b32 s2, exec_lo
	v_cmpx_ne_u32_e32 23, v0
	s_cbranch_execz .LBB107_669
; %bb.666:
	v_add_nc_u32_e32 v95, 0x168, v58
	v_add3_u32 v96, 0, v58, 8
	v_mov_b32_e32 v97, v0
	s_mov_b32 s3, 0
.LBB107_667:                            ; =>This Inner Loop Header: Depth=1
	scratch_load_b64 v[98:99], v96, off
	ds_load_b64 v[100:101], v95
	s_wait_xcnt 0x0
	v_dual_add_nc_u32 v95, 8, v95 :: v_dual_add_nc_u32 v96, 8, v96
	s_wait_loadcnt_dscnt 0x0
	v_pk_mul_f32 v[102:103], v[100:101], v[98:99] op_sel:[1,1] op_sel_hi:[0,1]
	s_delay_alu instid0(VALU_DEP_1) | instskip(SKIP_2) | instid1(VALU_DEP_3)
	v_pk_fma_f32 v[104:105], v[100:101], v[98:99], v[102:103] op_sel_hi:[1,0,1]
	v_add_nc_u32_e32 v97, 1, v97
	v_pk_fma_f32 v[98:99], v[100:101], v[98:99], v[102:103] neg_lo:[0,0,1] neg_hi:[0,0,1]
	v_mov_b32_e32 v99, v105
	s_delay_alu instid0(VALU_DEP_3) | instskip(NEXT) | instid1(VALU_DEP_2)
	v_cmp_lt_u32_e32 vcc_lo, 22, v97
	v_pk_add_f32 v[92:93], v[92:93], v[98:99]
	s_or_b32 s3, vcc_lo, s3
	s_delay_alu instid0(SALU_CYCLE_1)
	s_and_not1_b32 exec_lo, exec_lo, s3
	s_cbranch_execnz .LBB107_667
; %bb.668:
	s_or_b32 exec_lo, exec_lo, s3
.LBB107_669:
	s_delay_alu instid0(SALU_CYCLE_1) | instskip(SKIP_4) | instid1(VALU_DEP_1)
	s_or_b32 exec_lo, exec_lo, s2
	v_mov_b32_e32 v95, 0
	ds_load_b64 v[96:97], v95 offset:192
	s_wait_dscnt 0x0
	v_pk_mul_f32 v[98:99], v[92:93], v[96:97] op_sel:[1,1] op_sel_hi:[0,1]
	v_pk_fma_f32 v[100:101], v[92:93], v[96:97], v[98:99] op_sel_hi:[1,0,1]
	v_pk_fma_f32 v[92:93], v[92:93], v[96:97], v[98:99] neg_lo:[0,0,1] neg_hi:[0,0,1]
	s_delay_alu instid0(VALU_DEP_2)
	v_mov_b32_e32 v93, v101
	scratch_store_b64 off, v[92:93], off offset:192
.LBB107_670:
	s_wait_xcnt 0x0
	s_or_b32 exec_lo, exec_lo, s0
	scratch_load_b64 v[92:93], off, off offset:200
	s_mov_b32 s0, exec_lo
	s_wait_loadcnt 0x0
	ds_store_b64 v1, v[92:93]
	s_wait_storecnt_dscnt 0x0
	s_barrier_signal -1
	s_barrier_wait -1
	s_wait_xcnt 0x0
	v_cmpx_gt_u32_e32 25, v0
	s_cbranch_execz .LBB107_680
; %bb.671:
	v_cmp_ne_u32_e32 vcc_lo, 1, v94
	s_cbranch_vccnz .LBB107_673
; %bb.672:
	scratch_load_b64 v[92:93], v59, off
	ds_load_b64 v[96:97], v1
	s_wait_loadcnt_dscnt 0x0
	v_pk_mul_f32 v[98:99], v[96:97], v[92:93] op_sel:[1,1] op_sel_hi:[0,1]
	s_delay_alu instid0(VALU_DEP_1) | instskip(SKIP_1) | instid1(VALU_DEP_2)
	v_pk_fma_f32 v[100:101], v[96:97], v[92:93], v[98:99] op_sel_hi:[1,0,1]
	v_pk_fma_f32 v[92:93], v[96:97], v[92:93], v[98:99] neg_lo:[0,0,1] neg_hi:[0,0,1]
	v_mov_b32_e32 v93, v101
	s_cbranch_execz .LBB107_674
	s_branch .LBB107_675
.LBB107_673:
                                        ; implicit-def: $vgpr92_vgpr93
.LBB107_674:
	ds_load_b64 v[92:93], v1
.LBB107_675:
	s_mov_b32 s2, exec_lo
	v_cmpx_ne_u32_e32 24, v0
	s_cbranch_execz .LBB107_679
; %bb.676:
	v_add_nc_u32_e32 v95, 0x168, v58
	v_add3_u32 v96, 0, v58, 8
	v_mov_b32_e32 v97, v0
	s_mov_b32 s3, 0
.LBB107_677:                            ; =>This Inner Loop Header: Depth=1
	scratch_load_b64 v[98:99], v96, off
	ds_load_b64 v[100:101], v95
	s_wait_xcnt 0x0
	v_dual_add_nc_u32 v95, 8, v95 :: v_dual_add_nc_u32 v96, 8, v96
	s_wait_loadcnt_dscnt 0x0
	v_pk_mul_f32 v[102:103], v[100:101], v[98:99] op_sel:[1,1] op_sel_hi:[0,1]
	s_delay_alu instid0(VALU_DEP_1) | instskip(SKIP_2) | instid1(VALU_DEP_3)
	v_pk_fma_f32 v[104:105], v[100:101], v[98:99], v[102:103] op_sel_hi:[1,0,1]
	v_add_nc_u32_e32 v97, 1, v97
	v_pk_fma_f32 v[98:99], v[100:101], v[98:99], v[102:103] neg_lo:[0,0,1] neg_hi:[0,0,1]
	v_mov_b32_e32 v99, v105
	s_delay_alu instid0(VALU_DEP_3) | instskip(NEXT) | instid1(VALU_DEP_2)
	v_cmp_lt_u32_e32 vcc_lo, 23, v97
	v_pk_add_f32 v[92:93], v[92:93], v[98:99]
	s_or_b32 s3, vcc_lo, s3
	s_delay_alu instid0(SALU_CYCLE_1)
	s_and_not1_b32 exec_lo, exec_lo, s3
	s_cbranch_execnz .LBB107_677
; %bb.678:
	s_or_b32 exec_lo, exec_lo, s3
.LBB107_679:
	s_delay_alu instid0(SALU_CYCLE_1) | instskip(SKIP_4) | instid1(VALU_DEP_1)
	s_or_b32 exec_lo, exec_lo, s2
	v_mov_b32_e32 v95, 0
	ds_load_b64 v[96:97], v95 offset:200
	s_wait_dscnt 0x0
	v_pk_mul_f32 v[98:99], v[92:93], v[96:97] op_sel:[1,1] op_sel_hi:[0,1]
	v_pk_fma_f32 v[100:101], v[92:93], v[96:97], v[98:99] op_sel_hi:[1,0,1]
	v_pk_fma_f32 v[92:93], v[92:93], v[96:97], v[98:99] neg_lo:[0,0,1] neg_hi:[0,0,1]
	s_delay_alu instid0(VALU_DEP_2)
	v_mov_b32_e32 v93, v101
	scratch_store_b64 off, v[92:93], off offset:200
.LBB107_680:
	s_wait_xcnt 0x0
	s_or_b32 exec_lo, exec_lo, s0
	scratch_load_b64 v[92:93], off, off offset:208
	s_mov_b32 s0, exec_lo
	s_wait_loadcnt 0x0
	ds_store_b64 v1, v[92:93]
	s_wait_storecnt_dscnt 0x0
	s_barrier_signal -1
	s_barrier_wait -1
	s_wait_xcnt 0x0
	v_cmpx_gt_u32_e32 26, v0
	s_cbranch_execz .LBB107_690
; %bb.681:
	v_cmp_ne_u32_e32 vcc_lo, 1, v94
	s_cbranch_vccnz .LBB107_683
; %bb.682:
	scratch_load_b64 v[92:93], v59, off
	ds_load_b64 v[96:97], v1
	s_wait_loadcnt_dscnt 0x0
	v_pk_mul_f32 v[98:99], v[96:97], v[92:93] op_sel:[1,1] op_sel_hi:[0,1]
	s_delay_alu instid0(VALU_DEP_1) | instskip(SKIP_1) | instid1(VALU_DEP_2)
	v_pk_fma_f32 v[100:101], v[96:97], v[92:93], v[98:99] op_sel_hi:[1,0,1]
	v_pk_fma_f32 v[92:93], v[96:97], v[92:93], v[98:99] neg_lo:[0,0,1] neg_hi:[0,0,1]
	v_mov_b32_e32 v93, v101
	s_cbranch_execz .LBB107_684
	s_branch .LBB107_685
.LBB107_683:
                                        ; implicit-def: $vgpr92_vgpr93
.LBB107_684:
	ds_load_b64 v[92:93], v1
.LBB107_685:
	s_mov_b32 s2, exec_lo
	v_cmpx_ne_u32_e32 25, v0
	s_cbranch_execz .LBB107_689
; %bb.686:
	v_add_nc_u32_e32 v95, 0x168, v58
	v_add3_u32 v96, 0, v58, 8
	v_mov_b32_e32 v97, v0
	s_mov_b32 s3, 0
.LBB107_687:                            ; =>This Inner Loop Header: Depth=1
	scratch_load_b64 v[98:99], v96, off
	ds_load_b64 v[100:101], v95
	s_wait_xcnt 0x0
	v_dual_add_nc_u32 v95, 8, v95 :: v_dual_add_nc_u32 v96, 8, v96
	s_wait_loadcnt_dscnt 0x0
	v_pk_mul_f32 v[102:103], v[100:101], v[98:99] op_sel:[1,1] op_sel_hi:[0,1]
	s_delay_alu instid0(VALU_DEP_1) | instskip(SKIP_2) | instid1(VALU_DEP_3)
	v_pk_fma_f32 v[104:105], v[100:101], v[98:99], v[102:103] op_sel_hi:[1,0,1]
	v_add_nc_u32_e32 v97, 1, v97
	v_pk_fma_f32 v[98:99], v[100:101], v[98:99], v[102:103] neg_lo:[0,0,1] neg_hi:[0,0,1]
	v_mov_b32_e32 v99, v105
	s_delay_alu instid0(VALU_DEP_3) | instskip(NEXT) | instid1(VALU_DEP_2)
	v_cmp_lt_u32_e32 vcc_lo, 24, v97
	v_pk_add_f32 v[92:93], v[92:93], v[98:99]
	s_or_b32 s3, vcc_lo, s3
	s_delay_alu instid0(SALU_CYCLE_1)
	s_and_not1_b32 exec_lo, exec_lo, s3
	s_cbranch_execnz .LBB107_687
; %bb.688:
	s_or_b32 exec_lo, exec_lo, s3
.LBB107_689:
	s_delay_alu instid0(SALU_CYCLE_1) | instskip(SKIP_4) | instid1(VALU_DEP_1)
	s_or_b32 exec_lo, exec_lo, s2
	v_mov_b32_e32 v95, 0
	ds_load_b64 v[96:97], v95 offset:208
	s_wait_dscnt 0x0
	v_pk_mul_f32 v[98:99], v[92:93], v[96:97] op_sel:[1,1] op_sel_hi:[0,1]
	v_pk_fma_f32 v[100:101], v[92:93], v[96:97], v[98:99] op_sel_hi:[1,0,1]
	v_pk_fma_f32 v[92:93], v[92:93], v[96:97], v[98:99] neg_lo:[0,0,1] neg_hi:[0,0,1]
	s_delay_alu instid0(VALU_DEP_2)
	v_mov_b32_e32 v93, v101
	scratch_store_b64 off, v[92:93], off offset:208
.LBB107_690:
	s_wait_xcnt 0x0
	s_or_b32 exec_lo, exec_lo, s0
	scratch_load_b64 v[92:93], off, off offset:216
	s_mov_b32 s0, exec_lo
	s_wait_loadcnt 0x0
	ds_store_b64 v1, v[92:93]
	s_wait_storecnt_dscnt 0x0
	s_barrier_signal -1
	s_barrier_wait -1
	s_wait_xcnt 0x0
	v_cmpx_gt_u32_e32 27, v0
	s_cbranch_execz .LBB107_700
; %bb.691:
	v_cmp_ne_u32_e32 vcc_lo, 1, v94
	s_cbranch_vccnz .LBB107_693
; %bb.692:
	scratch_load_b64 v[92:93], v59, off
	ds_load_b64 v[96:97], v1
	s_wait_loadcnt_dscnt 0x0
	v_pk_mul_f32 v[98:99], v[96:97], v[92:93] op_sel:[1,1] op_sel_hi:[0,1]
	s_delay_alu instid0(VALU_DEP_1) | instskip(SKIP_1) | instid1(VALU_DEP_2)
	v_pk_fma_f32 v[100:101], v[96:97], v[92:93], v[98:99] op_sel_hi:[1,0,1]
	v_pk_fma_f32 v[92:93], v[96:97], v[92:93], v[98:99] neg_lo:[0,0,1] neg_hi:[0,0,1]
	v_mov_b32_e32 v93, v101
	s_cbranch_execz .LBB107_694
	s_branch .LBB107_695
.LBB107_693:
                                        ; implicit-def: $vgpr92_vgpr93
.LBB107_694:
	ds_load_b64 v[92:93], v1
.LBB107_695:
	s_mov_b32 s2, exec_lo
	v_cmpx_ne_u32_e32 26, v0
	s_cbranch_execz .LBB107_699
; %bb.696:
	v_add_nc_u32_e32 v95, 0x168, v58
	v_add3_u32 v96, 0, v58, 8
	v_mov_b32_e32 v97, v0
	s_mov_b32 s3, 0
.LBB107_697:                            ; =>This Inner Loop Header: Depth=1
	scratch_load_b64 v[98:99], v96, off
	ds_load_b64 v[100:101], v95
	s_wait_xcnt 0x0
	v_dual_add_nc_u32 v95, 8, v95 :: v_dual_add_nc_u32 v96, 8, v96
	s_wait_loadcnt_dscnt 0x0
	v_pk_mul_f32 v[102:103], v[100:101], v[98:99] op_sel:[1,1] op_sel_hi:[0,1]
	s_delay_alu instid0(VALU_DEP_1) | instskip(SKIP_2) | instid1(VALU_DEP_3)
	v_pk_fma_f32 v[104:105], v[100:101], v[98:99], v[102:103] op_sel_hi:[1,0,1]
	v_add_nc_u32_e32 v97, 1, v97
	v_pk_fma_f32 v[98:99], v[100:101], v[98:99], v[102:103] neg_lo:[0,0,1] neg_hi:[0,0,1]
	v_mov_b32_e32 v99, v105
	s_delay_alu instid0(VALU_DEP_3) | instskip(NEXT) | instid1(VALU_DEP_2)
	v_cmp_lt_u32_e32 vcc_lo, 25, v97
	v_pk_add_f32 v[92:93], v[92:93], v[98:99]
	s_or_b32 s3, vcc_lo, s3
	s_delay_alu instid0(SALU_CYCLE_1)
	s_and_not1_b32 exec_lo, exec_lo, s3
	s_cbranch_execnz .LBB107_697
; %bb.698:
	s_or_b32 exec_lo, exec_lo, s3
.LBB107_699:
	s_delay_alu instid0(SALU_CYCLE_1) | instskip(SKIP_4) | instid1(VALU_DEP_1)
	s_or_b32 exec_lo, exec_lo, s2
	v_mov_b32_e32 v95, 0
	ds_load_b64 v[96:97], v95 offset:216
	s_wait_dscnt 0x0
	v_pk_mul_f32 v[98:99], v[92:93], v[96:97] op_sel:[1,1] op_sel_hi:[0,1]
	v_pk_fma_f32 v[100:101], v[92:93], v[96:97], v[98:99] op_sel_hi:[1,0,1]
	v_pk_fma_f32 v[92:93], v[92:93], v[96:97], v[98:99] neg_lo:[0,0,1] neg_hi:[0,0,1]
	s_delay_alu instid0(VALU_DEP_2)
	v_mov_b32_e32 v93, v101
	scratch_store_b64 off, v[92:93], off offset:216
.LBB107_700:
	s_wait_xcnt 0x0
	s_or_b32 exec_lo, exec_lo, s0
	scratch_load_b64 v[92:93], off, off offset:224
	s_mov_b32 s0, exec_lo
	s_wait_loadcnt 0x0
	ds_store_b64 v1, v[92:93]
	s_wait_storecnt_dscnt 0x0
	s_barrier_signal -1
	s_barrier_wait -1
	s_wait_xcnt 0x0
	v_cmpx_gt_u32_e32 28, v0
	s_cbranch_execz .LBB107_710
; %bb.701:
	v_cmp_ne_u32_e32 vcc_lo, 1, v94
	s_cbranch_vccnz .LBB107_703
; %bb.702:
	scratch_load_b64 v[92:93], v59, off
	ds_load_b64 v[96:97], v1
	s_wait_loadcnt_dscnt 0x0
	v_pk_mul_f32 v[98:99], v[96:97], v[92:93] op_sel:[1,1] op_sel_hi:[0,1]
	s_delay_alu instid0(VALU_DEP_1) | instskip(SKIP_1) | instid1(VALU_DEP_2)
	v_pk_fma_f32 v[100:101], v[96:97], v[92:93], v[98:99] op_sel_hi:[1,0,1]
	v_pk_fma_f32 v[92:93], v[96:97], v[92:93], v[98:99] neg_lo:[0,0,1] neg_hi:[0,0,1]
	v_mov_b32_e32 v93, v101
	s_cbranch_execz .LBB107_704
	s_branch .LBB107_705
.LBB107_703:
                                        ; implicit-def: $vgpr92_vgpr93
.LBB107_704:
	ds_load_b64 v[92:93], v1
.LBB107_705:
	s_mov_b32 s2, exec_lo
	v_cmpx_ne_u32_e32 27, v0
	s_cbranch_execz .LBB107_709
; %bb.706:
	v_add_nc_u32_e32 v95, 0x168, v58
	v_add3_u32 v96, 0, v58, 8
	v_mov_b32_e32 v97, v0
	s_mov_b32 s3, 0
.LBB107_707:                            ; =>This Inner Loop Header: Depth=1
	scratch_load_b64 v[98:99], v96, off
	ds_load_b64 v[100:101], v95
	s_wait_xcnt 0x0
	v_dual_add_nc_u32 v95, 8, v95 :: v_dual_add_nc_u32 v96, 8, v96
	s_wait_loadcnt_dscnt 0x0
	v_pk_mul_f32 v[102:103], v[100:101], v[98:99] op_sel:[1,1] op_sel_hi:[0,1]
	s_delay_alu instid0(VALU_DEP_1) | instskip(SKIP_2) | instid1(VALU_DEP_3)
	v_pk_fma_f32 v[104:105], v[100:101], v[98:99], v[102:103] op_sel_hi:[1,0,1]
	v_add_nc_u32_e32 v97, 1, v97
	v_pk_fma_f32 v[98:99], v[100:101], v[98:99], v[102:103] neg_lo:[0,0,1] neg_hi:[0,0,1]
	v_mov_b32_e32 v99, v105
	s_delay_alu instid0(VALU_DEP_3) | instskip(NEXT) | instid1(VALU_DEP_2)
	v_cmp_lt_u32_e32 vcc_lo, 26, v97
	v_pk_add_f32 v[92:93], v[92:93], v[98:99]
	s_or_b32 s3, vcc_lo, s3
	s_delay_alu instid0(SALU_CYCLE_1)
	s_and_not1_b32 exec_lo, exec_lo, s3
	s_cbranch_execnz .LBB107_707
; %bb.708:
	s_or_b32 exec_lo, exec_lo, s3
.LBB107_709:
	s_delay_alu instid0(SALU_CYCLE_1) | instskip(SKIP_4) | instid1(VALU_DEP_1)
	s_or_b32 exec_lo, exec_lo, s2
	v_mov_b32_e32 v95, 0
	ds_load_b64 v[96:97], v95 offset:224
	s_wait_dscnt 0x0
	v_pk_mul_f32 v[98:99], v[92:93], v[96:97] op_sel:[1,1] op_sel_hi:[0,1]
	v_pk_fma_f32 v[100:101], v[92:93], v[96:97], v[98:99] op_sel_hi:[1,0,1]
	v_pk_fma_f32 v[92:93], v[92:93], v[96:97], v[98:99] neg_lo:[0,0,1] neg_hi:[0,0,1]
	s_delay_alu instid0(VALU_DEP_2)
	v_mov_b32_e32 v93, v101
	scratch_store_b64 off, v[92:93], off offset:224
.LBB107_710:
	s_wait_xcnt 0x0
	s_or_b32 exec_lo, exec_lo, s0
	scratch_load_b64 v[92:93], off, off offset:232
	s_mov_b32 s0, exec_lo
	s_wait_loadcnt 0x0
	ds_store_b64 v1, v[92:93]
	s_wait_storecnt_dscnt 0x0
	s_barrier_signal -1
	s_barrier_wait -1
	s_wait_xcnt 0x0
	v_cmpx_gt_u32_e32 29, v0
	s_cbranch_execz .LBB107_720
; %bb.711:
	v_cmp_ne_u32_e32 vcc_lo, 1, v94
	s_cbranch_vccnz .LBB107_713
; %bb.712:
	scratch_load_b64 v[92:93], v59, off
	ds_load_b64 v[96:97], v1
	s_wait_loadcnt_dscnt 0x0
	v_pk_mul_f32 v[98:99], v[96:97], v[92:93] op_sel:[1,1] op_sel_hi:[0,1]
	s_delay_alu instid0(VALU_DEP_1) | instskip(SKIP_1) | instid1(VALU_DEP_2)
	v_pk_fma_f32 v[100:101], v[96:97], v[92:93], v[98:99] op_sel_hi:[1,0,1]
	v_pk_fma_f32 v[92:93], v[96:97], v[92:93], v[98:99] neg_lo:[0,0,1] neg_hi:[0,0,1]
	v_mov_b32_e32 v93, v101
	s_cbranch_execz .LBB107_714
	s_branch .LBB107_715
.LBB107_713:
                                        ; implicit-def: $vgpr92_vgpr93
.LBB107_714:
	ds_load_b64 v[92:93], v1
.LBB107_715:
	s_mov_b32 s2, exec_lo
	v_cmpx_ne_u32_e32 28, v0
	s_cbranch_execz .LBB107_719
; %bb.716:
	v_add_nc_u32_e32 v95, 0x168, v58
	v_add3_u32 v96, 0, v58, 8
	v_mov_b32_e32 v97, v0
	s_mov_b32 s3, 0
.LBB107_717:                            ; =>This Inner Loop Header: Depth=1
	scratch_load_b64 v[98:99], v96, off
	ds_load_b64 v[100:101], v95
	s_wait_xcnt 0x0
	v_dual_add_nc_u32 v95, 8, v95 :: v_dual_add_nc_u32 v96, 8, v96
	s_wait_loadcnt_dscnt 0x0
	v_pk_mul_f32 v[102:103], v[100:101], v[98:99] op_sel:[1,1] op_sel_hi:[0,1]
	s_delay_alu instid0(VALU_DEP_1) | instskip(SKIP_2) | instid1(VALU_DEP_3)
	v_pk_fma_f32 v[104:105], v[100:101], v[98:99], v[102:103] op_sel_hi:[1,0,1]
	v_add_nc_u32_e32 v97, 1, v97
	v_pk_fma_f32 v[98:99], v[100:101], v[98:99], v[102:103] neg_lo:[0,0,1] neg_hi:[0,0,1]
	v_mov_b32_e32 v99, v105
	s_delay_alu instid0(VALU_DEP_3) | instskip(NEXT) | instid1(VALU_DEP_2)
	v_cmp_lt_u32_e32 vcc_lo, 27, v97
	v_pk_add_f32 v[92:93], v[92:93], v[98:99]
	s_or_b32 s3, vcc_lo, s3
	s_delay_alu instid0(SALU_CYCLE_1)
	s_and_not1_b32 exec_lo, exec_lo, s3
	s_cbranch_execnz .LBB107_717
; %bb.718:
	s_or_b32 exec_lo, exec_lo, s3
.LBB107_719:
	s_delay_alu instid0(SALU_CYCLE_1) | instskip(SKIP_4) | instid1(VALU_DEP_1)
	s_or_b32 exec_lo, exec_lo, s2
	v_mov_b32_e32 v95, 0
	ds_load_b64 v[96:97], v95 offset:232
	s_wait_dscnt 0x0
	v_pk_mul_f32 v[98:99], v[92:93], v[96:97] op_sel:[1,1] op_sel_hi:[0,1]
	v_pk_fma_f32 v[100:101], v[92:93], v[96:97], v[98:99] op_sel_hi:[1,0,1]
	v_pk_fma_f32 v[92:93], v[92:93], v[96:97], v[98:99] neg_lo:[0,0,1] neg_hi:[0,0,1]
	s_delay_alu instid0(VALU_DEP_2)
	v_mov_b32_e32 v93, v101
	scratch_store_b64 off, v[92:93], off offset:232
.LBB107_720:
	s_wait_xcnt 0x0
	s_or_b32 exec_lo, exec_lo, s0
	scratch_load_b64 v[92:93], off, off offset:240
	s_mov_b32 s0, exec_lo
	s_wait_loadcnt 0x0
	ds_store_b64 v1, v[92:93]
	s_wait_storecnt_dscnt 0x0
	s_barrier_signal -1
	s_barrier_wait -1
	s_wait_xcnt 0x0
	v_cmpx_gt_u32_e32 30, v0
	s_cbranch_execz .LBB107_730
; %bb.721:
	v_cmp_ne_u32_e32 vcc_lo, 1, v94
	s_cbranch_vccnz .LBB107_723
; %bb.722:
	scratch_load_b64 v[92:93], v59, off
	ds_load_b64 v[96:97], v1
	s_wait_loadcnt_dscnt 0x0
	v_pk_mul_f32 v[98:99], v[96:97], v[92:93] op_sel:[1,1] op_sel_hi:[0,1]
	s_delay_alu instid0(VALU_DEP_1) | instskip(SKIP_1) | instid1(VALU_DEP_2)
	v_pk_fma_f32 v[100:101], v[96:97], v[92:93], v[98:99] op_sel_hi:[1,0,1]
	v_pk_fma_f32 v[92:93], v[96:97], v[92:93], v[98:99] neg_lo:[0,0,1] neg_hi:[0,0,1]
	v_mov_b32_e32 v93, v101
	s_cbranch_execz .LBB107_724
	s_branch .LBB107_725
.LBB107_723:
                                        ; implicit-def: $vgpr92_vgpr93
.LBB107_724:
	ds_load_b64 v[92:93], v1
.LBB107_725:
	s_mov_b32 s2, exec_lo
	v_cmpx_ne_u32_e32 29, v0
	s_cbranch_execz .LBB107_729
; %bb.726:
	v_add_nc_u32_e32 v95, 0x168, v58
	v_add3_u32 v96, 0, v58, 8
	v_mov_b32_e32 v97, v0
	s_mov_b32 s3, 0
.LBB107_727:                            ; =>This Inner Loop Header: Depth=1
	scratch_load_b64 v[98:99], v96, off
	ds_load_b64 v[100:101], v95
	s_wait_xcnt 0x0
	v_dual_add_nc_u32 v95, 8, v95 :: v_dual_add_nc_u32 v96, 8, v96
	s_wait_loadcnt_dscnt 0x0
	v_pk_mul_f32 v[102:103], v[100:101], v[98:99] op_sel:[1,1] op_sel_hi:[0,1]
	s_delay_alu instid0(VALU_DEP_1) | instskip(SKIP_2) | instid1(VALU_DEP_3)
	v_pk_fma_f32 v[104:105], v[100:101], v[98:99], v[102:103] op_sel_hi:[1,0,1]
	v_add_nc_u32_e32 v97, 1, v97
	v_pk_fma_f32 v[98:99], v[100:101], v[98:99], v[102:103] neg_lo:[0,0,1] neg_hi:[0,0,1]
	v_mov_b32_e32 v99, v105
	s_delay_alu instid0(VALU_DEP_3) | instskip(NEXT) | instid1(VALU_DEP_2)
	v_cmp_lt_u32_e32 vcc_lo, 28, v97
	v_pk_add_f32 v[92:93], v[92:93], v[98:99]
	s_or_b32 s3, vcc_lo, s3
	s_delay_alu instid0(SALU_CYCLE_1)
	s_and_not1_b32 exec_lo, exec_lo, s3
	s_cbranch_execnz .LBB107_727
; %bb.728:
	s_or_b32 exec_lo, exec_lo, s3
.LBB107_729:
	s_delay_alu instid0(SALU_CYCLE_1) | instskip(SKIP_4) | instid1(VALU_DEP_1)
	s_or_b32 exec_lo, exec_lo, s2
	v_mov_b32_e32 v95, 0
	ds_load_b64 v[96:97], v95 offset:240
	s_wait_dscnt 0x0
	v_pk_mul_f32 v[98:99], v[92:93], v[96:97] op_sel:[1,1] op_sel_hi:[0,1]
	v_pk_fma_f32 v[100:101], v[92:93], v[96:97], v[98:99] op_sel_hi:[1,0,1]
	v_pk_fma_f32 v[92:93], v[92:93], v[96:97], v[98:99] neg_lo:[0,0,1] neg_hi:[0,0,1]
	s_delay_alu instid0(VALU_DEP_2)
	v_mov_b32_e32 v93, v101
	scratch_store_b64 off, v[92:93], off offset:240
.LBB107_730:
	s_wait_xcnt 0x0
	s_or_b32 exec_lo, exec_lo, s0
	scratch_load_b64 v[92:93], off, off offset:248
	s_mov_b32 s0, exec_lo
	s_wait_loadcnt 0x0
	ds_store_b64 v1, v[92:93]
	s_wait_storecnt_dscnt 0x0
	s_barrier_signal -1
	s_barrier_wait -1
	s_wait_xcnt 0x0
	v_cmpx_gt_u32_e32 31, v0
	s_cbranch_execz .LBB107_740
; %bb.731:
	v_cmp_ne_u32_e32 vcc_lo, 1, v94
	s_cbranch_vccnz .LBB107_733
; %bb.732:
	scratch_load_b64 v[92:93], v59, off
	ds_load_b64 v[96:97], v1
	s_wait_loadcnt_dscnt 0x0
	v_pk_mul_f32 v[98:99], v[96:97], v[92:93] op_sel:[1,1] op_sel_hi:[0,1]
	s_delay_alu instid0(VALU_DEP_1) | instskip(SKIP_1) | instid1(VALU_DEP_2)
	v_pk_fma_f32 v[100:101], v[96:97], v[92:93], v[98:99] op_sel_hi:[1,0,1]
	v_pk_fma_f32 v[92:93], v[96:97], v[92:93], v[98:99] neg_lo:[0,0,1] neg_hi:[0,0,1]
	v_mov_b32_e32 v93, v101
	s_cbranch_execz .LBB107_734
	s_branch .LBB107_735
.LBB107_733:
                                        ; implicit-def: $vgpr92_vgpr93
.LBB107_734:
	ds_load_b64 v[92:93], v1
.LBB107_735:
	s_mov_b32 s2, exec_lo
	v_cmpx_ne_u32_e32 30, v0
	s_cbranch_execz .LBB107_739
; %bb.736:
	v_add_nc_u32_e32 v95, 0x168, v58
	v_add3_u32 v96, 0, v58, 8
	v_mov_b32_e32 v97, v0
	s_mov_b32 s3, 0
.LBB107_737:                            ; =>This Inner Loop Header: Depth=1
	scratch_load_b64 v[98:99], v96, off
	ds_load_b64 v[100:101], v95
	s_wait_xcnt 0x0
	v_dual_add_nc_u32 v95, 8, v95 :: v_dual_add_nc_u32 v96, 8, v96
	s_wait_loadcnt_dscnt 0x0
	v_pk_mul_f32 v[102:103], v[100:101], v[98:99] op_sel:[1,1] op_sel_hi:[0,1]
	s_delay_alu instid0(VALU_DEP_1) | instskip(SKIP_2) | instid1(VALU_DEP_3)
	v_pk_fma_f32 v[104:105], v[100:101], v[98:99], v[102:103] op_sel_hi:[1,0,1]
	v_add_nc_u32_e32 v97, 1, v97
	v_pk_fma_f32 v[98:99], v[100:101], v[98:99], v[102:103] neg_lo:[0,0,1] neg_hi:[0,0,1]
	v_mov_b32_e32 v99, v105
	s_delay_alu instid0(VALU_DEP_3) | instskip(NEXT) | instid1(VALU_DEP_2)
	v_cmp_lt_u32_e32 vcc_lo, 29, v97
	v_pk_add_f32 v[92:93], v[92:93], v[98:99]
	s_or_b32 s3, vcc_lo, s3
	s_delay_alu instid0(SALU_CYCLE_1)
	s_and_not1_b32 exec_lo, exec_lo, s3
	s_cbranch_execnz .LBB107_737
; %bb.738:
	s_or_b32 exec_lo, exec_lo, s3
.LBB107_739:
	s_delay_alu instid0(SALU_CYCLE_1) | instskip(SKIP_4) | instid1(VALU_DEP_1)
	s_or_b32 exec_lo, exec_lo, s2
	v_mov_b32_e32 v95, 0
	ds_load_b64 v[96:97], v95 offset:248
	s_wait_dscnt 0x0
	v_pk_mul_f32 v[98:99], v[92:93], v[96:97] op_sel:[1,1] op_sel_hi:[0,1]
	v_pk_fma_f32 v[100:101], v[92:93], v[96:97], v[98:99] op_sel_hi:[1,0,1]
	v_pk_fma_f32 v[92:93], v[92:93], v[96:97], v[98:99] neg_lo:[0,0,1] neg_hi:[0,0,1]
	s_delay_alu instid0(VALU_DEP_2)
	v_mov_b32_e32 v93, v101
	scratch_store_b64 off, v[92:93], off offset:248
.LBB107_740:
	s_wait_xcnt 0x0
	s_or_b32 exec_lo, exec_lo, s0
	scratch_load_b64 v[92:93], off, off offset:256
	s_mov_b32 s0, exec_lo
	s_wait_loadcnt 0x0
	ds_store_b64 v1, v[92:93]
	s_wait_storecnt_dscnt 0x0
	s_barrier_signal -1
	s_barrier_wait -1
	s_wait_xcnt 0x0
	v_cmpx_gt_u32_e32 32, v0
	s_cbranch_execz .LBB107_750
; %bb.741:
	v_cmp_ne_u32_e32 vcc_lo, 1, v94
	s_cbranch_vccnz .LBB107_743
; %bb.742:
	scratch_load_b64 v[92:93], v59, off
	ds_load_b64 v[96:97], v1
	s_wait_loadcnt_dscnt 0x0
	v_pk_mul_f32 v[98:99], v[96:97], v[92:93] op_sel:[1,1] op_sel_hi:[0,1]
	s_delay_alu instid0(VALU_DEP_1) | instskip(SKIP_1) | instid1(VALU_DEP_2)
	v_pk_fma_f32 v[100:101], v[96:97], v[92:93], v[98:99] op_sel_hi:[1,0,1]
	v_pk_fma_f32 v[92:93], v[96:97], v[92:93], v[98:99] neg_lo:[0,0,1] neg_hi:[0,0,1]
	v_mov_b32_e32 v93, v101
	s_cbranch_execz .LBB107_744
	s_branch .LBB107_745
.LBB107_743:
                                        ; implicit-def: $vgpr92_vgpr93
.LBB107_744:
	ds_load_b64 v[92:93], v1
.LBB107_745:
	s_mov_b32 s2, exec_lo
	v_cmpx_ne_u32_e32 31, v0
	s_cbranch_execz .LBB107_749
; %bb.746:
	v_add_nc_u32_e32 v95, 0x168, v58
	v_add3_u32 v96, 0, v58, 8
	v_mov_b32_e32 v97, v0
	s_mov_b32 s3, 0
.LBB107_747:                            ; =>This Inner Loop Header: Depth=1
	scratch_load_b64 v[98:99], v96, off
	ds_load_b64 v[100:101], v95
	s_wait_xcnt 0x0
	v_dual_add_nc_u32 v95, 8, v95 :: v_dual_add_nc_u32 v96, 8, v96
	s_wait_loadcnt_dscnt 0x0
	v_pk_mul_f32 v[102:103], v[100:101], v[98:99] op_sel:[1,1] op_sel_hi:[0,1]
	s_delay_alu instid0(VALU_DEP_1) | instskip(SKIP_2) | instid1(VALU_DEP_3)
	v_pk_fma_f32 v[104:105], v[100:101], v[98:99], v[102:103] op_sel_hi:[1,0,1]
	v_add_nc_u32_e32 v97, 1, v97
	v_pk_fma_f32 v[98:99], v[100:101], v[98:99], v[102:103] neg_lo:[0,0,1] neg_hi:[0,0,1]
	v_mov_b32_e32 v99, v105
	s_delay_alu instid0(VALU_DEP_3) | instskip(NEXT) | instid1(VALU_DEP_2)
	v_cmp_lt_u32_e32 vcc_lo, 30, v97
	v_pk_add_f32 v[92:93], v[92:93], v[98:99]
	s_or_b32 s3, vcc_lo, s3
	s_delay_alu instid0(SALU_CYCLE_1)
	s_and_not1_b32 exec_lo, exec_lo, s3
	s_cbranch_execnz .LBB107_747
; %bb.748:
	s_or_b32 exec_lo, exec_lo, s3
.LBB107_749:
	s_delay_alu instid0(SALU_CYCLE_1) | instskip(SKIP_4) | instid1(VALU_DEP_1)
	s_or_b32 exec_lo, exec_lo, s2
	v_mov_b32_e32 v95, 0
	ds_load_b64 v[96:97], v95 offset:256
	s_wait_dscnt 0x0
	v_pk_mul_f32 v[98:99], v[92:93], v[96:97] op_sel:[1,1] op_sel_hi:[0,1]
	v_pk_fma_f32 v[100:101], v[92:93], v[96:97], v[98:99] op_sel_hi:[1,0,1]
	v_pk_fma_f32 v[92:93], v[92:93], v[96:97], v[98:99] neg_lo:[0,0,1] neg_hi:[0,0,1]
	s_delay_alu instid0(VALU_DEP_2)
	v_mov_b32_e32 v93, v101
	scratch_store_b64 off, v[92:93], off offset:256
.LBB107_750:
	s_wait_xcnt 0x0
	s_or_b32 exec_lo, exec_lo, s0
	scratch_load_b64 v[92:93], off, off offset:264
	s_mov_b32 s0, exec_lo
	s_wait_loadcnt 0x0
	ds_store_b64 v1, v[92:93]
	s_wait_storecnt_dscnt 0x0
	s_barrier_signal -1
	s_barrier_wait -1
	s_wait_xcnt 0x0
	v_cmpx_gt_u32_e32 33, v0
	s_cbranch_execz .LBB107_760
; %bb.751:
	v_cmp_ne_u32_e32 vcc_lo, 1, v94
	s_cbranch_vccnz .LBB107_753
; %bb.752:
	scratch_load_b64 v[92:93], v59, off
	ds_load_b64 v[96:97], v1
	s_wait_loadcnt_dscnt 0x0
	v_pk_mul_f32 v[98:99], v[96:97], v[92:93] op_sel:[1,1] op_sel_hi:[0,1]
	s_delay_alu instid0(VALU_DEP_1) | instskip(SKIP_1) | instid1(VALU_DEP_2)
	v_pk_fma_f32 v[100:101], v[96:97], v[92:93], v[98:99] op_sel_hi:[1,0,1]
	v_pk_fma_f32 v[92:93], v[96:97], v[92:93], v[98:99] neg_lo:[0,0,1] neg_hi:[0,0,1]
	v_mov_b32_e32 v93, v101
	s_cbranch_execz .LBB107_754
	s_branch .LBB107_755
.LBB107_753:
                                        ; implicit-def: $vgpr92_vgpr93
.LBB107_754:
	ds_load_b64 v[92:93], v1
.LBB107_755:
	s_mov_b32 s2, exec_lo
	v_cmpx_ne_u32_e32 32, v0
	s_cbranch_execz .LBB107_759
; %bb.756:
	v_add_nc_u32_e32 v95, 0x168, v58
	v_add3_u32 v96, 0, v58, 8
	v_mov_b32_e32 v97, v0
	s_mov_b32 s3, 0
.LBB107_757:                            ; =>This Inner Loop Header: Depth=1
	scratch_load_b64 v[98:99], v96, off
	ds_load_b64 v[100:101], v95
	s_wait_xcnt 0x0
	v_dual_add_nc_u32 v95, 8, v95 :: v_dual_add_nc_u32 v96, 8, v96
	s_wait_loadcnt_dscnt 0x0
	v_pk_mul_f32 v[102:103], v[100:101], v[98:99] op_sel:[1,1] op_sel_hi:[0,1]
	s_delay_alu instid0(VALU_DEP_1) | instskip(SKIP_2) | instid1(VALU_DEP_3)
	v_pk_fma_f32 v[104:105], v[100:101], v[98:99], v[102:103] op_sel_hi:[1,0,1]
	v_add_nc_u32_e32 v97, 1, v97
	v_pk_fma_f32 v[98:99], v[100:101], v[98:99], v[102:103] neg_lo:[0,0,1] neg_hi:[0,0,1]
	v_mov_b32_e32 v99, v105
	s_delay_alu instid0(VALU_DEP_3) | instskip(NEXT) | instid1(VALU_DEP_2)
	v_cmp_lt_u32_e32 vcc_lo, 31, v97
	v_pk_add_f32 v[92:93], v[92:93], v[98:99]
	s_or_b32 s3, vcc_lo, s3
	s_delay_alu instid0(SALU_CYCLE_1)
	s_and_not1_b32 exec_lo, exec_lo, s3
	s_cbranch_execnz .LBB107_757
; %bb.758:
	s_or_b32 exec_lo, exec_lo, s3
.LBB107_759:
	s_delay_alu instid0(SALU_CYCLE_1) | instskip(SKIP_4) | instid1(VALU_DEP_1)
	s_or_b32 exec_lo, exec_lo, s2
	v_mov_b32_e32 v95, 0
	ds_load_b64 v[96:97], v95 offset:264
	s_wait_dscnt 0x0
	v_pk_mul_f32 v[98:99], v[92:93], v[96:97] op_sel:[1,1] op_sel_hi:[0,1]
	v_pk_fma_f32 v[100:101], v[92:93], v[96:97], v[98:99] op_sel_hi:[1,0,1]
	v_pk_fma_f32 v[92:93], v[92:93], v[96:97], v[98:99] neg_lo:[0,0,1] neg_hi:[0,0,1]
	s_delay_alu instid0(VALU_DEP_2)
	v_mov_b32_e32 v93, v101
	scratch_store_b64 off, v[92:93], off offset:264
.LBB107_760:
	s_wait_xcnt 0x0
	s_or_b32 exec_lo, exec_lo, s0
	scratch_load_b64 v[92:93], off, off offset:272
	s_mov_b32 s0, exec_lo
	s_wait_loadcnt 0x0
	ds_store_b64 v1, v[92:93]
	s_wait_storecnt_dscnt 0x0
	s_barrier_signal -1
	s_barrier_wait -1
	s_wait_xcnt 0x0
	v_cmpx_gt_u32_e32 34, v0
	s_cbranch_execz .LBB107_770
; %bb.761:
	v_cmp_ne_u32_e32 vcc_lo, 1, v94
	s_cbranch_vccnz .LBB107_763
; %bb.762:
	scratch_load_b64 v[92:93], v59, off
	ds_load_b64 v[96:97], v1
	s_wait_loadcnt_dscnt 0x0
	v_pk_mul_f32 v[98:99], v[96:97], v[92:93] op_sel:[1,1] op_sel_hi:[0,1]
	s_delay_alu instid0(VALU_DEP_1) | instskip(SKIP_1) | instid1(VALU_DEP_2)
	v_pk_fma_f32 v[100:101], v[96:97], v[92:93], v[98:99] op_sel_hi:[1,0,1]
	v_pk_fma_f32 v[92:93], v[96:97], v[92:93], v[98:99] neg_lo:[0,0,1] neg_hi:[0,0,1]
	v_mov_b32_e32 v93, v101
	s_cbranch_execz .LBB107_764
	s_branch .LBB107_765
.LBB107_763:
                                        ; implicit-def: $vgpr92_vgpr93
.LBB107_764:
	ds_load_b64 v[92:93], v1
.LBB107_765:
	s_mov_b32 s2, exec_lo
	v_cmpx_ne_u32_e32 33, v0
	s_cbranch_execz .LBB107_769
; %bb.766:
	v_add_nc_u32_e32 v95, 0x168, v58
	v_add3_u32 v96, 0, v58, 8
	v_mov_b32_e32 v97, v0
	s_mov_b32 s3, 0
.LBB107_767:                            ; =>This Inner Loop Header: Depth=1
	scratch_load_b64 v[98:99], v96, off
	ds_load_b64 v[100:101], v95
	s_wait_xcnt 0x0
	v_dual_add_nc_u32 v95, 8, v95 :: v_dual_add_nc_u32 v96, 8, v96
	s_wait_loadcnt_dscnt 0x0
	v_pk_mul_f32 v[102:103], v[100:101], v[98:99] op_sel:[1,1] op_sel_hi:[0,1]
	s_delay_alu instid0(VALU_DEP_1) | instskip(SKIP_2) | instid1(VALU_DEP_3)
	v_pk_fma_f32 v[104:105], v[100:101], v[98:99], v[102:103] op_sel_hi:[1,0,1]
	v_add_nc_u32_e32 v97, 1, v97
	v_pk_fma_f32 v[98:99], v[100:101], v[98:99], v[102:103] neg_lo:[0,0,1] neg_hi:[0,0,1]
	v_mov_b32_e32 v99, v105
	s_delay_alu instid0(VALU_DEP_3) | instskip(NEXT) | instid1(VALU_DEP_2)
	v_cmp_lt_u32_e32 vcc_lo, 32, v97
	v_pk_add_f32 v[92:93], v[92:93], v[98:99]
	s_or_b32 s3, vcc_lo, s3
	s_delay_alu instid0(SALU_CYCLE_1)
	s_and_not1_b32 exec_lo, exec_lo, s3
	s_cbranch_execnz .LBB107_767
; %bb.768:
	s_or_b32 exec_lo, exec_lo, s3
.LBB107_769:
	s_delay_alu instid0(SALU_CYCLE_1) | instskip(SKIP_4) | instid1(VALU_DEP_1)
	s_or_b32 exec_lo, exec_lo, s2
	v_mov_b32_e32 v95, 0
	ds_load_b64 v[96:97], v95 offset:272
	s_wait_dscnt 0x0
	v_pk_mul_f32 v[98:99], v[92:93], v[96:97] op_sel:[1,1] op_sel_hi:[0,1]
	v_pk_fma_f32 v[100:101], v[92:93], v[96:97], v[98:99] op_sel_hi:[1,0,1]
	v_pk_fma_f32 v[92:93], v[92:93], v[96:97], v[98:99] neg_lo:[0,0,1] neg_hi:[0,0,1]
	s_delay_alu instid0(VALU_DEP_2)
	v_mov_b32_e32 v93, v101
	scratch_store_b64 off, v[92:93], off offset:272
.LBB107_770:
	s_wait_xcnt 0x0
	s_or_b32 exec_lo, exec_lo, s0
	scratch_load_b64 v[92:93], off, off offset:280
	s_mov_b32 s0, exec_lo
	s_wait_loadcnt 0x0
	ds_store_b64 v1, v[92:93]
	s_wait_storecnt_dscnt 0x0
	s_barrier_signal -1
	s_barrier_wait -1
	s_wait_xcnt 0x0
	v_cmpx_gt_u32_e32 35, v0
	s_cbranch_execz .LBB107_780
; %bb.771:
	v_cmp_ne_u32_e32 vcc_lo, 1, v94
	s_cbranch_vccnz .LBB107_773
; %bb.772:
	scratch_load_b64 v[92:93], v59, off
	ds_load_b64 v[96:97], v1
	s_wait_loadcnt_dscnt 0x0
	v_pk_mul_f32 v[98:99], v[96:97], v[92:93] op_sel:[1,1] op_sel_hi:[0,1]
	s_delay_alu instid0(VALU_DEP_1) | instskip(SKIP_1) | instid1(VALU_DEP_2)
	v_pk_fma_f32 v[100:101], v[96:97], v[92:93], v[98:99] op_sel_hi:[1,0,1]
	v_pk_fma_f32 v[92:93], v[96:97], v[92:93], v[98:99] neg_lo:[0,0,1] neg_hi:[0,0,1]
	v_mov_b32_e32 v93, v101
	s_cbranch_execz .LBB107_774
	s_branch .LBB107_775
.LBB107_773:
                                        ; implicit-def: $vgpr92_vgpr93
.LBB107_774:
	ds_load_b64 v[92:93], v1
.LBB107_775:
	s_mov_b32 s2, exec_lo
	v_cmpx_ne_u32_e32 34, v0
	s_cbranch_execz .LBB107_779
; %bb.776:
	v_add_nc_u32_e32 v95, 0x168, v58
	v_add3_u32 v96, 0, v58, 8
	v_mov_b32_e32 v97, v0
	s_mov_b32 s3, 0
.LBB107_777:                            ; =>This Inner Loop Header: Depth=1
	scratch_load_b64 v[98:99], v96, off
	ds_load_b64 v[100:101], v95
	s_wait_xcnt 0x0
	v_dual_add_nc_u32 v95, 8, v95 :: v_dual_add_nc_u32 v96, 8, v96
	s_wait_loadcnt_dscnt 0x0
	v_pk_mul_f32 v[102:103], v[100:101], v[98:99] op_sel:[1,1] op_sel_hi:[0,1]
	s_delay_alu instid0(VALU_DEP_1) | instskip(SKIP_2) | instid1(VALU_DEP_3)
	v_pk_fma_f32 v[104:105], v[100:101], v[98:99], v[102:103] op_sel_hi:[1,0,1]
	v_add_nc_u32_e32 v97, 1, v97
	v_pk_fma_f32 v[98:99], v[100:101], v[98:99], v[102:103] neg_lo:[0,0,1] neg_hi:[0,0,1]
	v_mov_b32_e32 v99, v105
	s_delay_alu instid0(VALU_DEP_3) | instskip(NEXT) | instid1(VALU_DEP_2)
	v_cmp_lt_u32_e32 vcc_lo, 33, v97
	v_pk_add_f32 v[92:93], v[92:93], v[98:99]
	s_or_b32 s3, vcc_lo, s3
	s_delay_alu instid0(SALU_CYCLE_1)
	s_and_not1_b32 exec_lo, exec_lo, s3
	s_cbranch_execnz .LBB107_777
; %bb.778:
	s_or_b32 exec_lo, exec_lo, s3
.LBB107_779:
	s_delay_alu instid0(SALU_CYCLE_1) | instskip(SKIP_4) | instid1(VALU_DEP_1)
	s_or_b32 exec_lo, exec_lo, s2
	v_mov_b32_e32 v95, 0
	ds_load_b64 v[96:97], v95 offset:280
	s_wait_dscnt 0x0
	v_pk_mul_f32 v[98:99], v[92:93], v[96:97] op_sel:[1,1] op_sel_hi:[0,1]
	v_pk_fma_f32 v[100:101], v[92:93], v[96:97], v[98:99] op_sel_hi:[1,0,1]
	v_pk_fma_f32 v[92:93], v[92:93], v[96:97], v[98:99] neg_lo:[0,0,1] neg_hi:[0,0,1]
	s_delay_alu instid0(VALU_DEP_2)
	v_mov_b32_e32 v93, v101
	scratch_store_b64 off, v[92:93], off offset:280
.LBB107_780:
	s_wait_xcnt 0x0
	s_or_b32 exec_lo, exec_lo, s0
	scratch_load_b64 v[92:93], off, off offset:288
	s_mov_b32 s0, exec_lo
	s_wait_loadcnt 0x0
	ds_store_b64 v1, v[92:93]
	s_wait_storecnt_dscnt 0x0
	s_barrier_signal -1
	s_barrier_wait -1
	s_wait_xcnt 0x0
	v_cmpx_gt_u32_e32 36, v0
	s_cbranch_execz .LBB107_790
; %bb.781:
	v_cmp_ne_u32_e32 vcc_lo, 1, v94
	s_cbranch_vccnz .LBB107_783
; %bb.782:
	scratch_load_b64 v[92:93], v59, off
	ds_load_b64 v[96:97], v1
	s_wait_loadcnt_dscnt 0x0
	v_pk_mul_f32 v[98:99], v[96:97], v[92:93] op_sel:[1,1] op_sel_hi:[0,1]
	s_delay_alu instid0(VALU_DEP_1) | instskip(SKIP_1) | instid1(VALU_DEP_2)
	v_pk_fma_f32 v[100:101], v[96:97], v[92:93], v[98:99] op_sel_hi:[1,0,1]
	v_pk_fma_f32 v[92:93], v[96:97], v[92:93], v[98:99] neg_lo:[0,0,1] neg_hi:[0,0,1]
	v_mov_b32_e32 v93, v101
	s_cbranch_execz .LBB107_784
	s_branch .LBB107_785
.LBB107_783:
                                        ; implicit-def: $vgpr92_vgpr93
.LBB107_784:
	ds_load_b64 v[92:93], v1
.LBB107_785:
	s_mov_b32 s2, exec_lo
	v_cmpx_ne_u32_e32 35, v0
	s_cbranch_execz .LBB107_789
; %bb.786:
	v_add_nc_u32_e32 v95, 0x168, v58
	v_add3_u32 v96, 0, v58, 8
	v_mov_b32_e32 v97, v0
	s_mov_b32 s3, 0
.LBB107_787:                            ; =>This Inner Loop Header: Depth=1
	scratch_load_b64 v[98:99], v96, off
	ds_load_b64 v[100:101], v95
	s_wait_xcnt 0x0
	v_dual_add_nc_u32 v95, 8, v95 :: v_dual_add_nc_u32 v96, 8, v96
	s_wait_loadcnt_dscnt 0x0
	v_pk_mul_f32 v[102:103], v[100:101], v[98:99] op_sel:[1,1] op_sel_hi:[0,1]
	s_delay_alu instid0(VALU_DEP_1) | instskip(SKIP_2) | instid1(VALU_DEP_3)
	v_pk_fma_f32 v[104:105], v[100:101], v[98:99], v[102:103] op_sel_hi:[1,0,1]
	v_add_nc_u32_e32 v97, 1, v97
	v_pk_fma_f32 v[98:99], v[100:101], v[98:99], v[102:103] neg_lo:[0,0,1] neg_hi:[0,0,1]
	v_mov_b32_e32 v99, v105
	s_delay_alu instid0(VALU_DEP_3) | instskip(NEXT) | instid1(VALU_DEP_2)
	v_cmp_lt_u32_e32 vcc_lo, 34, v97
	v_pk_add_f32 v[92:93], v[92:93], v[98:99]
	s_or_b32 s3, vcc_lo, s3
	s_delay_alu instid0(SALU_CYCLE_1)
	s_and_not1_b32 exec_lo, exec_lo, s3
	s_cbranch_execnz .LBB107_787
; %bb.788:
	s_or_b32 exec_lo, exec_lo, s3
.LBB107_789:
	s_delay_alu instid0(SALU_CYCLE_1) | instskip(SKIP_4) | instid1(VALU_DEP_1)
	s_or_b32 exec_lo, exec_lo, s2
	v_mov_b32_e32 v95, 0
	ds_load_b64 v[96:97], v95 offset:288
	s_wait_dscnt 0x0
	v_pk_mul_f32 v[98:99], v[92:93], v[96:97] op_sel:[1,1] op_sel_hi:[0,1]
	v_pk_fma_f32 v[100:101], v[92:93], v[96:97], v[98:99] op_sel_hi:[1,0,1]
	v_pk_fma_f32 v[92:93], v[92:93], v[96:97], v[98:99] neg_lo:[0,0,1] neg_hi:[0,0,1]
	s_delay_alu instid0(VALU_DEP_2)
	v_mov_b32_e32 v93, v101
	scratch_store_b64 off, v[92:93], off offset:288
.LBB107_790:
	s_wait_xcnt 0x0
	s_or_b32 exec_lo, exec_lo, s0
	scratch_load_b64 v[92:93], off, off offset:296
	s_mov_b32 s0, exec_lo
	s_wait_loadcnt 0x0
	ds_store_b64 v1, v[92:93]
	s_wait_storecnt_dscnt 0x0
	s_barrier_signal -1
	s_barrier_wait -1
	s_wait_xcnt 0x0
	v_cmpx_gt_u32_e32 37, v0
	s_cbranch_execz .LBB107_800
; %bb.791:
	v_cmp_ne_u32_e32 vcc_lo, 1, v94
	s_cbranch_vccnz .LBB107_793
; %bb.792:
	scratch_load_b64 v[92:93], v59, off
	ds_load_b64 v[96:97], v1
	s_wait_loadcnt_dscnt 0x0
	v_pk_mul_f32 v[98:99], v[96:97], v[92:93] op_sel:[1,1] op_sel_hi:[0,1]
	s_delay_alu instid0(VALU_DEP_1) | instskip(SKIP_1) | instid1(VALU_DEP_2)
	v_pk_fma_f32 v[100:101], v[96:97], v[92:93], v[98:99] op_sel_hi:[1,0,1]
	v_pk_fma_f32 v[92:93], v[96:97], v[92:93], v[98:99] neg_lo:[0,0,1] neg_hi:[0,0,1]
	v_mov_b32_e32 v93, v101
	s_cbranch_execz .LBB107_794
	s_branch .LBB107_795
.LBB107_793:
                                        ; implicit-def: $vgpr92_vgpr93
.LBB107_794:
	ds_load_b64 v[92:93], v1
.LBB107_795:
	s_mov_b32 s2, exec_lo
	v_cmpx_ne_u32_e32 36, v0
	s_cbranch_execz .LBB107_799
; %bb.796:
	v_add_nc_u32_e32 v95, 0x168, v58
	v_add3_u32 v96, 0, v58, 8
	v_mov_b32_e32 v97, v0
	s_mov_b32 s3, 0
.LBB107_797:                            ; =>This Inner Loop Header: Depth=1
	scratch_load_b64 v[98:99], v96, off
	ds_load_b64 v[100:101], v95
	s_wait_xcnt 0x0
	v_dual_add_nc_u32 v95, 8, v95 :: v_dual_add_nc_u32 v96, 8, v96
	s_wait_loadcnt_dscnt 0x0
	v_pk_mul_f32 v[102:103], v[100:101], v[98:99] op_sel:[1,1] op_sel_hi:[0,1]
	s_delay_alu instid0(VALU_DEP_1) | instskip(SKIP_2) | instid1(VALU_DEP_3)
	v_pk_fma_f32 v[104:105], v[100:101], v[98:99], v[102:103] op_sel_hi:[1,0,1]
	v_add_nc_u32_e32 v97, 1, v97
	v_pk_fma_f32 v[98:99], v[100:101], v[98:99], v[102:103] neg_lo:[0,0,1] neg_hi:[0,0,1]
	v_mov_b32_e32 v99, v105
	s_delay_alu instid0(VALU_DEP_3) | instskip(NEXT) | instid1(VALU_DEP_2)
	v_cmp_lt_u32_e32 vcc_lo, 35, v97
	v_pk_add_f32 v[92:93], v[92:93], v[98:99]
	s_or_b32 s3, vcc_lo, s3
	s_delay_alu instid0(SALU_CYCLE_1)
	s_and_not1_b32 exec_lo, exec_lo, s3
	s_cbranch_execnz .LBB107_797
; %bb.798:
	s_or_b32 exec_lo, exec_lo, s3
.LBB107_799:
	s_delay_alu instid0(SALU_CYCLE_1) | instskip(SKIP_4) | instid1(VALU_DEP_1)
	s_or_b32 exec_lo, exec_lo, s2
	v_mov_b32_e32 v95, 0
	ds_load_b64 v[96:97], v95 offset:296
	s_wait_dscnt 0x0
	v_pk_mul_f32 v[98:99], v[92:93], v[96:97] op_sel:[1,1] op_sel_hi:[0,1]
	v_pk_fma_f32 v[100:101], v[92:93], v[96:97], v[98:99] op_sel_hi:[1,0,1]
	v_pk_fma_f32 v[92:93], v[92:93], v[96:97], v[98:99] neg_lo:[0,0,1] neg_hi:[0,0,1]
	s_delay_alu instid0(VALU_DEP_2)
	v_mov_b32_e32 v93, v101
	scratch_store_b64 off, v[92:93], off offset:296
.LBB107_800:
	s_wait_xcnt 0x0
	s_or_b32 exec_lo, exec_lo, s0
	scratch_load_b64 v[92:93], off, off offset:304
	s_mov_b32 s0, exec_lo
	s_wait_loadcnt 0x0
	ds_store_b64 v1, v[92:93]
	s_wait_storecnt_dscnt 0x0
	s_barrier_signal -1
	s_barrier_wait -1
	s_wait_xcnt 0x0
	v_cmpx_gt_u32_e32 38, v0
	s_cbranch_execz .LBB107_810
; %bb.801:
	v_cmp_ne_u32_e32 vcc_lo, 1, v94
	s_cbranch_vccnz .LBB107_803
; %bb.802:
	scratch_load_b64 v[92:93], v59, off
	ds_load_b64 v[96:97], v1
	s_wait_loadcnt_dscnt 0x0
	v_pk_mul_f32 v[98:99], v[96:97], v[92:93] op_sel:[1,1] op_sel_hi:[0,1]
	s_delay_alu instid0(VALU_DEP_1) | instskip(SKIP_1) | instid1(VALU_DEP_2)
	v_pk_fma_f32 v[100:101], v[96:97], v[92:93], v[98:99] op_sel_hi:[1,0,1]
	v_pk_fma_f32 v[92:93], v[96:97], v[92:93], v[98:99] neg_lo:[0,0,1] neg_hi:[0,0,1]
	v_mov_b32_e32 v93, v101
	s_cbranch_execz .LBB107_804
	s_branch .LBB107_805
.LBB107_803:
                                        ; implicit-def: $vgpr92_vgpr93
.LBB107_804:
	ds_load_b64 v[92:93], v1
.LBB107_805:
	s_mov_b32 s2, exec_lo
	v_cmpx_ne_u32_e32 37, v0
	s_cbranch_execz .LBB107_809
; %bb.806:
	v_add_nc_u32_e32 v95, 0x168, v58
	v_add3_u32 v96, 0, v58, 8
	v_mov_b32_e32 v97, v0
	s_mov_b32 s3, 0
.LBB107_807:                            ; =>This Inner Loop Header: Depth=1
	scratch_load_b64 v[98:99], v96, off
	ds_load_b64 v[100:101], v95
	s_wait_xcnt 0x0
	v_dual_add_nc_u32 v95, 8, v95 :: v_dual_add_nc_u32 v96, 8, v96
	s_wait_loadcnt_dscnt 0x0
	v_pk_mul_f32 v[102:103], v[100:101], v[98:99] op_sel:[1,1] op_sel_hi:[0,1]
	s_delay_alu instid0(VALU_DEP_1) | instskip(SKIP_2) | instid1(VALU_DEP_3)
	v_pk_fma_f32 v[104:105], v[100:101], v[98:99], v[102:103] op_sel_hi:[1,0,1]
	v_add_nc_u32_e32 v97, 1, v97
	v_pk_fma_f32 v[98:99], v[100:101], v[98:99], v[102:103] neg_lo:[0,0,1] neg_hi:[0,0,1]
	v_mov_b32_e32 v99, v105
	s_delay_alu instid0(VALU_DEP_3) | instskip(NEXT) | instid1(VALU_DEP_2)
	v_cmp_lt_u32_e32 vcc_lo, 36, v97
	v_pk_add_f32 v[92:93], v[92:93], v[98:99]
	s_or_b32 s3, vcc_lo, s3
	s_delay_alu instid0(SALU_CYCLE_1)
	s_and_not1_b32 exec_lo, exec_lo, s3
	s_cbranch_execnz .LBB107_807
; %bb.808:
	s_or_b32 exec_lo, exec_lo, s3
.LBB107_809:
	s_delay_alu instid0(SALU_CYCLE_1) | instskip(SKIP_4) | instid1(VALU_DEP_1)
	s_or_b32 exec_lo, exec_lo, s2
	v_mov_b32_e32 v95, 0
	ds_load_b64 v[96:97], v95 offset:304
	s_wait_dscnt 0x0
	v_pk_mul_f32 v[98:99], v[92:93], v[96:97] op_sel:[1,1] op_sel_hi:[0,1]
	v_pk_fma_f32 v[100:101], v[92:93], v[96:97], v[98:99] op_sel_hi:[1,0,1]
	v_pk_fma_f32 v[92:93], v[92:93], v[96:97], v[98:99] neg_lo:[0,0,1] neg_hi:[0,0,1]
	s_delay_alu instid0(VALU_DEP_2)
	v_mov_b32_e32 v93, v101
	scratch_store_b64 off, v[92:93], off offset:304
.LBB107_810:
	s_wait_xcnt 0x0
	s_or_b32 exec_lo, exec_lo, s0
	scratch_load_b64 v[92:93], off, off offset:312
	s_mov_b32 s0, exec_lo
	s_wait_loadcnt 0x0
	ds_store_b64 v1, v[92:93]
	s_wait_storecnt_dscnt 0x0
	s_barrier_signal -1
	s_barrier_wait -1
	s_wait_xcnt 0x0
	v_cmpx_gt_u32_e32 39, v0
	s_cbranch_execz .LBB107_820
; %bb.811:
	v_cmp_ne_u32_e32 vcc_lo, 1, v94
	s_cbranch_vccnz .LBB107_813
; %bb.812:
	scratch_load_b64 v[92:93], v59, off
	ds_load_b64 v[96:97], v1
	s_wait_loadcnt_dscnt 0x0
	v_pk_mul_f32 v[98:99], v[96:97], v[92:93] op_sel:[1,1] op_sel_hi:[0,1]
	s_delay_alu instid0(VALU_DEP_1) | instskip(SKIP_1) | instid1(VALU_DEP_2)
	v_pk_fma_f32 v[100:101], v[96:97], v[92:93], v[98:99] op_sel_hi:[1,0,1]
	v_pk_fma_f32 v[92:93], v[96:97], v[92:93], v[98:99] neg_lo:[0,0,1] neg_hi:[0,0,1]
	v_mov_b32_e32 v93, v101
	s_cbranch_execz .LBB107_814
	s_branch .LBB107_815
.LBB107_813:
                                        ; implicit-def: $vgpr92_vgpr93
.LBB107_814:
	ds_load_b64 v[92:93], v1
.LBB107_815:
	s_mov_b32 s2, exec_lo
	v_cmpx_ne_u32_e32 38, v0
	s_cbranch_execz .LBB107_819
; %bb.816:
	v_add_nc_u32_e32 v95, 0x168, v58
	v_add3_u32 v96, 0, v58, 8
	v_mov_b32_e32 v97, v0
	s_mov_b32 s3, 0
.LBB107_817:                            ; =>This Inner Loop Header: Depth=1
	scratch_load_b64 v[98:99], v96, off
	ds_load_b64 v[100:101], v95
	s_wait_xcnt 0x0
	v_dual_add_nc_u32 v95, 8, v95 :: v_dual_add_nc_u32 v96, 8, v96
	s_wait_loadcnt_dscnt 0x0
	v_pk_mul_f32 v[102:103], v[100:101], v[98:99] op_sel:[1,1] op_sel_hi:[0,1]
	s_delay_alu instid0(VALU_DEP_1) | instskip(SKIP_2) | instid1(VALU_DEP_3)
	v_pk_fma_f32 v[104:105], v[100:101], v[98:99], v[102:103] op_sel_hi:[1,0,1]
	v_add_nc_u32_e32 v97, 1, v97
	v_pk_fma_f32 v[98:99], v[100:101], v[98:99], v[102:103] neg_lo:[0,0,1] neg_hi:[0,0,1]
	v_mov_b32_e32 v99, v105
	s_delay_alu instid0(VALU_DEP_3) | instskip(NEXT) | instid1(VALU_DEP_2)
	v_cmp_lt_u32_e32 vcc_lo, 37, v97
	v_pk_add_f32 v[92:93], v[92:93], v[98:99]
	s_or_b32 s3, vcc_lo, s3
	s_delay_alu instid0(SALU_CYCLE_1)
	s_and_not1_b32 exec_lo, exec_lo, s3
	s_cbranch_execnz .LBB107_817
; %bb.818:
	s_or_b32 exec_lo, exec_lo, s3
.LBB107_819:
	s_delay_alu instid0(SALU_CYCLE_1) | instskip(SKIP_4) | instid1(VALU_DEP_1)
	s_or_b32 exec_lo, exec_lo, s2
	v_mov_b32_e32 v95, 0
	ds_load_b64 v[96:97], v95 offset:312
	s_wait_dscnt 0x0
	v_pk_mul_f32 v[98:99], v[92:93], v[96:97] op_sel:[1,1] op_sel_hi:[0,1]
	v_pk_fma_f32 v[100:101], v[92:93], v[96:97], v[98:99] op_sel_hi:[1,0,1]
	v_pk_fma_f32 v[92:93], v[92:93], v[96:97], v[98:99] neg_lo:[0,0,1] neg_hi:[0,0,1]
	s_delay_alu instid0(VALU_DEP_2)
	v_mov_b32_e32 v93, v101
	scratch_store_b64 off, v[92:93], off offset:312
.LBB107_820:
	s_wait_xcnt 0x0
	s_or_b32 exec_lo, exec_lo, s0
	scratch_load_b64 v[92:93], off, off offset:320
	s_mov_b32 s0, exec_lo
	s_wait_loadcnt 0x0
	ds_store_b64 v1, v[92:93]
	s_wait_storecnt_dscnt 0x0
	s_barrier_signal -1
	s_barrier_wait -1
	s_wait_xcnt 0x0
	v_cmpx_gt_u32_e32 40, v0
	s_cbranch_execz .LBB107_830
; %bb.821:
	v_cmp_ne_u32_e32 vcc_lo, 1, v94
	s_cbranch_vccnz .LBB107_823
; %bb.822:
	scratch_load_b64 v[92:93], v59, off
	ds_load_b64 v[96:97], v1
	s_wait_loadcnt_dscnt 0x0
	v_pk_mul_f32 v[98:99], v[96:97], v[92:93] op_sel:[1,1] op_sel_hi:[0,1]
	s_delay_alu instid0(VALU_DEP_1) | instskip(SKIP_1) | instid1(VALU_DEP_2)
	v_pk_fma_f32 v[100:101], v[96:97], v[92:93], v[98:99] op_sel_hi:[1,0,1]
	v_pk_fma_f32 v[92:93], v[96:97], v[92:93], v[98:99] neg_lo:[0,0,1] neg_hi:[0,0,1]
	v_mov_b32_e32 v93, v101
	s_cbranch_execz .LBB107_824
	s_branch .LBB107_825
.LBB107_823:
                                        ; implicit-def: $vgpr92_vgpr93
.LBB107_824:
	ds_load_b64 v[92:93], v1
.LBB107_825:
	s_mov_b32 s2, exec_lo
	v_cmpx_ne_u32_e32 39, v0
	s_cbranch_execz .LBB107_829
; %bb.826:
	v_add_nc_u32_e32 v95, 0x168, v58
	v_add3_u32 v96, 0, v58, 8
	v_mov_b32_e32 v97, v0
	s_mov_b32 s3, 0
.LBB107_827:                            ; =>This Inner Loop Header: Depth=1
	scratch_load_b64 v[98:99], v96, off
	ds_load_b64 v[100:101], v95
	s_wait_xcnt 0x0
	v_dual_add_nc_u32 v95, 8, v95 :: v_dual_add_nc_u32 v96, 8, v96
	s_wait_loadcnt_dscnt 0x0
	v_pk_mul_f32 v[102:103], v[100:101], v[98:99] op_sel:[1,1] op_sel_hi:[0,1]
	s_delay_alu instid0(VALU_DEP_1) | instskip(SKIP_2) | instid1(VALU_DEP_3)
	v_pk_fma_f32 v[104:105], v[100:101], v[98:99], v[102:103] op_sel_hi:[1,0,1]
	v_add_nc_u32_e32 v97, 1, v97
	v_pk_fma_f32 v[98:99], v[100:101], v[98:99], v[102:103] neg_lo:[0,0,1] neg_hi:[0,0,1]
	v_mov_b32_e32 v99, v105
	s_delay_alu instid0(VALU_DEP_3) | instskip(NEXT) | instid1(VALU_DEP_2)
	v_cmp_lt_u32_e32 vcc_lo, 38, v97
	v_pk_add_f32 v[92:93], v[92:93], v[98:99]
	s_or_b32 s3, vcc_lo, s3
	s_delay_alu instid0(SALU_CYCLE_1)
	s_and_not1_b32 exec_lo, exec_lo, s3
	s_cbranch_execnz .LBB107_827
; %bb.828:
	s_or_b32 exec_lo, exec_lo, s3
.LBB107_829:
	s_delay_alu instid0(SALU_CYCLE_1) | instskip(SKIP_4) | instid1(VALU_DEP_1)
	s_or_b32 exec_lo, exec_lo, s2
	v_mov_b32_e32 v95, 0
	ds_load_b64 v[96:97], v95 offset:320
	s_wait_dscnt 0x0
	v_pk_mul_f32 v[98:99], v[92:93], v[96:97] op_sel:[1,1] op_sel_hi:[0,1]
	v_pk_fma_f32 v[100:101], v[92:93], v[96:97], v[98:99] op_sel_hi:[1,0,1]
	v_pk_fma_f32 v[92:93], v[92:93], v[96:97], v[98:99] neg_lo:[0,0,1] neg_hi:[0,0,1]
	s_delay_alu instid0(VALU_DEP_2)
	v_mov_b32_e32 v93, v101
	scratch_store_b64 off, v[92:93], off offset:320
.LBB107_830:
	s_wait_xcnt 0x0
	s_or_b32 exec_lo, exec_lo, s0
	scratch_load_b64 v[92:93], off, off offset:328
	s_mov_b32 s0, exec_lo
	s_wait_loadcnt 0x0
	ds_store_b64 v1, v[92:93]
	s_wait_storecnt_dscnt 0x0
	s_barrier_signal -1
	s_barrier_wait -1
	s_wait_xcnt 0x0
	v_cmpx_gt_u32_e32 41, v0
	s_cbranch_execz .LBB107_840
; %bb.831:
	v_cmp_ne_u32_e32 vcc_lo, 1, v94
	s_cbranch_vccnz .LBB107_833
; %bb.832:
	scratch_load_b64 v[92:93], v59, off
	ds_load_b64 v[96:97], v1
	s_wait_loadcnt_dscnt 0x0
	v_pk_mul_f32 v[98:99], v[96:97], v[92:93] op_sel:[1,1] op_sel_hi:[0,1]
	s_delay_alu instid0(VALU_DEP_1) | instskip(SKIP_1) | instid1(VALU_DEP_2)
	v_pk_fma_f32 v[100:101], v[96:97], v[92:93], v[98:99] op_sel_hi:[1,0,1]
	v_pk_fma_f32 v[92:93], v[96:97], v[92:93], v[98:99] neg_lo:[0,0,1] neg_hi:[0,0,1]
	v_mov_b32_e32 v93, v101
	s_cbranch_execz .LBB107_834
	s_branch .LBB107_835
.LBB107_833:
                                        ; implicit-def: $vgpr92_vgpr93
.LBB107_834:
	ds_load_b64 v[92:93], v1
.LBB107_835:
	s_mov_b32 s2, exec_lo
	v_cmpx_ne_u32_e32 40, v0
	s_cbranch_execz .LBB107_839
; %bb.836:
	v_add_nc_u32_e32 v95, 0x168, v58
	v_add3_u32 v96, 0, v58, 8
	v_mov_b32_e32 v97, v0
	s_mov_b32 s3, 0
.LBB107_837:                            ; =>This Inner Loop Header: Depth=1
	scratch_load_b64 v[98:99], v96, off
	ds_load_b64 v[100:101], v95
	s_wait_xcnt 0x0
	v_dual_add_nc_u32 v95, 8, v95 :: v_dual_add_nc_u32 v96, 8, v96
	s_wait_loadcnt_dscnt 0x0
	v_pk_mul_f32 v[102:103], v[100:101], v[98:99] op_sel:[1,1] op_sel_hi:[0,1]
	s_delay_alu instid0(VALU_DEP_1) | instskip(SKIP_2) | instid1(VALU_DEP_3)
	v_pk_fma_f32 v[104:105], v[100:101], v[98:99], v[102:103] op_sel_hi:[1,0,1]
	v_add_nc_u32_e32 v97, 1, v97
	v_pk_fma_f32 v[98:99], v[100:101], v[98:99], v[102:103] neg_lo:[0,0,1] neg_hi:[0,0,1]
	v_mov_b32_e32 v99, v105
	s_delay_alu instid0(VALU_DEP_3) | instskip(NEXT) | instid1(VALU_DEP_2)
	v_cmp_lt_u32_e32 vcc_lo, 39, v97
	v_pk_add_f32 v[92:93], v[92:93], v[98:99]
	s_or_b32 s3, vcc_lo, s3
	s_delay_alu instid0(SALU_CYCLE_1)
	s_and_not1_b32 exec_lo, exec_lo, s3
	s_cbranch_execnz .LBB107_837
; %bb.838:
	s_or_b32 exec_lo, exec_lo, s3
.LBB107_839:
	s_delay_alu instid0(SALU_CYCLE_1) | instskip(SKIP_4) | instid1(VALU_DEP_1)
	s_or_b32 exec_lo, exec_lo, s2
	v_mov_b32_e32 v95, 0
	ds_load_b64 v[96:97], v95 offset:328
	s_wait_dscnt 0x0
	v_pk_mul_f32 v[98:99], v[92:93], v[96:97] op_sel:[1,1] op_sel_hi:[0,1]
	v_pk_fma_f32 v[100:101], v[92:93], v[96:97], v[98:99] op_sel_hi:[1,0,1]
	v_pk_fma_f32 v[92:93], v[92:93], v[96:97], v[98:99] neg_lo:[0,0,1] neg_hi:[0,0,1]
	s_delay_alu instid0(VALU_DEP_2)
	v_mov_b32_e32 v93, v101
	scratch_store_b64 off, v[92:93], off offset:328
.LBB107_840:
	s_wait_xcnt 0x0
	s_or_b32 exec_lo, exec_lo, s0
	scratch_load_b64 v[92:93], off, off offset:336
	v_cmp_gt_u32_e64 s0, 42, v0
	s_wait_loadcnt 0x0
	ds_store_b64 v1, v[92:93]
	s_wait_storecnt_dscnt 0x0
	s_barrier_signal -1
	s_barrier_wait -1
	s_wait_xcnt 0x0
	s_and_saveexec_b32 s2, s0
	s_cbranch_execz .LBB107_850
; %bb.841:
	v_cmp_ne_u32_e32 vcc_lo, 1, v94
	s_cbranch_vccnz .LBB107_843
; %bb.842:
	scratch_load_b64 v[92:93], v59, off
	ds_load_b64 v[96:97], v1
	s_wait_loadcnt_dscnt 0x0
	v_pk_mul_f32 v[98:99], v[96:97], v[92:93] op_sel:[1,1] op_sel_hi:[0,1]
	s_delay_alu instid0(VALU_DEP_1) | instskip(SKIP_1) | instid1(VALU_DEP_2)
	v_pk_fma_f32 v[100:101], v[96:97], v[92:93], v[98:99] op_sel_hi:[1,0,1]
	v_pk_fma_f32 v[92:93], v[96:97], v[92:93], v[98:99] neg_lo:[0,0,1] neg_hi:[0,0,1]
	v_mov_b32_e32 v93, v101
	s_cbranch_execz .LBB107_844
	s_branch .LBB107_845
.LBB107_843:
                                        ; implicit-def: $vgpr92_vgpr93
.LBB107_844:
	ds_load_b64 v[92:93], v1
.LBB107_845:
	s_mov_b32 s3, exec_lo
	v_cmpx_ne_u32_e32 41, v0
	s_cbranch_execz .LBB107_849
; %bb.846:
	v_add_nc_u32_e32 v95, 0x168, v58
	v_add3_u32 v96, 0, v58, 8
	v_mov_b32_e32 v97, v0
	s_mov_b32 s4, 0
.LBB107_847:                            ; =>This Inner Loop Header: Depth=1
	scratch_load_b64 v[98:99], v96, off
	ds_load_b64 v[100:101], v95
	s_wait_xcnt 0x0
	v_dual_add_nc_u32 v95, 8, v95 :: v_dual_add_nc_u32 v96, 8, v96
	s_wait_loadcnt_dscnt 0x0
	v_pk_mul_f32 v[102:103], v[100:101], v[98:99] op_sel:[1,1] op_sel_hi:[0,1]
	s_delay_alu instid0(VALU_DEP_1) | instskip(SKIP_2) | instid1(VALU_DEP_3)
	v_pk_fma_f32 v[104:105], v[100:101], v[98:99], v[102:103] op_sel_hi:[1,0,1]
	v_add_nc_u32_e32 v97, 1, v97
	v_pk_fma_f32 v[98:99], v[100:101], v[98:99], v[102:103] neg_lo:[0,0,1] neg_hi:[0,0,1]
	v_mov_b32_e32 v99, v105
	s_delay_alu instid0(VALU_DEP_3) | instskip(NEXT) | instid1(VALU_DEP_2)
	v_cmp_lt_u32_e32 vcc_lo, 40, v97
	v_pk_add_f32 v[92:93], v[92:93], v[98:99]
	s_or_b32 s4, vcc_lo, s4
	s_delay_alu instid0(SALU_CYCLE_1)
	s_and_not1_b32 exec_lo, exec_lo, s4
	s_cbranch_execnz .LBB107_847
; %bb.848:
	s_or_b32 exec_lo, exec_lo, s4
.LBB107_849:
	s_delay_alu instid0(SALU_CYCLE_1) | instskip(SKIP_4) | instid1(VALU_DEP_1)
	s_or_b32 exec_lo, exec_lo, s3
	v_mov_b32_e32 v95, 0
	ds_load_b64 v[96:97], v95 offset:336
	s_wait_dscnt 0x0
	v_pk_mul_f32 v[98:99], v[92:93], v[96:97] op_sel:[1,1] op_sel_hi:[0,1]
	v_pk_fma_f32 v[100:101], v[92:93], v[96:97], v[98:99] op_sel_hi:[1,0,1]
	v_pk_fma_f32 v[92:93], v[92:93], v[96:97], v[98:99] neg_lo:[0,0,1] neg_hi:[0,0,1]
	s_delay_alu instid0(VALU_DEP_2)
	v_mov_b32_e32 v93, v101
	scratch_store_b64 off, v[92:93], off offset:336
.LBB107_850:
	s_wait_xcnt 0x0
	s_or_b32 exec_lo, exec_lo, s2
	scratch_load_b64 v[92:93], off, off offset:344
	s_mov_b32 s2, exec_lo
                                        ; implicit-def: $vgpr130
                                        ; implicit-def: $sgpr5
	s_wait_loadcnt 0x0
	ds_store_b64 v1, v[92:93]
	s_wait_storecnt_dscnt 0x0
	s_barrier_signal -1
	s_barrier_wait -1
	s_wait_xcnt 0x0
	v_cmpx_ne_u32_e32 43, v0
	s_cbranch_execz .LBB107_860
; %bb.851:
	v_cmp_ne_u32_e32 vcc_lo, 1, v94
	s_cbranch_vccnz .LBB107_853
; %bb.852:
	scratch_load_b64 v[94:95], v59, off
	ds_load_b64 v[96:97], v1
	s_wait_loadcnt_dscnt 0x0
	v_dual_mul_f32 v59, v97, v95 :: v_dual_mul_f32 v93, v96, v95
	s_delay_alu instid0(VALU_DEP_1)
	v_dual_fma_f32 v92, v96, v94, -v59 :: v_dual_fmac_f32 v93, v97, v94
	s_cbranch_execz .LBB107_854
	s_branch .LBB107_855
.LBB107_853:
                                        ; implicit-def: $vgpr93
.LBB107_854:
	ds_load_b64 v[92:93], v1
.LBB107_855:
	s_and_saveexec_b32 s3, s0
	s_cbranch_execz .LBB107_859
; %bb.856:
	v_add_nc_u32_e32 v1, 0x168, v58
	v_add3_u32 v58, 0, v58, 8
	s_mov_b32 s0, 0
.LBB107_857:                            ; =>This Inner Loop Header: Depth=1
	scratch_load_b64 v[94:95], v58, off
	ds_load_b64 v[96:97], v1
	s_wait_loadcnt_dscnt 0x0
	v_dual_add_nc_u32 v1, 8, v1 :: v_dual_mul_f32 v59, v97, v95
	v_dual_mul_f32 v95, v96, v95 :: v_dual_add_nc_u32 v0, 1, v0
	s_delay_alu instid0(VALU_DEP_2) | instskip(NEXT) | instid1(VALU_DEP_2)
	v_fma_f32 v59, v96, v94, -v59
	v_fmac_f32_e32 v95, v97, v94
	s_delay_alu instid0(VALU_DEP_3) | instskip(NEXT) | instid1(VALU_DEP_3)
	v_cmp_lt_u32_e32 vcc_lo, 41, v0
	v_dual_add_nc_u32 v58, 8, v58 :: v_dual_add_f32 v92, v92, v59
	s_delay_alu instid0(VALU_DEP_3) | instskip(SKIP_1) | instid1(SALU_CYCLE_1)
	v_add_f32_e32 v93, v93, v95
	s_or_b32 s0, vcc_lo, s0
	s_and_not1_b32 exec_lo, exec_lo, s0
	s_cbranch_execnz .LBB107_857
; %bb.858:
	s_or_b32 exec_lo, exec_lo, s0
.LBB107_859:
	s_delay_alu instid0(SALU_CYCLE_1)
	s_or_b32 exec_lo, exec_lo, s3
	v_mov_b32_e32 v0, 0
	s_movk_i32 s5, 0x15c
	s_or_b32 s1, s1, exec_lo
	ds_load_b64 v[0:1], v0 offset:344
	s_wait_dscnt 0x0
	v_dual_mul_f32 v58, v93, v1 :: v_dual_mul_f32 v130, v92, v1
	s_delay_alu instid0(VALU_DEP_1) | instskip(NEXT) | instid1(VALU_DEP_2)
	v_fma_f32 v1, v92, v0, -v58
	v_fmac_f32_e32 v130, v93, v0
	scratch_store_b32 off, v1, off offset:344
.LBB107_860:
	s_wait_xcnt 0x0
	s_or_b32 exec_lo, exec_lo, s2
.LBB107_861:
	v_lshl_add_u64 v[128:129], v[6:7], 3, s[6:7]
	v_lshl_add_u64 v[126:127], v[8:9], 3, s[6:7]
	;; [unrolled: 1-line block ×42, first 2 shown]
	s_and_saveexec_b32 s0, s1
	s_cbranch_execz .LBB107_863
; %bb.862:
	scratch_store_b32 off, v130, s5
.LBB107_863:
	s_wait_xcnt 0x0
	s_or_b32 exec_lo, exec_lo, s0
	scratch_load_b64 v[48:49], off, off
	s_wait_loadcnt 0x0
	flat_store_b64 v[2:3], v[48:49]
	scratch_load_b64 v[2:3], off, off offset:8
	s_wait_loadcnt 0x0
	flat_store_b64 v[4:5], v[2:3]
	scratch_load_b64 v[2:3], off, off offset:16
	;; [unrolled: 3-line block ×43, first 2 shown]
	s_wait_loadcnt 0x0
	flat_store_b64 v[0:1], v[2:3]
.LBB107_864:
	s_sendmsg sendmsg(MSG_DEALLOC_VGPRS)
	s_endpgm
	.section	.rodata,"a",@progbits
	.p2align	6, 0x0
	.amdhsa_kernel _ZN9rocsolver6v33100L18trti2_kernel_smallILi44E19rocblas_complex_numIfEPKPS3_EEv13rocblas_fill_17rocblas_diagonal_T1_iil
		.amdhsa_group_segment_fixed_size 704
		.amdhsa_private_segment_fixed_size 368
		.amdhsa_kernarg_size 32
		.amdhsa_user_sgpr_count 2
		.amdhsa_user_sgpr_dispatch_ptr 0
		.amdhsa_user_sgpr_queue_ptr 0
		.amdhsa_user_sgpr_kernarg_segment_ptr 1
		.amdhsa_user_sgpr_dispatch_id 0
		.amdhsa_user_sgpr_kernarg_preload_length 0
		.amdhsa_user_sgpr_kernarg_preload_offset 0
		.amdhsa_user_sgpr_private_segment_size 0
		.amdhsa_wavefront_size32 1
		.amdhsa_uses_dynamic_stack 0
		.amdhsa_enable_private_segment 1
		.amdhsa_system_sgpr_workgroup_id_x 1
		.amdhsa_system_sgpr_workgroup_id_y 0
		.amdhsa_system_sgpr_workgroup_id_z 0
		.amdhsa_system_sgpr_workgroup_info 0
		.amdhsa_system_vgpr_workitem_id 0
		.amdhsa_next_free_vgpr 131
		.amdhsa_next_free_sgpr 50
		.amdhsa_named_barrier_count 0
		.amdhsa_reserve_vcc 1
		.amdhsa_float_round_mode_32 0
		.amdhsa_float_round_mode_16_64 0
		.amdhsa_float_denorm_mode_32 3
		.amdhsa_float_denorm_mode_16_64 3
		.amdhsa_fp16_overflow 0
		.amdhsa_memory_ordered 1
		.amdhsa_forward_progress 1
		.amdhsa_inst_pref_size 255
		.amdhsa_round_robin_scheduling 0
		.amdhsa_exception_fp_ieee_invalid_op 0
		.amdhsa_exception_fp_denorm_src 0
		.amdhsa_exception_fp_ieee_div_zero 0
		.amdhsa_exception_fp_ieee_overflow 0
		.amdhsa_exception_fp_ieee_underflow 0
		.amdhsa_exception_fp_ieee_inexact 0
		.amdhsa_exception_int_div_zero 0
	.end_amdhsa_kernel
	.section	.text._ZN9rocsolver6v33100L18trti2_kernel_smallILi44E19rocblas_complex_numIfEPKPS3_EEv13rocblas_fill_17rocblas_diagonal_T1_iil,"axG",@progbits,_ZN9rocsolver6v33100L18trti2_kernel_smallILi44E19rocblas_complex_numIfEPKPS3_EEv13rocblas_fill_17rocblas_diagonal_T1_iil,comdat
.Lfunc_end107:
	.size	_ZN9rocsolver6v33100L18trti2_kernel_smallILi44E19rocblas_complex_numIfEPKPS3_EEv13rocblas_fill_17rocblas_diagonal_T1_iil, .Lfunc_end107-_ZN9rocsolver6v33100L18trti2_kernel_smallILi44E19rocblas_complex_numIfEPKPS3_EEv13rocblas_fill_17rocblas_diagonal_T1_iil
                                        ; -- End function
	.set _ZN9rocsolver6v33100L18trti2_kernel_smallILi44E19rocblas_complex_numIfEPKPS3_EEv13rocblas_fill_17rocblas_diagonal_T1_iil.num_vgpr, 131
	.set _ZN9rocsolver6v33100L18trti2_kernel_smallILi44E19rocblas_complex_numIfEPKPS3_EEv13rocblas_fill_17rocblas_diagonal_T1_iil.num_agpr, 0
	.set _ZN9rocsolver6v33100L18trti2_kernel_smallILi44E19rocblas_complex_numIfEPKPS3_EEv13rocblas_fill_17rocblas_diagonal_T1_iil.numbered_sgpr, 50
	.set _ZN9rocsolver6v33100L18trti2_kernel_smallILi44E19rocblas_complex_numIfEPKPS3_EEv13rocblas_fill_17rocblas_diagonal_T1_iil.num_named_barrier, 0
	.set _ZN9rocsolver6v33100L18trti2_kernel_smallILi44E19rocblas_complex_numIfEPKPS3_EEv13rocblas_fill_17rocblas_diagonal_T1_iil.private_seg_size, 368
	.set _ZN9rocsolver6v33100L18trti2_kernel_smallILi44E19rocblas_complex_numIfEPKPS3_EEv13rocblas_fill_17rocblas_diagonal_T1_iil.uses_vcc, 1
	.set _ZN9rocsolver6v33100L18trti2_kernel_smallILi44E19rocblas_complex_numIfEPKPS3_EEv13rocblas_fill_17rocblas_diagonal_T1_iil.uses_flat_scratch, 0
	.set _ZN9rocsolver6v33100L18trti2_kernel_smallILi44E19rocblas_complex_numIfEPKPS3_EEv13rocblas_fill_17rocblas_diagonal_T1_iil.has_dyn_sized_stack, 0
	.set _ZN9rocsolver6v33100L18trti2_kernel_smallILi44E19rocblas_complex_numIfEPKPS3_EEv13rocblas_fill_17rocblas_diagonal_T1_iil.has_recursion, 0
	.set _ZN9rocsolver6v33100L18trti2_kernel_smallILi44E19rocblas_complex_numIfEPKPS3_EEv13rocblas_fill_17rocblas_diagonal_T1_iil.has_indirect_call, 0
	.section	.AMDGPU.csdata,"",@progbits
; Kernel info:
; codeLenInByte = 33948
; TotalNumSgprs: 52
; NumVgprs: 131
; ScratchSize: 368
; MemoryBound: 0
; FloatMode: 240
; IeeeMode: 1
; LDSByteSize: 704 bytes/workgroup (compile time only)
; SGPRBlocks: 0
; VGPRBlocks: 8
; NumSGPRsForWavesPerEU: 52
; NumVGPRsForWavesPerEU: 131
; NamedBarCnt: 0
; Occupancy: 7
; WaveLimiterHint : 1
; COMPUTE_PGM_RSRC2:SCRATCH_EN: 1
; COMPUTE_PGM_RSRC2:USER_SGPR: 2
; COMPUTE_PGM_RSRC2:TRAP_HANDLER: 0
; COMPUTE_PGM_RSRC2:TGID_X_EN: 1
; COMPUTE_PGM_RSRC2:TGID_Y_EN: 0
; COMPUTE_PGM_RSRC2:TGID_Z_EN: 0
; COMPUTE_PGM_RSRC2:TIDIG_COMP_CNT: 0
	.section	.text._ZN9rocsolver6v33100L18trti2_kernel_smallILi45E19rocblas_complex_numIfEPKPS3_EEv13rocblas_fill_17rocblas_diagonal_T1_iil,"axG",@progbits,_ZN9rocsolver6v33100L18trti2_kernel_smallILi45E19rocblas_complex_numIfEPKPS3_EEv13rocblas_fill_17rocblas_diagonal_T1_iil,comdat
	.globl	_ZN9rocsolver6v33100L18trti2_kernel_smallILi45E19rocblas_complex_numIfEPKPS3_EEv13rocblas_fill_17rocblas_diagonal_T1_iil ; -- Begin function _ZN9rocsolver6v33100L18trti2_kernel_smallILi45E19rocblas_complex_numIfEPKPS3_EEv13rocblas_fill_17rocblas_diagonal_T1_iil
	.p2align	8
	.type	_ZN9rocsolver6v33100L18trti2_kernel_smallILi45E19rocblas_complex_numIfEPKPS3_EEv13rocblas_fill_17rocblas_diagonal_T1_iil,@function
_ZN9rocsolver6v33100L18trti2_kernel_smallILi45E19rocblas_complex_numIfEPKPS3_EEv13rocblas_fill_17rocblas_diagonal_T1_iil: ; @_ZN9rocsolver6v33100L18trti2_kernel_smallILi45E19rocblas_complex_numIfEPKPS3_EEv13rocblas_fill_17rocblas_diagonal_T1_iil
; %bb.0:
	s_mov_b32 s2, exec_lo
	v_cmpx_gt_u32_e32 45, v0
	s_cbranch_execz .LBB108_884
; %bb.1:
	s_clause 0x1
	s_load_b64 s[8:9], s[0:1], 0x10
	s_load_b128 s[4:7], s[0:1], 0x0
	s_wait_xcnt 0x0
	s_bfe_u32 s0, ttmp6, 0x4000c
	s_and_b32 s1, ttmp6, 15
	s_add_co_i32 s0, s0, 1
	s_getreg_b32 s2, hwreg(HW_REG_IB_STS2, 6, 4)
	s_mul_i32 s0, ttmp9, s0
	v_dual_mov_b32 v59, 0 :: v_dual_lshlrev_b32 v58, 3, v0
	s_add_co_i32 s0, s1, s0
	s_wait_kmcnt 0x0
	s_ashr_i32 s1, s8, 31
	s_cmp_eq_u32 s2, 0
	s_cselect_b32 s2, ttmp9, s0
	s_mov_b32 s0, s8
	s_ashr_i32 s3, s2, 31
	s_lshl_b64 s[0:1], s[0:1], 3
	s_lshl_b64 s[2:3], s[2:3], 3
	s_delay_alu instid0(SALU_CYCLE_1)
	s_add_nc_u64 s[2:3], s[6:7], s[2:3]
	s_load_b64 s[2:3], s[2:3], 0x0
	s_wait_kmcnt 0x0
	s_add_nc_u64 s[2:3], s[2:3], s[0:1]
	s_mov_b32 s0, s9
	flat_load_b64 v[6:7], v0, s[2:3] scale_offset
	v_add_nc_u64_e32 v[2:3], s[2:3], v[58:59]
	s_ashr_i32 s1, s9, 31
	s_cmp_lg_u32 s5, 0x84
	s_cselect_b32 s5, -1, 0
	s_delay_alu instid0(SALU_CYCLE_1) | instskip(NEXT) | instid1(VALU_DEP_1)
	s_and_b32 vcc_lo, exec_lo, s5
	v_lshl_add_u64 v[4:5], s[0:1], 3, v[2:3]
	s_mov_b32 s0, -1
	s_wait_loadcnt_dscnt 0x0
	scratch_store_b64 off, v[6:7], off
	flat_load_b64 v[8:9], v[4:5]
	s_wait_xcnt 0x1
	v_add3_u32 v6, s9, s9, v0
	s_wait_loadcnt_dscnt 0x0
	scratch_store_b64 off, v[8:9], off offset:8
	flat_load_b64 v[10:11], v6, s[2:3] scale_offset
	s_wait_xcnt 0x1
	v_add_nc_u32_e32 v8, s9, v6
	s_wait_loadcnt_dscnt 0x0
	scratch_store_b64 off, v[10:11], off offset:16
	flat_load_b64 v[12:13], v8, s[2:3] scale_offset
	s_wait_xcnt 0x1
	v_add_nc_u32_e32 v10, s9, v8
	;; [unrolled: 5-line block ×42, first 2 shown]
	s_wait_loadcnt_dscnt 0x0
	scratch_store_b64 off, v[94:95], off offset:344
	flat_load_b64 v[94:95], v92, s[2:3] scale_offset
	s_wait_loadcnt_dscnt 0x0
	scratch_store_b64 off, v[94:95], off offset:352
	s_cbranch_vccz .LBB108_7
; %bb.2:
	scratch_load_b64 v[94:95], v0, off scale_offset
                                        ; implicit-def: $vgpr99
                                        ; implicit-def: $vgpr96
	s_wait_loadcnt 0x0
	v_cmp_ngt_f32_e64 s0, |v94|, |v95|
	s_wait_xcnt 0x0
	s_and_saveexec_b32 s1, s0
	s_delay_alu instid0(SALU_CYCLE_1)
	s_xor_b32 s0, exec_lo, s1
	s_cbranch_execz .LBB108_4
; %bb.3:
	v_div_scale_f32 v1, null, v95, v95, v94
	v_div_scale_f32 v11, vcc_lo, v94, v95, v94
	s_delay_alu instid0(VALU_DEP_2) | instskip(SKIP_1) | instid1(TRANS32_DEP_1)
	v_rcp_f32_e32 v7, v1
	v_nop
	v_fma_f32 v9, -v1, v7, 1.0
	s_delay_alu instid0(VALU_DEP_1) | instskip(NEXT) | instid1(VALU_DEP_1)
	v_fmac_f32_e32 v7, v9, v7
	v_mul_f32_e32 v9, v11, v7
	s_delay_alu instid0(VALU_DEP_1) | instskip(NEXT) | instid1(VALU_DEP_1)
	v_fma_f32 v13, -v1, v9, v11
	v_fmac_f32_e32 v9, v13, v7
	s_delay_alu instid0(VALU_DEP_1) | instskip(NEXT) | instid1(VALU_DEP_1)
	v_fma_f32 v1, -v1, v9, v11
	v_div_fmas_f32 v1, v1, v7, v9
	s_delay_alu instid0(VALU_DEP_1) | instskip(NEXT) | instid1(VALU_DEP_1)
	v_div_fixup_f32 v1, v1, v95, v94
	v_fmac_f32_e32 v95, v94, v1
	s_delay_alu instid0(VALU_DEP_1) | instskip(NEXT) | instid1(VALU_DEP_1)
	v_div_scale_f32 v7, null, v95, v95, -1.0
	v_rcp_f32_e32 v9, v7
	v_nop
	s_delay_alu instid0(TRANS32_DEP_1) | instskip(NEXT) | instid1(VALU_DEP_1)
	v_fma_f32 v11, -v7, v9, 1.0
	v_fmac_f32_e32 v9, v11, v9
	v_div_scale_f32 v11, vcc_lo, -1.0, v95, -1.0
	s_delay_alu instid0(VALU_DEP_1) | instskip(NEXT) | instid1(VALU_DEP_1)
	v_mul_f32_e32 v13, v11, v9
	v_fma_f32 v15, -v7, v13, v11
	s_delay_alu instid0(VALU_DEP_1) | instskip(NEXT) | instid1(VALU_DEP_1)
	v_fmac_f32_e32 v13, v15, v9
	v_fma_f32 v7, -v7, v13, v11
	s_delay_alu instid0(VALU_DEP_1) | instskip(NEXT) | instid1(VALU_DEP_1)
	v_div_fmas_f32 v7, v7, v9, v13
	v_div_fixup_f32 v99, v7, v95, -1.0
                                        ; implicit-def: $vgpr94_vgpr95
	s_delay_alu instid0(VALU_DEP_1) | instskip(NEXT) | instid1(VALU_DEP_1)
	v_mul_f32_e32 v96, v1, v99
	v_xor_b32_e32 v98, 0x80000000, v96
.LBB108_4:
	s_or_saveexec_b32 s0, s0
	v_lshl_add_u32 v1, v0, 3, 0
	s_xor_b32 exec_lo, exec_lo, s0
	s_cbranch_execz .LBB108_6
; %bb.5:
	v_div_scale_f32 v7, null, v94, v94, v95
	v_div_scale_f32 v13, vcc_lo, v95, v94, v95
	s_delay_alu instid0(VALU_DEP_2) | instskip(SKIP_1) | instid1(TRANS32_DEP_1)
	v_rcp_f32_e32 v9, v7
	v_nop
	v_fma_f32 v11, -v7, v9, 1.0
	s_delay_alu instid0(VALU_DEP_1) | instskip(NEXT) | instid1(VALU_DEP_1)
	v_fmac_f32_e32 v9, v11, v9
	v_mul_f32_e32 v11, v13, v9
	s_delay_alu instid0(VALU_DEP_1) | instskip(NEXT) | instid1(VALU_DEP_1)
	v_fma_f32 v15, -v7, v11, v13
	v_fmac_f32_e32 v11, v15, v9
	s_delay_alu instid0(VALU_DEP_1) | instskip(NEXT) | instid1(VALU_DEP_1)
	v_fma_f32 v7, -v7, v11, v13
	v_div_fmas_f32 v7, v7, v9, v11
	s_delay_alu instid0(VALU_DEP_1) | instskip(NEXT) | instid1(VALU_DEP_1)
	v_div_fixup_f32 v7, v7, v94, v95
	v_fmac_f32_e32 v94, v95, v7
	s_delay_alu instid0(VALU_DEP_1) | instskip(SKIP_1) | instid1(VALU_DEP_2)
	v_div_scale_f32 v9, null, v94, v94, 1.0
	v_div_scale_f32 v15, vcc_lo, 1.0, v94, 1.0
	v_rcp_f32_e32 v11, v9
	v_nop
	s_delay_alu instid0(TRANS32_DEP_1) | instskip(NEXT) | instid1(VALU_DEP_1)
	v_fma_f32 v13, -v9, v11, 1.0
	v_fmac_f32_e32 v11, v13, v11
	s_delay_alu instid0(VALU_DEP_1) | instskip(NEXT) | instid1(VALU_DEP_1)
	v_mul_f32_e32 v13, v15, v11
	v_fma_f32 v17, -v9, v13, v15
	s_delay_alu instid0(VALU_DEP_1) | instskip(NEXT) | instid1(VALU_DEP_1)
	v_fmac_f32_e32 v13, v17, v11
	v_fma_f32 v9, -v9, v13, v15
	s_delay_alu instid0(VALU_DEP_1) | instskip(NEXT) | instid1(VALU_DEP_1)
	v_div_fmas_f32 v9, v9, v11, v13
	v_div_fixup_f32 v98, v9, v94, 1.0
	s_delay_alu instid0(VALU_DEP_1)
	v_xor_b32_e32 v96, 0x80000000, v98
	v_mul_f32_e64 v99, v7, -v98
.LBB108_6:
	s_or_b32 exec_lo, exec_lo, s0
	s_delay_alu instid0(VALU_DEP_1)
	v_xor_b32_e32 v97, 0x80000000, v99
	s_mov_b32 s0, 0
	scratch_store_b64 v1, v[98:99], off
	ds_store_b64 v58, v[96:97]
.LBB108_7:
	s_and_b32 vcc_lo, exec_lo, s0
	s_cbranch_vccz .LBB108_9
; %bb.8:
	s_mov_b64 s[0:1], 0xbf800000
	s_wait_xcnt 0x0
	v_mov_b64_e32 v[94:95], s[0:1]
	ds_store_b64 v58, v[94:95]
.LBB108_9:
	v_dual_ashrrev_i32 v7, 31, v6 :: v_dual_ashrrev_i32 v9, 31, v8
	v_dual_ashrrev_i32 v11, 31, v10 :: v_dual_ashrrev_i32 v13, 31, v12
	;; [unrolled: 1-line block ×21, first 2 shown]
	v_dual_ashrrev_i32 v93, 31, v92 :: v_dual_mov_b32 v59, v58
	s_wait_xcnt 0x0
	v_add_nc_u32_e32 v1, 0x170, v58
	s_cmp_eq_u32 s4, 0x79
	s_cbranch_scc1 .LBB108_13
; %bb.10:
	scratch_load_b64 v[94:95], off, off offset:344
	v_cmp_eq_u32_e64 s0, 44, v0
	s_movk_i32 s1, 0x48
	s_movk_i32 s14, 0x50
	s_movk_i32 s15, 0x58
	s_movk_i32 s16, 0x60
	s_movk_i32 s17, 0x68
	s_movk_i32 s18, 0x70
	s_movk_i32 s19, 0x78
	s_movk_i32 s20, 0x80
	s_movk_i32 s21, 0x88
	s_movk_i32 s22, 0x90
	s_movk_i32 s23, 0x98
	s_movk_i32 s24, 0xa0
	s_movk_i32 s25, 0xa8
	s_movk_i32 s26, 0xb0
	s_movk_i32 s27, 0xb8
	s_movk_i32 s28, 0xc0
	s_movk_i32 s29, 0xc8
	s_movk_i32 s30, 0xd0
	s_movk_i32 s31, 0xd8
	s_movk_i32 s33, 0xe0
	s_movk_i32 s34, 0xe8
	s_movk_i32 s35, 0xf0
	s_movk_i32 s36, 0xf8
	s_movk_i32 s37, 0x100
	s_movk_i32 s38, 0x108
	s_movk_i32 s39, 0x110
	s_movk_i32 s40, 0x118
	s_movk_i32 s41, 0x120
	s_movk_i32 s42, 0x128
	s_movk_i32 s43, 0x130
	s_movk_i32 s44, 0x138
	s_movk_i32 s45, 0x140
	s_movk_i32 s46, 0x148
	s_movk_i32 s47, 0x150
	s_wait_loadcnt 0x0
	ds_store_b64 v1, v[94:95]
	s_wait_storecnt_dscnt 0x0
	s_barrier_signal -1
	s_barrier_wait -1
	s_wait_xcnt 0x0
	s_and_saveexec_b32 s4, s0
	s_cbranch_execz .LBB108_17
; %bb.11:
	s_and_b32 vcc_lo, exec_lo, s5
	s_cbranch_vccz .LBB108_14
; %bb.12:
	scratch_load_b64 v[94:95], v59, off
	ds_load_b64 v[96:97], v1
	s_wait_loadcnt_dscnt 0x0
	v_pk_mul_f32 v[98:99], v[96:97], v[94:95] op_sel:[1,1] op_sel_hi:[0,1]
	v_pk_mul_f32 v[100:101], v[96:97], v[94:95] op_sel_hi:[1,0]
	s_delay_alu instid0(VALU_DEP_2) | instskip(NEXT) | instid1(VALU_DEP_2)
	v_pk_fma_f32 v[94:95], v[96:97], v[94:95], v[98:99] op_sel_hi:[1,0,1]
	v_sub_f32_e32 v94, v100, v98
	s_cbranch_execz .LBB108_15
	s_branch .LBB108_16
.LBB108_13:
	s_mov_b32 s1, 0
                                        ; implicit-def: $vgpr134
                                        ; implicit-def: $sgpr7
	s_cbranch_execnz .LBB108_446
	s_branch .LBB108_881
.LBB108_14:
                                        ; implicit-def: $vgpr95
.LBB108_15:
	ds_load_b64 v[94:95], v1
.LBB108_16:
	s_wait_dscnt 0x0
	v_dual_mov_b32 v96, 0 :: v_dual_mov_b32 v98, v95
	v_mov_b32_e32 v99, v94
	ds_load_b64 v[96:97], v96 offset:344
	s_wait_dscnt 0x0
	v_pk_mul_f32 v[98:99], v[98:99], v[96:97] op_sel:[0,1]
	s_delay_alu instid0(VALU_DEP_1) | instskip(SKIP_1) | instid1(VALU_DEP_2)
	v_pk_fma_f32 v[100:101], v[94:95], v[96:97], v[98:99] op_sel_hi:[1,0,1]
	v_pk_fma_f32 v[94:95], v[94:95], v[96:97], v[98:99] neg_lo:[0,0,1] neg_hi:[0,0,1]
	v_mov_b32_e32 v95, v101
	scratch_store_b64 off, v[94:95], off offset:344
.LBB108_17:
	s_wait_xcnt 0x0
	s_or_b32 exec_lo, exec_lo, s4
	scratch_load_b64 v[94:95], off, off offset:336
	s_mov_b32 s13, s1
	v_cmp_lt_u32_e64 s1, 42, v0
	s_or_b32 s4, 0, 8
	s_mov_b32 s6, 16
	s_mov_b32 s7, 24
	s_mov_b32 s8, 32
	s_mov_b32 s9, 40
	s_mov_b32 s10, 48
	s_mov_b32 s11, 56
	s_mov_b32 s12, 64
	s_wait_loadcnt 0x0
	ds_store_b64 v1, v[94:95]
	s_wait_storecnt_dscnt 0x0
	s_barrier_signal -1
	s_barrier_wait -1
	s_wait_xcnt 0x0
	s_and_saveexec_b32 s48, s1
	s_cbranch_execz .LBB108_25
; %bb.18:
	s_and_not1_b32 vcc_lo, exec_lo, s5
	s_cbranch_vccnz .LBB108_20
; %bb.19:
	scratch_load_b64 v[94:95], v59, off
	ds_load_b64 v[96:97], v1
	s_wait_loadcnt_dscnt 0x0
	v_pk_mul_f32 v[98:99], v[96:97], v[94:95] op_sel:[1,1] op_sel_hi:[0,1]
	s_delay_alu instid0(VALU_DEP_1) | instskip(SKIP_1) | instid1(VALU_DEP_2)
	v_pk_fma_f32 v[100:101], v[96:97], v[94:95], v[98:99] op_sel_hi:[1,0,1]
	v_pk_fma_f32 v[94:95], v[96:97], v[94:95], v[98:99] neg_lo:[0,0,1] neg_hi:[0,0,1]
	v_mov_b32_e32 v95, v101
	s_cbranch_execz .LBB108_21
	s_branch .LBB108_22
.LBB108_20:
                                        ; implicit-def: $vgpr94_vgpr95
.LBB108_21:
	ds_load_b64 v[94:95], v1
.LBB108_22:
	s_and_saveexec_b32 s49, s0
	s_cbranch_execz .LBB108_24
; %bb.23:
	scratch_load_b64 v[96:97], off, off offset:344
	v_mov_b32_e32 v98, 0
	ds_load_b64 v[98:99], v98 offset:712
	s_wait_loadcnt_dscnt 0x0
	v_pk_mul_f32 v[100:101], v[98:99], v[96:97] op_sel:[1,1] op_sel_hi:[0,1]
	s_delay_alu instid0(VALU_DEP_1) | instskip(SKIP_1) | instid1(VALU_DEP_2)
	v_pk_fma_f32 v[102:103], v[98:99], v[96:97], v[100:101] op_sel_hi:[1,0,1]
	v_pk_fma_f32 v[96:97], v[98:99], v[96:97], v[100:101] neg_lo:[0,0,1] neg_hi:[0,0,1]
	v_mov_b32_e32 v97, v103
	s_delay_alu instid0(VALU_DEP_1)
	v_pk_add_f32 v[94:95], v[94:95], v[96:97]
.LBB108_24:
	s_or_b32 exec_lo, exec_lo, s49
	v_mov_b32_e32 v96, 0
	ds_load_b64 v[96:97], v96 offset:336
	s_wait_dscnt 0x0
	v_pk_mul_f32 v[98:99], v[94:95], v[96:97] op_sel:[1,1] op_sel_hi:[0,1]
	s_delay_alu instid0(VALU_DEP_1) | instskip(SKIP_1) | instid1(VALU_DEP_2)
	v_pk_fma_f32 v[100:101], v[94:95], v[96:97], v[98:99] op_sel_hi:[1,0,1]
	v_pk_fma_f32 v[94:95], v[94:95], v[96:97], v[98:99] neg_lo:[0,0,1] neg_hi:[0,0,1]
	v_mov_b32_e32 v95, v101
	scratch_store_b64 off, v[94:95], off offset:336
.LBB108_25:
	s_wait_xcnt 0x0
	s_or_b32 exec_lo, exec_lo, s48
	scratch_load_b64 v[94:95], off, off offset:328
	v_cmp_lt_u32_e64 s0, 41, v0
	s_wait_loadcnt 0x0
	ds_store_b64 v1, v[94:95]
	s_wait_storecnt_dscnt 0x0
	s_barrier_signal -1
	s_barrier_wait -1
	s_wait_xcnt 0x0
	s_and_saveexec_b32 s48, s0
	s_cbranch_execz .LBB108_35
; %bb.26:
	s_and_not1_b32 vcc_lo, exec_lo, s5
	s_cbranch_vccnz .LBB108_28
; %bb.27:
	scratch_load_b64 v[94:95], v59, off
	ds_load_b64 v[96:97], v1
	s_wait_loadcnt_dscnt 0x0
	v_pk_mul_f32 v[98:99], v[96:97], v[94:95] op_sel:[1,1] op_sel_hi:[0,1]
	s_delay_alu instid0(VALU_DEP_1) | instskip(SKIP_1) | instid1(VALU_DEP_2)
	v_pk_fma_f32 v[100:101], v[96:97], v[94:95], v[98:99] op_sel_hi:[1,0,1]
	v_pk_fma_f32 v[94:95], v[96:97], v[94:95], v[98:99] neg_lo:[0,0,1] neg_hi:[0,0,1]
	v_mov_b32_e32 v95, v101
	s_cbranch_execz .LBB108_29
	s_branch .LBB108_30
.LBB108_28:
                                        ; implicit-def: $vgpr94_vgpr95
.LBB108_29:
	ds_load_b64 v[94:95], v1
.LBB108_30:
	s_and_saveexec_b32 s49, s1
	s_cbranch_execz .LBB108_34
; %bb.31:
	v_subrev_nc_u32_e32 v96, 42, v0
	s_movk_i32 s50, 0x2c0
	s_mov_b32 s1, 0
.LBB108_32:                             ; =>This Inner Loop Header: Depth=1
	scratch_load_b64 v[98:99], off, s47
	v_dual_mov_b32 v97, s50 :: v_dual_add_nc_u32 v96, -1, v96
	s_add_co_i32 s50, s50, 8
	s_wait_xcnt 0x0
	s_add_co_i32 s47, s47, 8
	ds_load_b64 v[100:101], v97
	v_cmp_eq_u32_e32 vcc_lo, 0, v96
	s_or_b32 s1, vcc_lo, s1
	s_wait_loadcnt_dscnt 0x0
	v_pk_mul_f32 v[102:103], v[100:101], v[98:99] op_sel:[1,1] op_sel_hi:[0,1]
	s_delay_alu instid0(VALU_DEP_1) | instskip(SKIP_1) | instid1(VALU_DEP_2)
	v_pk_fma_f32 v[104:105], v[100:101], v[98:99], v[102:103] op_sel_hi:[1,0,1]
	v_pk_fma_f32 v[98:99], v[100:101], v[98:99], v[102:103] neg_lo:[0,0,1] neg_hi:[0,0,1]
	v_mov_b32_e32 v99, v105
	s_delay_alu instid0(VALU_DEP_1)
	v_pk_add_f32 v[94:95], v[94:95], v[98:99]
	s_and_not1_b32 exec_lo, exec_lo, s1
	s_cbranch_execnz .LBB108_32
; %bb.33:
	s_or_b32 exec_lo, exec_lo, s1
.LBB108_34:
	s_delay_alu instid0(SALU_CYCLE_1) | instskip(SKIP_4) | instid1(VALU_DEP_1)
	s_or_b32 exec_lo, exec_lo, s49
	v_mov_b32_e32 v96, 0
	ds_load_b64 v[96:97], v96 offset:328
	s_wait_dscnt 0x0
	v_pk_mul_f32 v[98:99], v[94:95], v[96:97] op_sel:[1,1] op_sel_hi:[0,1]
	v_pk_fma_f32 v[100:101], v[94:95], v[96:97], v[98:99] op_sel_hi:[1,0,1]
	v_pk_fma_f32 v[94:95], v[94:95], v[96:97], v[98:99] neg_lo:[0,0,1] neg_hi:[0,0,1]
	s_delay_alu instid0(VALU_DEP_2)
	v_mov_b32_e32 v95, v101
	scratch_store_b64 off, v[94:95], off offset:328
.LBB108_35:
	s_wait_xcnt 0x0
	s_or_b32 exec_lo, exec_lo, s48
	scratch_load_b64 v[94:95], off, off offset:320
	v_cmp_lt_u32_e64 s1, 40, v0
	s_wait_loadcnt 0x0
	ds_store_b64 v1, v[94:95]
	s_wait_storecnt_dscnt 0x0
	s_barrier_signal -1
	s_barrier_wait -1
	s_wait_xcnt 0x0
	s_and_saveexec_b32 s47, s1
	s_cbranch_execz .LBB108_45
; %bb.36:
	s_and_not1_b32 vcc_lo, exec_lo, s5
	s_cbranch_vccnz .LBB108_38
; %bb.37:
	scratch_load_b64 v[94:95], v59, off
	ds_load_b64 v[96:97], v1
	s_wait_loadcnt_dscnt 0x0
	v_pk_mul_f32 v[98:99], v[96:97], v[94:95] op_sel:[1,1] op_sel_hi:[0,1]
	s_delay_alu instid0(VALU_DEP_1) | instskip(SKIP_1) | instid1(VALU_DEP_2)
	v_pk_fma_f32 v[100:101], v[96:97], v[94:95], v[98:99] op_sel_hi:[1,0,1]
	v_pk_fma_f32 v[94:95], v[96:97], v[94:95], v[98:99] neg_lo:[0,0,1] neg_hi:[0,0,1]
	v_mov_b32_e32 v95, v101
	s_cbranch_execz .LBB108_39
	s_branch .LBB108_40
.LBB108_38:
                                        ; implicit-def: $vgpr94_vgpr95
.LBB108_39:
	ds_load_b64 v[94:95], v1
.LBB108_40:
	s_and_saveexec_b32 s48, s0
	s_cbranch_execz .LBB108_44
; %bb.41:
	v_subrev_nc_u32_e32 v96, 41, v0
	s_movk_i32 s49, 0x2b8
	s_mov_b32 s0, 0
.LBB108_42:                             ; =>This Inner Loop Header: Depth=1
	scratch_load_b64 v[98:99], off, s46
	v_dual_mov_b32 v97, s49 :: v_dual_add_nc_u32 v96, -1, v96
	s_add_co_i32 s49, s49, 8
	s_wait_xcnt 0x0
	s_add_co_i32 s46, s46, 8
	ds_load_b64 v[100:101], v97
	v_cmp_eq_u32_e32 vcc_lo, 0, v96
	s_or_b32 s0, vcc_lo, s0
	s_wait_loadcnt_dscnt 0x0
	v_pk_mul_f32 v[102:103], v[100:101], v[98:99] op_sel:[1,1] op_sel_hi:[0,1]
	s_delay_alu instid0(VALU_DEP_1) | instskip(SKIP_1) | instid1(VALU_DEP_2)
	v_pk_fma_f32 v[104:105], v[100:101], v[98:99], v[102:103] op_sel_hi:[1,0,1]
	v_pk_fma_f32 v[98:99], v[100:101], v[98:99], v[102:103] neg_lo:[0,0,1] neg_hi:[0,0,1]
	v_mov_b32_e32 v99, v105
	s_delay_alu instid0(VALU_DEP_1)
	v_pk_add_f32 v[94:95], v[94:95], v[98:99]
	s_and_not1_b32 exec_lo, exec_lo, s0
	s_cbranch_execnz .LBB108_42
; %bb.43:
	s_or_b32 exec_lo, exec_lo, s0
.LBB108_44:
	s_delay_alu instid0(SALU_CYCLE_1) | instskip(SKIP_4) | instid1(VALU_DEP_1)
	s_or_b32 exec_lo, exec_lo, s48
	v_mov_b32_e32 v96, 0
	ds_load_b64 v[96:97], v96 offset:320
	s_wait_dscnt 0x0
	v_pk_mul_f32 v[98:99], v[94:95], v[96:97] op_sel:[1,1] op_sel_hi:[0,1]
	v_pk_fma_f32 v[100:101], v[94:95], v[96:97], v[98:99] op_sel_hi:[1,0,1]
	v_pk_fma_f32 v[94:95], v[94:95], v[96:97], v[98:99] neg_lo:[0,0,1] neg_hi:[0,0,1]
	s_delay_alu instid0(VALU_DEP_2)
	v_mov_b32_e32 v95, v101
	scratch_store_b64 off, v[94:95], off offset:320
.LBB108_45:
	s_wait_xcnt 0x0
	s_or_b32 exec_lo, exec_lo, s47
	scratch_load_b64 v[94:95], off, off offset:312
	v_cmp_lt_u32_e64 s0, 39, v0
	s_wait_loadcnt 0x0
	ds_store_b64 v1, v[94:95]
	s_wait_storecnt_dscnt 0x0
	s_barrier_signal -1
	s_barrier_wait -1
	s_wait_xcnt 0x0
	s_and_saveexec_b32 s46, s0
	s_cbranch_execz .LBB108_55
; %bb.46:
	s_and_not1_b32 vcc_lo, exec_lo, s5
	s_cbranch_vccnz .LBB108_48
; %bb.47:
	scratch_load_b64 v[94:95], v59, off
	ds_load_b64 v[96:97], v1
	s_wait_loadcnt_dscnt 0x0
	v_pk_mul_f32 v[98:99], v[96:97], v[94:95] op_sel:[1,1] op_sel_hi:[0,1]
	s_delay_alu instid0(VALU_DEP_1) | instskip(SKIP_1) | instid1(VALU_DEP_2)
	v_pk_fma_f32 v[100:101], v[96:97], v[94:95], v[98:99] op_sel_hi:[1,0,1]
	v_pk_fma_f32 v[94:95], v[96:97], v[94:95], v[98:99] neg_lo:[0,0,1] neg_hi:[0,0,1]
	v_mov_b32_e32 v95, v101
	s_cbranch_execz .LBB108_49
	s_branch .LBB108_50
.LBB108_48:
                                        ; implicit-def: $vgpr94_vgpr95
.LBB108_49:
	ds_load_b64 v[94:95], v1
.LBB108_50:
	s_and_saveexec_b32 s47, s1
	s_cbranch_execz .LBB108_54
; %bb.51:
	v_subrev_nc_u32_e32 v96, 40, v0
	s_movk_i32 s48, 0x2b0
	s_mov_b32 s1, 0
.LBB108_52:                             ; =>This Inner Loop Header: Depth=1
	scratch_load_b64 v[98:99], off, s45
	v_dual_mov_b32 v97, s48 :: v_dual_add_nc_u32 v96, -1, v96
	s_add_co_i32 s48, s48, 8
	s_wait_xcnt 0x0
	s_add_co_i32 s45, s45, 8
	ds_load_b64 v[100:101], v97
	v_cmp_eq_u32_e32 vcc_lo, 0, v96
	s_or_b32 s1, vcc_lo, s1
	s_wait_loadcnt_dscnt 0x0
	v_pk_mul_f32 v[102:103], v[100:101], v[98:99] op_sel:[1,1] op_sel_hi:[0,1]
	s_delay_alu instid0(VALU_DEP_1) | instskip(SKIP_1) | instid1(VALU_DEP_2)
	v_pk_fma_f32 v[104:105], v[100:101], v[98:99], v[102:103] op_sel_hi:[1,0,1]
	v_pk_fma_f32 v[98:99], v[100:101], v[98:99], v[102:103] neg_lo:[0,0,1] neg_hi:[0,0,1]
	v_mov_b32_e32 v99, v105
	s_delay_alu instid0(VALU_DEP_1)
	v_pk_add_f32 v[94:95], v[94:95], v[98:99]
	s_and_not1_b32 exec_lo, exec_lo, s1
	s_cbranch_execnz .LBB108_52
; %bb.53:
	s_or_b32 exec_lo, exec_lo, s1
.LBB108_54:
	s_delay_alu instid0(SALU_CYCLE_1) | instskip(SKIP_4) | instid1(VALU_DEP_1)
	s_or_b32 exec_lo, exec_lo, s47
	v_mov_b32_e32 v96, 0
	ds_load_b64 v[96:97], v96 offset:312
	s_wait_dscnt 0x0
	v_pk_mul_f32 v[98:99], v[94:95], v[96:97] op_sel:[1,1] op_sel_hi:[0,1]
	v_pk_fma_f32 v[100:101], v[94:95], v[96:97], v[98:99] op_sel_hi:[1,0,1]
	v_pk_fma_f32 v[94:95], v[94:95], v[96:97], v[98:99] neg_lo:[0,0,1] neg_hi:[0,0,1]
	s_delay_alu instid0(VALU_DEP_2)
	v_mov_b32_e32 v95, v101
	scratch_store_b64 off, v[94:95], off offset:312
.LBB108_55:
	s_wait_xcnt 0x0
	s_or_b32 exec_lo, exec_lo, s46
	scratch_load_b64 v[94:95], off, off offset:304
	v_cmp_lt_u32_e64 s1, 38, v0
	s_wait_loadcnt 0x0
	ds_store_b64 v1, v[94:95]
	s_wait_storecnt_dscnt 0x0
	s_barrier_signal -1
	s_barrier_wait -1
	s_wait_xcnt 0x0
	s_and_saveexec_b32 s45, s1
	s_cbranch_execz .LBB108_65
; %bb.56:
	s_and_not1_b32 vcc_lo, exec_lo, s5
	s_cbranch_vccnz .LBB108_58
; %bb.57:
	scratch_load_b64 v[94:95], v59, off
	ds_load_b64 v[96:97], v1
	s_wait_loadcnt_dscnt 0x0
	v_pk_mul_f32 v[98:99], v[96:97], v[94:95] op_sel:[1,1] op_sel_hi:[0,1]
	s_delay_alu instid0(VALU_DEP_1) | instskip(SKIP_1) | instid1(VALU_DEP_2)
	v_pk_fma_f32 v[100:101], v[96:97], v[94:95], v[98:99] op_sel_hi:[1,0,1]
	v_pk_fma_f32 v[94:95], v[96:97], v[94:95], v[98:99] neg_lo:[0,0,1] neg_hi:[0,0,1]
	v_mov_b32_e32 v95, v101
	s_cbranch_execz .LBB108_59
	s_branch .LBB108_60
.LBB108_58:
                                        ; implicit-def: $vgpr94_vgpr95
.LBB108_59:
	ds_load_b64 v[94:95], v1
.LBB108_60:
	s_and_saveexec_b32 s46, s0
	s_cbranch_execz .LBB108_64
; %bb.61:
	v_subrev_nc_u32_e32 v96, 39, v0
	s_movk_i32 s47, 0x2a8
	s_mov_b32 s0, 0
.LBB108_62:                             ; =>This Inner Loop Header: Depth=1
	scratch_load_b64 v[98:99], off, s44
	v_dual_mov_b32 v97, s47 :: v_dual_add_nc_u32 v96, -1, v96
	s_add_co_i32 s47, s47, 8
	s_wait_xcnt 0x0
	s_add_co_i32 s44, s44, 8
	ds_load_b64 v[100:101], v97
	v_cmp_eq_u32_e32 vcc_lo, 0, v96
	s_or_b32 s0, vcc_lo, s0
	s_wait_loadcnt_dscnt 0x0
	v_pk_mul_f32 v[102:103], v[100:101], v[98:99] op_sel:[1,1] op_sel_hi:[0,1]
	s_delay_alu instid0(VALU_DEP_1) | instskip(SKIP_1) | instid1(VALU_DEP_2)
	v_pk_fma_f32 v[104:105], v[100:101], v[98:99], v[102:103] op_sel_hi:[1,0,1]
	v_pk_fma_f32 v[98:99], v[100:101], v[98:99], v[102:103] neg_lo:[0,0,1] neg_hi:[0,0,1]
	v_mov_b32_e32 v99, v105
	s_delay_alu instid0(VALU_DEP_1)
	v_pk_add_f32 v[94:95], v[94:95], v[98:99]
	s_and_not1_b32 exec_lo, exec_lo, s0
	s_cbranch_execnz .LBB108_62
; %bb.63:
	s_or_b32 exec_lo, exec_lo, s0
.LBB108_64:
	s_delay_alu instid0(SALU_CYCLE_1) | instskip(SKIP_4) | instid1(VALU_DEP_1)
	s_or_b32 exec_lo, exec_lo, s46
	v_mov_b32_e32 v96, 0
	ds_load_b64 v[96:97], v96 offset:304
	s_wait_dscnt 0x0
	v_pk_mul_f32 v[98:99], v[94:95], v[96:97] op_sel:[1,1] op_sel_hi:[0,1]
	v_pk_fma_f32 v[100:101], v[94:95], v[96:97], v[98:99] op_sel_hi:[1,0,1]
	v_pk_fma_f32 v[94:95], v[94:95], v[96:97], v[98:99] neg_lo:[0,0,1] neg_hi:[0,0,1]
	s_delay_alu instid0(VALU_DEP_2)
	v_mov_b32_e32 v95, v101
	scratch_store_b64 off, v[94:95], off offset:304
.LBB108_65:
	s_wait_xcnt 0x0
	s_or_b32 exec_lo, exec_lo, s45
	scratch_load_b64 v[94:95], off, off offset:296
	v_cmp_lt_u32_e64 s0, 37, v0
	s_wait_loadcnt 0x0
	ds_store_b64 v1, v[94:95]
	s_wait_storecnt_dscnt 0x0
	s_barrier_signal -1
	s_barrier_wait -1
	s_wait_xcnt 0x0
	s_and_saveexec_b32 s44, s0
	s_cbranch_execz .LBB108_75
; %bb.66:
	s_and_not1_b32 vcc_lo, exec_lo, s5
	s_cbranch_vccnz .LBB108_68
; %bb.67:
	scratch_load_b64 v[94:95], v59, off
	ds_load_b64 v[96:97], v1
	s_wait_loadcnt_dscnt 0x0
	v_pk_mul_f32 v[98:99], v[96:97], v[94:95] op_sel:[1,1] op_sel_hi:[0,1]
	s_delay_alu instid0(VALU_DEP_1) | instskip(SKIP_1) | instid1(VALU_DEP_2)
	v_pk_fma_f32 v[100:101], v[96:97], v[94:95], v[98:99] op_sel_hi:[1,0,1]
	v_pk_fma_f32 v[94:95], v[96:97], v[94:95], v[98:99] neg_lo:[0,0,1] neg_hi:[0,0,1]
	v_mov_b32_e32 v95, v101
	s_cbranch_execz .LBB108_69
	s_branch .LBB108_70
.LBB108_68:
                                        ; implicit-def: $vgpr94_vgpr95
.LBB108_69:
	ds_load_b64 v[94:95], v1
.LBB108_70:
	s_and_saveexec_b32 s45, s1
	s_cbranch_execz .LBB108_74
; %bb.71:
	v_subrev_nc_u32_e32 v96, 38, v0
	s_movk_i32 s46, 0x2a0
	s_mov_b32 s1, 0
.LBB108_72:                             ; =>This Inner Loop Header: Depth=1
	scratch_load_b64 v[98:99], off, s43
	v_dual_mov_b32 v97, s46 :: v_dual_add_nc_u32 v96, -1, v96
	s_add_co_i32 s46, s46, 8
	s_wait_xcnt 0x0
	s_add_co_i32 s43, s43, 8
	ds_load_b64 v[100:101], v97
	v_cmp_eq_u32_e32 vcc_lo, 0, v96
	s_or_b32 s1, vcc_lo, s1
	s_wait_loadcnt_dscnt 0x0
	v_pk_mul_f32 v[102:103], v[100:101], v[98:99] op_sel:[1,1] op_sel_hi:[0,1]
	s_delay_alu instid0(VALU_DEP_1) | instskip(SKIP_1) | instid1(VALU_DEP_2)
	v_pk_fma_f32 v[104:105], v[100:101], v[98:99], v[102:103] op_sel_hi:[1,0,1]
	v_pk_fma_f32 v[98:99], v[100:101], v[98:99], v[102:103] neg_lo:[0,0,1] neg_hi:[0,0,1]
	v_mov_b32_e32 v99, v105
	s_delay_alu instid0(VALU_DEP_1)
	v_pk_add_f32 v[94:95], v[94:95], v[98:99]
	s_and_not1_b32 exec_lo, exec_lo, s1
	s_cbranch_execnz .LBB108_72
; %bb.73:
	s_or_b32 exec_lo, exec_lo, s1
.LBB108_74:
	s_delay_alu instid0(SALU_CYCLE_1) | instskip(SKIP_4) | instid1(VALU_DEP_1)
	s_or_b32 exec_lo, exec_lo, s45
	v_mov_b32_e32 v96, 0
	ds_load_b64 v[96:97], v96 offset:296
	s_wait_dscnt 0x0
	v_pk_mul_f32 v[98:99], v[94:95], v[96:97] op_sel:[1,1] op_sel_hi:[0,1]
	v_pk_fma_f32 v[100:101], v[94:95], v[96:97], v[98:99] op_sel_hi:[1,0,1]
	v_pk_fma_f32 v[94:95], v[94:95], v[96:97], v[98:99] neg_lo:[0,0,1] neg_hi:[0,0,1]
	s_delay_alu instid0(VALU_DEP_2)
	v_mov_b32_e32 v95, v101
	scratch_store_b64 off, v[94:95], off offset:296
.LBB108_75:
	s_wait_xcnt 0x0
	s_or_b32 exec_lo, exec_lo, s44
	scratch_load_b64 v[94:95], off, off offset:288
	v_cmp_lt_u32_e64 s1, 36, v0
	s_wait_loadcnt 0x0
	ds_store_b64 v1, v[94:95]
	s_wait_storecnt_dscnt 0x0
	s_barrier_signal -1
	s_barrier_wait -1
	s_wait_xcnt 0x0
	s_and_saveexec_b32 s43, s1
	s_cbranch_execz .LBB108_85
; %bb.76:
	s_and_not1_b32 vcc_lo, exec_lo, s5
	s_cbranch_vccnz .LBB108_78
; %bb.77:
	scratch_load_b64 v[94:95], v59, off
	ds_load_b64 v[96:97], v1
	s_wait_loadcnt_dscnt 0x0
	v_pk_mul_f32 v[98:99], v[96:97], v[94:95] op_sel:[1,1] op_sel_hi:[0,1]
	s_delay_alu instid0(VALU_DEP_1) | instskip(SKIP_1) | instid1(VALU_DEP_2)
	v_pk_fma_f32 v[100:101], v[96:97], v[94:95], v[98:99] op_sel_hi:[1,0,1]
	v_pk_fma_f32 v[94:95], v[96:97], v[94:95], v[98:99] neg_lo:[0,0,1] neg_hi:[0,0,1]
	v_mov_b32_e32 v95, v101
	s_cbranch_execz .LBB108_79
	s_branch .LBB108_80
.LBB108_78:
                                        ; implicit-def: $vgpr94_vgpr95
.LBB108_79:
	ds_load_b64 v[94:95], v1
.LBB108_80:
	s_and_saveexec_b32 s44, s0
	s_cbranch_execz .LBB108_84
; %bb.81:
	v_subrev_nc_u32_e32 v96, 37, v0
	s_movk_i32 s45, 0x298
	s_mov_b32 s0, 0
.LBB108_82:                             ; =>This Inner Loop Header: Depth=1
	scratch_load_b64 v[98:99], off, s42
	v_dual_mov_b32 v97, s45 :: v_dual_add_nc_u32 v96, -1, v96
	s_add_co_i32 s45, s45, 8
	s_wait_xcnt 0x0
	s_add_co_i32 s42, s42, 8
	ds_load_b64 v[100:101], v97
	v_cmp_eq_u32_e32 vcc_lo, 0, v96
	s_or_b32 s0, vcc_lo, s0
	s_wait_loadcnt_dscnt 0x0
	v_pk_mul_f32 v[102:103], v[100:101], v[98:99] op_sel:[1,1] op_sel_hi:[0,1]
	s_delay_alu instid0(VALU_DEP_1) | instskip(SKIP_1) | instid1(VALU_DEP_2)
	v_pk_fma_f32 v[104:105], v[100:101], v[98:99], v[102:103] op_sel_hi:[1,0,1]
	v_pk_fma_f32 v[98:99], v[100:101], v[98:99], v[102:103] neg_lo:[0,0,1] neg_hi:[0,0,1]
	v_mov_b32_e32 v99, v105
	s_delay_alu instid0(VALU_DEP_1)
	v_pk_add_f32 v[94:95], v[94:95], v[98:99]
	s_and_not1_b32 exec_lo, exec_lo, s0
	s_cbranch_execnz .LBB108_82
; %bb.83:
	s_or_b32 exec_lo, exec_lo, s0
.LBB108_84:
	s_delay_alu instid0(SALU_CYCLE_1) | instskip(SKIP_4) | instid1(VALU_DEP_1)
	s_or_b32 exec_lo, exec_lo, s44
	v_mov_b32_e32 v96, 0
	ds_load_b64 v[96:97], v96 offset:288
	s_wait_dscnt 0x0
	v_pk_mul_f32 v[98:99], v[94:95], v[96:97] op_sel:[1,1] op_sel_hi:[0,1]
	v_pk_fma_f32 v[100:101], v[94:95], v[96:97], v[98:99] op_sel_hi:[1,0,1]
	v_pk_fma_f32 v[94:95], v[94:95], v[96:97], v[98:99] neg_lo:[0,0,1] neg_hi:[0,0,1]
	s_delay_alu instid0(VALU_DEP_2)
	v_mov_b32_e32 v95, v101
	scratch_store_b64 off, v[94:95], off offset:288
.LBB108_85:
	s_wait_xcnt 0x0
	s_or_b32 exec_lo, exec_lo, s43
	scratch_load_b64 v[94:95], off, off offset:280
	v_cmp_lt_u32_e64 s0, 35, v0
	s_wait_loadcnt 0x0
	ds_store_b64 v1, v[94:95]
	s_wait_storecnt_dscnt 0x0
	s_barrier_signal -1
	s_barrier_wait -1
	s_wait_xcnt 0x0
	s_and_saveexec_b32 s42, s0
	s_cbranch_execz .LBB108_95
; %bb.86:
	s_and_not1_b32 vcc_lo, exec_lo, s5
	s_cbranch_vccnz .LBB108_88
; %bb.87:
	scratch_load_b64 v[94:95], v59, off
	ds_load_b64 v[96:97], v1
	s_wait_loadcnt_dscnt 0x0
	v_pk_mul_f32 v[98:99], v[96:97], v[94:95] op_sel:[1,1] op_sel_hi:[0,1]
	s_delay_alu instid0(VALU_DEP_1) | instskip(SKIP_1) | instid1(VALU_DEP_2)
	v_pk_fma_f32 v[100:101], v[96:97], v[94:95], v[98:99] op_sel_hi:[1,0,1]
	v_pk_fma_f32 v[94:95], v[96:97], v[94:95], v[98:99] neg_lo:[0,0,1] neg_hi:[0,0,1]
	v_mov_b32_e32 v95, v101
	s_cbranch_execz .LBB108_89
	s_branch .LBB108_90
.LBB108_88:
                                        ; implicit-def: $vgpr94_vgpr95
.LBB108_89:
	ds_load_b64 v[94:95], v1
.LBB108_90:
	s_and_saveexec_b32 s43, s1
	s_cbranch_execz .LBB108_94
; %bb.91:
	v_subrev_nc_u32_e32 v96, 36, v0
	s_movk_i32 s44, 0x290
	s_mov_b32 s1, 0
.LBB108_92:                             ; =>This Inner Loop Header: Depth=1
	scratch_load_b64 v[98:99], off, s41
	v_dual_mov_b32 v97, s44 :: v_dual_add_nc_u32 v96, -1, v96
	s_add_co_i32 s44, s44, 8
	s_wait_xcnt 0x0
	s_add_co_i32 s41, s41, 8
	ds_load_b64 v[100:101], v97
	v_cmp_eq_u32_e32 vcc_lo, 0, v96
	s_or_b32 s1, vcc_lo, s1
	s_wait_loadcnt_dscnt 0x0
	v_pk_mul_f32 v[102:103], v[100:101], v[98:99] op_sel:[1,1] op_sel_hi:[0,1]
	s_delay_alu instid0(VALU_DEP_1) | instskip(SKIP_1) | instid1(VALU_DEP_2)
	v_pk_fma_f32 v[104:105], v[100:101], v[98:99], v[102:103] op_sel_hi:[1,0,1]
	v_pk_fma_f32 v[98:99], v[100:101], v[98:99], v[102:103] neg_lo:[0,0,1] neg_hi:[0,0,1]
	v_mov_b32_e32 v99, v105
	s_delay_alu instid0(VALU_DEP_1)
	v_pk_add_f32 v[94:95], v[94:95], v[98:99]
	s_and_not1_b32 exec_lo, exec_lo, s1
	s_cbranch_execnz .LBB108_92
; %bb.93:
	s_or_b32 exec_lo, exec_lo, s1
.LBB108_94:
	s_delay_alu instid0(SALU_CYCLE_1) | instskip(SKIP_4) | instid1(VALU_DEP_1)
	s_or_b32 exec_lo, exec_lo, s43
	v_mov_b32_e32 v96, 0
	ds_load_b64 v[96:97], v96 offset:280
	s_wait_dscnt 0x0
	v_pk_mul_f32 v[98:99], v[94:95], v[96:97] op_sel:[1,1] op_sel_hi:[0,1]
	v_pk_fma_f32 v[100:101], v[94:95], v[96:97], v[98:99] op_sel_hi:[1,0,1]
	v_pk_fma_f32 v[94:95], v[94:95], v[96:97], v[98:99] neg_lo:[0,0,1] neg_hi:[0,0,1]
	s_delay_alu instid0(VALU_DEP_2)
	v_mov_b32_e32 v95, v101
	scratch_store_b64 off, v[94:95], off offset:280
.LBB108_95:
	s_wait_xcnt 0x0
	s_or_b32 exec_lo, exec_lo, s42
	scratch_load_b64 v[94:95], off, off offset:272
	v_cmp_lt_u32_e64 s1, 34, v0
	s_wait_loadcnt 0x0
	ds_store_b64 v1, v[94:95]
	s_wait_storecnt_dscnt 0x0
	s_barrier_signal -1
	s_barrier_wait -1
	s_wait_xcnt 0x0
	s_and_saveexec_b32 s41, s1
	s_cbranch_execz .LBB108_105
; %bb.96:
	s_and_not1_b32 vcc_lo, exec_lo, s5
	s_cbranch_vccnz .LBB108_98
; %bb.97:
	scratch_load_b64 v[94:95], v59, off
	ds_load_b64 v[96:97], v1
	s_wait_loadcnt_dscnt 0x0
	v_pk_mul_f32 v[98:99], v[96:97], v[94:95] op_sel:[1,1] op_sel_hi:[0,1]
	s_delay_alu instid0(VALU_DEP_1) | instskip(SKIP_1) | instid1(VALU_DEP_2)
	v_pk_fma_f32 v[100:101], v[96:97], v[94:95], v[98:99] op_sel_hi:[1,0,1]
	v_pk_fma_f32 v[94:95], v[96:97], v[94:95], v[98:99] neg_lo:[0,0,1] neg_hi:[0,0,1]
	v_mov_b32_e32 v95, v101
	s_cbranch_execz .LBB108_99
	s_branch .LBB108_100
.LBB108_98:
                                        ; implicit-def: $vgpr94_vgpr95
.LBB108_99:
	ds_load_b64 v[94:95], v1
.LBB108_100:
	s_and_saveexec_b32 s42, s0
	s_cbranch_execz .LBB108_104
; %bb.101:
	v_subrev_nc_u32_e32 v96, 35, v0
	s_movk_i32 s43, 0x288
	s_mov_b32 s0, 0
.LBB108_102:                            ; =>This Inner Loop Header: Depth=1
	scratch_load_b64 v[98:99], off, s40
	v_dual_mov_b32 v97, s43 :: v_dual_add_nc_u32 v96, -1, v96
	s_add_co_i32 s43, s43, 8
	s_wait_xcnt 0x0
	s_add_co_i32 s40, s40, 8
	ds_load_b64 v[100:101], v97
	v_cmp_eq_u32_e32 vcc_lo, 0, v96
	s_or_b32 s0, vcc_lo, s0
	s_wait_loadcnt_dscnt 0x0
	v_pk_mul_f32 v[102:103], v[100:101], v[98:99] op_sel:[1,1] op_sel_hi:[0,1]
	s_delay_alu instid0(VALU_DEP_1) | instskip(SKIP_1) | instid1(VALU_DEP_2)
	v_pk_fma_f32 v[104:105], v[100:101], v[98:99], v[102:103] op_sel_hi:[1,0,1]
	v_pk_fma_f32 v[98:99], v[100:101], v[98:99], v[102:103] neg_lo:[0,0,1] neg_hi:[0,0,1]
	v_mov_b32_e32 v99, v105
	s_delay_alu instid0(VALU_DEP_1)
	v_pk_add_f32 v[94:95], v[94:95], v[98:99]
	s_and_not1_b32 exec_lo, exec_lo, s0
	s_cbranch_execnz .LBB108_102
; %bb.103:
	s_or_b32 exec_lo, exec_lo, s0
.LBB108_104:
	s_delay_alu instid0(SALU_CYCLE_1) | instskip(SKIP_4) | instid1(VALU_DEP_1)
	s_or_b32 exec_lo, exec_lo, s42
	v_mov_b32_e32 v96, 0
	ds_load_b64 v[96:97], v96 offset:272
	s_wait_dscnt 0x0
	v_pk_mul_f32 v[98:99], v[94:95], v[96:97] op_sel:[1,1] op_sel_hi:[0,1]
	v_pk_fma_f32 v[100:101], v[94:95], v[96:97], v[98:99] op_sel_hi:[1,0,1]
	v_pk_fma_f32 v[94:95], v[94:95], v[96:97], v[98:99] neg_lo:[0,0,1] neg_hi:[0,0,1]
	s_delay_alu instid0(VALU_DEP_2)
	v_mov_b32_e32 v95, v101
	scratch_store_b64 off, v[94:95], off offset:272
.LBB108_105:
	s_wait_xcnt 0x0
	s_or_b32 exec_lo, exec_lo, s41
	scratch_load_b64 v[94:95], off, off offset:264
	v_cmp_lt_u32_e64 s0, 33, v0
	s_wait_loadcnt 0x0
	ds_store_b64 v1, v[94:95]
	s_wait_storecnt_dscnt 0x0
	s_barrier_signal -1
	s_barrier_wait -1
	s_wait_xcnt 0x0
	s_and_saveexec_b32 s40, s0
	s_cbranch_execz .LBB108_115
; %bb.106:
	s_and_not1_b32 vcc_lo, exec_lo, s5
	s_cbranch_vccnz .LBB108_108
; %bb.107:
	scratch_load_b64 v[94:95], v59, off
	ds_load_b64 v[96:97], v1
	s_wait_loadcnt_dscnt 0x0
	v_pk_mul_f32 v[98:99], v[96:97], v[94:95] op_sel:[1,1] op_sel_hi:[0,1]
	s_delay_alu instid0(VALU_DEP_1) | instskip(SKIP_1) | instid1(VALU_DEP_2)
	v_pk_fma_f32 v[100:101], v[96:97], v[94:95], v[98:99] op_sel_hi:[1,0,1]
	v_pk_fma_f32 v[94:95], v[96:97], v[94:95], v[98:99] neg_lo:[0,0,1] neg_hi:[0,0,1]
	v_mov_b32_e32 v95, v101
	s_cbranch_execz .LBB108_109
	s_branch .LBB108_110
.LBB108_108:
                                        ; implicit-def: $vgpr94_vgpr95
.LBB108_109:
	ds_load_b64 v[94:95], v1
.LBB108_110:
	s_and_saveexec_b32 s41, s1
	s_cbranch_execz .LBB108_114
; %bb.111:
	v_subrev_nc_u32_e32 v96, 34, v0
	s_movk_i32 s42, 0x280
	s_mov_b32 s1, 0
.LBB108_112:                            ; =>This Inner Loop Header: Depth=1
	scratch_load_b64 v[98:99], off, s39
	v_dual_mov_b32 v97, s42 :: v_dual_add_nc_u32 v96, -1, v96
	s_add_co_i32 s42, s42, 8
	s_wait_xcnt 0x0
	s_add_co_i32 s39, s39, 8
	ds_load_b64 v[100:101], v97
	v_cmp_eq_u32_e32 vcc_lo, 0, v96
	s_or_b32 s1, vcc_lo, s1
	s_wait_loadcnt_dscnt 0x0
	v_pk_mul_f32 v[102:103], v[100:101], v[98:99] op_sel:[1,1] op_sel_hi:[0,1]
	s_delay_alu instid0(VALU_DEP_1) | instskip(SKIP_1) | instid1(VALU_DEP_2)
	v_pk_fma_f32 v[104:105], v[100:101], v[98:99], v[102:103] op_sel_hi:[1,0,1]
	v_pk_fma_f32 v[98:99], v[100:101], v[98:99], v[102:103] neg_lo:[0,0,1] neg_hi:[0,0,1]
	v_mov_b32_e32 v99, v105
	s_delay_alu instid0(VALU_DEP_1)
	v_pk_add_f32 v[94:95], v[94:95], v[98:99]
	s_and_not1_b32 exec_lo, exec_lo, s1
	s_cbranch_execnz .LBB108_112
; %bb.113:
	s_or_b32 exec_lo, exec_lo, s1
.LBB108_114:
	s_delay_alu instid0(SALU_CYCLE_1) | instskip(SKIP_4) | instid1(VALU_DEP_1)
	s_or_b32 exec_lo, exec_lo, s41
	v_mov_b32_e32 v96, 0
	ds_load_b64 v[96:97], v96 offset:264
	s_wait_dscnt 0x0
	v_pk_mul_f32 v[98:99], v[94:95], v[96:97] op_sel:[1,1] op_sel_hi:[0,1]
	v_pk_fma_f32 v[100:101], v[94:95], v[96:97], v[98:99] op_sel_hi:[1,0,1]
	v_pk_fma_f32 v[94:95], v[94:95], v[96:97], v[98:99] neg_lo:[0,0,1] neg_hi:[0,0,1]
	s_delay_alu instid0(VALU_DEP_2)
	v_mov_b32_e32 v95, v101
	scratch_store_b64 off, v[94:95], off offset:264
.LBB108_115:
	s_wait_xcnt 0x0
	s_or_b32 exec_lo, exec_lo, s40
	scratch_load_b64 v[94:95], off, off offset:256
	v_cmp_lt_u32_e64 s1, 32, v0
	s_wait_loadcnt 0x0
	ds_store_b64 v1, v[94:95]
	s_wait_storecnt_dscnt 0x0
	s_barrier_signal -1
	s_barrier_wait -1
	s_wait_xcnt 0x0
	s_and_saveexec_b32 s39, s1
	s_cbranch_execz .LBB108_125
; %bb.116:
	s_and_not1_b32 vcc_lo, exec_lo, s5
	s_cbranch_vccnz .LBB108_118
; %bb.117:
	scratch_load_b64 v[94:95], v59, off
	ds_load_b64 v[96:97], v1
	s_wait_loadcnt_dscnt 0x0
	v_pk_mul_f32 v[98:99], v[96:97], v[94:95] op_sel:[1,1] op_sel_hi:[0,1]
	s_delay_alu instid0(VALU_DEP_1) | instskip(SKIP_1) | instid1(VALU_DEP_2)
	v_pk_fma_f32 v[100:101], v[96:97], v[94:95], v[98:99] op_sel_hi:[1,0,1]
	v_pk_fma_f32 v[94:95], v[96:97], v[94:95], v[98:99] neg_lo:[0,0,1] neg_hi:[0,0,1]
	v_mov_b32_e32 v95, v101
	s_cbranch_execz .LBB108_119
	s_branch .LBB108_120
.LBB108_118:
                                        ; implicit-def: $vgpr94_vgpr95
.LBB108_119:
	ds_load_b64 v[94:95], v1
.LBB108_120:
	s_and_saveexec_b32 s40, s0
	s_cbranch_execz .LBB108_124
; %bb.121:
	v_subrev_nc_u32_e32 v96, 33, v0
	s_movk_i32 s41, 0x278
	s_mov_b32 s0, 0
.LBB108_122:                            ; =>This Inner Loop Header: Depth=1
	scratch_load_b64 v[98:99], off, s38
	v_dual_mov_b32 v97, s41 :: v_dual_add_nc_u32 v96, -1, v96
	s_add_co_i32 s41, s41, 8
	s_wait_xcnt 0x0
	s_add_co_i32 s38, s38, 8
	ds_load_b64 v[100:101], v97
	v_cmp_eq_u32_e32 vcc_lo, 0, v96
	s_or_b32 s0, vcc_lo, s0
	s_wait_loadcnt_dscnt 0x0
	v_pk_mul_f32 v[102:103], v[100:101], v[98:99] op_sel:[1,1] op_sel_hi:[0,1]
	s_delay_alu instid0(VALU_DEP_1) | instskip(SKIP_1) | instid1(VALU_DEP_2)
	v_pk_fma_f32 v[104:105], v[100:101], v[98:99], v[102:103] op_sel_hi:[1,0,1]
	v_pk_fma_f32 v[98:99], v[100:101], v[98:99], v[102:103] neg_lo:[0,0,1] neg_hi:[0,0,1]
	v_mov_b32_e32 v99, v105
	s_delay_alu instid0(VALU_DEP_1)
	v_pk_add_f32 v[94:95], v[94:95], v[98:99]
	s_and_not1_b32 exec_lo, exec_lo, s0
	s_cbranch_execnz .LBB108_122
; %bb.123:
	s_or_b32 exec_lo, exec_lo, s0
.LBB108_124:
	s_delay_alu instid0(SALU_CYCLE_1) | instskip(SKIP_4) | instid1(VALU_DEP_1)
	s_or_b32 exec_lo, exec_lo, s40
	v_mov_b32_e32 v96, 0
	ds_load_b64 v[96:97], v96 offset:256
	s_wait_dscnt 0x0
	v_pk_mul_f32 v[98:99], v[94:95], v[96:97] op_sel:[1,1] op_sel_hi:[0,1]
	v_pk_fma_f32 v[100:101], v[94:95], v[96:97], v[98:99] op_sel_hi:[1,0,1]
	v_pk_fma_f32 v[94:95], v[94:95], v[96:97], v[98:99] neg_lo:[0,0,1] neg_hi:[0,0,1]
	s_delay_alu instid0(VALU_DEP_2)
	v_mov_b32_e32 v95, v101
	scratch_store_b64 off, v[94:95], off offset:256
.LBB108_125:
	s_wait_xcnt 0x0
	s_or_b32 exec_lo, exec_lo, s39
	scratch_load_b64 v[94:95], off, off offset:248
	v_cmp_lt_u32_e64 s0, 31, v0
	s_wait_loadcnt 0x0
	ds_store_b64 v1, v[94:95]
	s_wait_storecnt_dscnt 0x0
	s_barrier_signal -1
	s_barrier_wait -1
	s_wait_xcnt 0x0
	s_and_saveexec_b32 s38, s0
	s_cbranch_execz .LBB108_135
; %bb.126:
	s_and_not1_b32 vcc_lo, exec_lo, s5
	s_cbranch_vccnz .LBB108_128
; %bb.127:
	scratch_load_b64 v[94:95], v59, off
	ds_load_b64 v[96:97], v1
	s_wait_loadcnt_dscnt 0x0
	v_pk_mul_f32 v[98:99], v[96:97], v[94:95] op_sel:[1,1] op_sel_hi:[0,1]
	s_delay_alu instid0(VALU_DEP_1) | instskip(SKIP_1) | instid1(VALU_DEP_2)
	v_pk_fma_f32 v[100:101], v[96:97], v[94:95], v[98:99] op_sel_hi:[1,0,1]
	v_pk_fma_f32 v[94:95], v[96:97], v[94:95], v[98:99] neg_lo:[0,0,1] neg_hi:[0,0,1]
	v_mov_b32_e32 v95, v101
	s_cbranch_execz .LBB108_129
	s_branch .LBB108_130
.LBB108_128:
                                        ; implicit-def: $vgpr94_vgpr95
.LBB108_129:
	ds_load_b64 v[94:95], v1
.LBB108_130:
	s_and_saveexec_b32 s39, s1
	s_cbranch_execz .LBB108_134
; %bb.131:
	v_subrev_nc_u32_e32 v96, 32, v0
	s_movk_i32 s40, 0x270
	s_mov_b32 s1, 0
.LBB108_132:                            ; =>This Inner Loop Header: Depth=1
	scratch_load_b64 v[98:99], off, s37
	v_dual_mov_b32 v97, s40 :: v_dual_add_nc_u32 v96, -1, v96
	s_add_co_i32 s40, s40, 8
	s_wait_xcnt 0x0
	s_add_co_i32 s37, s37, 8
	ds_load_b64 v[100:101], v97
	v_cmp_eq_u32_e32 vcc_lo, 0, v96
	s_or_b32 s1, vcc_lo, s1
	s_wait_loadcnt_dscnt 0x0
	v_pk_mul_f32 v[102:103], v[100:101], v[98:99] op_sel:[1,1] op_sel_hi:[0,1]
	s_delay_alu instid0(VALU_DEP_1) | instskip(SKIP_1) | instid1(VALU_DEP_2)
	v_pk_fma_f32 v[104:105], v[100:101], v[98:99], v[102:103] op_sel_hi:[1,0,1]
	v_pk_fma_f32 v[98:99], v[100:101], v[98:99], v[102:103] neg_lo:[0,0,1] neg_hi:[0,0,1]
	v_mov_b32_e32 v99, v105
	s_delay_alu instid0(VALU_DEP_1)
	v_pk_add_f32 v[94:95], v[94:95], v[98:99]
	s_and_not1_b32 exec_lo, exec_lo, s1
	s_cbranch_execnz .LBB108_132
; %bb.133:
	s_or_b32 exec_lo, exec_lo, s1
.LBB108_134:
	s_delay_alu instid0(SALU_CYCLE_1) | instskip(SKIP_4) | instid1(VALU_DEP_1)
	s_or_b32 exec_lo, exec_lo, s39
	v_mov_b32_e32 v96, 0
	ds_load_b64 v[96:97], v96 offset:248
	s_wait_dscnt 0x0
	v_pk_mul_f32 v[98:99], v[94:95], v[96:97] op_sel:[1,1] op_sel_hi:[0,1]
	v_pk_fma_f32 v[100:101], v[94:95], v[96:97], v[98:99] op_sel_hi:[1,0,1]
	v_pk_fma_f32 v[94:95], v[94:95], v[96:97], v[98:99] neg_lo:[0,0,1] neg_hi:[0,0,1]
	s_delay_alu instid0(VALU_DEP_2)
	v_mov_b32_e32 v95, v101
	scratch_store_b64 off, v[94:95], off offset:248
.LBB108_135:
	s_wait_xcnt 0x0
	s_or_b32 exec_lo, exec_lo, s38
	scratch_load_b64 v[94:95], off, off offset:240
	v_cmp_lt_u32_e64 s1, 30, v0
	s_wait_loadcnt 0x0
	ds_store_b64 v1, v[94:95]
	s_wait_storecnt_dscnt 0x0
	s_barrier_signal -1
	s_barrier_wait -1
	s_wait_xcnt 0x0
	s_and_saveexec_b32 s37, s1
	s_cbranch_execz .LBB108_145
; %bb.136:
	s_and_not1_b32 vcc_lo, exec_lo, s5
	s_cbranch_vccnz .LBB108_138
; %bb.137:
	scratch_load_b64 v[94:95], v59, off
	ds_load_b64 v[96:97], v1
	s_wait_loadcnt_dscnt 0x0
	v_pk_mul_f32 v[98:99], v[96:97], v[94:95] op_sel:[1,1] op_sel_hi:[0,1]
	s_delay_alu instid0(VALU_DEP_1) | instskip(SKIP_1) | instid1(VALU_DEP_2)
	v_pk_fma_f32 v[100:101], v[96:97], v[94:95], v[98:99] op_sel_hi:[1,0,1]
	v_pk_fma_f32 v[94:95], v[96:97], v[94:95], v[98:99] neg_lo:[0,0,1] neg_hi:[0,0,1]
	v_mov_b32_e32 v95, v101
	s_cbranch_execz .LBB108_139
	s_branch .LBB108_140
.LBB108_138:
                                        ; implicit-def: $vgpr94_vgpr95
.LBB108_139:
	ds_load_b64 v[94:95], v1
.LBB108_140:
	s_and_saveexec_b32 s38, s0
	s_cbranch_execz .LBB108_144
; %bb.141:
	v_subrev_nc_u32_e32 v96, 31, v0
	s_movk_i32 s39, 0x268
	s_mov_b32 s0, 0
.LBB108_142:                            ; =>This Inner Loop Header: Depth=1
	scratch_load_b64 v[98:99], off, s36
	v_dual_mov_b32 v97, s39 :: v_dual_add_nc_u32 v96, -1, v96
	s_add_co_i32 s39, s39, 8
	s_wait_xcnt 0x0
	s_add_co_i32 s36, s36, 8
	ds_load_b64 v[100:101], v97
	v_cmp_eq_u32_e32 vcc_lo, 0, v96
	s_or_b32 s0, vcc_lo, s0
	s_wait_loadcnt_dscnt 0x0
	v_pk_mul_f32 v[102:103], v[100:101], v[98:99] op_sel:[1,1] op_sel_hi:[0,1]
	s_delay_alu instid0(VALU_DEP_1) | instskip(SKIP_1) | instid1(VALU_DEP_2)
	v_pk_fma_f32 v[104:105], v[100:101], v[98:99], v[102:103] op_sel_hi:[1,0,1]
	v_pk_fma_f32 v[98:99], v[100:101], v[98:99], v[102:103] neg_lo:[0,0,1] neg_hi:[0,0,1]
	v_mov_b32_e32 v99, v105
	s_delay_alu instid0(VALU_DEP_1)
	v_pk_add_f32 v[94:95], v[94:95], v[98:99]
	s_and_not1_b32 exec_lo, exec_lo, s0
	s_cbranch_execnz .LBB108_142
; %bb.143:
	s_or_b32 exec_lo, exec_lo, s0
.LBB108_144:
	s_delay_alu instid0(SALU_CYCLE_1) | instskip(SKIP_4) | instid1(VALU_DEP_1)
	s_or_b32 exec_lo, exec_lo, s38
	v_mov_b32_e32 v96, 0
	ds_load_b64 v[96:97], v96 offset:240
	s_wait_dscnt 0x0
	v_pk_mul_f32 v[98:99], v[94:95], v[96:97] op_sel:[1,1] op_sel_hi:[0,1]
	v_pk_fma_f32 v[100:101], v[94:95], v[96:97], v[98:99] op_sel_hi:[1,0,1]
	v_pk_fma_f32 v[94:95], v[94:95], v[96:97], v[98:99] neg_lo:[0,0,1] neg_hi:[0,0,1]
	s_delay_alu instid0(VALU_DEP_2)
	v_mov_b32_e32 v95, v101
	scratch_store_b64 off, v[94:95], off offset:240
.LBB108_145:
	s_wait_xcnt 0x0
	s_or_b32 exec_lo, exec_lo, s37
	scratch_load_b64 v[94:95], off, off offset:232
	v_cmp_lt_u32_e64 s0, 29, v0
	s_wait_loadcnt 0x0
	ds_store_b64 v1, v[94:95]
	s_wait_storecnt_dscnt 0x0
	s_barrier_signal -1
	s_barrier_wait -1
	s_wait_xcnt 0x0
	s_and_saveexec_b32 s36, s0
	s_cbranch_execz .LBB108_155
; %bb.146:
	s_and_not1_b32 vcc_lo, exec_lo, s5
	s_cbranch_vccnz .LBB108_148
; %bb.147:
	scratch_load_b64 v[94:95], v59, off
	ds_load_b64 v[96:97], v1
	s_wait_loadcnt_dscnt 0x0
	v_pk_mul_f32 v[98:99], v[96:97], v[94:95] op_sel:[1,1] op_sel_hi:[0,1]
	s_delay_alu instid0(VALU_DEP_1) | instskip(SKIP_1) | instid1(VALU_DEP_2)
	v_pk_fma_f32 v[100:101], v[96:97], v[94:95], v[98:99] op_sel_hi:[1,0,1]
	v_pk_fma_f32 v[94:95], v[96:97], v[94:95], v[98:99] neg_lo:[0,0,1] neg_hi:[0,0,1]
	v_mov_b32_e32 v95, v101
	s_cbranch_execz .LBB108_149
	s_branch .LBB108_150
.LBB108_148:
                                        ; implicit-def: $vgpr94_vgpr95
.LBB108_149:
	ds_load_b64 v[94:95], v1
.LBB108_150:
	s_and_saveexec_b32 s37, s1
	s_cbranch_execz .LBB108_154
; %bb.151:
	v_subrev_nc_u32_e32 v96, 30, v0
	s_movk_i32 s38, 0x260
	s_mov_b32 s1, 0
.LBB108_152:                            ; =>This Inner Loop Header: Depth=1
	scratch_load_b64 v[98:99], off, s35
	v_dual_mov_b32 v97, s38 :: v_dual_add_nc_u32 v96, -1, v96
	s_add_co_i32 s38, s38, 8
	s_wait_xcnt 0x0
	s_add_co_i32 s35, s35, 8
	ds_load_b64 v[100:101], v97
	v_cmp_eq_u32_e32 vcc_lo, 0, v96
	s_or_b32 s1, vcc_lo, s1
	s_wait_loadcnt_dscnt 0x0
	v_pk_mul_f32 v[102:103], v[100:101], v[98:99] op_sel:[1,1] op_sel_hi:[0,1]
	s_delay_alu instid0(VALU_DEP_1) | instskip(SKIP_1) | instid1(VALU_DEP_2)
	v_pk_fma_f32 v[104:105], v[100:101], v[98:99], v[102:103] op_sel_hi:[1,0,1]
	v_pk_fma_f32 v[98:99], v[100:101], v[98:99], v[102:103] neg_lo:[0,0,1] neg_hi:[0,0,1]
	v_mov_b32_e32 v99, v105
	s_delay_alu instid0(VALU_DEP_1)
	v_pk_add_f32 v[94:95], v[94:95], v[98:99]
	s_and_not1_b32 exec_lo, exec_lo, s1
	s_cbranch_execnz .LBB108_152
; %bb.153:
	s_or_b32 exec_lo, exec_lo, s1
.LBB108_154:
	s_delay_alu instid0(SALU_CYCLE_1) | instskip(SKIP_4) | instid1(VALU_DEP_1)
	s_or_b32 exec_lo, exec_lo, s37
	v_mov_b32_e32 v96, 0
	ds_load_b64 v[96:97], v96 offset:232
	s_wait_dscnt 0x0
	v_pk_mul_f32 v[98:99], v[94:95], v[96:97] op_sel:[1,1] op_sel_hi:[0,1]
	v_pk_fma_f32 v[100:101], v[94:95], v[96:97], v[98:99] op_sel_hi:[1,0,1]
	v_pk_fma_f32 v[94:95], v[94:95], v[96:97], v[98:99] neg_lo:[0,0,1] neg_hi:[0,0,1]
	s_delay_alu instid0(VALU_DEP_2)
	v_mov_b32_e32 v95, v101
	scratch_store_b64 off, v[94:95], off offset:232
.LBB108_155:
	s_wait_xcnt 0x0
	s_or_b32 exec_lo, exec_lo, s36
	scratch_load_b64 v[94:95], off, off offset:224
	v_cmp_lt_u32_e64 s1, 28, v0
	s_wait_loadcnt 0x0
	ds_store_b64 v1, v[94:95]
	s_wait_storecnt_dscnt 0x0
	s_barrier_signal -1
	s_barrier_wait -1
	s_wait_xcnt 0x0
	s_and_saveexec_b32 s35, s1
	s_cbranch_execz .LBB108_165
; %bb.156:
	s_and_not1_b32 vcc_lo, exec_lo, s5
	s_cbranch_vccnz .LBB108_158
; %bb.157:
	scratch_load_b64 v[94:95], v59, off
	ds_load_b64 v[96:97], v1
	s_wait_loadcnt_dscnt 0x0
	v_pk_mul_f32 v[98:99], v[96:97], v[94:95] op_sel:[1,1] op_sel_hi:[0,1]
	s_delay_alu instid0(VALU_DEP_1) | instskip(SKIP_1) | instid1(VALU_DEP_2)
	v_pk_fma_f32 v[100:101], v[96:97], v[94:95], v[98:99] op_sel_hi:[1,0,1]
	v_pk_fma_f32 v[94:95], v[96:97], v[94:95], v[98:99] neg_lo:[0,0,1] neg_hi:[0,0,1]
	v_mov_b32_e32 v95, v101
	s_cbranch_execz .LBB108_159
	s_branch .LBB108_160
.LBB108_158:
                                        ; implicit-def: $vgpr94_vgpr95
.LBB108_159:
	ds_load_b64 v[94:95], v1
.LBB108_160:
	s_and_saveexec_b32 s36, s0
	s_cbranch_execz .LBB108_164
; %bb.161:
	v_subrev_nc_u32_e32 v96, 29, v0
	s_movk_i32 s37, 0x258
	s_mov_b32 s0, 0
.LBB108_162:                            ; =>This Inner Loop Header: Depth=1
	scratch_load_b64 v[98:99], off, s34
	v_dual_mov_b32 v97, s37 :: v_dual_add_nc_u32 v96, -1, v96
	s_add_co_i32 s37, s37, 8
	s_wait_xcnt 0x0
	s_add_co_i32 s34, s34, 8
	ds_load_b64 v[100:101], v97
	v_cmp_eq_u32_e32 vcc_lo, 0, v96
	s_or_b32 s0, vcc_lo, s0
	s_wait_loadcnt_dscnt 0x0
	v_pk_mul_f32 v[102:103], v[100:101], v[98:99] op_sel:[1,1] op_sel_hi:[0,1]
	s_delay_alu instid0(VALU_DEP_1) | instskip(SKIP_1) | instid1(VALU_DEP_2)
	v_pk_fma_f32 v[104:105], v[100:101], v[98:99], v[102:103] op_sel_hi:[1,0,1]
	v_pk_fma_f32 v[98:99], v[100:101], v[98:99], v[102:103] neg_lo:[0,0,1] neg_hi:[0,0,1]
	v_mov_b32_e32 v99, v105
	s_delay_alu instid0(VALU_DEP_1)
	v_pk_add_f32 v[94:95], v[94:95], v[98:99]
	s_and_not1_b32 exec_lo, exec_lo, s0
	s_cbranch_execnz .LBB108_162
; %bb.163:
	s_or_b32 exec_lo, exec_lo, s0
.LBB108_164:
	s_delay_alu instid0(SALU_CYCLE_1) | instskip(SKIP_4) | instid1(VALU_DEP_1)
	s_or_b32 exec_lo, exec_lo, s36
	v_mov_b32_e32 v96, 0
	ds_load_b64 v[96:97], v96 offset:224
	s_wait_dscnt 0x0
	v_pk_mul_f32 v[98:99], v[94:95], v[96:97] op_sel:[1,1] op_sel_hi:[0,1]
	v_pk_fma_f32 v[100:101], v[94:95], v[96:97], v[98:99] op_sel_hi:[1,0,1]
	v_pk_fma_f32 v[94:95], v[94:95], v[96:97], v[98:99] neg_lo:[0,0,1] neg_hi:[0,0,1]
	s_delay_alu instid0(VALU_DEP_2)
	v_mov_b32_e32 v95, v101
	scratch_store_b64 off, v[94:95], off offset:224
.LBB108_165:
	s_wait_xcnt 0x0
	s_or_b32 exec_lo, exec_lo, s35
	scratch_load_b64 v[94:95], off, off offset:216
	v_cmp_lt_u32_e64 s0, 27, v0
	s_wait_loadcnt 0x0
	ds_store_b64 v1, v[94:95]
	s_wait_storecnt_dscnt 0x0
	s_barrier_signal -1
	s_barrier_wait -1
	s_wait_xcnt 0x0
	s_and_saveexec_b32 s34, s0
	s_cbranch_execz .LBB108_175
; %bb.166:
	s_and_not1_b32 vcc_lo, exec_lo, s5
	s_cbranch_vccnz .LBB108_168
; %bb.167:
	scratch_load_b64 v[94:95], v59, off
	ds_load_b64 v[96:97], v1
	s_wait_loadcnt_dscnt 0x0
	v_pk_mul_f32 v[98:99], v[96:97], v[94:95] op_sel:[1,1] op_sel_hi:[0,1]
	s_delay_alu instid0(VALU_DEP_1) | instskip(SKIP_1) | instid1(VALU_DEP_2)
	v_pk_fma_f32 v[100:101], v[96:97], v[94:95], v[98:99] op_sel_hi:[1,0,1]
	v_pk_fma_f32 v[94:95], v[96:97], v[94:95], v[98:99] neg_lo:[0,0,1] neg_hi:[0,0,1]
	v_mov_b32_e32 v95, v101
	s_cbranch_execz .LBB108_169
	s_branch .LBB108_170
.LBB108_168:
                                        ; implicit-def: $vgpr94_vgpr95
.LBB108_169:
	ds_load_b64 v[94:95], v1
.LBB108_170:
	s_and_saveexec_b32 s35, s1
	s_cbranch_execz .LBB108_174
; %bb.171:
	v_subrev_nc_u32_e32 v96, 28, v0
	s_movk_i32 s36, 0x250
	s_mov_b32 s1, 0
.LBB108_172:                            ; =>This Inner Loop Header: Depth=1
	scratch_load_b64 v[98:99], off, s33
	v_dual_mov_b32 v97, s36 :: v_dual_add_nc_u32 v96, -1, v96
	s_add_co_i32 s36, s36, 8
	s_wait_xcnt 0x0
	s_add_co_i32 s33, s33, 8
	ds_load_b64 v[100:101], v97
	v_cmp_eq_u32_e32 vcc_lo, 0, v96
	s_or_b32 s1, vcc_lo, s1
	s_wait_loadcnt_dscnt 0x0
	v_pk_mul_f32 v[102:103], v[100:101], v[98:99] op_sel:[1,1] op_sel_hi:[0,1]
	s_delay_alu instid0(VALU_DEP_1) | instskip(SKIP_1) | instid1(VALU_DEP_2)
	v_pk_fma_f32 v[104:105], v[100:101], v[98:99], v[102:103] op_sel_hi:[1,0,1]
	v_pk_fma_f32 v[98:99], v[100:101], v[98:99], v[102:103] neg_lo:[0,0,1] neg_hi:[0,0,1]
	v_mov_b32_e32 v99, v105
	s_delay_alu instid0(VALU_DEP_1)
	v_pk_add_f32 v[94:95], v[94:95], v[98:99]
	s_and_not1_b32 exec_lo, exec_lo, s1
	s_cbranch_execnz .LBB108_172
; %bb.173:
	s_or_b32 exec_lo, exec_lo, s1
.LBB108_174:
	s_delay_alu instid0(SALU_CYCLE_1) | instskip(SKIP_4) | instid1(VALU_DEP_1)
	s_or_b32 exec_lo, exec_lo, s35
	v_mov_b32_e32 v96, 0
	ds_load_b64 v[96:97], v96 offset:216
	s_wait_dscnt 0x0
	v_pk_mul_f32 v[98:99], v[94:95], v[96:97] op_sel:[1,1] op_sel_hi:[0,1]
	v_pk_fma_f32 v[100:101], v[94:95], v[96:97], v[98:99] op_sel_hi:[1,0,1]
	v_pk_fma_f32 v[94:95], v[94:95], v[96:97], v[98:99] neg_lo:[0,0,1] neg_hi:[0,0,1]
	s_delay_alu instid0(VALU_DEP_2)
	v_mov_b32_e32 v95, v101
	scratch_store_b64 off, v[94:95], off offset:216
.LBB108_175:
	s_wait_xcnt 0x0
	s_or_b32 exec_lo, exec_lo, s34
	scratch_load_b64 v[94:95], off, off offset:208
	v_cmp_lt_u32_e64 s1, 26, v0
	s_wait_loadcnt 0x0
	ds_store_b64 v1, v[94:95]
	s_wait_storecnt_dscnt 0x0
	s_barrier_signal -1
	s_barrier_wait -1
	s_wait_xcnt 0x0
	s_and_saveexec_b32 s33, s1
	s_cbranch_execz .LBB108_185
; %bb.176:
	s_and_not1_b32 vcc_lo, exec_lo, s5
	s_cbranch_vccnz .LBB108_178
; %bb.177:
	scratch_load_b64 v[94:95], v59, off
	ds_load_b64 v[96:97], v1
	s_wait_loadcnt_dscnt 0x0
	v_pk_mul_f32 v[98:99], v[96:97], v[94:95] op_sel:[1,1] op_sel_hi:[0,1]
	s_delay_alu instid0(VALU_DEP_1) | instskip(SKIP_1) | instid1(VALU_DEP_2)
	v_pk_fma_f32 v[100:101], v[96:97], v[94:95], v[98:99] op_sel_hi:[1,0,1]
	v_pk_fma_f32 v[94:95], v[96:97], v[94:95], v[98:99] neg_lo:[0,0,1] neg_hi:[0,0,1]
	v_mov_b32_e32 v95, v101
	s_cbranch_execz .LBB108_179
	s_branch .LBB108_180
.LBB108_178:
                                        ; implicit-def: $vgpr94_vgpr95
.LBB108_179:
	ds_load_b64 v[94:95], v1
.LBB108_180:
	s_and_saveexec_b32 s34, s0
	s_cbranch_execz .LBB108_184
; %bb.181:
	v_subrev_nc_u32_e32 v96, 27, v0
	s_movk_i32 s35, 0x248
	s_mov_b32 s0, 0
.LBB108_182:                            ; =>This Inner Loop Header: Depth=1
	scratch_load_b64 v[98:99], off, s31
	v_dual_mov_b32 v97, s35 :: v_dual_add_nc_u32 v96, -1, v96
	s_add_co_i32 s35, s35, 8
	s_wait_xcnt 0x0
	s_add_co_i32 s31, s31, 8
	ds_load_b64 v[100:101], v97
	v_cmp_eq_u32_e32 vcc_lo, 0, v96
	s_or_b32 s0, vcc_lo, s0
	s_wait_loadcnt_dscnt 0x0
	v_pk_mul_f32 v[102:103], v[100:101], v[98:99] op_sel:[1,1] op_sel_hi:[0,1]
	s_delay_alu instid0(VALU_DEP_1) | instskip(SKIP_1) | instid1(VALU_DEP_2)
	v_pk_fma_f32 v[104:105], v[100:101], v[98:99], v[102:103] op_sel_hi:[1,0,1]
	v_pk_fma_f32 v[98:99], v[100:101], v[98:99], v[102:103] neg_lo:[0,0,1] neg_hi:[0,0,1]
	v_mov_b32_e32 v99, v105
	s_delay_alu instid0(VALU_DEP_1)
	v_pk_add_f32 v[94:95], v[94:95], v[98:99]
	s_and_not1_b32 exec_lo, exec_lo, s0
	s_cbranch_execnz .LBB108_182
; %bb.183:
	s_or_b32 exec_lo, exec_lo, s0
.LBB108_184:
	s_delay_alu instid0(SALU_CYCLE_1) | instskip(SKIP_4) | instid1(VALU_DEP_1)
	s_or_b32 exec_lo, exec_lo, s34
	v_mov_b32_e32 v96, 0
	ds_load_b64 v[96:97], v96 offset:208
	s_wait_dscnt 0x0
	v_pk_mul_f32 v[98:99], v[94:95], v[96:97] op_sel:[1,1] op_sel_hi:[0,1]
	v_pk_fma_f32 v[100:101], v[94:95], v[96:97], v[98:99] op_sel_hi:[1,0,1]
	v_pk_fma_f32 v[94:95], v[94:95], v[96:97], v[98:99] neg_lo:[0,0,1] neg_hi:[0,0,1]
	s_delay_alu instid0(VALU_DEP_2)
	v_mov_b32_e32 v95, v101
	scratch_store_b64 off, v[94:95], off offset:208
.LBB108_185:
	s_wait_xcnt 0x0
	s_or_b32 exec_lo, exec_lo, s33
	scratch_load_b64 v[94:95], off, off offset:200
	v_cmp_lt_u32_e64 s0, 25, v0
	s_wait_loadcnt 0x0
	ds_store_b64 v1, v[94:95]
	s_wait_storecnt_dscnt 0x0
	s_barrier_signal -1
	s_barrier_wait -1
	s_wait_xcnt 0x0
	s_and_saveexec_b32 s31, s0
	s_cbranch_execz .LBB108_195
; %bb.186:
	s_and_not1_b32 vcc_lo, exec_lo, s5
	s_cbranch_vccnz .LBB108_188
; %bb.187:
	scratch_load_b64 v[94:95], v59, off
	ds_load_b64 v[96:97], v1
	s_wait_loadcnt_dscnt 0x0
	v_pk_mul_f32 v[98:99], v[96:97], v[94:95] op_sel:[1,1] op_sel_hi:[0,1]
	s_delay_alu instid0(VALU_DEP_1) | instskip(SKIP_1) | instid1(VALU_DEP_2)
	v_pk_fma_f32 v[100:101], v[96:97], v[94:95], v[98:99] op_sel_hi:[1,0,1]
	v_pk_fma_f32 v[94:95], v[96:97], v[94:95], v[98:99] neg_lo:[0,0,1] neg_hi:[0,0,1]
	v_mov_b32_e32 v95, v101
	s_cbranch_execz .LBB108_189
	s_branch .LBB108_190
.LBB108_188:
                                        ; implicit-def: $vgpr94_vgpr95
.LBB108_189:
	ds_load_b64 v[94:95], v1
.LBB108_190:
	s_and_saveexec_b32 s33, s1
	s_cbranch_execz .LBB108_194
; %bb.191:
	v_subrev_nc_u32_e32 v96, 26, v0
	s_movk_i32 s34, 0x240
	s_mov_b32 s1, 0
.LBB108_192:                            ; =>This Inner Loop Header: Depth=1
	scratch_load_b64 v[98:99], off, s30
	v_dual_mov_b32 v97, s34 :: v_dual_add_nc_u32 v96, -1, v96
	s_add_co_i32 s34, s34, 8
	s_wait_xcnt 0x0
	s_add_co_i32 s30, s30, 8
	ds_load_b64 v[100:101], v97
	v_cmp_eq_u32_e32 vcc_lo, 0, v96
	s_or_b32 s1, vcc_lo, s1
	s_wait_loadcnt_dscnt 0x0
	v_pk_mul_f32 v[102:103], v[100:101], v[98:99] op_sel:[1,1] op_sel_hi:[0,1]
	s_delay_alu instid0(VALU_DEP_1) | instskip(SKIP_1) | instid1(VALU_DEP_2)
	v_pk_fma_f32 v[104:105], v[100:101], v[98:99], v[102:103] op_sel_hi:[1,0,1]
	v_pk_fma_f32 v[98:99], v[100:101], v[98:99], v[102:103] neg_lo:[0,0,1] neg_hi:[0,0,1]
	v_mov_b32_e32 v99, v105
	s_delay_alu instid0(VALU_DEP_1)
	v_pk_add_f32 v[94:95], v[94:95], v[98:99]
	s_and_not1_b32 exec_lo, exec_lo, s1
	s_cbranch_execnz .LBB108_192
; %bb.193:
	s_or_b32 exec_lo, exec_lo, s1
.LBB108_194:
	s_delay_alu instid0(SALU_CYCLE_1) | instskip(SKIP_4) | instid1(VALU_DEP_1)
	s_or_b32 exec_lo, exec_lo, s33
	v_mov_b32_e32 v96, 0
	ds_load_b64 v[96:97], v96 offset:200
	s_wait_dscnt 0x0
	v_pk_mul_f32 v[98:99], v[94:95], v[96:97] op_sel:[1,1] op_sel_hi:[0,1]
	v_pk_fma_f32 v[100:101], v[94:95], v[96:97], v[98:99] op_sel_hi:[1,0,1]
	v_pk_fma_f32 v[94:95], v[94:95], v[96:97], v[98:99] neg_lo:[0,0,1] neg_hi:[0,0,1]
	s_delay_alu instid0(VALU_DEP_2)
	v_mov_b32_e32 v95, v101
	scratch_store_b64 off, v[94:95], off offset:200
.LBB108_195:
	s_wait_xcnt 0x0
	s_or_b32 exec_lo, exec_lo, s31
	scratch_load_b64 v[94:95], off, off offset:192
	v_cmp_lt_u32_e64 s1, 24, v0
	s_wait_loadcnt 0x0
	ds_store_b64 v1, v[94:95]
	s_wait_storecnt_dscnt 0x0
	s_barrier_signal -1
	s_barrier_wait -1
	s_wait_xcnt 0x0
	s_and_saveexec_b32 s30, s1
	s_cbranch_execz .LBB108_205
; %bb.196:
	s_and_not1_b32 vcc_lo, exec_lo, s5
	s_cbranch_vccnz .LBB108_198
; %bb.197:
	scratch_load_b64 v[94:95], v59, off
	ds_load_b64 v[96:97], v1
	s_wait_loadcnt_dscnt 0x0
	v_pk_mul_f32 v[98:99], v[96:97], v[94:95] op_sel:[1,1] op_sel_hi:[0,1]
	s_delay_alu instid0(VALU_DEP_1) | instskip(SKIP_1) | instid1(VALU_DEP_2)
	v_pk_fma_f32 v[100:101], v[96:97], v[94:95], v[98:99] op_sel_hi:[1,0,1]
	v_pk_fma_f32 v[94:95], v[96:97], v[94:95], v[98:99] neg_lo:[0,0,1] neg_hi:[0,0,1]
	v_mov_b32_e32 v95, v101
	s_cbranch_execz .LBB108_199
	s_branch .LBB108_200
.LBB108_198:
                                        ; implicit-def: $vgpr94_vgpr95
.LBB108_199:
	ds_load_b64 v[94:95], v1
.LBB108_200:
	s_and_saveexec_b32 s31, s0
	s_cbranch_execz .LBB108_204
; %bb.201:
	v_subrev_nc_u32_e32 v96, 25, v0
	s_movk_i32 s33, 0x238
	s_mov_b32 s0, 0
.LBB108_202:                            ; =>This Inner Loop Header: Depth=1
	scratch_load_b64 v[98:99], off, s29
	v_dual_mov_b32 v97, s33 :: v_dual_add_nc_u32 v96, -1, v96
	s_add_co_i32 s33, s33, 8
	s_wait_xcnt 0x0
	s_add_co_i32 s29, s29, 8
	ds_load_b64 v[100:101], v97
	v_cmp_eq_u32_e32 vcc_lo, 0, v96
	s_or_b32 s0, vcc_lo, s0
	s_wait_loadcnt_dscnt 0x0
	v_pk_mul_f32 v[102:103], v[100:101], v[98:99] op_sel:[1,1] op_sel_hi:[0,1]
	s_delay_alu instid0(VALU_DEP_1) | instskip(SKIP_1) | instid1(VALU_DEP_2)
	v_pk_fma_f32 v[104:105], v[100:101], v[98:99], v[102:103] op_sel_hi:[1,0,1]
	v_pk_fma_f32 v[98:99], v[100:101], v[98:99], v[102:103] neg_lo:[0,0,1] neg_hi:[0,0,1]
	v_mov_b32_e32 v99, v105
	s_delay_alu instid0(VALU_DEP_1)
	v_pk_add_f32 v[94:95], v[94:95], v[98:99]
	s_and_not1_b32 exec_lo, exec_lo, s0
	s_cbranch_execnz .LBB108_202
; %bb.203:
	s_or_b32 exec_lo, exec_lo, s0
.LBB108_204:
	s_delay_alu instid0(SALU_CYCLE_1) | instskip(SKIP_4) | instid1(VALU_DEP_1)
	s_or_b32 exec_lo, exec_lo, s31
	v_mov_b32_e32 v96, 0
	ds_load_b64 v[96:97], v96 offset:192
	s_wait_dscnt 0x0
	v_pk_mul_f32 v[98:99], v[94:95], v[96:97] op_sel:[1,1] op_sel_hi:[0,1]
	v_pk_fma_f32 v[100:101], v[94:95], v[96:97], v[98:99] op_sel_hi:[1,0,1]
	v_pk_fma_f32 v[94:95], v[94:95], v[96:97], v[98:99] neg_lo:[0,0,1] neg_hi:[0,0,1]
	s_delay_alu instid0(VALU_DEP_2)
	v_mov_b32_e32 v95, v101
	scratch_store_b64 off, v[94:95], off offset:192
.LBB108_205:
	s_wait_xcnt 0x0
	s_or_b32 exec_lo, exec_lo, s30
	scratch_load_b64 v[94:95], off, off offset:184
	v_cmp_lt_u32_e64 s0, 23, v0
	s_wait_loadcnt 0x0
	ds_store_b64 v1, v[94:95]
	s_wait_storecnt_dscnt 0x0
	s_barrier_signal -1
	s_barrier_wait -1
	s_wait_xcnt 0x0
	s_and_saveexec_b32 s29, s0
	s_cbranch_execz .LBB108_215
; %bb.206:
	s_and_not1_b32 vcc_lo, exec_lo, s5
	s_cbranch_vccnz .LBB108_208
; %bb.207:
	scratch_load_b64 v[94:95], v59, off
	ds_load_b64 v[96:97], v1
	s_wait_loadcnt_dscnt 0x0
	v_pk_mul_f32 v[98:99], v[96:97], v[94:95] op_sel:[1,1] op_sel_hi:[0,1]
	s_delay_alu instid0(VALU_DEP_1) | instskip(SKIP_1) | instid1(VALU_DEP_2)
	v_pk_fma_f32 v[100:101], v[96:97], v[94:95], v[98:99] op_sel_hi:[1,0,1]
	v_pk_fma_f32 v[94:95], v[96:97], v[94:95], v[98:99] neg_lo:[0,0,1] neg_hi:[0,0,1]
	v_mov_b32_e32 v95, v101
	s_cbranch_execz .LBB108_209
	s_branch .LBB108_210
.LBB108_208:
                                        ; implicit-def: $vgpr94_vgpr95
.LBB108_209:
	ds_load_b64 v[94:95], v1
.LBB108_210:
	s_and_saveexec_b32 s30, s1
	s_cbranch_execz .LBB108_214
; %bb.211:
	v_subrev_nc_u32_e32 v96, 24, v0
	s_movk_i32 s31, 0x230
	s_mov_b32 s1, 0
.LBB108_212:                            ; =>This Inner Loop Header: Depth=1
	scratch_load_b64 v[98:99], off, s28
	v_dual_mov_b32 v97, s31 :: v_dual_add_nc_u32 v96, -1, v96
	s_add_co_i32 s31, s31, 8
	s_wait_xcnt 0x0
	s_add_co_i32 s28, s28, 8
	ds_load_b64 v[100:101], v97
	v_cmp_eq_u32_e32 vcc_lo, 0, v96
	s_or_b32 s1, vcc_lo, s1
	s_wait_loadcnt_dscnt 0x0
	v_pk_mul_f32 v[102:103], v[100:101], v[98:99] op_sel:[1,1] op_sel_hi:[0,1]
	s_delay_alu instid0(VALU_DEP_1) | instskip(SKIP_1) | instid1(VALU_DEP_2)
	v_pk_fma_f32 v[104:105], v[100:101], v[98:99], v[102:103] op_sel_hi:[1,0,1]
	v_pk_fma_f32 v[98:99], v[100:101], v[98:99], v[102:103] neg_lo:[0,0,1] neg_hi:[0,0,1]
	v_mov_b32_e32 v99, v105
	s_delay_alu instid0(VALU_DEP_1)
	v_pk_add_f32 v[94:95], v[94:95], v[98:99]
	s_and_not1_b32 exec_lo, exec_lo, s1
	s_cbranch_execnz .LBB108_212
; %bb.213:
	s_or_b32 exec_lo, exec_lo, s1
.LBB108_214:
	s_delay_alu instid0(SALU_CYCLE_1) | instskip(SKIP_4) | instid1(VALU_DEP_1)
	s_or_b32 exec_lo, exec_lo, s30
	v_mov_b32_e32 v96, 0
	ds_load_b64 v[96:97], v96 offset:184
	s_wait_dscnt 0x0
	v_pk_mul_f32 v[98:99], v[94:95], v[96:97] op_sel:[1,1] op_sel_hi:[0,1]
	v_pk_fma_f32 v[100:101], v[94:95], v[96:97], v[98:99] op_sel_hi:[1,0,1]
	v_pk_fma_f32 v[94:95], v[94:95], v[96:97], v[98:99] neg_lo:[0,0,1] neg_hi:[0,0,1]
	s_delay_alu instid0(VALU_DEP_2)
	v_mov_b32_e32 v95, v101
	scratch_store_b64 off, v[94:95], off offset:184
.LBB108_215:
	s_wait_xcnt 0x0
	s_or_b32 exec_lo, exec_lo, s29
	scratch_load_b64 v[94:95], off, off offset:176
	v_cmp_lt_u32_e64 s1, 22, v0
	s_wait_loadcnt 0x0
	ds_store_b64 v1, v[94:95]
	s_wait_storecnt_dscnt 0x0
	s_barrier_signal -1
	s_barrier_wait -1
	s_wait_xcnt 0x0
	s_and_saveexec_b32 s28, s1
	s_cbranch_execz .LBB108_225
; %bb.216:
	s_and_not1_b32 vcc_lo, exec_lo, s5
	s_cbranch_vccnz .LBB108_218
; %bb.217:
	scratch_load_b64 v[94:95], v59, off
	ds_load_b64 v[96:97], v1
	s_wait_loadcnt_dscnt 0x0
	v_pk_mul_f32 v[98:99], v[96:97], v[94:95] op_sel:[1,1] op_sel_hi:[0,1]
	s_delay_alu instid0(VALU_DEP_1) | instskip(SKIP_1) | instid1(VALU_DEP_2)
	v_pk_fma_f32 v[100:101], v[96:97], v[94:95], v[98:99] op_sel_hi:[1,0,1]
	v_pk_fma_f32 v[94:95], v[96:97], v[94:95], v[98:99] neg_lo:[0,0,1] neg_hi:[0,0,1]
	v_mov_b32_e32 v95, v101
	s_cbranch_execz .LBB108_219
	s_branch .LBB108_220
.LBB108_218:
                                        ; implicit-def: $vgpr94_vgpr95
.LBB108_219:
	ds_load_b64 v[94:95], v1
.LBB108_220:
	s_and_saveexec_b32 s29, s0
	s_cbranch_execz .LBB108_224
; %bb.221:
	v_subrev_nc_u32_e32 v96, 23, v0
	s_movk_i32 s30, 0x228
	s_mov_b32 s0, 0
.LBB108_222:                            ; =>This Inner Loop Header: Depth=1
	scratch_load_b64 v[98:99], off, s27
	v_dual_mov_b32 v97, s30 :: v_dual_add_nc_u32 v96, -1, v96
	s_add_co_i32 s30, s30, 8
	s_wait_xcnt 0x0
	s_add_co_i32 s27, s27, 8
	ds_load_b64 v[100:101], v97
	v_cmp_eq_u32_e32 vcc_lo, 0, v96
	s_or_b32 s0, vcc_lo, s0
	s_wait_loadcnt_dscnt 0x0
	v_pk_mul_f32 v[102:103], v[100:101], v[98:99] op_sel:[1,1] op_sel_hi:[0,1]
	s_delay_alu instid0(VALU_DEP_1) | instskip(SKIP_1) | instid1(VALU_DEP_2)
	v_pk_fma_f32 v[104:105], v[100:101], v[98:99], v[102:103] op_sel_hi:[1,0,1]
	v_pk_fma_f32 v[98:99], v[100:101], v[98:99], v[102:103] neg_lo:[0,0,1] neg_hi:[0,0,1]
	v_mov_b32_e32 v99, v105
	s_delay_alu instid0(VALU_DEP_1)
	v_pk_add_f32 v[94:95], v[94:95], v[98:99]
	s_and_not1_b32 exec_lo, exec_lo, s0
	s_cbranch_execnz .LBB108_222
; %bb.223:
	s_or_b32 exec_lo, exec_lo, s0
.LBB108_224:
	s_delay_alu instid0(SALU_CYCLE_1) | instskip(SKIP_4) | instid1(VALU_DEP_1)
	s_or_b32 exec_lo, exec_lo, s29
	v_mov_b32_e32 v96, 0
	ds_load_b64 v[96:97], v96 offset:176
	s_wait_dscnt 0x0
	v_pk_mul_f32 v[98:99], v[94:95], v[96:97] op_sel:[1,1] op_sel_hi:[0,1]
	v_pk_fma_f32 v[100:101], v[94:95], v[96:97], v[98:99] op_sel_hi:[1,0,1]
	v_pk_fma_f32 v[94:95], v[94:95], v[96:97], v[98:99] neg_lo:[0,0,1] neg_hi:[0,0,1]
	s_delay_alu instid0(VALU_DEP_2)
	v_mov_b32_e32 v95, v101
	scratch_store_b64 off, v[94:95], off offset:176
.LBB108_225:
	s_wait_xcnt 0x0
	s_or_b32 exec_lo, exec_lo, s28
	scratch_load_b64 v[94:95], off, off offset:168
	v_cmp_lt_u32_e64 s0, 21, v0
	s_wait_loadcnt 0x0
	ds_store_b64 v1, v[94:95]
	s_wait_storecnt_dscnt 0x0
	s_barrier_signal -1
	s_barrier_wait -1
	s_wait_xcnt 0x0
	s_and_saveexec_b32 s27, s0
	s_cbranch_execz .LBB108_235
; %bb.226:
	s_and_not1_b32 vcc_lo, exec_lo, s5
	s_cbranch_vccnz .LBB108_228
; %bb.227:
	scratch_load_b64 v[94:95], v59, off
	ds_load_b64 v[96:97], v1
	s_wait_loadcnt_dscnt 0x0
	v_pk_mul_f32 v[98:99], v[96:97], v[94:95] op_sel:[1,1] op_sel_hi:[0,1]
	s_delay_alu instid0(VALU_DEP_1) | instskip(SKIP_1) | instid1(VALU_DEP_2)
	v_pk_fma_f32 v[100:101], v[96:97], v[94:95], v[98:99] op_sel_hi:[1,0,1]
	v_pk_fma_f32 v[94:95], v[96:97], v[94:95], v[98:99] neg_lo:[0,0,1] neg_hi:[0,0,1]
	v_mov_b32_e32 v95, v101
	s_cbranch_execz .LBB108_229
	s_branch .LBB108_230
.LBB108_228:
                                        ; implicit-def: $vgpr94_vgpr95
.LBB108_229:
	ds_load_b64 v[94:95], v1
.LBB108_230:
	s_and_saveexec_b32 s28, s1
	s_cbranch_execz .LBB108_234
; %bb.231:
	v_subrev_nc_u32_e32 v96, 22, v0
	s_movk_i32 s29, 0x220
	s_mov_b32 s1, 0
.LBB108_232:                            ; =>This Inner Loop Header: Depth=1
	scratch_load_b64 v[98:99], off, s26
	v_dual_mov_b32 v97, s29 :: v_dual_add_nc_u32 v96, -1, v96
	s_add_co_i32 s29, s29, 8
	s_wait_xcnt 0x0
	s_add_co_i32 s26, s26, 8
	ds_load_b64 v[100:101], v97
	v_cmp_eq_u32_e32 vcc_lo, 0, v96
	s_or_b32 s1, vcc_lo, s1
	s_wait_loadcnt_dscnt 0x0
	v_pk_mul_f32 v[102:103], v[100:101], v[98:99] op_sel:[1,1] op_sel_hi:[0,1]
	s_delay_alu instid0(VALU_DEP_1) | instskip(SKIP_1) | instid1(VALU_DEP_2)
	v_pk_fma_f32 v[104:105], v[100:101], v[98:99], v[102:103] op_sel_hi:[1,0,1]
	v_pk_fma_f32 v[98:99], v[100:101], v[98:99], v[102:103] neg_lo:[0,0,1] neg_hi:[0,0,1]
	v_mov_b32_e32 v99, v105
	s_delay_alu instid0(VALU_DEP_1)
	v_pk_add_f32 v[94:95], v[94:95], v[98:99]
	s_and_not1_b32 exec_lo, exec_lo, s1
	s_cbranch_execnz .LBB108_232
; %bb.233:
	s_or_b32 exec_lo, exec_lo, s1
.LBB108_234:
	s_delay_alu instid0(SALU_CYCLE_1) | instskip(SKIP_4) | instid1(VALU_DEP_1)
	s_or_b32 exec_lo, exec_lo, s28
	v_mov_b32_e32 v96, 0
	ds_load_b64 v[96:97], v96 offset:168
	s_wait_dscnt 0x0
	v_pk_mul_f32 v[98:99], v[94:95], v[96:97] op_sel:[1,1] op_sel_hi:[0,1]
	v_pk_fma_f32 v[100:101], v[94:95], v[96:97], v[98:99] op_sel_hi:[1,0,1]
	v_pk_fma_f32 v[94:95], v[94:95], v[96:97], v[98:99] neg_lo:[0,0,1] neg_hi:[0,0,1]
	s_delay_alu instid0(VALU_DEP_2)
	v_mov_b32_e32 v95, v101
	scratch_store_b64 off, v[94:95], off offset:168
.LBB108_235:
	s_wait_xcnt 0x0
	s_or_b32 exec_lo, exec_lo, s27
	scratch_load_b64 v[94:95], off, off offset:160
	v_cmp_lt_u32_e64 s1, 20, v0
	s_wait_loadcnt 0x0
	ds_store_b64 v1, v[94:95]
	s_wait_storecnt_dscnt 0x0
	s_barrier_signal -1
	s_barrier_wait -1
	s_wait_xcnt 0x0
	s_and_saveexec_b32 s26, s1
	s_cbranch_execz .LBB108_245
; %bb.236:
	s_and_not1_b32 vcc_lo, exec_lo, s5
	s_cbranch_vccnz .LBB108_238
; %bb.237:
	scratch_load_b64 v[94:95], v59, off
	ds_load_b64 v[96:97], v1
	s_wait_loadcnt_dscnt 0x0
	v_pk_mul_f32 v[98:99], v[96:97], v[94:95] op_sel:[1,1] op_sel_hi:[0,1]
	s_delay_alu instid0(VALU_DEP_1) | instskip(SKIP_1) | instid1(VALU_DEP_2)
	v_pk_fma_f32 v[100:101], v[96:97], v[94:95], v[98:99] op_sel_hi:[1,0,1]
	v_pk_fma_f32 v[94:95], v[96:97], v[94:95], v[98:99] neg_lo:[0,0,1] neg_hi:[0,0,1]
	v_mov_b32_e32 v95, v101
	s_cbranch_execz .LBB108_239
	s_branch .LBB108_240
.LBB108_238:
                                        ; implicit-def: $vgpr94_vgpr95
.LBB108_239:
	ds_load_b64 v[94:95], v1
.LBB108_240:
	s_and_saveexec_b32 s27, s0
	s_cbranch_execz .LBB108_244
; %bb.241:
	v_subrev_nc_u32_e32 v96, 21, v0
	s_movk_i32 s28, 0x218
	s_mov_b32 s0, 0
.LBB108_242:                            ; =>This Inner Loop Header: Depth=1
	scratch_load_b64 v[98:99], off, s25
	v_dual_mov_b32 v97, s28 :: v_dual_add_nc_u32 v96, -1, v96
	s_add_co_i32 s28, s28, 8
	s_wait_xcnt 0x0
	s_add_co_i32 s25, s25, 8
	ds_load_b64 v[100:101], v97
	v_cmp_eq_u32_e32 vcc_lo, 0, v96
	s_or_b32 s0, vcc_lo, s0
	s_wait_loadcnt_dscnt 0x0
	v_pk_mul_f32 v[102:103], v[100:101], v[98:99] op_sel:[1,1] op_sel_hi:[0,1]
	s_delay_alu instid0(VALU_DEP_1) | instskip(SKIP_1) | instid1(VALU_DEP_2)
	v_pk_fma_f32 v[104:105], v[100:101], v[98:99], v[102:103] op_sel_hi:[1,0,1]
	v_pk_fma_f32 v[98:99], v[100:101], v[98:99], v[102:103] neg_lo:[0,0,1] neg_hi:[0,0,1]
	v_mov_b32_e32 v99, v105
	s_delay_alu instid0(VALU_DEP_1)
	v_pk_add_f32 v[94:95], v[94:95], v[98:99]
	s_and_not1_b32 exec_lo, exec_lo, s0
	s_cbranch_execnz .LBB108_242
; %bb.243:
	s_or_b32 exec_lo, exec_lo, s0
.LBB108_244:
	s_delay_alu instid0(SALU_CYCLE_1) | instskip(SKIP_4) | instid1(VALU_DEP_1)
	s_or_b32 exec_lo, exec_lo, s27
	v_mov_b32_e32 v96, 0
	ds_load_b64 v[96:97], v96 offset:160
	s_wait_dscnt 0x0
	v_pk_mul_f32 v[98:99], v[94:95], v[96:97] op_sel:[1,1] op_sel_hi:[0,1]
	v_pk_fma_f32 v[100:101], v[94:95], v[96:97], v[98:99] op_sel_hi:[1,0,1]
	v_pk_fma_f32 v[94:95], v[94:95], v[96:97], v[98:99] neg_lo:[0,0,1] neg_hi:[0,0,1]
	s_delay_alu instid0(VALU_DEP_2)
	v_mov_b32_e32 v95, v101
	scratch_store_b64 off, v[94:95], off offset:160
.LBB108_245:
	s_wait_xcnt 0x0
	s_or_b32 exec_lo, exec_lo, s26
	scratch_load_b64 v[94:95], off, off offset:152
	v_cmp_lt_u32_e64 s0, 19, v0
	s_wait_loadcnt 0x0
	ds_store_b64 v1, v[94:95]
	s_wait_storecnt_dscnt 0x0
	s_barrier_signal -1
	s_barrier_wait -1
	s_wait_xcnt 0x0
	s_and_saveexec_b32 s25, s0
	s_cbranch_execz .LBB108_255
; %bb.246:
	s_and_not1_b32 vcc_lo, exec_lo, s5
	s_cbranch_vccnz .LBB108_248
; %bb.247:
	scratch_load_b64 v[94:95], v59, off
	ds_load_b64 v[96:97], v1
	s_wait_loadcnt_dscnt 0x0
	v_pk_mul_f32 v[98:99], v[96:97], v[94:95] op_sel:[1,1] op_sel_hi:[0,1]
	s_delay_alu instid0(VALU_DEP_1) | instskip(SKIP_1) | instid1(VALU_DEP_2)
	v_pk_fma_f32 v[100:101], v[96:97], v[94:95], v[98:99] op_sel_hi:[1,0,1]
	v_pk_fma_f32 v[94:95], v[96:97], v[94:95], v[98:99] neg_lo:[0,0,1] neg_hi:[0,0,1]
	v_mov_b32_e32 v95, v101
	s_cbranch_execz .LBB108_249
	s_branch .LBB108_250
.LBB108_248:
                                        ; implicit-def: $vgpr94_vgpr95
.LBB108_249:
	ds_load_b64 v[94:95], v1
.LBB108_250:
	s_and_saveexec_b32 s26, s1
	s_cbranch_execz .LBB108_254
; %bb.251:
	v_subrev_nc_u32_e32 v96, 20, v0
	s_movk_i32 s27, 0x210
	s_mov_b32 s1, 0
.LBB108_252:                            ; =>This Inner Loop Header: Depth=1
	scratch_load_b64 v[98:99], off, s24
	v_dual_mov_b32 v97, s27 :: v_dual_add_nc_u32 v96, -1, v96
	s_add_co_i32 s27, s27, 8
	s_wait_xcnt 0x0
	s_add_co_i32 s24, s24, 8
	ds_load_b64 v[100:101], v97
	v_cmp_eq_u32_e32 vcc_lo, 0, v96
	s_or_b32 s1, vcc_lo, s1
	s_wait_loadcnt_dscnt 0x0
	v_pk_mul_f32 v[102:103], v[100:101], v[98:99] op_sel:[1,1] op_sel_hi:[0,1]
	s_delay_alu instid0(VALU_DEP_1) | instskip(SKIP_1) | instid1(VALU_DEP_2)
	v_pk_fma_f32 v[104:105], v[100:101], v[98:99], v[102:103] op_sel_hi:[1,0,1]
	v_pk_fma_f32 v[98:99], v[100:101], v[98:99], v[102:103] neg_lo:[0,0,1] neg_hi:[0,0,1]
	v_mov_b32_e32 v99, v105
	s_delay_alu instid0(VALU_DEP_1)
	v_pk_add_f32 v[94:95], v[94:95], v[98:99]
	s_and_not1_b32 exec_lo, exec_lo, s1
	s_cbranch_execnz .LBB108_252
; %bb.253:
	s_or_b32 exec_lo, exec_lo, s1
.LBB108_254:
	s_delay_alu instid0(SALU_CYCLE_1) | instskip(SKIP_4) | instid1(VALU_DEP_1)
	s_or_b32 exec_lo, exec_lo, s26
	v_mov_b32_e32 v96, 0
	ds_load_b64 v[96:97], v96 offset:152
	s_wait_dscnt 0x0
	v_pk_mul_f32 v[98:99], v[94:95], v[96:97] op_sel:[1,1] op_sel_hi:[0,1]
	v_pk_fma_f32 v[100:101], v[94:95], v[96:97], v[98:99] op_sel_hi:[1,0,1]
	v_pk_fma_f32 v[94:95], v[94:95], v[96:97], v[98:99] neg_lo:[0,0,1] neg_hi:[0,0,1]
	s_delay_alu instid0(VALU_DEP_2)
	v_mov_b32_e32 v95, v101
	scratch_store_b64 off, v[94:95], off offset:152
.LBB108_255:
	s_wait_xcnt 0x0
	s_or_b32 exec_lo, exec_lo, s25
	scratch_load_b64 v[94:95], off, off offset:144
	v_cmp_lt_u32_e64 s1, 18, v0
	s_wait_loadcnt 0x0
	ds_store_b64 v1, v[94:95]
	s_wait_storecnt_dscnt 0x0
	s_barrier_signal -1
	s_barrier_wait -1
	s_wait_xcnt 0x0
	s_and_saveexec_b32 s24, s1
	s_cbranch_execz .LBB108_265
; %bb.256:
	s_and_not1_b32 vcc_lo, exec_lo, s5
	s_cbranch_vccnz .LBB108_258
; %bb.257:
	scratch_load_b64 v[94:95], v59, off
	ds_load_b64 v[96:97], v1
	s_wait_loadcnt_dscnt 0x0
	v_pk_mul_f32 v[98:99], v[96:97], v[94:95] op_sel:[1,1] op_sel_hi:[0,1]
	s_delay_alu instid0(VALU_DEP_1) | instskip(SKIP_1) | instid1(VALU_DEP_2)
	v_pk_fma_f32 v[100:101], v[96:97], v[94:95], v[98:99] op_sel_hi:[1,0,1]
	v_pk_fma_f32 v[94:95], v[96:97], v[94:95], v[98:99] neg_lo:[0,0,1] neg_hi:[0,0,1]
	v_mov_b32_e32 v95, v101
	s_cbranch_execz .LBB108_259
	s_branch .LBB108_260
.LBB108_258:
                                        ; implicit-def: $vgpr94_vgpr95
.LBB108_259:
	ds_load_b64 v[94:95], v1
.LBB108_260:
	s_and_saveexec_b32 s25, s0
	s_cbranch_execz .LBB108_264
; %bb.261:
	v_subrev_nc_u32_e32 v96, 19, v0
	s_movk_i32 s26, 0x208
	s_mov_b32 s0, 0
.LBB108_262:                            ; =>This Inner Loop Header: Depth=1
	scratch_load_b64 v[98:99], off, s23
	v_dual_mov_b32 v97, s26 :: v_dual_add_nc_u32 v96, -1, v96
	s_add_co_i32 s26, s26, 8
	s_wait_xcnt 0x0
	s_add_co_i32 s23, s23, 8
	ds_load_b64 v[100:101], v97
	v_cmp_eq_u32_e32 vcc_lo, 0, v96
	s_or_b32 s0, vcc_lo, s0
	s_wait_loadcnt_dscnt 0x0
	v_pk_mul_f32 v[102:103], v[100:101], v[98:99] op_sel:[1,1] op_sel_hi:[0,1]
	s_delay_alu instid0(VALU_DEP_1) | instskip(SKIP_1) | instid1(VALU_DEP_2)
	v_pk_fma_f32 v[104:105], v[100:101], v[98:99], v[102:103] op_sel_hi:[1,0,1]
	v_pk_fma_f32 v[98:99], v[100:101], v[98:99], v[102:103] neg_lo:[0,0,1] neg_hi:[0,0,1]
	v_mov_b32_e32 v99, v105
	s_delay_alu instid0(VALU_DEP_1)
	v_pk_add_f32 v[94:95], v[94:95], v[98:99]
	s_and_not1_b32 exec_lo, exec_lo, s0
	s_cbranch_execnz .LBB108_262
; %bb.263:
	s_or_b32 exec_lo, exec_lo, s0
.LBB108_264:
	s_delay_alu instid0(SALU_CYCLE_1) | instskip(SKIP_4) | instid1(VALU_DEP_1)
	s_or_b32 exec_lo, exec_lo, s25
	v_mov_b32_e32 v96, 0
	ds_load_b64 v[96:97], v96 offset:144
	s_wait_dscnt 0x0
	v_pk_mul_f32 v[98:99], v[94:95], v[96:97] op_sel:[1,1] op_sel_hi:[0,1]
	v_pk_fma_f32 v[100:101], v[94:95], v[96:97], v[98:99] op_sel_hi:[1,0,1]
	v_pk_fma_f32 v[94:95], v[94:95], v[96:97], v[98:99] neg_lo:[0,0,1] neg_hi:[0,0,1]
	s_delay_alu instid0(VALU_DEP_2)
	v_mov_b32_e32 v95, v101
	scratch_store_b64 off, v[94:95], off offset:144
.LBB108_265:
	s_wait_xcnt 0x0
	s_or_b32 exec_lo, exec_lo, s24
	scratch_load_b64 v[94:95], off, off offset:136
	v_cmp_lt_u32_e64 s0, 17, v0
	s_wait_loadcnt 0x0
	ds_store_b64 v1, v[94:95]
	s_wait_storecnt_dscnt 0x0
	s_barrier_signal -1
	s_barrier_wait -1
	s_wait_xcnt 0x0
	s_and_saveexec_b32 s23, s0
	s_cbranch_execz .LBB108_275
; %bb.266:
	s_and_not1_b32 vcc_lo, exec_lo, s5
	s_cbranch_vccnz .LBB108_268
; %bb.267:
	scratch_load_b64 v[94:95], v59, off
	ds_load_b64 v[96:97], v1
	s_wait_loadcnt_dscnt 0x0
	v_pk_mul_f32 v[98:99], v[96:97], v[94:95] op_sel:[1,1] op_sel_hi:[0,1]
	s_delay_alu instid0(VALU_DEP_1) | instskip(SKIP_1) | instid1(VALU_DEP_2)
	v_pk_fma_f32 v[100:101], v[96:97], v[94:95], v[98:99] op_sel_hi:[1,0,1]
	v_pk_fma_f32 v[94:95], v[96:97], v[94:95], v[98:99] neg_lo:[0,0,1] neg_hi:[0,0,1]
	v_mov_b32_e32 v95, v101
	s_cbranch_execz .LBB108_269
	s_branch .LBB108_270
.LBB108_268:
                                        ; implicit-def: $vgpr94_vgpr95
.LBB108_269:
	ds_load_b64 v[94:95], v1
.LBB108_270:
	s_and_saveexec_b32 s24, s1
	s_cbranch_execz .LBB108_274
; %bb.271:
	v_subrev_nc_u32_e32 v96, 18, v0
	s_movk_i32 s25, 0x200
	s_mov_b32 s1, 0
.LBB108_272:                            ; =>This Inner Loop Header: Depth=1
	scratch_load_b64 v[98:99], off, s22
	v_dual_mov_b32 v97, s25 :: v_dual_add_nc_u32 v96, -1, v96
	s_add_co_i32 s25, s25, 8
	s_wait_xcnt 0x0
	s_add_co_i32 s22, s22, 8
	ds_load_b64 v[100:101], v97
	v_cmp_eq_u32_e32 vcc_lo, 0, v96
	s_or_b32 s1, vcc_lo, s1
	s_wait_loadcnt_dscnt 0x0
	v_pk_mul_f32 v[102:103], v[100:101], v[98:99] op_sel:[1,1] op_sel_hi:[0,1]
	s_delay_alu instid0(VALU_DEP_1) | instskip(SKIP_1) | instid1(VALU_DEP_2)
	v_pk_fma_f32 v[104:105], v[100:101], v[98:99], v[102:103] op_sel_hi:[1,0,1]
	v_pk_fma_f32 v[98:99], v[100:101], v[98:99], v[102:103] neg_lo:[0,0,1] neg_hi:[0,0,1]
	v_mov_b32_e32 v99, v105
	s_delay_alu instid0(VALU_DEP_1)
	v_pk_add_f32 v[94:95], v[94:95], v[98:99]
	s_and_not1_b32 exec_lo, exec_lo, s1
	s_cbranch_execnz .LBB108_272
; %bb.273:
	s_or_b32 exec_lo, exec_lo, s1
.LBB108_274:
	s_delay_alu instid0(SALU_CYCLE_1) | instskip(SKIP_4) | instid1(VALU_DEP_1)
	s_or_b32 exec_lo, exec_lo, s24
	v_mov_b32_e32 v96, 0
	ds_load_b64 v[96:97], v96 offset:136
	s_wait_dscnt 0x0
	v_pk_mul_f32 v[98:99], v[94:95], v[96:97] op_sel:[1,1] op_sel_hi:[0,1]
	v_pk_fma_f32 v[100:101], v[94:95], v[96:97], v[98:99] op_sel_hi:[1,0,1]
	v_pk_fma_f32 v[94:95], v[94:95], v[96:97], v[98:99] neg_lo:[0,0,1] neg_hi:[0,0,1]
	s_delay_alu instid0(VALU_DEP_2)
	v_mov_b32_e32 v95, v101
	scratch_store_b64 off, v[94:95], off offset:136
.LBB108_275:
	s_wait_xcnt 0x0
	s_or_b32 exec_lo, exec_lo, s23
	scratch_load_b64 v[94:95], off, off offset:128
	v_cmp_lt_u32_e64 s1, 16, v0
	s_wait_loadcnt 0x0
	ds_store_b64 v1, v[94:95]
	s_wait_storecnt_dscnt 0x0
	s_barrier_signal -1
	s_barrier_wait -1
	s_wait_xcnt 0x0
	s_and_saveexec_b32 s22, s1
	s_cbranch_execz .LBB108_285
; %bb.276:
	s_and_not1_b32 vcc_lo, exec_lo, s5
	s_cbranch_vccnz .LBB108_278
; %bb.277:
	scratch_load_b64 v[94:95], v59, off
	ds_load_b64 v[96:97], v1
	s_wait_loadcnt_dscnt 0x0
	v_pk_mul_f32 v[98:99], v[96:97], v[94:95] op_sel:[1,1] op_sel_hi:[0,1]
	s_delay_alu instid0(VALU_DEP_1) | instskip(SKIP_1) | instid1(VALU_DEP_2)
	v_pk_fma_f32 v[100:101], v[96:97], v[94:95], v[98:99] op_sel_hi:[1,0,1]
	v_pk_fma_f32 v[94:95], v[96:97], v[94:95], v[98:99] neg_lo:[0,0,1] neg_hi:[0,0,1]
	v_mov_b32_e32 v95, v101
	s_cbranch_execz .LBB108_279
	s_branch .LBB108_280
.LBB108_278:
                                        ; implicit-def: $vgpr94_vgpr95
.LBB108_279:
	ds_load_b64 v[94:95], v1
.LBB108_280:
	s_and_saveexec_b32 s23, s0
	s_cbranch_execz .LBB108_284
; %bb.281:
	v_subrev_nc_u32_e32 v96, 17, v0
	s_movk_i32 s24, 0x1f8
	s_mov_b32 s0, 0
.LBB108_282:                            ; =>This Inner Loop Header: Depth=1
	scratch_load_b64 v[98:99], off, s21
	v_dual_mov_b32 v97, s24 :: v_dual_add_nc_u32 v96, -1, v96
	s_add_co_i32 s24, s24, 8
	s_wait_xcnt 0x0
	s_add_co_i32 s21, s21, 8
	ds_load_b64 v[100:101], v97
	v_cmp_eq_u32_e32 vcc_lo, 0, v96
	s_or_b32 s0, vcc_lo, s0
	s_wait_loadcnt_dscnt 0x0
	v_pk_mul_f32 v[102:103], v[100:101], v[98:99] op_sel:[1,1] op_sel_hi:[0,1]
	s_delay_alu instid0(VALU_DEP_1) | instskip(SKIP_1) | instid1(VALU_DEP_2)
	v_pk_fma_f32 v[104:105], v[100:101], v[98:99], v[102:103] op_sel_hi:[1,0,1]
	v_pk_fma_f32 v[98:99], v[100:101], v[98:99], v[102:103] neg_lo:[0,0,1] neg_hi:[0,0,1]
	v_mov_b32_e32 v99, v105
	s_delay_alu instid0(VALU_DEP_1)
	v_pk_add_f32 v[94:95], v[94:95], v[98:99]
	s_and_not1_b32 exec_lo, exec_lo, s0
	s_cbranch_execnz .LBB108_282
; %bb.283:
	s_or_b32 exec_lo, exec_lo, s0
.LBB108_284:
	s_delay_alu instid0(SALU_CYCLE_1) | instskip(SKIP_4) | instid1(VALU_DEP_1)
	s_or_b32 exec_lo, exec_lo, s23
	v_mov_b32_e32 v96, 0
	ds_load_b64 v[96:97], v96 offset:128
	s_wait_dscnt 0x0
	v_pk_mul_f32 v[98:99], v[94:95], v[96:97] op_sel:[1,1] op_sel_hi:[0,1]
	v_pk_fma_f32 v[100:101], v[94:95], v[96:97], v[98:99] op_sel_hi:[1,0,1]
	v_pk_fma_f32 v[94:95], v[94:95], v[96:97], v[98:99] neg_lo:[0,0,1] neg_hi:[0,0,1]
	s_delay_alu instid0(VALU_DEP_2)
	v_mov_b32_e32 v95, v101
	scratch_store_b64 off, v[94:95], off offset:128
.LBB108_285:
	s_wait_xcnt 0x0
	s_or_b32 exec_lo, exec_lo, s22
	scratch_load_b64 v[94:95], off, off offset:120
	v_cmp_lt_u32_e64 s0, 15, v0
	s_wait_loadcnt 0x0
	ds_store_b64 v1, v[94:95]
	s_wait_storecnt_dscnt 0x0
	s_barrier_signal -1
	s_barrier_wait -1
	s_wait_xcnt 0x0
	s_and_saveexec_b32 s21, s0
	s_cbranch_execz .LBB108_295
; %bb.286:
	s_and_not1_b32 vcc_lo, exec_lo, s5
	s_cbranch_vccnz .LBB108_288
; %bb.287:
	scratch_load_b64 v[94:95], v59, off
	ds_load_b64 v[96:97], v1
	s_wait_loadcnt_dscnt 0x0
	v_pk_mul_f32 v[98:99], v[96:97], v[94:95] op_sel:[1,1] op_sel_hi:[0,1]
	s_delay_alu instid0(VALU_DEP_1) | instskip(SKIP_1) | instid1(VALU_DEP_2)
	v_pk_fma_f32 v[100:101], v[96:97], v[94:95], v[98:99] op_sel_hi:[1,0,1]
	v_pk_fma_f32 v[94:95], v[96:97], v[94:95], v[98:99] neg_lo:[0,0,1] neg_hi:[0,0,1]
	v_mov_b32_e32 v95, v101
	s_cbranch_execz .LBB108_289
	s_branch .LBB108_290
.LBB108_288:
                                        ; implicit-def: $vgpr94_vgpr95
.LBB108_289:
	ds_load_b64 v[94:95], v1
.LBB108_290:
	s_and_saveexec_b32 s22, s1
	s_cbranch_execz .LBB108_294
; %bb.291:
	v_add_nc_u32_e32 v96, -16, v0
	s_movk_i32 s23, 0x1f0
	s_mov_b32 s1, 0
.LBB108_292:                            ; =>This Inner Loop Header: Depth=1
	scratch_load_b64 v[98:99], off, s20
	v_dual_mov_b32 v97, s23 :: v_dual_add_nc_u32 v96, -1, v96
	s_add_co_i32 s23, s23, 8
	s_wait_xcnt 0x0
	s_add_co_i32 s20, s20, 8
	ds_load_b64 v[100:101], v97
	v_cmp_eq_u32_e32 vcc_lo, 0, v96
	s_or_b32 s1, vcc_lo, s1
	s_wait_loadcnt_dscnt 0x0
	v_pk_mul_f32 v[102:103], v[100:101], v[98:99] op_sel:[1,1] op_sel_hi:[0,1]
	s_delay_alu instid0(VALU_DEP_1) | instskip(SKIP_1) | instid1(VALU_DEP_2)
	v_pk_fma_f32 v[104:105], v[100:101], v[98:99], v[102:103] op_sel_hi:[1,0,1]
	v_pk_fma_f32 v[98:99], v[100:101], v[98:99], v[102:103] neg_lo:[0,0,1] neg_hi:[0,0,1]
	v_mov_b32_e32 v99, v105
	s_delay_alu instid0(VALU_DEP_1)
	v_pk_add_f32 v[94:95], v[94:95], v[98:99]
	s_and_not1_b32 exec_lo, exec_lo, s1
	s_cbranch_execnz .LBB108_292
; %bb.293:
	s_or_b32 exec_lo, exec_lo, s1
.LBB108_294:
	s_delay_alu instid0(SALU_CYCLE_1) | instskip(SKIP_4) | instid1(VALU_DEP_1)
	s_or_b32 exec_lo, exec_lo, s22
	v_mov_b32_e32 v96, 0
	ds_load_b64 v[96:97], v96 offset:120
	s_wait_dscnt 0x0
	v_pk_mul_f32 v[98:99], v[94:95], v[96:97] op_sel:[1,1] op_sel_hi:[0,1]
	v_pk_fma_f32 v[100:101], v[94:95], v[96:97], v[98:99] op_sel_hi:[1,0,1]
	v_pk_fma_f32 v[94:95], v[94:95], v[96:97], v[98:99] neg_lo:[0,0,1] neg_hi:[0,0,1]
	s_delay_alu instid0(VALU_DEP_2)
	v_mov_b32_e32 v95, v101
	scratch_store_b64 off, v[94:95], off offset:120
.LBB108_295:
	s_wait_xcnt 0x0
	s_or_b32 exec_lo, exec_lo, s21
	scratch_load_b64 v[94:95], off, off offset:112
	v_cmp_lt_u32_e64 s1, 14, v0
	s_wait_loadcnt 0x0
	ds_store_b64 v1, v[94:95]
	s_wait_storecnt_dscnt 0x0
	s_barrier_signal -1
	s_barrier_wait -1
	s_wait_xcnt 0x0
	s_and_saveexec_b32 s20, s1
	s_cbranch_execz .LBB108_305
; %bb.296:
	s_and_not1_b32 vcc_lo, exec_lo, s5
	s_cbranch_vccnz .LBB108_298
; %bb.297:
	scratch_load_b64 v[94:95], v59, off
	ds_load_b64 v[96:97], v1
	s_wait_loadcnt_dscnt 0x0
	v_pk_mul_f32 v[98:99], v[96:97], v[94:95] op_sel:[1,1] op_sel_hi:[0,1]
	s_delay_alu instid0(VALU_DEP_1) | instskip(SKIP_1) | instid1(VALU_DEP_2)
	v_pk_fma_f32 v[100:101], v[96:97], v[94:95], v[98:99] op_sel_hi:[1,0,1]
	v_pk_fma_f32 v[94:95], v[96:97], v[94:95], v[98:99] neg_lo:[0,0,1] neg_hi:[0,0,1]
	v_mov_b32_e32 v95, v101
	s_cbranch_execz .LBB108_299
	s_branch .LBB108_300
.LBB108_298:
                                        ; implicit-def: $vgpr94_vgpr95
.LBB108_299:
	ds_load_b64 v[94:95], v1
.LBB108_300:
	s_and_saveexec_b32 s21, s0
	s_cbranch_execz .LBB108_304
; %bb.301:
	v_add_nc_u32_e32 v96, -15, v0
	s_movk_i32 s22, 0x1e8
	s_mov_b32 s0, 0
.LBB108_302:                            ; =>This Inner Loop Header: Depth=1
	scratch_load_b64 v[98:99], off, s19
	v_dual_mov_b32 v97, s22 :: v_dual_add_nc_u32 v96, -1, v96
	s_add_co_i32 s22, s22, 8
	s_wait_xcnt 0x0
	s_add_co_i32 s19, s19, 8
	ds_load_b64 v[100:101], v97
	v_cmp_eq_u32_e32 vcc_lo, 0, v96
	s_or_b32 s0, vcc_lo, s0
	s_wait_loadcnt_dscnt 0x0
	v_pk_mul_f32 v[102:103], v[100:101], v[98:99] op_sel:[1,1] op_sel_hi:[0,1]
	s_delay_alu instid0(VALU_DEP_1) | instskip(SKIP_1) | instid1(VALU_DEP_2)
	v_pk_fma_f32 v[104:105], v[100:101], v[98:99], v[102:103] op_sel_hi:[1,0,1]
	v_pk_fma_f32 v[98:99], v[100:101], v[98:99], v[102:103] neg_lo:[0,0,1] neg_hi:[0,0,1]
	v_mov_b32_e32 v99, v105
	s_delay_alu instid0(VALU_DEP_1)
	v_pk_add_f32 v[94:95], v[94:95], v[98:99]
	s_and_not1_b32 exec_lo, exec_lo, s0
	s_cbranch_execnz .LBB108_302
; %bb.303:
	s_or_b32 exec_lo, exec_lo, s0
.LBB108_304:
	s_delay_alu instid0(SALU_CYCLE_1) | instskip(SKIP_4) | instid1(VALU_DEP_1)
	s_or_b32 exec_lo, exec_lo, s21
	v_mov_b32_e32 v96, 0
	ds_load_b64 v[96:97], v96 offset:112
	s_wait_dscnt 0x0
	v_pk_mul_f32 v[98:99], v[94:95], v[96:97] op_sel:[1,1] op_sel_hi:[0,1]
	v_pk_fma_f32 v[100:101], v[94:95], v[96:97], v[98:99] op_sel_hi:[1,0,1]
	v_pk_fma_f32 v[94:95], v[94:95], v[96:97], v[98:99] neg_lo:[0,0,1] neg_hi:[0,0,1]
	s_delay_alu instid0(VALU_DEP_2)
	v_mov_b32_e32 v95, v101
	scratch_store_b64 off, v[94:95], off offset:112
.LBB108_305:
	s_wait_xcnt 0x0
	s_or_b32 exec_lo, exec_lo, s20
	scratch_load_b64 v[94:95], off, off offset:104
	v_cmp_lt_u32_e64 s0, 13, v0
	s_wait_loadcnt 0x0
	ds_store_b64 v1, v[94:95]
	s_wait_storecnt_dscnt 0x0
	s_barrier_signal -1
	s_barrier_wait -1
	s_wait_xcnt 0x0
	s_and_saveexec_b32 s19, s0
	s_cbranch_execz .LBB108_315
; %bb.306:
	s_and_not1_b32 vcc_lo, exec_lo, s5
	s_cbranch_vccnz .LBB108_308
; %bb.307:
	scratch_load_b64 v[94:95], v59, off
	ds_load_b64 v[96:97], v1
	s_wait_loadcnt_dscnt 0x0
	v_pk_mul_f32 v[98:99], v[96:97], v[94:95] op_sel:[1,1] op_sel_hi:[0,1]
	s_delay_alu instid0(VALU_DEP_1) | instskip(SKIP_1) | instid1(VALU_DEP_2)
	v_pk_fma_f32 v[100:101], v[96:97], v[94:95], v[98:99] op_sel_hi:[1,0,1]
	v_pk_fma_f32 v[94:95], v[96:97], v[94:95], v[98:99] neg_lo:[0,0,1] neg_hi:[0,0,1]
	v_mov_b32_e32 v95, v101
	s_cbranch_execz .LBB108_309
	s_branch .LBB108_310
.LBB108_308:
                                        ; implicit-def: $vgpr94_vgpr95
.LBB108_309:
	ds_load_b64 v[94:95], v1
.LBB108_310:
	s_and_saveexec_b32 s20, s1
	s_cbranch_execz .LBB108_314
; %bb.311:
	v_add_nc_u32_e32 v96, -14, v0
	s_movk_i32 s21, 0x1e0
	s_mov_b32 s1, 0
.LBB108_312:                            ; =>This Inner Loop Header: Depth=1
	scratch_load_b64 v[98:99], off, s18
	v_dual_mov_b32 v97, s21 :: v_dual_add_nc_u32 v96, -1, v96
	s_add_co_i32 s21, s21, 8
	s_wait_xcnt 0x0
	s_add_co_i32 s18, s18, 8
	ds_load_b64 v[100:101], v97
	v_cmp_eq_u32_e32 vcc_lo, 0, v96
	s_or_b32 s1, vcc_lo, s1
	s_wait_loadcnt_dscnt 0x0
	v_pk_mul_f32 v[102:103], v[100:101], v[98:99] op_sel:[1,1] op_sel_hi:[0,1]
	s_delay_alu instid0(VALU_DEP_1) | instskip(SKIP_1) | instid1(VALU_DEP_2)
	v_pk_fma_f32 v[104:105], v[100:101], v[98:99], v[102:103] op_sel_hi:[1,0,1]
	v_pk_fma_f32 v[98:99], v[100:101], v[98:99], v[102:103] neg_lo:[0,0,1] neg_hi:[0,0,1]
	v_mov_b32_e32 v99, v105
	s_delay_alu instid0(VALU_DEP_1)
	v_pk_add_f32 v[94:95], v[94:95], v[98:99]
	s_and_not1_b32 exec_lo, exec_lo, s1
	s_cbranch_execnz .LBB108_312
; %bb.313:
	s_or_b32 exec_lo, exec_lo, s1
.LBB108_314:
	s_delay_alu instid0(SALU_CYCLE_1) | instskip(SKIP_4) | instid1(VALU_DEP_1)
	s_or_b32 exec_lo, exec_lo, s20
	v_mov_b32_e32 v96, 0
	ds_load_b64 v[96:97], v96 offset:104
	s_wait_dscnt 0x0
	v_pk_mul_f32 v[98:99], v[94:95], v[96:97] op_sel:[1,1] op_sel_hi:[0,1]
	v_pk_fma_f32 v[100:101], v[94:95], v[96:97], v[98:99] op_sel_hi:[1,0,1]
	v_pk_fma_f32 v[94:95], v[94:95], v[96:97], v[98:99] neg_lo:[0,0,1] neg_hi:[0,0,1]
	s_delay_alu instid0(VALU_DEP_2)
	v_mov_b32_e32 v95, v101
	scratch_store_b64 off, v[94:95], off offset:104
.LBB108_315:
	s_wait_xcnt 0x0
	s_or_b32 exec_lo, exec_lo, s19
	scratch_load_b64 v[94:95], off, off offset:96
	v_cmp_lt_u32_e64 s1, 12, v0
	s_wait_loadcnt 0x0
	ds_store_b64 v1, v[94:95]
	s_wait_storecnt_dscnt 0x0
	s_barrier_signal -1
	s_barrier_wait -1
	s_wait_xcnt 0x0
	s_and_saveexec_b32 s18, s1
	s_cbranch_execz .LBB108_325
; %bb.316:
	s_and_not1_b32 vcc_lo, exec_lo, s5
	s_cbranch_vccnz .LBB108_318
; %bb.317:
	scratch_load_b64 v[94:95], v59, off
	ds_load_b64 v[96:97], v1
	s_wait_loadcnt_dscnt 0x0
	v_pk_mul_f32 v[98:99], v[96:97], v[94:95] op_sel:[1,1] op_sel_hi:[0,1]
	s_delay_alu instid0(VALU_DEP_1) | instskip(SKIP_1) | instid1(VALU_DEP_2)
	v_pk_fma_f32 v[100:101], v[96:97], v[94:95], v[98:99] op_sel_hi:[1,0,1]
	v_pk_fma_f32 v[94:95], v[96:97], v[94:95], v[98:99] neg_lo:[0,0,1] neg_hi:[0,0,1]
	v_mov_b32_e32 v95, v101
	s_cbranch_execz .LBB108_319
	s_branch .LBB108_320
.LBB108_318:
                                        ; implicit-def: $vgpr94_vgpr95
.LBB108_319:
	ds_load_b64 v[94:95], v1
.LBB108_320:
	s_and_saveexec_b32 s19, s0
	s_cbranch_execz .LBB108_324
; %bb.321:
	v_add_nc_u32_e32 v96, -13, v0
	s_movk_i32 s20, 0x1d8
	s_mov_b32 s0, 0
.LBB108_322:                            ; =>This Inner Loop Header: Depth=1
	scratch_load_b64 v[98:99], off, s17
	v_dual_mov_b32 v97, s20 :: v_dual_add_nc_u32 v96, -1, v96
	s_add_co_i32 s20, s20, 8
	s_wait_xcnt 0x0
	s_add_co_i32 s17, s17, 8
	ds_load_b64 v[100:101], v97
	v_cmp_eq_u32_e32 vcc_lo, 0, v96
	s_or_b32 s0, vcc_lo, s0
	s_wait_loadcnt_dscnt 0x0
	v_pk_mul_f32 v[102:103], v[100:101], v[98:99] op_sel:[1,1] op_sel_hi:[0,1]
	s_delay_alu instid0(VALU_DEP_1) | instskip(SKIP_1) | instid1(VALU_DEP_2)
	v_pk_fma_f32 v[104:105], v[100:101], v[98:99], v[102:103] op_sel_hi:[1,0,1]
	v_pk_fma_f32 v[98:99], v[100:101], v[98:99], v[102:103] neg_lo:[0,0,1] neg_hi:[0,0,1]
	v_mov_b32_e32 v99, v105
	s_delay_alu instid0(VALU_DEP_1)
	v_pk_add_f32 v[94:95], v[94:95], v[98:99]
	s_and_not1_b32 exec_lo, exec_lo, s0
	s_cbranch_execnz .LBB108_322
; %bb.323:
	s_or_b32 exec_lo, exec_lo, s0
.LBB108_324:
	s_delay_alu instid0(SALU_CYCLE_1) | instskip(SKIP_4) | instid1(VALU_DEP_1)
	s_or_b32 exec_lo, exec_lo, s19
	v_mov_b32_e32 v96, 0
	ds_load_b64 v[96:97], v96 offset:96
	s_wait_dscnt 0x0
	v_pk_mul_f32 v[98:99], v[94:95], v[96:97] op_sel:[1,1] op_sel_hi:[0,1]
	v_pk_fma_f32 v[100:101], v[94:95], v[96:97], v[98:99] op_sel_hi:[1,0,1]
	v_pk_fma_f32 v[94:95], v[94:95], v[96:97], v[98:99] neg_lo:[0,0,1] neg_hi:[0,0,1]
	s_delay_alu instid0(VALU_DEP_2)
	v_mov_b32_e32 v95, v101
	scratch_store_b64 off, v[94:95], off offset:96
.LBB108_325:
	s_wait_xcnt 0x0
	s_or_b32 exec_lo, exec_lo, s18
	scratch_load_b64 v[94:95], off, off offset:88
	v_cmp_lt_u32_e64 s0, 11, v0
	s_wait_loadcnt 0x0
	ds_store_b64 v1, v[94:95]
	s_wait_storecnt_dscnt 0x0
	s_barrier_signal -1
	s_barrier_wait -1
	s_wait_xcnt 0x0
	s_and_saveexec_b32 s17, s0
	s_cbranch_execz .LBB108_335
; %bb.326:
	s_and_not1_b32 vcc_lo, exec_lo, s5
	s_cbranch_vccnz .LBB108_328
; %bb.327:
	scratch_load_b64 v[94:95], v59, off
	ds_load_b64 v[96:97], v1
	s_wait_loadcnt_dscnt 0x0
	v_pk_mul_f32 v[98:99], v[96:97], v[94:95] op_sel:[1,1] op_sel_hi:[0,1]
	s_delay_alu instid0(VALU_DEP_1) | instskip(SKIP_1) | instid1(VALU_DEP_2)
	v_pk_fma_f32 v[100:101], v[96:97], v[94:95], v[98:99] op_sel_hi:[1,0,1]
	v_pk_fma_f32 v[94:95], v[96:97], v[94:95], v[98:99] neg_lo:[0,0,1] neg_hi:[0,0,1]
	v_mov_b32_e32 v95, v101
	s_cbranch_execz .LBB108_329
	s_branch .LBB108_330
.LBB108_328:
                                        ; implicit-def: $vgpr94_vgpr95
.LBB108_329:
	ds_load_b64 v[94:95], v1
.LBB108_330:
	s_and_saveexec_b32 s18, s1
	s_cbranch_execz .LBB108_334
; %bb.331:
	v_add_nc_u32_e32 v96, -12, v0
	s_movk_i32 s19, 0x1d0
	s_mov_b32 s1, 0
.LBB108_332:                            ; =>This Inner Loop Header: Depth=1
	scratch_load_b64 v[98:99], off, s16
	v_dual_mov_b32 v97, s19 :: v_dual_add_nc_u32 v96, -1, v96
	s_add_co_i32 s19, s19, 8
	s_wait_xcnt 0x0
	s_add_co_i32 s16, s16, 8
	ds_load_b64 v[100:101], v97
	v_cmp_eq_u32_e32 vcc_lo, 0, v96
	s_or_b32 s1, vcc_lo, s1
	s_wait_loadcnt_dscnt 0x0
	v_pk_mul_f32 v[102:103], v[100:101], v[98:99] op_sel:[1,1] op_sel_hi:[0,1]
	s_delay_alu instid0(VALU_DEP_1) | instskip(SKIP_1) | instid1(VALU_DEP_2)
	v_pk_fma_f32 v[104:105], v[100:101], v[98:99], v[102:103] op_sel_hi:[1,0,1]
	v_pk_fma_f32 v[98:99], v[100:101], v[98:99], v[102:103] neg_lo:[0,0,1] neg_hi:[0,0,1]
	v_mov_b32_e32 v99, v105
	s_delay_alu instid0(VALU_DEP_1)
	v_pk_add_f32 v[94:95], v[94:95], v[98:99]
	s_and_not1_b32 exec_lo, exec_lo, s1
	s_cbranch_execnz .LBB108_332
; %bb.333:
	s_or_b32 exec_lo, exec_lo, s1
.LBB108_334:
	s_delay_alu instid0(SALU_CYCLE_1) | instskip(SKIP_4) | instid1(VALU_DEP_1)
	s_or_b32 exec_lo, exec_lo, s18
	v_mov_b32_e32 v96, 0
	ds_load_b64 v[96:97], v96 offset:88
	s_wait_dscnt 0x0
	v_pk_mul_f32 v[98:99], v[94:95], v[96:97] op_sel:[1,1] op_sel_hi:[0,1]
	v_pk_fma_f32 v[100:101], v[94:95], v[96:97], v[98:99] op_sel_hi:[1,0,1]
	v_pk_fma_f32 v[94:95], v[94:95], v[96:97], v[98:99] neg_lo:[0,0,1] neg_hi:[0,0,1]
	s_delay_alu instid0(VALU_DEP_2)
	v_mov_b32_e32 v95, v101
	scratch_store_b64 off, v[94:95], off offset:88
.LBB108_335:
	s_wait_xcnt 0x0
	s_or_b32 exec_lo, exec_lo, s17
	scratch_load_b64 v[94:95], off, off offset:80
	v_cmp_lt_u32_e64 s1, 10, v0
	s_wait_loadcnt 0x0
	ds_store_b64 v1, v[94:95]
	s_wait_storecnt_dscnt 0x0
	s_barrier_signal -1
	s_barrier_wait -1
	s_wait_xcnt 0x0
	s_and_saveexec_b32 s16, s1
	s_cbranch_execz .LBB108_345
; %bb.336:
	s_and_not1_b32 vcc_lo, exec_lo, s5
	s_cbranch_vccnz .LBB108_338
; %bb.337:
	scratch_load_b64 v[94:95], v59, off
	ds_load_b64 v[96:97], v1
	s_wait_loadcnt_dscnt 0x0
	v_pk_mul_f32 v[98:99], v[96:97], v[94:95] op_sel:[1,1] op_sel_hi:[0,1]
	s_delay_alu instid0(VALU_DEP_1) | instskip(SKIP_1) | instid1(VALU_DEP_2)
	v_pk_fma_f32 v[100:101], v[96:97], v[94:95], v[98:99] op_sel_hi:[1,0,1]
	v_pk_fma_f32 v[94:95], v[96:97], v[94:95], v[98:99] neg_lo:[0,0,1] neg_hi:[0,0,1]
	v_mov_b32_e32 v95, v101
	s_cbranch_execz .LBB108_339
	s_branch .LBB108_340
.LBB108_338:
                                        ; implicit-def: $vgpr94_vgpr95
.LBB108_339:
	ds_load_b64 v[94:95], v1
.LBB108_340:
	s_and_saveexec_b32 s17, s0
	s_cbranch_execz .LBB108_344
; %bb.341:
	v_add_nc_u32_e32 v96, -11, v0
	s_movk_i32 s18, 0x1c8
	s_mov_b32 s0, 0
.LBB108_342:                            ; =>This Inner Loop Header: Depth=1
	scratch_load_b64 v[98:99], off, s15
	v_dual_mov_b32 v97, s18 :: v_dual_add_nc_u32 v96, -1, v96
	s_add_co_i32 s18, s18, 8
	s_wait_xcnt 0x0
	s_add_co_i32 s15, s15, 8
	ds_load_b64 v[100:101], v97
	v_cmp_eq_u32_e32 vcc_lo, 0, v96
	s_or_b32 s0, vcc_lo, s0
	s_wait_loadcnt_dscnt 0x0
	v_pk_mul_f32 v[102:103], v[100:101], v[98:99] op_sel:[1,1] op_sel_hi:[0,1]
	s_delay_alu instid0(VALU_DEP_1) | instskip(SKIP_1) | instid1(VALU_DEP_2)
	v_pk_fma_f32 v[104:105], v[100:101], v[98:99], v[102:103] op_sel_hi:[1,0,1]
	v_pk_fma_f32 v[98:99], v[100:101], v[98:99], v[102:103] neg_lo:[0,0,1] neg_hi:[0,0,1]
	v_mov_b32_e32 v99, v105
	s_delay_alu instid0(VALU_DEP_1)
	v_pk_add_f32 v[94:95], v[94:95], v[98:99]
	s_and_not1_b32 exec_lo, exec_lo, s0
	s_cbranch_execnz .LBB108_342
; %bb.343:
	s_or_b32 exec_lo, exec_lo, s0
.LBB108_344:
	s_delay_alu instid0(SALU_CYCLE_1) | instskip(SKIP_4) | instid1(VALU_DEP_1)
	s_or_b32 exec_lo, exec_lo, s17
	v_mov_b32_e32 v96, 0
	ds_load_b64 v[96:97], v96 offset:80
	s_wait_dscnt 0x0
	v_pk_mul_f32 v[98:99], v[94:95], v[96:97] op_sel:[1,1] op_sel_hi:[0,1]
	v_pk_fma_f32 v[100:101], v[94:95], v[96:97], v[98:99] op_sel_hi:[1,0,1]
	v_pk_fma_f32 v[94:95], v[94:95], v[96:97], v[98:99] neg_lo:[0,0,1] neg_hi:[0,0,1]
	s_delay_alu instid0(VALU_DEP_2)
	v_mov_b32_e32 v95, v101
	scratch_store_b64 off, v[94:95], off offset:80
.LBB108_345:
	s_wait_xcnt 0x0
	s_or_b32 exec_lo, exec_lo, s16
	scratch_load_b64 v[94:95], off, off offset:72
	v_cmp_lt_u32_e64 s0, 9, v0
	s_wait_loadcnt 0x0
	ds_store_b64 v1, v[94:95]
	s_wait_storecnt_dscnt 0x0
	s_barrier_signal -1
	s_barrier_wait -1
	s_wait_xcnt 0x0
	s_and_saveexec_b32 s15, s0
	s_cbranch_execz .LBB108_355
; %bb.346:
	s_and_not1_b32 vcc_lo, exec_lo, s5
	s_cbranch_vccnz .LBB108_348
; %bb.347:
	scratch_load_b64 v[94:95], v59, off
	ds_load_b64 v[96:97], v1
	s_wait_loadcnt_dscnt 0x0
	v_pk_mul_f32 v[98:99], v[96:97], v[94:95] op_sel:[1,1] op_sel_hi:[0,1]
	s_delay_alu instid0(VALU_DEP_1) | instskip(SKIP_1) | instid1(VALU_DEP_2)
	v_pk_fma_f32 v[100:101], v[96:97], v[94:95], v[98:99] op_sel_hi:[1,0,1]
	v_pk_fma_f32 v[94:95], v[96:97], v[94:95], v[98:99] neg_lo:[0,0,1] neg_hi:[0,0,1]
	v_mov_b32_e32 v95, v101
	s_cbranch_execz .LBB108_349
	s_branch .LBB108_350
.LBB108_348:
                                        ; implicit-def: $vgpr94_vgpr95
.LBB108_349:
	ds_load_b64 v[94:95], v1
.LBB108_350:
	s_and_saveexec_b32 s16, s1
	s_cbranch_execz .LBB108_354
; %bb.351:
	v_add_nc_u32_e32 v96, -10, v0
	s_movk_i32 s17, 0x1c0
	s_mov_b32 s1, 0
.LBB108_352:                            ; =>This Inner Loop Header: Depth=1
	scratch_load_b64 v[98:99], off, s14
	v_dual_mov_b32 v97, s17 :: v_dual_add_nc_u32 v96, -1, v96
	s_add_co_i32 s17, s17, 8
	s_wait_xcnt 0x0
	s_add_co_i32 s14, s14, 8
	ds_load_b64 v[100:101], v97
	v_cmp_eq_u32_e32 vcc_lo, 0, v96
	s_or_b32 s1, vcc_lo, s1
	s_wait_loadcnt_dscnt 0x0
	v_pk_mul_f32 v[102:103], v[100:101], v[98:99] op_sel:[1,1] op_sel_hi:[0,1]
	s_delay_alu instid0(VALU_DEP_1) | instskip(SKIP_1) | instid1(VALU_DEP_2)
	v_pk_fma_f32 v[104:105], v[100:101], v[98:99], v[102:103] op_sel_hi:[1,0,1]
	v_pk_fma_f32 v[98:99], v[100:101], v[98:99], v[102:103] neg_lo:[0,0,1] neg_hi:[0,0,1]
	v_mov_b32_e32 v99, v105
	s_delay_alu instid0(VALU_DEP_1)
	v_pk_add_f32 v[94:95], v[94:95], v[98:99]
	s_and_not1_b32 exec_lo, exec_lo, s1
	s_cbranch_execnz .LBB108_352
; %bb.353:
	s_or_b32 exec_lo, exec_lo, s1
.LBB108_354:
	s_delay_alu instid0(SALU_CYCLE_1) | instskip(SKIP_4) | instid1(VALU_DEP_1)
	s_or_b32 exec_lo, exec_lo, s16
	v_mov_b32_e32 v96, 0
	ds_load_b64 v[96:97], v96 offset:72
	s_wait_dscnt 0x0
	v_pk_mul_f32 v[98:99], v[94:95], v[96:97] op_sel:[1,1] op_sel_hi:[0,1]
	v_pk_fma_f32 v[100:101], v[94:95], v[96:97], v[98:99] op_sel_hi:[1,0,1]
	v_pk_fma_f32 v[94:95], v[94:95], v[96:97], v[98:99] neg_lo:[0,0,1] neg_hi:[0,0,1]
	s_delay_alu instid0(VALU_DEP_2)
	v_mov_b32_e32 v95, v101
	scratch_store_b64 off, v[94:95], off offset:72
.LBB108_355:
	s_wait_xcnt 0x0
	s_or_b32 exec_lo, exec_lo, s15
	scratch_load_b64 v[94:95], off, off offset:64
	v_cmp_lt_u32_e64 s1, 8, v0
	s_wait_loadcnt 0x0
	ds_store_b64 v1, v[94:95]
	s_wait_storecnt_dscnt 0x0
	s_barrier_signal -1
	s_barrier_wait -1
	s_wait_xcnt 0x0
	s_and_saveexec_b32 s14, s1
	s_cbranch_execz .LBB108_365
; %bb.356:
	s_and_not1_b32 vcc_lo, exec_lo, s5
	s_cbranch_vccnz .LBB108_358
; %bb.357:
	scratch_load_b64 v[94:95], v59, off
	ds_load_b64 v[96:97], v1
	s_wait_loadcnt_dscnt 0x0
	v_pk_mul_f32 v[98:99], v[96:97], v[94:95] op_sel:[1,1] op_sel_hi:[0,1]
	s_delay_alu instid0(VALU_DEP_1) | instskip(SKIP_1) | instid1(VALU_DEP_2)
	v_pk_fma_f32 v[100:101], v[96:97], v[94:95], v[98:99] op_sel_hi:[1,0,1]
	v_pk_fma_f32 v[94:95], v[96:97], v[94:95], v[98:99] neg_lo:[0,0,1] neg_hi:[0,0,1]
	v_mov_b32_e32 v95, v101
	s_cbranch_execz .LBB108_359
	s_branch .LBB108_360
.LBB108_358:
                                        ; implicit-def: $vgpr94_vgpr95
.LBB108_359:
	ds_load_b64 v[94:95], v1
.LBB108_360:
	s_and_saveexec_b32 s15, s0
	s_cbranch_execz .LBB108_364
; %bb.361:
	v_add_nc_u32_e32 v96, -9, v0
	s_movk_i32 s16, 0x1b8
	s_mov_b32 s0, 0
.LBB108_362:                            ; =>This Inner Loop Header: Depth=1
	scratch_load_b64 v[98:99], off, s13
	v_dual_mov_b32 v97, s16 :: v_dual_add_nc_u32 v96, -1, v96
	s_add_co_i32 s16, s16, 8
	s_wait_xcnt 0x0
	s_add_co_i32 s13, s13, 8
	ds_load_b64 v[100:101], v97
	v_cmp_eq_u32_e32 vcc_lo, 0, v96
	s_or_b32 s0, vcc_lo, s0
	s_wait_loadcnt_dscnt 0x0
	v_pk_mul_f32 v[102:103], v[100:101], v[98:99] op_sel:[1,1] op_sel_hi:[0,1]
	s_delay_alu instid0(VALU_DEP_1) | instskip(SKIP_1) | instid1(VALU_DEP_2)
	v_pk_fma_f32 v[104:105], v[100:101], v[98:99], v[102:103] op_sel_hi:[1,0,1]
	v_pk_fma_f32 v[98:99], v[100:101], v[98:99], v[102:103] neg_lo:[0,0,1] neg_hi:[0,0,1]
	v_mov_b32_e32 v99, v105
	s_delay_alu instid0(VALU_DEP_1)
	v_pk_add_f32 v[94:95], v[94:95], v[98:99]
	s_and_not1_b32 exec_lo, exec_lo, s0
	s_cbranch_execnz .LBB108_362
; %bb.363:
	s_or_b32 exec_lo, exec_lo, s0
.LBB108_364:
	s_delay_alu instid0(SALU_CYCLE_1) | instskip(SKIP_4) | instid1(VALU_DEP_1)
	s_or_b32 exec_lo, exec_lo, s15
	v_mov_b32_e32 v96, 0
	ds_load_b64 v[96:97], v96 offset:64
	s_wait_dscnt 0x0
	v_pk_mul_f32 v[98:99], v[94:95], v[96:97] op_sel:[1,1] op_sel_hi:[0,1]
	v_pk_fma_f32 v[100:101], v[94:95], v[96:97], v[98:99] op_sel_hi:[1,0,1]
	v_pk_fma_f32 v[94:95], v[94:95], v[96:97], v[98:99] neg_lo:[0,0,1] neg_hi:[0,0,1]
	s_delay_alu instid0(VALU_DEP_2)
	v_mov_b32_e32 v95, v101
	scratch_store_b64 off, v[94:95], off offset:64
.LBB108_365:
	s_wait_xcnt 0x0
	s_or_b32 exec_lo, exec_lo, s14
	scratch_load_b64 v[94:95], off, off offset:56
	v_cmp_lt_u32_e64 s0, 7, v0
	s_wait_loadcnt 0x0
	ds_store_b64 v1, v[94:95]
	s_wait_storecnt_dscnt 0x0
	s_barrier_signal -1
	s_barrier_wait -1
	s_wait_xcnt 0x0
	s_and_saveexec_b32 s13, s0
	s_cbranch_execz .LBB108_375
; %bb.366:
	s_and_not1_b32 vcc_lo, exec_lo, s5
	s_cbranch_vccnz .LBB108_368
; %bb.367:
	scratch_load_b64 v[94:95], v59, off
	ds_load_b64 v[96:97], v1
	s_wait_loadcnt_dscnt 0x0
	v_pk_mul_f32 v[98:99], v[96:97], v[94:95] op_sel:[1,1] op_sel_hi:[0,1]
	s_delay_alu instid0(VALU_DEP_1) | instskip(SKIP_1) | instid1(VALU_DEP_2)
	v_pk_fma_f32 v[100:101], v[96:97], v[94:95], v[98:99] op_sel_hi:[1,0,1]
	v_pk_fma_f32 v[94:95], v[96:97], v[94:95], v[98:99] neg_lo:[0,0,1] neg_hi:[0,0,1]
	v_mov_b32_e32 v95, v101
	s_cbranch_execz .LBB108_369
	s_branch .LBB108_370
.LBB108_368:
                                        ; implicit-def: $vgpr94_vgpr95
.LBB108_369:
	ds_load_b64 v[94:95], v1
.LBB108_370:
	s_and_saveexec_b32 s14, s1
	s_cbranch_execz .LBB108_374
; %bb.371:
	v_add_nc_u32_e32 v96, -8, v0
	s_movk_i32 s15, 0x1b0
	s_mov_b32 s1, 0
.LBB108_372:                            ; =>This Inner Loop Header: Depth=1
	scratch_load_b64 v[98:99], off, s12
	v_dual_mov_b32 v97, s15 :: v_dual_add_nc_u32 v96, -1, v96
	s_add_co_i32 s15, s15, 8
	s_wait_xcnt 0x0
	s_add_co_i32 s12, s12, 8
	ds_load_b64 v[100:101], v97
	v_cmp_eq_u32_e32 vcc_lo, 0, v96
	s_or_b32 s1, vcc_lo, s1
	s_wait_loadcnt_dscnt 0x0
	v_pk_mul_f32 v[102:103], v[100:101], v[98:99] op_sel:[1,1] op_sel_hi:[0,1]
	s_delay_alu instid0(VALU_DEP_1) | instskip(SKIP_1) | instid1(VALU_DEP_2)
	v_pk_fma_f32 v[104:105], v[100:101], v[98:99], v[102:103] op_sel_hi:[1,0,1]
	v_pk_fma_f32 v[98:99], v[100:101], v[98:99], v[102:103] neg_lo:[0,0,1] neg_hi:[0,0,1]
	v_mov_b32_e32 v99, v105
	s_delay_alu instid0(VALU_DEP_1)
	v_pk_add_f32 v[94:95], v[94:95], v[98:99]
	s_and_not1_b32 exec_lo, exec_lo, s1
	s_cbranch_execnz .LBB108_372
; %bb.373:
	s_or_b32 exec_lo, exec_lo, s1
.LBB108_374:
	s_delay_alu instid0(SALU_CYCLE_1) | instskip(SKIP_4) | instid1(VALU_DEP_1)
	s_or_b32 exec_lo, exec_lo, s14
	v_mov_b32_e32 v96, 0
	ds_load_b64 v[96:97], v96 offset:56
	s_wait_dscnt 0x0
	v_pk_mul_f32 v[98:99], v[94:95], v[96:97] op_sel:[1,1] op_sel_hi:[0,1]
	v_pk_fma_f32 v[100:101], v[94:95], v[96:97], v[98:99] op_sel_hi:[1,0,1]
	v_pk_fma_f32 v[94:95], v[94:95], v[96:97], v[98:99] neg_lo:[0,0,1] neg_hi:[0,0,1]
	s_delay_alu instid0(VALU_DEP_2)
	v_mov_b32_e32 v95, v101
	scratch_store_b64 off, v[94:95], off offset:56
.LBB108_375:
	s_wait_xcnt 0x0
	s_or_b32 exec_lo, exec_lo, s13
	scratch_load_b64 v[94:95], off, off offset:48
	v_cmp_lt_u32_e64 s1, 6, v0
	s_wait_loadcnt 0x0
	ds_store_b64 v1, v[94:95]
	s_wait_storecnt_dscnt 0x0
	s_barrier_signal -1
	s_barrier_wait -1
	s_wait_xcnt 0x0
	s_and_saveexec_b32 s12, s1
	s_cbranch_execz .LBB108_385
; %bb.376:
	s_and_not1_b32 vcc_lo, exec_lo, s5
	s_cbranch_vccnz .LBB108_378
; %bb.377:
	scratch_load_b64 v[94:95], v59, off
	ds_load_b64 v[96:97], v1
	s_wait_loadcnt_dscnt 0x0
	v_pk_mul_f32 v[98:99], v[96:97], v[94:95] op_sel:[1,1] op_sel_hi:[0,1]
	s_delay_alu instid0(VALU_DEP_1) | instskip(SKIP_1) | instid1(VALU_DEP_2)
	v_pk_fma_f32 v[100:101], v[96:97], v[94:95], v[98:99] op_sel_hi:[1,0,1]
	v_pk_fma_f32 v[94:95], v[96:97], v[94:95], v[98:99] neg_lo:[0,0,1] neg_hi:[0,0,1]
	v_mov_b32_e32 v95, v101
	s_cbranch_execz .LBB108_379
	s_branch .LBB108_380
.LBB108_378:
                                        ; implicit-def: $vgpr94_vgpr95
.LBB108_379:
	ds_load_b64 v[94:95], v1
.LBB108_380:
	s_and_saveexec_b32 s13, s0
	s_cbranch_execz .LBB108_384
; %bb.381:
	v_add_nc_u32_e32 v96, -7, v0
	s_movk_i32 s14, 0x1a8
	s_mov_b32 s0, 0
.LBB108_382:                            ; =>This Inner Loop Header: Depth=1
	scratch_load_b64 v[98:99], off, s11
	v_dual_mov_b32 v97, s14 :: v_dual_add_nc_u32 v96, -1, v96
	s_add_co_i32 s14, s14, 8
	s_wait_xcnt 0x0
	s_add_co_i32 s11, s11, 8
	ds_load_b64 v[100:101], v97
	v_cmp_eq_u32_e32 vcc_lo, 0, v96
	s_or_b32 s0, vcc_lo, s0
	s_wait_loadcnt_dscnt 0x0
	v_pk_mul_f32 v[102:103], v[100:101], v[98:99] op_sel:[1,1] op_sel_hi:[0,1]
	s_delay_alu instid0(VALU_DEP_1) | instskip(SKIP_1) | instid1(VALU_DEP_2)
	v_pk_fma_f32 v[104:105], v[100:101], v[98:99], v[102:103] op_sel_hi:[1,0,1]
	v_pk_fma_f32 v[98:99], v[100:101], v[98:99], v[102:103] neg_lo:[0,0,1] neg_hi:[0,0,1]
	v_mov_b32_e32 v99, v105
	s_delay_alu instid0(VALU_DEP_1)
	v_pk_add_f32 v[94:95], v[94:95], v[98:99]
	s_and_not1_b32 exec_lo, exec_lo, s0
	s_cbranch_execnz .LBB108_382
; %bb.383:
	s_or_b32 exec_lo, exec_lo, s0
.LBB108_384:
	s_delay_alu instid0(SALU_CYCLE_1) | instskip(SKIP_4) | instid1(VALU_DEP_1)
	s_or_b32 exec_lo, exec_lo, s13
	v_mov_b32_e32 v96, 0
	ds_load_b64 v[96:97], v96 offset:48
	s_wait_dscnt 0x0
	v_pk_mul_f32 v[98:99], v[94:95], v[96:97] op_sel:[1,1] op_sel_hi:[0,1]
	v_pk_fma_f32 v[100:101], v[94:95], v[96:97], v[98:99] op_sel_hi:[1,0,1]
	v_pk_fma_f32 v[94:95], v[94:95], v[96:97], v[98:99] neg_lo:[0,0,1] neg_hi:[0,0,1]
	s_delay_alu instid0(VALU_DEP_2)
	v_mov_b32_e32 v95, v101
	scratch_store_b64 off, v[94:95], off offset:48
.LBB108_385:
	s_wait_xcnt 0x0
	s_or_b32 exec_lo, exec_lo, s12
	scratch_load_b64 v[94:95], off, off offset:40
	v_cmp_lt_u32_e64 s0, 5, v0
	s_wait_loadcnt 0x0
	ds_store_b64 v1, v[94:95]
	s_wait_storecnt_dscnt 0x0
	s_barrier_signal -1
	s_barrier_wait -1
	s_wait_xcnt 0x0
	s_and_saveexec_b32 s11, s0
	s_cbranch_execz .LBB108_395
; %bb.386:
	s_and_not1_b32 vcc_lo, exec_lo, s5
	s_cbranch_vccnz .LBB108_388
; %bb.387:
	scratch_load_b64 v[94:95], v59, off
	ds_load_b64 v[96:97], v1
	s_wait_loadcnt_dscnt 0x0
	v_pk_mul_f32 v[98:99], v[96:97], v[94:95] op_sel:[1,1] op_sel_hi:[0,1]
	s_delay_alu instid0(VALU_DEP_1) | instskip(SKIP_1) | instid1(VALU_DEP_2)
	v_pk_fma_f32 v[100:101], v[96:97], v[94:95], v[98:99] op_sel_hi:[1,0,1]
	v_pk_fma_f32 v[94:95], v[96:97], v[94:95], v[98:99] neg_lo:[0,0,1] neg_hi:[0,0,1]
	v_mov_b32_e32 v95, v101
	s_cbranch_execz .LBB108_389
	s_branch .LBB108_390
.LBB108_388:
                                        ; implicit-def: $vgpr94_vgpr95
.LBB108_389:
	ds_load_b64 v[94:95], v1
.LBB108_390:
	s_and_saveexec_b32 s12, s1
	s_cbranch_execz .LBB108_394
; %bb.391:
	v_add_nc_u32_e32 v96, -6, v0
	s_movk_i32 s13, 0x1a0
	s_mov_b32 s1, 0
.LBB108_392:                            ; =>This Inner Loop Header: Depth=1
	scratch_load_b64 v[98:99], off, s10
	v_dual_mov_b32 v97, s13 :: v_dual_add_nc_u32 v96, -1, v96
	s_add_co_i32 s13, s13, 8
	s_wait_xcnt 0x0
	s_add_co_i32 s10, s10, 8
	ds_load_b64 v[100:101], v97
	v_cmp_eq_u32_e32 vcc_lo, 0, v96
	s_or_b32 s1, vcc_lo, s1
	s_wait_loadcnt_dscnt 0x0
	v_pk_mul_f32 v[102:103], v[100:101], v[98:99] op_sel:[1,1] op_sel_hi:[0,1]
	s_delay_alu instid0(VALU_DEP_1) | instskip(SKIP_1) | instid1(VALU_DEP_2)
	v_pk_fma_f32 v[104:105], v[100:101], v[98:99], v[102:103] op_sel_hi:[1,0,1]
	v_pk_fma_f32 v[98:99], v[100:101], v[98:99], v[102:103] neg_lo:[0,0,1] neg_hi:[0,0,1]
	v_mov_b32_e32 v99, v105
	s_delay_alu instid0(VALU_DEP_1)
	v_pk_add_f32 v[94:95], v[94:95], v[98:99]
	s_and_not1_b32 exec_lo, exec_lo, s1
	s_cbranch_execnz .LBB108_392
; %bb.393:
	s_or_b32 exec_lo, exec_lo, s1
.LBB108_394:
	s_delay_alu instid0(SALU_CYCLE_1) | instskip(SKIP_4) | instid1(VALU_DEP_1)
	s_or_b32 exec_lo, exec_lo, s12
	v_mov_b32_e32 v96, 0
	ds_load_b64 v[96:97], v96 offset:40
	s_wait_dscnt 0x0
	v_pk_mul_f32 v[98:99], v[94:95], v[96:97] op_sel:[1,1] op_sel_hi:[0,1]
	v_pk_fma_f32 v[100:101], v[94:95], v[96:97], v[98:99] op_sel_hi:[1,0,1]
	v_pk_fma_f32 v[94:95], v[94:95], v[96:97], v[98:99] neg_lo:[0,0,1] neg_hi:[0,0,1]
	s_delay_alu instid0(VALU_DEP_2)
	v_mov_b32_e32 v95, v101
	scratch_store_b64 off, v[94:95], off offset:40
.LBB108_395:
	s_wait_xcnt 0x0
	s_or_b32 exec_lo, exec_lo, s11
	scratch_load_b64 v[94:95], off, off offset:32
	v_cmp_lt_u32_e64 s1, 4, v0
	s_wait_loadcnt 0x0
	ds_store_b64 v1, v[94:95]
	s_wait_storecnt_dscnt 0x0
	s_barrier_signal -1
	s_barrier_wait -1
	s_wait_xcnt 0x0
	s_and_saveexec_b32 s10, s1
	s_cbranch_execz .LBB108_405
; %bb.396:
	s_and_not1_b32 vcc_lo, exec_lo, s5
	s_cbranch_vccnz .LBB108_398
; %bb.397:
	scratch_load_b64 v[94:95], v59, off
	ds_load_b64 v[96:97], v1
	s_wait_loadcnt_dscnt 0x0
	v_pk_mul_f32 v[98:99], v[96:97], v[94:95] op_sel:[1,1] op_sel_hi:[0,1]
	s_delay_alu instid0(VALU_DEP_1) | instskip(SKIP_1) | instid1(VALU_DEP_2)
	v_pk_fma_f32 v[100:101], v[96:97], v[94:95], v[98:99] op_sel_hi:[1,0,1]
	v_pk_fma_f32 v[94:95], v[96:97], v[94:95], v[98:99] neg_lo:[0,0,1] neg_hi:[0,0,1]
	v_mov_b32_e32 v95, v101
	s_cbranch_execz .LBB108_399
	s_branch .LBB108_400
.LBB108_398:
                                        ; implicit-def: $vgpr94_vgpr95
.LBB108_399:
	ds_load_b64 v[94:95], v1
.LBB108_400:
	s_and_saveexec_b32 s11, s0
	s_cbranch_execz .LBB108_404
; %bb.401:
	v_add_nc_u32_e32 v96, -5, v0
	s_movk_i32 s12, 0x198
	s_mov_b32 s0, 0
.LBB108_402:                            ; =>This Inner Loop Header: Depth=1
	scratch_load_b64 v[98:99], off, s9
	v_dual_mov_b32 v97, s12 :: v_dual_add_nc_u32 v96, -1, v96
	s_add_co_i32 s12, s12, 8
	s_wait_xcnt 0x0
	s_add_co_i32 s9, s9, 8
	ds_load_b64 v[100:101], v97
	v_cmp_eq_u32_e32 vcc_lo, 0, v96
	s_or_b32 s0, vcc_lo, s0
	s_wait_loadcnt_dscnt 0x0
	v_pk_mul_f32 v[102:103], v[100:101], v[98:99] op_sel:[1,1] op_sel_hi:[0,1]
	s_delay_alu instid0(VALU_DEP_1) | instskip(SKIP_1) | instid1(VALU_DEP_2)
	v_pk_fma_f32 v[104:105], v[100:101], v[98:99], v[102:103] op_sel_hi:[1,0,1]
	v_pk_fma_f32 v[98:99], v[100:101], v[98:99], v[102:103] neg_lo:[0,0,1] neg_hi:[0,0,1]
	v_mov_b32_e32 v99, v105
	s_delay_alu instid0(VALU_DEP_1)
	v_pk_add_f32 v[94:95], v[94:95], v[98:99]
	s_and_not1_b32 exec_lo, exec_lo, s0
	s_cbranch_execnz .LBB108_402
; %bb.403:
	s_or_b32 exec_lo, exec_lo, s0
.LBB108_404:
	s_delay_alu instid0(SALU_CYCLE_1) | instskip(SKIP_4) | instid1(VALU_DEP_1)
	s_or_b32 exec_lo, exec_lo, s11
	v_mov_b32_e32 v96, 0
	ds_load_b64 v[96:97], v96 offset:32
	s_wait_dscnt 0x0
	v_pk_mul_f32 v[98:99], v[94:95], v[96:97] op_sel:[1,1] op_sel_hi:[0,1]
	v_pk_fma_f32 v[100:101], v[94:95], v[96:97], v[98:99] op_sel_hi:[1,0,1]
	v_pk_fma_f32 v[94:95], v[94:95], v[96:97], v[98:99] neg_lo:[0,0,1] neg_hi:[0,0,1]
	s_delay_alu instid0(VALU_DEP_2)
	v_mov_b32_e32 v95, v101
	scratch_store_b64 off, v[94:95], off offset:32
.LBB108_405:
	s_wait_xcnt 0x0
	s_or_b32 exec_lo, exec_lo, s10
	scratch_load_b64 v[94:95], off, off offset:24
	v_cmp_lt_u32_e64 s0, 3, v0
	s_wait_loadcnt 0x0
	ds_store_b64 v1, v[94:95]
	s_wait_storecnt_dscnt 0x0
	s_barrier_signal -1
	s_barrier_wait -1
	s_wait_xcnt 0x0
	s_and_saveexec_b32 s9, s0
	s_cbranch_execz .LBB108_415
; %bb.406:
	s_and_not1_b32 vcc_lo, exec_lo, s5
	s_cbranch_vccnz .LBB108_408
; %bb.407:
	scratch_load_b64 v[94:95], v59, off
	ds_load_b64 v[96:97], v1
	s_wait_loadcnt_dscnt 0x0
	v_pk_mul_f32 v[98:99], v[96:97], v[94:95] op_sel:[1,1] op_sel_hi:[0,1]
	s_delay_alu instid0(VALU_DEP_1) | instskip(SKIP_1) | instid1(VALU_DEP_2)
	v_pk_fma_f32 v[100:101], v[96:97], v[94:95], v[98:99] op_sel_hi:[1,0,1]
	v_pk_fma_f32 v[94:95], v[96:97], v[94:95], v[98:99] neg_lo:[0,0,1] neg_hi:[0,0,1]
	v_mov_b32_e32 v95, v101
	s_cbranch_execz .LBB108_409
	s_branch .LBB108_410
.LBB108_408:
                                        ; implicit-def: $vgpr94_vgpr95
.LBB108_409:
	ds_load_b64 v[94:95], v1
.LBB108_410:
	s_and_saveexec_b32 s10, s1
	s_cbranch_execz .LBB108_414
; %bb.411:
	v_add_nc_u32_e32 v96, -4, v0
	s_movk_i32 s11, 0x190
	s_mov_b32 s1, 0
.LBB108_412:                            ; =>This Inner Loop Header: Depth=1
	scratch_load_b64 v[98:99], off, s8
	v_dual_mov_b32 v97, s11 :: v_dual_add_nc_u32 v96, -1, v96
	s_add_co_i32 s11, s11, 8
	s_wait_xcnt 0x0
	s_add_co_i32 s8, s8, 8
	ds_load_b64 v[100:101], v97
	v_cmp_eq_u32_e32 vcc_lo, 0, v96
	s_or_b32 s1, vcc_lo, s1
	s_wait_loadcnt_dscnt 0x0
	v_pk_mul_f32 v[102:103], v[100:101], v[98:99] op_sel:[1,1] op_sel_hi:[0,1]
	s_delay_alu instid0(VALU_DEP_1) | instskip(SKIP_1) | instid1(VALU_DEP_2)
	v_pk_fma_f32 v[104:105], v[100:101], v[98:99], v[102:103] op_sel_hi:[1,0,1]
	v_pk_fma_f32 v[98:99], v[100:101], v[98:99], v[102:103] neg_lo:[0,0,1] neg_hi:[0,0,1]
	v_mov_b32_e32 v99, v105
	s_delay_alu instid0(VALU_DEP_1)
	v_pk_add_f32 v[94:95], v[94:95], v[98:99]
	s_and_not1_b32 exec_lo, exec_lo, s1
	s_cbranch_execnz .LBB108_412
; %bb.413:
	s_or_b32 exec_lo, exec_lo, s1
.LBB108_414:
	s_delay_alu instid0(SALU_CYCLE_1) | instskip(SKIP_4) | instid1(VALU_DEP_1)
	s_or_b32 exec_lo, exec_lo, s10
	v_mov_b32_e32 v96, 0
	ds_load_b64 v[96:97], v96 offset:24
	s_wait_dscnt 0x0
	v_pk_mul_f32 v[98:99], v[94:95], v[96:97] op_sel:[1,1] op_sel_hi:[0,1]
	v_pk_fma_f32 v[100:101], v[94:95], v[96:97], v[98:99] op_sel_hi:[1,0,1]
	v_pk_fma_f32 v[94:95], v[94:95], v[96:97], v[98:99] neg_lo:[0,0,1] neg_hi:[0,0,1]
	s_delay_alu instid0(VALU_DEP_2)
	v_mov_b32_e32 v95, v101
	scratch_store_b64 off, v[94:95], off offset:24
.LBB108_415:
	s_wait_xcnt 0x0
	s_or_b32 exec_lo, exec_lo, s9
	scratch_load_b64 v[94:95], off, off offset:16
	v_cmp_lt_u32_e64 s1, 2, v0
	s_wait_loadcnt 0x0
	ds_store_b64 v1, v[94:95]
	s_wait_storecnt_dscnt 0x0
	s_barrier_signal -1
	s_barrier_wait -1
	s_wait_xcnt 0x0
	s_and_saveexec_b32 s8, s1
	s_cbranch_execz .LBB108_425
; %bb.416:
	s_and_not1_b32 vcc_lo, exec_lo, s5
	s_cbranch_vccnz .LBB108_418
; %bb.417:
	scratch_load_b64 v[94:95], v59, off
	ds_load_b64 v[96:97], v1
	s_wait_loadcnt_dscnt 0x0
	v_pk_mul_f32 v[98:99], v[96:97], v[94:95] op_sel:[1,1] op_sel_hi:[0,1]
	s_delay_alu instid0(VALU_DEP_1) | instskip(SKIP_1) | instid1(VALU_DEP_2)
	v_pk_fma_f32 v[100:101], v[96:97], v[94:95], v[98:99] op_sel_hi:[1,0,1]
	v_pk_fma_f32 v[94:95], v[96:97], v[94:95], v[98:99] neg_lo:[0,0,1] neg_hi:[0,0,1]
	v_mov_b32_e32 v95, v101
	s_cbranch_execz .LBB108_419
	s_branch .LBB108_420
.LBB108_418:
                                        ; implicit-def: $vgpr94_vgpr95
.LBB108_419:
	ds_load_b64 v[94:95], v1
.LBB108_420:
	s_and_saveexec_b32 s9, s0
	s_cbranch_execz .LBB108_424
; %bb.421:
	v_add_nc_u32_e32 v96, -3, v0
	s_movk_i32 s10, 0x188
	s_mov_b32 s0, 0
.LBB108_422:                            ; =>This Inner Loop Header: Depth=1
	scratch_load_b64 v[98:99], off, s7
	v_dual_mov_b32 v97, s10 :: v_dual_add_nc_u32 v96, -1, v96
	s_add_co_i32 s10, s10, 8
	s_wait_xcnt 0x0
	s_add_co_i32 s7, s7, 8
	ds_load_b64 v[100:101], v97
	v_cmp_eq_u32_e32 vcc_lo, 0, v96
	s_or_b32 s0, vcc_lo, s0
	s_wait_loadcnt_dscnt 0x0
	v_pk_mul_f32 v[102:103], v[100:101], v[98:99] op_sel:[1,1] op_sel_hi:[0,1]
	s_delay_alu instid0(VALU_DEP_1) | instskip(SKIP_1) | instid1(VALU_DEP_2)
	v_pk_fma_f32 v[104:105], v[100:101], v[98:99], v[102:103] op_sel_hi:[1,0,1]
	v_pk_fma_f32 v[98:99], v[100:101], v[98:99], v[102:103] neg_lo:[0,0,1] neg_hi:[0,0,1]
	v_mov_b32_e32 v99, v105
	s_delay_alu instid0(VALU_DEP_1)
	v_pk_add_f32 v[94:95], v[94:95], v[98:99]
	s_and_not1_b32 exec_lo, exec_lo, s0
	s_cbranch_execnz .LBB108_422
; %bb.423:
	s_or_b32 exec_lo, exec_lo, s0
.LBB108_424:
	s_delay_alu instid0(SALU_CYCLE_1) | instskip(SKIP_4) | instid1(VALU_DEP_1)
	s_or_b32 exec_lo, exec_lo, s9
	v_mov_b32_e32 v96, 0
	ds_load_b64 v[96:97], v96 offset:16
	s_wait_dscnt 0x0
	v_pk_mul_f32 v[98:99], v[94:95], v[96:97] op_sel:[1,1] op_sel_hi:[0,1]
	v_pk_fma_f32 v[100:101], v[94:95], v[96:97], v[98:99] op_sel_hi:[1,0,1]
	v_pk_fma_f32 v[94:95], v[94:95], v[96:97], v[98:99] neg_lo:[0,0,1] neg_hi:[0,0,1]
	s_delay_alu instid0(VALU_DEP_2)
	v_mov_b32_e32 v95, v101
	scratch_store_b64 off, v[94:95], off offset:16
.LBB108_425:
	s_wait_xcnt 0x0
	s_or_b32 exec_lo, exec_lo, s8
	scratch_load_b64 v[94:95], off, off offset:8
	v_cmp_lt_u32_e64 s0, 1, v0
	s_wait_loadcnt 0x0
	ds_store_b64 v1, v[94:95]
	s_wait_storecnt_dscnt 0x0
	s_barrier_signal -1
	s_barrier_wait -1
	s_wait_xcnt 0x0
	s_and_saveexec_b32 s7, s0
	s_cbranch_execz .LBB108_435
; %bb.426:
	s_and_not1_b32 vcc_lo, exec_lo, s5
	s_cbranch_vccnz .LBB108_428
; %bb.427:
	scratch_load_b64 v[94:95], v59, off
	ds_load_b64 v[96:97], v1
	s_wait_loadcnt_dscnt 0x0
	v_pk_mul_f32 v[98:99], v[96:97], v[94:95] op_sel:[1,1] op_sel_hi:[0,1]
	s_delay_alu instid0(VALU_DEP_1) | instskip(SKIP_1) | instid1(VALU_DEP_2)
	v_pk_fma_f32 v[100:101], v[96:97], v[94:95], v[98:99] op_sel_hi:[1,0,1]
	v_pk_fma_f32 v[94:95], v[96:97], v[94:95], v[98:99] neg_lo:[0,0,1] neg_hi:[0,0,1]
	v_mov_b32_e32 v95, v101
	s_cbranch_execz .LBB108_429
	s_branch .LBB108_430
.LBB108_428:
                                        ; implicit-def: $vgpr94_vgpr95
.LBB108_429:
	ds_load_b64 v[94:95], v1
.LBB108_430:
	s_and_saveexec_b32 s8, s1
	s_cbranch_execz .LBB108_434
; %bb.431:
	v_add_nc_u32_e32 v96, -2, v0
	s_movk_i32 s9, 0x180
	s_mov_b32 s1, 0
.LBB108_432:                            ; =>This Inner Loop Header: Depth=1
	scratch_load_b64 v[98:99], off, s6
	v_dual_mov_b32 v97, s9 :: v_dual_add_nc_u32 v96, -1, v96
	s_add_co_i32 s9, s9, 8
	s_wait_xcnt 0x0
	s_add_co_i32 s6, s6, 8
	ds_load_b64 v[100:101], v97
	v_cmp_eq_u32_e32 vcc_lo, 0, v96
	s_or_b32 s1, vcc_lo, s1
	s_wait_loadcnt_dscnt 0x0
	v_pk_mul_f32 v[102:103], v[100:101], v[98:99] op_sel:[1,1] op_sel_hi:[0,1]
	s_delay_alu instid0(VALU_DEP_1) | instskip(SKIP_1) | instid1(VALU_DEP_2)
	v_pk_fma_f32 v[104:105], v[100:101], v[98:99], v[102:103] op_sel_hi:[1,0,1]
	v_pk_fma_f32 v[98:99], v[100:101], v[98:99], v[102:103] neg_lo:[0,0,1] neg_hi:[0,0,1]
	v_mov_b32_e32 v99, v105
	s_delay_alu instid0(VALU_DEP_1)
	v_pk_add_f32 v[94:95], v[94:95], v[98:99]
	s_and_not1_b32 exec_lo, exec_lo, s1
	s_cbranch_execnz .LBB108_432
; %bb.433:
	s_or_b32 exec_lo, exec_lo, s1
.LBB108_434:
	s_delay_alu instid0(SALU_CYCLE_1) | instskip(SKIP_4) | instid1(VALU_DEP_1)
	s_or_b32 exec_lo, exec_lo, s8
	v_mov_b32_e32 v96, 0
	ds_load_b64 v[96:97], v96 offset:8
	s_wait_dscnt 0x0
	v_pk_mul_f32 v[98:99], v[94:95], v[96:97] op_sel:[1,1] op_sel_hi:[0,1]
	v_pk_fma_f32 v[100:101], v[94:95], v[96:97], v[98:99] op_sel_hi:[1,0,1]
	v_pk_fma_f32 v[94:95], v[94:95], v[96:97], v[98:99] neg_lo:[0,0,1] neg_hi:[0,0,1]
	s_delay_alu instid0(VALU_DEP_2)
	v_mov_b32_e32 v95, v101
	scratch_store_b64 off, v[94:95], off offset:8
.LBB108_435:
	s_wait_xcnt 0x0
	s_or_b32 exec_lo, exec_lo, s7
	scratch_load_b64 v[94:95], off, off
	s_mov_b32 s6, 0
	s_mov_b32 s1, 0
	s_mov_b32 s8, exec_lo
                                        ; implicit-def: $vgpr134
                                        ; implicit-def: $sgpr7
	s_wait_loadcnt 0x0
	ds_store_b64 v1, v[94:95]
	s_wait_storecnt_dscnt 0x0
	s_barrier_signal -1
	s_barrier_wait -1
	s_wait_xcnt 0x0
	v_cmpx_ne_u32_e32 0, v0
	s_cbranch_execz .LBB108_445
; %bb.436:
	s_and_not1_b32 vcc_lo, exec_lo, s5
	s_cbranch_vccnz .LBB108_438
; %bb.437:
	scratch_load_b64 v[96:97], v59, off
	ds_load_b64 v[98:99], v1
	s_wait_loadcnt_dscnt 0x0
	v_dual_mul_f32 v94, v99, v97 :: v_dual_mul_f32 v95, v98, v97
	s_delay_alu instid0(VALU_DEP_1)
	v_dual_fma_f32 v94, v98, v96, -v94 :: v_dual_fmac_f32 v95, v99, v96
	s_and_not1_b32 vcc_lo, exec_lo, s1
	s_cbranch_vccz .LBB108_439
	s_branch .LBB108_440
.LBB108_438:
                                        ; implicit-def: $vgpr94
.LBB108_439:
	ds_load_b64 v[94:95], v1
.LBB108_440:
	s_and_saveexec_b32 s1, s0
	s_cbranch_execz .LBB108_444
; %bb.441:
	v_add_nc_u32_e32 v96, -1, v0
	s_movk_i32 s7, 0x178
	s_mov_b32 s0, 0
.LBB108_442:                            ; =>This Inner Loop Header: Depth=1
	scratch_load_b64 v[98:99], off, s4
	v_mov_b32_e32 v97, s7
	s_add_co_i32 s7, s7, 8
	s_wait_xcnt 0x0
	s_add_co_i32 s4, s4, 8
	v_add_nc_u32_e32 v96, -1, v96
	ds_load_b64 v[100:101], v97
	v_cmp_eq_u32_e32 vcc_lo, 0, v96
	s_or_b32 s0, vcc_lo, s0
	s_wait_loadcnt_dscnt 0x0
	v_dual_mul_f32 v97, v101, v99 :: v_dual_mul_f32 v99, v100, v99
	s_delay_alu instid0(VALU_DEP_1) | instskip(NEXT) | instid1(VALU_DEP_1)
	v_dual_fma_f32 v97, v100, v98, -v97 :: v_dual_fmac_f32 v99, v101, v98
	v_dual_add_f32 v94, v94, v97 :: v_dual_add_f32 v95, v95, v99
	s_and_not1_b32 exec_lo, exec_lo, s0
	s_cbranch_execnz .LBB108_442
; %bb.443:
	s_or_b32 exec_lo, exec_lo, s0
.LBB108_444:
	s_delay_alu instid0(SALU_CYCLE_1)
	s_or_b32 exec_lo, exec_lo, s1
	v_mov_b32_e32 v96, 0
	s_mov_b32 s1, exec_lo
	s_or_b32 s7, 0, 4
	ds_load_b64 v[96:97], v96
	s_wait_dscnt 0x0
	v_dual_mul_f32 v98, v95, v97 :: v_dual_mul_f32 v134, v94, v97
	s_delay_alu instid0(VALU_DEP_1) | instskip(NEXT) | instid1(VALU_DEP_2)
	v_fma_f32 v94, v94, v96, -v98
	v_fmac_f32_e32 v134, v95, v96
	scratch_store_b32 off, v94, off
.LBB108_445:
	s_wait_xcnt 0x0
	s_or_b32 exec_lo, exec_lo, s8
	s_delay_alu instid0(SALU_CYCLE_1)
	s_and_b32 vcc_lo, exec_lo, s6
	s_cbranch_vccz .LBB108_881
.LBB108_446:
	scratch_load_b64 v[94:95], off, off offset:8
	v_cmp_eq_u32_e64 s0, 0, v0
	s_wait_loadcnt 0x0
	ds_store_b64 v1, v[94:95]
	s_wait_storecnt_dscnt 0x0
	s_barrier_signal -1
	s_barrier_wait -1
	s_wait_xcnt 0x0
	s_and_saveexec_b32 s4, s0
	s_cbranch_execz .LBB108_452
; %bb.447:
	s_and_b32 vcc_lo, exec_lo, s5
	s_cbranch_vccz .LBB108_449
; %bb.448:
	scratch_load_b64 v[94:95], v59, off
	ds_load_b64 v[96:97], v1
	s_wait_loadcnt_dscnt 0x0
	v_pk_mul_f32 v[98:99], v[96:97], v[94:95] op_sel:[1,1] op_sel_hi:[0,1]
	v_pk_mul_f32 v[100:101], v[96:97], v[94:95] op_sel_hi:[1,0]
	s_delay_alu instid0(VALU_DEP_2) | instskip(NEXT) | instid1(VALU_DEP_2)
	v_pk_fma_f32 v[94:95], v[96:97], v[94:95], v[98:99] op_sel_hi:[1,0,1]
	v_sub_f32_e32 v94, v100, v98
	s_cbranch_execz .LBB108_450
	s_branch .LBB108_451
.LBB108_449:
                                        ; implicit-def: $vgpr95
.LBB108_450:
	ds_load_b64 v[94:95], v1
.LBB108_451:
	s_wait_dscnt 0x0
	v_dual_mov_b32 v96, 0 :: v_dual_mov_b32 v98, v95
	v_mov_b32_e32 v99, v94
	ds_load_b64 v[96:97], v96 offset:8
	s_wait_dscnt 0x0
	v_pk_mul_f32 v[98:99], v[98:99], v[96:97] op_sel:[0,1]
	s_delay_alu instid0(VALU_DEP_1) | instskip(SKIP_1) | instid1(VALU_DEP_2)
	v_pk_fma_f32 v[100:101], v[94:95], v[96:97], v[98:99] op_sel_hi:[1,0,1]
	v_pk_fma_f32 v[94:95], v[94:95], v[96:97], v[98:99] neg_lo:[0,0,1] neg_hi:[0,0,1]
	v_mov_b32_e32 v95, v101
	scratch_store_b64 off, v[94:95], off offset:8
.LBB108_452:
	s_wait_xcnt 0x0
	s_or_b32 exec_lo, exec_lo, s4
	scratch_load_b64 v[94:95], off, off offset:16
	v_cndmask_b32_e64 v96, 0, 1, s5
	s_mov_b32 s4, exec_lo
	s_wait_loadcnt 0x0
	ds_store_b64 v1, v[94:95]
	s_wait_storecnt_dscnt 0x0
	s_barrier_signal -1
	s_barrier_wait -1
	s_wait_xcnt 0x0
	v_cmpx_gt_u32_e32 2, v0
	s_cbranch_execz .LBB108_460
; %bb.453:
	s_and_not1_b32 vcc_lo, exec_lo, s5
	s_cbranch_vccnz .LBB108_455
; %bb.454:
	scratch_load_b64 v[94:95], v59, off
	ds_load_b64 v[98:99], v1
	s_wait_loadcnt_dscnt 0x0
	v_pk_mul_f32 v[100:101], v[98:99], v[94:95] op_sel:[1,1] op_sel_hi:[0,1]
	s_delay_alu instid0(VALU_DEP_1) | instskip(SKIP_1) | instid1(VALU_DEP_2)
	v_pk_fma_f32 v[102:103], v[98:99], v[94:95], v[100:101] op_sel_hi:[1,0,1]
	v_pk_fma_f32 v[94:95], v[98:99], v[94:95], v[100:101] neg_lo:[0,0,1] neg_hi:[0,0,1]
	v_mov_b32_e32 v95, v103
	s_cbranch_execz .LBB108_456
	s_branch .LBB108_457
.LBB108_455:
                                        ; implicit-def: $vgpr94_vgpr95
.LBB108_456:
	ds_load_b64 v[94:95], v1
.LBB108_457:
	s_and_saveexec_b32 s5, s0
	s_cbranch_execz .LBB108_459
; %bb.458:
	scratch_load_b64 v[98:99], off, off offset:8
	v_mov_b32_e32 v97, 0
	ds_load_b64 v[100:101], v97 offset:376
	s_wait_loadcnt_dscnt 0x0
	v_pk_mul_f32 v[102:103], v[100:101], v[98:99] op_sel:[1,1] op_sel_hi:[0,1]
	s_delay_alu instid0(VALU_DEP_1) | instskip(SKIP_1) | instid1(VALU_DEP_2)
	v_pk_fma_f32 v[104:105], v[100:101], v[98:99], v[102:103] op_sel_hi:[1,0,1]
	v_pk_fma_f32 v[98:99], v[100:101], v[98:99], v[102:103] neg_lo:[0,0,1] neg_hi:[0,0,1]
	v_mov_b32_e32 v99, v105
	s_delay_alu instid0(VALU_DEP_1)
	v_pk_add_f32 v[94:95], v[94:95], v[98:99]
.LBB108_459:
	s_or_b32 exec_lo, exec_lo, s5
	v_mov_b32_e32 v97, 0
	ds_load_b64 v[98:99], v97 offset:16
	s_wait_dscnt 0x0
	v_pk_mul_f32 v[100:101], v[94:95], v[98:99] op_sel:[1,1] op_sel_hi:[0,1]
	s_delay_alu instid0(VALU_DEP_1) | instskip(SKIP_1) | instid1(VALU_DEP_2)
	v_pk_fma_f32 v[102:103], v[94:95], v[98:99], v[100:101] op_sel_hi:[1,0,1]
	v_pk_fma_f32 v[94:95], v[94:95], v[98:99], v[100:101] neg_lo:[0,0,1] neg_hi:[0,0,1]
	v_mov_b32_e32 v95, v103
	scratch_store_b64 off, v[94:95], off offset:16
.LBB108_460:
	s_wait_xcnt 0x0
	s_or_b32 exec_lo, exec_lo, s4
	scratch_load_b64 v[94:95], off, off offset:24
	s_mov_b32 s4, exec_lo
	s_wait_loadcnt 0x0
	ds_store_b64 v1, v[94:95]
	s_wait_storecnt_dscnt 0x0
	s_barrier_signal -1
	s_barrier_wait -1
	s_wait_xcnt 0x0
	v_cmpx_gt_u32_e32 3, v0
	s_cbranch_execz .LBB108_470
; %bb.461:
	v_cmp_ne_u32_e32 vcc_lo, 1, v96
	s_cbranch_vccnz .LBB108_463
; %bb.462:
	scratch_load_b64 v[94:95], v59, off
	ds_load_b64 v[98:99], v1
	s_wait_loadcnt_dscnt 0x0
	v_pk_mul_f32 v[100:101], v[98:99], v[94:95] op_sel:[1,1] op_sel_hi:[0,1]
	s_delay_alu instid0(VALU_DEP_1) | instskip(SKIP_1) | instid1(VALU_DEP_2)
	v_pk_fma_f32 v[102:103], v[98:99], v[94:95], v[100:101] op_sel_hi:[1,0,1]
	v_pk_fma_f32 v[94:95], v[98:99], v[94:95], v[100:101] neg_lo:[0,0,1] neg_hi:[0,0,1]
	v_mov_b32_e32 v95, v103
	s_cbranch_execz .LBB108_464
	s_branch .LBB108_465
.LBB108_463:
                                        ; implicit-def: $vgpr94_vgpr95
.LBB108_464:
	ds_load_b64 v[94:95], v1
.LBB108_465:
	s_mov_b32 s5, exec_lo
	v_cmpx_ne_u32_e32 2, v0
	s_cbranch_execz .LBB108_469
; %bb.466:
	scratch_load_b64 v[98:99], v59, off offset:8
	ds_load_b64 v[100:101], v1 offset:8
	s_wait_loadcnt_dscnt 0x0
	v_pk_mul_f32 v[102:103], v[100:101], v[98:99] op_sel:[1,1] op_sel_hi:[0,1]
	s_delay_alu instid0(VALU_DEP_1) | instskip(SKIP_1) | instid1(VALU_DEP_2)
	v_pk_fma_f32 v[104:105], v[100:101], v[98:99], v[102:103] op_sel_hi:[1,0,1]
	v_pk_fma_f32 v[98:99], v[100:101], v[98:99], v[102:103] neg_lo:[0,0,1] neg_hi:[0,0,1]
	v_mov_b32_e32 v99, v105
	s_delay_alu instid0(VALU_DEP_1)
	v_pk_add_f32 v[94:95], v[94:95], v[98:99]
	s_and_saveexec_b32 s6, s0
	s_cbranch_execz .LBB108_468
; %bb.467:
	scratch_load_b64 v[98:99], off, off offset:16
	v_mov_b32_e32 v97, 0
	ds_load_b64 v[100:101], v97 offset:384
	s_wait_loadcnt_dscnt 0x0
	v_pk_mul_f32 v[102:103], v[100:101], v[98:99] op_sel:[1,1] op_sel_hi:[0,1]
	s_delay_alu instid0(VALU_DEP_1) | instskip(SKIP_1) | instid1(VALU_DEP_2)
	v_pk_fma_f32 v[104:105], v[100:101], v[98:99], v[102:103] op_sel_hi:[1,0,1]
	v_pk_fma_f32 v[98:99], v[100:101], v[98:99], v[102:103] neg_lo:[0,0,1] neg_hi:[0,0,1]
	v_mov_b32_e32 v99, v105
	s_delay_alu instid0(VALU_DEP_1)
	v_pk_add_f32 v[94:95], v[94:95], v[98:99]
.LBB108_468:
	s_or_b32 exec_lo, exec_lo, s6
.LBB108_469:
	s_delay_alu instid0(SALU_CYCLE_1) | instskip(SKIP_4) | instid1(VALU_DEP_1)
	s_or_b32 exec_lo, exec_lo, s5
	v_mov_b32_e32 v97, 0
	ds_load_b64 v[98:99], v97 offset:24
	s_wait_dscnt 0x0
	v_pk_mul_f32 v[100:101], v[94:95], v[98:99] op_sel:[1,1] op_sel_hi:[0,1]
	v_pk_fma_f32 v[102:103], v[94:95], v[98:99], v[100:101] op_sel_hi:[1,0,1]
	v_pk_fma_f32 v[94:95], v[94:95], v[98:99], v[100:101] neg_lo:[0,0,1] neg_hi:[0,0,1]
	s_delay_alu instid0(VALU_DEP_2)
	v_mov_b32_e32 v95, v103
	scratch_store_b64 off, v[94:95], off offset:24
.LBB108_470:
	s_wait_xcnt 0x0
	s_or_b32 exec_lo, exec_lo, s4
	scratch_load_b64 v[94:95], off, off offset:32
	s_mov_b32 s0, exec_lo
	s_wait_loadcnt 0x0
	ds_store_b64 v1, v[94:95]
	s_wait_storecnt_dscnt 0x0
	s_barrier_signal -1
	s_barrier_wait -1
	s_wait_xcnt 0x0
	v_cmpx_gt_u32_e32 4, v0
	s_cbranch_execz .LBB108_480
; %bb.471:
	v_cmp_ne_u32_e32 vcc_lo, 1, v96
	s_cbranch_vccnz .LBB108_473
; %bb.472:
	scratch_load_b64 v[94:95], v59, off
	ds_load_b64 v[98:99], v1
	s_wait_loadcnt_dscnt 0x0
	v_pk_mul_f32 v[100:101], v[98:99], v[94:95] op_sel:[1,1] op_sel_hi:[0,1]
	s_delay_alu instid0(VALU_DEP_1) | instskip(SKIP_1) | instid1(VALU_DEP_2)
	v_pk_fma_f32 v[102:103], v[98:99], v[94:95], v[100:101] op_sel_hi:[1,0,1]
	v_pk_fma_f32 v[94:95], v[98:99], v[94:95], v[100:101] neg_lo:[0,0,1] neg_hi:[0,0,1]
	v_mov_b32_e32 v95, v103
	s_cbranch_execz .LBB108_474
	s_branch .LBB108_475
.LBB108_473:
                                        ; implicit-def: $vgpr94_vgpr95
.LBB108_474:
	ds_load_b64 v[94:95], v1
.LBB108_475:
	s_mov_b32 s4, exec_lo
	v_cmpx_ne_u32_e32 3, v0
	s_cbranch_execz .LBB108_479
; %bb.476:
	v_add_nc_u32_e32 v97, 0x178, v58
	v_add3_u32 v98, 0, v58, 8
	v_mov_b32_e32 v99, v0
	s_mov_b32 s5, 0
.LBB108_477:                            ; =>This Inner Loop Header: Depth=1
	scratch_load_b64 v[100:101], v98, off
	ds_load_b64 v[102:103], v97
	s_wait_xcnt 0x0
	v_dual_add_nc_u32 v97, 8, v97 :: v_dual_add_nc_u32 v98, 8, v98
	s_wait_loadcnt_dscnt 0x0
	v_pk_mul_f32 v[104:105], v[102:103], v[100:101] op_sel:[1,1] op_sel_hi:[0,1]
	s_delay_alu instid0(VALU_DEP_1) | instskip(SKIP_2) | instid1(VALU_DEP_3)
	v_pk_fma_f32 v[106:107], v[102:103], v[100:101], v[104:105] op_sel_hi:[1,0,1]
	v_add_nc_u32_e32 v99, 1, v99
	v_pk_fma_f32 v[100:101], v[102:103], v[100:101], v[104:105] neg_lo:[0,0,1] neg_hi:[0,0,1]
	v_mov_b32_e32 v101, v107
	s_delay_alu instid0(VALU_DEP_3) | instskip(NEXT) | instid1(VALU_DEP_2)
	v_cmp_lt_u32_e32 vcc_lo, 2, v99
	v_pk_add_f32 v[94:95], v[94:95], v[100:101]
	s_or_b32 s5, vcc_lo, s5
	s_delay_alu instid0(SALU_CYCLE_1)
	s_and_not1_b32 exec_lo, exec_lo, s5
	s_cbranch_execnz .LBB108_477
; %bb.478:
	s_or_b32 exec_lo, exec_lo, s5
.LBB108_479:
	s_delay_alu instid0(SALU_CYCLE_1) | instskip(SKIP_4) | instid1(VALU_DEP_1)
	s_or_b32 exec_lo, exec_lo, s4
	v_mov_b32_e32 v97, 0
	ds_load_b64 v[98:99], v97 offset:32
	s_wait_dscnt 0x0
	v_pk_mul_f32 v[100:101], v[94:95], v[98:99] op_sel:[1,1] op_sel_hi:[0,1]
	v_pk_fma_f32 v[102:103], v[94:95], v[98:99], v[100:101] op_sel_hi:[1,0,1]
	v_pk_fma_f32 v[94:95], v[94:95], v[98:99], v[100:101] neg_lo:[0,0,1] neg_hi:[0,0,1]
	s_delay_alu instid0(VALU_DEP_2)
	v_mov_b32_e32 v95, v103
	scratch_store_b64 off, v[94:95], off offset:32
.LBB108_480:
	s_wait_xcnt 0x0
	s_or_b32 exec_lo, exec_lo, s0
	scratch_load_b64 v[94:95], off, off offset:40
	s_mov_b32 s0, exec_lo
	s_wait_loadcnt 0x0
	ds_store_b64 v1, v[94:95]
	s_wait_storecnt_dscnt 0x0
	s_barrier_signal -1
	s_barrier_wait -1
	s_wait_xcnt 0x0
	v_cmpx_gt_u32_e32 5, v0
	s_cbranch_execz .LBB108_490
; %bb.481:
	v_cmp_ne_u32_e32 vcc_lo, 1, v96
	s_cbranch_vccnz .LBB108_483
; %bb.482:
	scratch_load_b64 v[94:95], v59, off
	ds_load_b64 v[98:99], v1
	s_wait_loadcnt_dscnt 0x0
	v_pk_mul_f32 v[100:101], v[98:99], v[94:95] op_sel:[1,1] op_sel_hi:[0,1]
	s_delay_alu instid0(VALU_DEP_1) | instskip(SKIP_1) | instid1(VALU_DEP_2)
	v_pk_fma_f32 v[102:103], v[98:99], v[94:95], v[100:101] op_sel_hi:[1,0,1]
	v_pk_fma_f32 v[94:95], v[98:99], v[94:95], v[100:101] neg_lo:[0,0,1] neg_hi:[0,0,1]
	v_mov_b32_e32 v95, v103
	s_cbranch_execz .LBB108_484
	s_branch .LBB108_485
.LBB108_483:
                                        ; implicit-def: $vgpr94_vgpr95
.LBB108_484:
	ds_load_b64 v[94:95], v1
.LBB108_485:
	s_mov_b32 s4, exec_lo
	v_cmpx_ne_u32_e32 4, v0
	s_cbranch_execz .LBB108_489
; %bb.486:
	v_add_nc_u32_e32 v97, 0x178, v58
	v_add3_u32 v98, 0, v58, 8
	v_mov_b32_e32 v99, v0
	s_mov_b32 s5, 0
.LBB108_487:                            ; =>This Inner Loop Header: Depth=1
	scratch_load_b64 v[100:101], v98, off
	ds_load_b64 v[102:103], v97
	s_wait_xcnt 0x0
	v_dual_add_nc_u32 v97, 8, v97 :: v_dual_add_nc_u32 v98, 8, v98
	s_wait_loadcnt_dscnt 0x0
	v_pk_mul_f32 v[104:105], v[102:103], v[100:101] op_sel:[1,1] op_sel_hi:[0,1]
	s_delay_alu instid0(VALU_DEP_1) | instskip(SKIP_2) | instid1(VALU_DEP_3)
	v_pk_fma_f32 v[106:107], v[102:103], v[100:101], v[104:105] op_sel_hi:[1,0,1]
	v_add_nc_u32_e32 v99, 1, v99
	v_pk_fma_f32 v[100:101], v[102:103], v[100:101], v[104:105] neg_lo:[0,0,1] neg_hi:[0,0,1]
	v_mov_b32_e32 v101, v107
	s_delay_alu instid0(VALU_DEP_3) | instskip(NEXT) | instid1(VALU_DEP_2)
	v_cmp_lt_u32_e32 vcc_lo, 3, v99
	v_pk_add_f32 v[94:95], v[94:95], v[100:101]
	s_or_b32 s5, vcc_lo, s5
	s_delay_alu instid0(SALU_CYCLE_1)
	s_and_not1_b32 exec_lo, exec_lo, s5
	s_cbranch_execnz .LBB108_487
; %bb.488:
	s_or_b32 exec_lo, exec_lo, s5
.LBB108_489:
	s_delay_alu instid0(SALU_CYCLE_1) | instskip(SKIP_4) | instid1(VALU_DEP_1)
	s_or_b32 exec_lo, exec_lo, s4
	v_mov_b32_e32 v97, 0
	ds_load_b64 v[98:99], v97 offset:40
	s_wait_dscnt 0x0
	v_pk_mul_f32 v[100:101], v[94:95], v[98:99] op_sel:[1,1] op_sel_hi:[0,1]
	v_pk_fma_f32 v[102:103], v[94:95], v[98:99], v[100:101] op_sel_hi:[1,0,1]
	v_pk_fma_f32 v[94:95], v[94:95], v[98:99], v[100:101] neg_lo:[0,0,1] neg_hi:[0,0,1]
	s_delay_alu instid0(VALU_DEP_2)
	v_mov_b32_e32 v95, v103
	scratch_store_b64 off, v[94:95], off offset:40
.LBB108_490:
	s_wait_xcnt 0x0
	s_or_b32 exec_lo, exec_lo, s0
	scratch_load_b64 v[94:95], off, off offset:48
	s_mov_b32 s0, exec_lo
	s_wait_loadcnt 0x0
	ds_store_b64 v1, v[94:95]
	s_wait_storecnt_dscnt 0x0
	s_barrier_signal -1
	s_barrier_wait -1
	s_wait_xcnt 0x0
	v_cmpx_gt_u32_e32 6, v0
	s_cbranch_execz .LBB108_500
; %bb.491:
	v_cmp_ne_u32_e32 vcc_lo, 1, v96
	s_cbranch_vccnz .LBB108_493
; %bb.492:
	scratch_load_b64 v[94:95], v59, off
	ds_load_b64 v[98:99], v1
	s_wait_loadcnt_dscnt 0x0
	v_pk_mul_f32 v[100:101], v[98:99], v[94:95] op_sel:[1,1] op_sel_hi:[0,1]
	s_delay_alu instid0(VALU_DEP_1) | instskip(SKIP_1) | instid1(VALU_DEP_2)
	v_pk_fma_f32 v[102:103], v[98:99], v[94:95], v[100:101] op_sel_hi:[1,0,1]
	v_pk_fma_f32 v[94:95], v[98:99], v[94:95], v[100:101] neg_lo:[0,0,1] neg_hi:[0,0,1]
	v_mov_b32_e32 v95, v103
	s_cbranch_execz .LBB108_494
	s_branch .LBB108_495
.LBB108_493:
                                        ; implicit-def: $vgpr94_vgpr95
.LBB108_494:
	ds_load_b64 v[94:95], v1
.LBB108_495:
	s_mov_b32 s4, exec_lo
	v_cmpx_ne_u32_e32 5, v0
	s_cbranch_execz .LBB108_499
; %bb.496:
	v_add_nc_u32_e32 v97, 0x178, v58
	v_add3_u32 v98, 0, v58, 8
	v_mov_b32_e32 v99, v0
	s_mov_b32 s5, 0
.LBB108_497:                            ; =>This Inner Loop Header: Depth=1
	scratch_load_b64 v[100:101], v98, off
	ds_load_b64 v[102:103], v97
	s_wait_xcnt 0x0
	v_dual_add_nc_u32 v97, 8, v97 :: v_dual_add_nc_u32 v98, 8, v98
	s_wait_loadcnt_dscnt 0x0
	v_pk_mul_f32 v[104:105], v[102:103], v[100:101] op_sel:[1,1] op_sel_hi:[0,1]
	s_delay_alu instid0(VALU_DEP_1) | instskip(SKIP_2) | instid1(VALU_DEP_3)
	v_pk_fma_f32 v[106:107], v[102:103], v[100:101], v[104:105] op_sel_hi:[1,0,1]
	v_add_nc_u32_e32 v99, 1, v99
	v_pk_fma_f32 v[100:101], v[102:103], v[100:101], v[104:105] neg_lo:[0,0,1] neg_hi:[0,0,1]
	v_mov_b32_e32 v101, v107
	s_delay_alu instid0(VALU_DEP_3) | instskip(NEXT) | instid1(VALU_DEP_2)
	v_cmp_lt_u32_e32 vcc_lo, 4, v99
	v_pk_add_f32 v[94:95], v[94:95], v[100:101]
	s_or_b32 s5, vcc_lo, s5
	s_delay_alu instid0(SALU_CYCLE_1)
	s_and_not1_b32 exec_lo, exec_lo, s5
	s_cbranch_execnz .LBB108_497
; %bb.498:
	s_or_b32 exec_lo, exec_lo, s5
.LBB108_499:
	s_delay_alu instid0(SALU_CYCLE_1) | instskip(SKIP_4) | instid1(VALU_DEP_1)
	s_or_b32 exec_lo, exec_lo, s4
	v_mov_b32_e32 v97, 0
	ds_load_b64 v[98:99], v97 offset:48
	s_wait_dscnt 0x0
	v_pk_mul_f32 v[100:101], v[94:95], v[98:99] op_sel:[1,1] op_sel_hi:[0,1]
	v_pk_fma_f32 v[102:103], v[94:95], v[98:99], v[100:101] op_sel_hi:[1,0,1]
	v_pk_fma_f32 v[94:95], v[94:95], v[98:99], v[100:101] neg_lo:[0,0,1] neg_hi:[0,0,1]
	s_delay_alu instid0(VALU_DEP_2)
	v_mov_b32_e32 v95, v103
	scratch_store_b64 off, v[94:95], off offset:48
.LBB108_500:
	s_wait_xcnt 0x0
	s_or_b32 exec_lo, exec_lo, s0
	scratch_load_b64 v[94:95], off, off offset:56
	s_mov_b32 s0, exec_lo
	s_wait_loadcnt 0x0
	ds_store_b64 v1, v[94:95]
	s_wait_storecnt_dscnt 0x0
	s_barrier_signal -1
	s_barrier_wait -1
	s_wait_xcnt 0x0
	v_cmpx_gt_u32_e32 7, v0
	s_cbranch_execz .LBB108_510
; %bb.501:
	v_cmp_ne_u32_e32 vcc_lo, 1, v96
	s_cbranch_vccnz .LBB108_503
; %bb.502:
	scratch_load_b64 v[94:95], v59, off
	ds_load_b64 v[98:99], v1
	s_wait_loadcnt_dscnt 0x0
	v_pk_mul_f32 v[100:101], v[98:99], v[94:95] op_sel:[1,1] op_sel_hi:[0,1]
	s_delay_alu instid0(VALU_DEP_1) | instskip(SKIP_1) | instid1(VALU_DEP_2)
	v_pk_fma_f32 v[102:103], v[98:99], v[94:95], v[100:101] op_sel_hi:[1,0,1]
	v_pk_fma_f32 v[94:95], v[98:99], v[94:95], v[100:101] neg_lo:[0,0,1] neg_hi:[0,0,1]
	v_mov_b32_e32 v95, v103
	s_cbranch_execz .LBB108_504
	s_branch .LBB108_505
.LBB108_503:
                                        ; implicit-def: $vgpr94_vgpr95
.LBB108_504:
	ds_load_b64 v[94:95], v1
.LBB108_505:
	s_mov_b32 s4, exec_lo
	v_cmpx_ne_u32_e32 6, v0
	s_cbranch_execz .LBB108_509
; %bb.506:
	v_add_nc_u32_e32 v97, 0x178, v58
	v_add3_u32 v98, 0, v58, 8
	v_mov_b32_e32 v99, v0
	s_mov_b32 s5, 0
.LBB108_507:                            ; =>This Inner Loop Header: Depth=1
	scratch_load_b64 v[100:101], v98, off
	ds_load_b64 v[102:103], v97
	s_wait_xcnt 0x0
	v_dual_add_nc_u32 v97, 8, v97 :: v_dual_add_nc_u32 v98, 8, v98
	s_wait_loadcnt_dscnt 0x0
	v_pk_mul_f32 v[104:105], v[102:103], v[100:101] op_sel:[1,1] op_sel_hi:[0,1]
	s_delay_alu instid0(VALU_DEP_1) | instskip(SKIP_2) | instid1(VALU_DEP_3)
	v_pk_fma_f32 v[106:107], v[102:103], v[100:101], v[104:105] op_sel_hi:[1,0,1]
	v_add_nc_u32_e32 v99, 1, v99
	v_pk_fma_f32 v[100:101], v[102:103], v[100:101], v[104:105] neg_lo:[0,0,1] neg_hi:[0,0,1]
	v_mov_b32_e32 v101, v107
	s_delay_alu instid0(VALU_DEP_3) | instskip(NEXT) | instid1(VALU_DEP_2)
	v_cmp_lt_u32_e32 vcc_lo, 5, v99
	v_pk_add_f32 v[94:95], v[94:95], v[100:101]
	s_or_b32 s5, vcc_lo, s5
	s_delay_alu instid0(SALU_CYCLE_1)
	s_and_not1_b32 exec_lo, exec_lo, s5
	s_cbranch_execnz .LBB108_507
; %bb.508:
	s_or_b32 exec_lo, exec_lo, s5
.LBB108_509:
	s_delay_alu instid0(SALU_CYCLE_1) | instskip(SKIP_4) | instid1(VALU_DEP_1)
	s_or_b32 exec_lo, exec_lo, s4
	v_mov_b32_e32 v97, 0
	ds_load_b64 v[98:99], v97 offset:56
	s_wait_dscnt 0x0
	v_pk_mul_f32 v[100:101], v[94:95], v[98:99] op_sel:[1,1] op_sel_hi:[0,1]
	v_pk_fma_f32 v[102:103], v[94:95], v[98:99], v[100:101] op_sel_hi:[1,0,1]
	v_pk_fma_f32 v[94:95], v[94:95], v[98:99], v[100:101] neg_lo:[0,0,1] neg_hi:[0,0,1]
	s_delay_alu instid0(VALU_DEP_2)
	v_mov_b32_e32 v95, v103
	scratch_store_b64 off, v[94:95], off offset:56
.LBB108_510:
	s_wait_xcnt 0x0
	s_or_b32 exec_lo, exec_lo, s0
	scratch_load_b64 v[94:95], off, off offset:64
	s_mov_b32 s0, exec_lo
	s_wait_loadcnt 0x0
	ds_store_b64 v1, v[94:95]
	s_wait_storecnt_dscnt 0x0
	s_barrier_signal -1
	s_barrier_wait -1
	s_wait_xcnt 0x0
	v_cmpx_gt_u32_e32 8, v0
	s_cbranch_execz .LBB108_520
; %bb.511:
	v_cmp_ne_u32_e32 vcc_lo, 1, v96
	s_cbranch_vccnz .LBB108_513
; %bb.512:
	scratch_load_b64 v[94:95], v59, off
	ds_load_b64 v[98:99], v1
	s_wait_loadcnt_dscnt 0x0
	v_pk_mul_f32 v[100:101], v[98:99], v[94:95] op_sel:[1,1] op_sel_hi:[0,1]
	s_delay_alu instid0(VALU_DEP_1) | instskip(SKIP_1) | instid1(VALU_DEP_2)
	v_pk_fma_f32 v[102:103], v[98:99], v[94:95], v[100:101] op_sel_hi:[1,0,1]
	v_pk_fma_f32 v[94:95], v[98:99], v[94:95], v[100:101] neg_lo:[0,0,1] neg_hi:[0,0,1]
	v_mov_b32_e32 v95, v103
	s_cbranch_execz .LBB108_514
	s_branch .LBB108_515
.LBB108_513:
                                        ; implicit-def: $vgpr94_vgpr95
.LBB108_514:
	ds_load_b64 v[94:95], v1
.LBB108_515:
	s_mov_b32 s4, exec_lo
	v_cmpx_ne_u32_e32 7, v0
	s_cbranch_execz .LBB108_519
; %bb.516:
	v_add_nc_u32_e32 v97, 0x178, v58
	v_add3_u32 v98, 0, v58, 8
	v_mov_b32_e32 v99, v0
	s_mov_b32 s5, 0
.LBB108_517:                            ; =>This Inner Loop Header: Depth=1
	scratch_load_b64 v[100:101], v98, off
	ds_load_b64 v[102:103], v97
	s_wait_xcnt 0x0
	v_dual_add_nc_u32 v97, 8, v97 :: v_dual_add_nc_u32 v98, 8, v98
	s_wait_loadcnt_dscnt 0x0
	v_pk_mul_f32 v[104:105], v[102:103], v[100:101] op_sel:[1,1] op_sel_hi:[0,1]
	s_delay_alu instid0(VALU_DEP_1) | instskip(SKIP_2) | instid1(VALU_DEP_3)
	v_pk_fma_f32 v[106:107], v[102:103], v[100:101], v[104:105] op_sel_hi:[1,0,1]
	v_add_nc_u32_e32 v99, 1, v99
	v_pk_fma_f32 v[100:101], v[102:103], v[100:101], v[104:105] neg_lo:[0,0,1] neg_hi:[0,0,1]
	v_mov_b32_e32 v101, v107
	s_delay_alu instid0(VALU_DEP_3) | instskip(NEXT) | instid1(VALU_DEP_2)
	v_cmp_lt_u32_e32 vcc_lo, 6, v99
	v_pk_add_f32 v[94:95], v[94:95], v[100:101]
	s_or_b32 s5, vcc_lo, s5
	s_delay_alu instid0(SALU_CYCLE_1)
	s_and_not1_b32 exec_lo, exec_lo, s5
	s_cbranch_execnz .LBB108_517
; %bb.518:
	s_or_b32 exec_lo, exec_lo, s5
.LBB108_519:
	s_delay_alu instid0(SALU_CYCLE_1) | instskip(SKIP_4) | instid1(VALU_DEP_1)
	s_or_b32 exec_lo, exec_lo, s4
	v_mov_b32_e32 v97, 0
	ds_load_b64 v[98:99], v97 offset:64
	s_wait_dscnt 0x0
	v_pk_mul_f32 v[100:101], v[94:95], v[98:99] op_sel:[1,1] op_sel_hi:[0,1]
	v_pk_fma_f32 v[102:103], v[94:95], v[98:99], v[100:101] op_sel_hi:[1,0,1]
	v_pk_fma_f32 v[94:95], v[94:95], v[98:99], v[100:101] neg_lo:[0,0,1] neg_hi:[0,0,1]
	s_delay_alu instid0(VALU_DEP_2)
	v_mov_b32_e32 v95, v103
	scratch_store_b64 off, v[94:95], off offset:64
.LBB108_520:
	s_wait_xcnt 0x0
	s_or_b32 exec_lo, exec_lo, s0
	scratch_load_b64 v[94:95], off, off offset:72
	s_mov_b32 s0, exec_lo
	s_wait_loadcnt 0x0
	ds_store_b64 v1, v[94:95]
	s_wait_storecnt_dscnt 0x0
	s_barrier_signal -1
	s_barrier_wait -1
	s_wait_xcnt 0x0
	v_cmpx_gt_u32_e32 9, v0
	s_cbranch_execz .LBB108_530
; %bb.521:
	v_cmp_ne_u32_e32 vcc_lo, 1, v96
	s_cbranch_vccnz .LBB108_523
; %bb.522:
	scratch_load_b64 v[94:95], v59, off
	ds_load_b64 v[98:99], v1
	s_wait_loadcnt_dscnt 0x0
	v_pk_mul_f32 v[100:101], v[98:99], v[94:95] op_sel:[1,1] op_sel_hi:[0,1]
	s_delay_alu instid0(VALU_DEP_1) | instskip(SKIP_1) | instid1(VALU_DEP_2)
	v_pk_fma_f32 v[102:103], v[98:99], v[94:95], v[100:101] op_sel_hi:[1,0,1]
	v_pk_fma_f32 v[94:95], v[98:99], v[94:95], v[100:101] neg_lo:[0,0,1] neg_hi:[0,0,1]
	v_mov_b32_e32 v95, v103
	s_cbranch_execz .LBB108_524
	s_branch .LBB108_525
.LBB108_523:
                                        ; implicit-def: $vgpr94_vgpr95
.LBB108_524:
	ds_load_b64 v[94:95], v1
.LBB108_525:
	s_mov_b32 s4, exec_lo
	v_cmpx_ne_u32_e32 8, v0
	s_cbranch_execz .LBB108_529
; %bb.526:
	v_add_nc_u32_e32 v97, 0x178, v58
	v_add3_u32 v98, 0, v58, 8
	v_mov_b32_e32 v99, v0
	s_mov_b32 s5, 0
.LBB108_527:                            ; =>This Inner Loop Header: Depth=1
	scratch_load_b64 v[100:101], v98, off
	ds_load_b64 v[102:103], v97
	s_wait_xcnt 0x0
	v_dual_add_nc_u32 v97, 8, v97 :: v_dual_add_nc_u32 v98, 8, v98
	s_wait_loadcnt_dscnt 0x0
	v_pk_mul_f32 v[104:105], v[102:103], v[100:101] op_sel:[1,1] op_sel_hi:[0,1]
	s_delay_alu instid0(VALU_DEP_1) | instskip(SKIP_2) | instid1(VALU_DEP_3)
	v_pk_fma_f32 v[106:107], v[102:103], v[100:101], v[104:105] op_sel_hi:[1,0,1]
	v_add_nc_u32_e32 v99, 1, v99
	v_pk_fma_f32 v[100:101], v[102:103], v[100:101], v[104:105] neg_lo:[0,0,1] neg_hi:[0,0,1]
	v_mov_b32_e32 v101, v107
	s_delay_alu instid0(VALU_DEP_3) | instskip(NEXT) | instid1(VALU_DEP_2)
	v_cmp_lt_u32_e32 vcc_lo, 7, v99
	v_pk_add_f32 v[94:95], v[94:95], v[100:101]
	s_or_b32 s5, vcc_lo, s5
	s_delay_alu instid0(SALU_CYCLE_1)
	s_and_not1_b32 exec_lo, exec_lo, s5
	s_cbranch_execnz .LBB108_527
; %bb.528:
	s_or_b32 exec_lo, exec_lo, s5
.LBB108_529:
	s_delay_alu instid0(SALU_CYCLE_1) | instskip(SKIP_4) | instid1(VALU_DEP_1)
	s_or_b32 exec_lo, exec_lo, s4
	v_mov_b32_e32 v97, 0
	ds_load_b64 v[98:99], v97 offset:72
	s_wait_dscnt 0x0
	v_pk_mul_f32 v[100:101], v[94:95], v[98:99] op_sel:[1,1] op_sel_hi:[0,1]
	v_pk_fma_f32 v[102:103], v[94:95], v[98:99], v[100:101] op_sel_hi:[1,0,1]
	v_pk_fma_f32 v[94:95], v[94:95], v[98:99], v[100:101] neg_lo:[0,0,1] neg_hi:[0,0,1]
	s_delay_alu instid0(VALU_DEP_2)
	v_mov_b32_e32 v95, v103
	scratch_store_b64 off, v[94:95], off offset:72
.LBB108_530:
	s_wait_xcnt 0x0
	s_or_b32 exec_lo, exec_lo, s0
	scratch_load_b64 v[94:95], off, off offset:80
	s_mov_b32 s0, exec_lo
	s_wait_loadcnt 0x0
	ds_store_b64 v1, v[94:95]
	s_wait_storecnt_dscnt 0x0
	s_barrier_signal -1
	s_barrier_wait -1
	s_wait_xcnt 0x0
	v_cmpx_gt_u32_e32 10, v0
	s_cbranch_execz .LBB108_540
; %bb.531:
	v_cmp_ne_u32_e32 vcc_lo, 1, v96
	s_cbranch_vccnz .LBB108_533
; %bb.532:
	scratch_load_b64 v[94:95], v59, off
	ds_load_b64 v[98:99], v1
	s_wait_loadcnt_dscnt 0x0
	v_pk_mul_f32 v[100:101], v[98:99], v[94:95] op_sel:[1,1] op_sel_hi:[0,1]
	s_delay_alu instid0(VALU_DEP_1) | instskip(SKIP_1) | instid1(VALU_DEP_2)
	v_pk_fma_f32 v[102:103], v[98:99], v[94:95], v[100:101] op_sel_hi:[1,0,1]
	v_pk_fma_f32 v[94:95], v[98:99], v[94:95], v[100:101] neg_lo:[0,0,1] neg_hi:[0,0,1]
	v_mov_b32_e32 v95, v103
	s_cbranch_execz .LBB108_534
	s_branch .LBB108_535
.LBB108_533:
                                        ; implicit-def: $vgpr94_vgpr95
.LBB108_534:
	ds_load_b64 v[94:95], v1
.LBB108_535:
	s_mov_b32 s4, exec_lo
	v_cmpx_ne_u32_e32 9, v0
	s_cbranch_execz .LBB108_539
; %bb.536:
	v_add_nc_u32_e32 v97, 0x178, v58
	v_add3_u32 v98, 0, v58, 8
	v_mov_b32_e32 v99, v0
	s_mov_b32 s5, 0
.LBB108_537:                            ; =>This Inner Loop Header: Depth=1
	scratch_load_b64 v[100:101], v98, off
	ds_load_b64 v[102:103], v97
	s_wait_xcnt 0x0
	v_dual_add_nc_u32 v97, 8, v97 :: v_dual_add_nc_u32 v98, 8, v98
	s_wait_loadcnt_dscnt 0x0
	v_pk_mul_f32 v[104:105], v[102:103], v[100:101] op_sel:[1,1] op_sel_hi:[0,1]
	s_delay_alu instid0(VALU_DEP_1) | instskip(SKIP_2) | instid1(VALU_DEP_3)
	v_pk_fma_f32 v[106:107], v[102:103], v[100:101], v[104:105] op_sel_hi:[1,0,1]
	v_add_nc_u32_e32 v99, 1, v99
	v_pk_fma_f32 v[100:101], v[102:103], v[100:101], v[104:105] neg_lo:[0,0,1] neg_hi:[0,0,1]
	v_mov_b32_e32 v101, v107
	s_delay_alu instid0(VALU_DEP_3) | instskip(NEXT) | instid1(VALU_DEP_2)
	v_cmp_lt_u32_e32 vcc_lo, 8, v99
	v_pk_add_f32 v[94:95], v[94:95], v[100:101]
	s_or_b32 s5, vcc_lo, s5
	s_delay_alu instid0(SALU_CYCLE_1)
	s_and_not1_b32 exec_lo, exec_lo, s5
	s_cbranch_execnz .LBB108_537
; %bb.538:
	s_or_b32 exec_lo, exec_lo, s5
.LBB108_539:
	s_delay_alu instid0(SALU_CYCLE_1) | instskip(SKIP_4) | instid1(VALU_DEP_1)
	s_or_b32 exec_lo, exec_lo, s4
	v_mov_b32_e32 v97, 0
	ds_load_b64 v[98:99], v97 offset:80
	s_wait_dscnt 0x0
	v_pk_mul_f32 v[100:101], v[94:95], v[98:99] op_sel:[1,1] op_sel_hi:[0,1]
	v_pk_fma_f32 v[102:103], v[94:95], v[98:99], v[100:101] op_sel_hi:[1,0,1]
	v_pk_fma_f32 v[94:95], v[94:95], v[98:99], v[100:101] neg_lo:[0,0,1] neg_hi:[0,0,1]
	s_delay_alu instid0(VALU_DEP_2)
	v_mov_b32_e32 v95, v103
	scratch_store_b64 off, v[94:95], off offset:80
.LBB108_540:
	s_wait_xcnt 0x0
	s_or_b32 exec_lo, exec_lo, s0
	scratch_load_b64 v[94:95], off, off offset:88
	s_mov_b32 s0, exec_lo
	s_wait_loadcnt 0x0
	ds_store_b64 v1, v[94:95]
	s_wait_storecnt_dscnt 0x0
	s_barrier_signal -1
	s_barrier_wait -1
	s_wait_xcnt 0x0
	v_cmpx_gt_u32_e32 11, v0
	s_cbranch_execz .LBB108_550
; %bb.541:
	v_cmp_ne_u32_e32 vcc_lo, 1, v96
	s_cbranch_vccnz .LBB108_543
; %bb.542:
	scratch_load_b64 v[94:95], v59, off
	ds_load_b64 v[98:99], v1
	s_wait_loadcnt_dscnt 0x0
	v_pk_mul_f32 v[100:101], v[98:99], v[94:95] op_sel:[1,1] op_sel_hi:[0,1]
	s_delay_alu instid0(VALU_DEP_1) | instskip(SKIP_1) | instid1(VALU_DEP_2)
	v_pk_fma_f32 v[102:103], v[98:99], v[94:95], v[100:101] op_sel_hi:[1,0,1]
	v_pk_fma_f32 v[94:95], v[98:99], v[94:95], v[100:101] neg_lo:[0,0,1] neg_hi:[0,0,1]
	v_mov_b32_e32 v95, v103
	s_cbranch_execz .LBB108_544
	s_branch .LBB108_545
.LBB108_543:
                                        ; implicit-def: $vgpr94_vgpr95
.LBB108_544:
	ds_load_b64 v[94:95], v1
.LBB108_545:
	s_mov_b32 s4, exec_lo
	v_cmpx_ne_u32_e32 10, v0
	s_cbranch_execz .LBB108_549
; %bb.546:
	v_add_nc_u32_e32 v97, 0x178, v58
	v_add3_u32 v98, 0, v58, 8
	v_mov_b32_e32 v99, v0
	s_mov_b32 s5, 0
.LBB108_547:                            ; =>This Inner Loop Header: Depth=1
	scratch_load_b64 v[100:101], v98, off
	ds_load_b64 v[102:103], v97
	s_wait_xcnt 0x0
	v_dual_add_nc_u32 v97, 8, v97 :: v_dual_add_nc_u32 v98, 8, v98
	s_wait_loadcnt_dscnt 0x0
	v_pk_mul_f32 v[104:105], v[102:103], v[100:101] op_sel:[1,1] op_sel_hi:[0,1]
	s_delay_alu instid0(VALU_DEP_1) | instskip(SKIP_2) | instid1(VALU_DEP_3)
	v_pk_fma_f32 v[106:107], v[102:103], v[100:101], v[104:105] op_sel_hi:[1,0,1]
	v_add_nc_u32_e32 v99, 1, v99
	v_pk_fma_f32 v[100:101], v[102:103], v[100:101], v[104:105] neg_lo:[0,0,1] neg_hi:[0,0,1]
	v_mov_b32_e32 v101, v107
	s_delay_alu instid0(VALU_DEP_3) | instskip(NEXT) | instid1(VALU_DEP_2)
	v_cmp_lt_u32_e32 vcc_lo, 9, v99
	v_pk_add_f32 v[94:95], v[94:95], v[100:101]
	s_or_b32 s5, vcc_lo, s5
	s_delay_alu instid0(SALU_CYCLE_1)
	s_and_not1_b32 exec_lo, exec_lo, s5
	s_cbranch_execnz .LBB108_547
; %bb.548:
	s_or_b32 exec_lo, exec_lo, s5
.LBB108_549:
	s_delay_alu instid0(SALU_CYCLE_1) | instskip(SKIP_4) | instid1(VALU_DEP_1)
	s_or_b32 exec_lo, exec_lo, s4
	v_mov_b32_e32 v97, 0
	ds_load_b64 v[98:99], v97 offset:88
	s_wait_dscnt 0x0
	v_pk_mul_f32 v[100:101], v[94:95], v[98:99] op_sel:[1,1] op_sel_hi:[0,1]
	v_pk_fma_f32 v[102:103], v[94:95], v[98:99], v[100:101] op_sel_hi:[1,0,1]
	v_pk_fma_f32 v[94:95], v[94:95], v[98:99], v[100:101] neg_lo:[0,0,1] neg_hi:[0,0,1]
	s_delay_alu instid0(VALU_DEP_2)
	v_mov_b32_e32 v95, v103
	scratch_store_b64 off, v[94:95], off offset:88
.LBB108_550:
	s_wait_xcnt 0x0
	s_or_b32 exec_lo, exec_lo, s0
	scratch_load_b64 v[94:95], off, off offset:96
	s_mov_b32 s0, exec_lo
	s_wait_loadcnt 0x0
	ds_store_b64 v1, v[94:95]
	s_wait_storecnt_dscnt 0x0
	s_barrier_signal -1
	s_barrier_wait -1
	s_wait_xcnt 0x0
	v_cmpx_gt_u32_e32 12, v0
	s_cbranch_execz .LBB108_560
; %bb.551:
	v_cmp_ne_u32_e32 vcc_lo, 1, v96
	s_cbranch_vccnz .LBB108_553
; %bb.552:
	scratch_load_b64 v[94:95], v59, off
	ds_load_b64 v[98:99], v1
	s_wait_loadcnt_dscnt 0x0
	v_pk_mul_f32 v[100:101], v[98:99], v[94:95] op_sel:[1,1] op_sel_hi:[0,1]
	s_delay_alu instid0(VALU_DEP_1) | instskip(SKIP_1) | instid1(VALU_DEP_2)
	v_pk_fma_f32 v[102:103], v[98:99], v[94:95], v[100:101] op_sel_hi:[1,0,1]
	v_pk_fma_f32 v[94:95], v[98:99], v[94:95], v[100:101] neg_lo:[0,0,1] neg_hi:[0,0,1]
	v_mov_b32_e32 v95, v103
	s_cbranch_execz .LBB108_554
	s_branch .LBB108_555
.LBB108_553:
                                        ; implicit-def: $vgpr94_vgpr95
.LBB108_554:
	ds_load_b64 v[94:95], v1
.LBB108_555:
	s_mov_b32 s4, exec_lo
	v_cmpx_ne_u32_e32 11, v0
	s_cbranch_execz .LBB108_559
; %bb.556:
	v_add_nc_u32_e32 v97, 0x178, v58
	v_add3_u32 v98, 0, v58, 8
	v_mov_b32_e32 v99, v0
	s_mov_b32 s5, 0
.LBB108_557:                            ; =>This Inner Loop Header: Depth=1
	scratch_load_b64 v[100:101], v98, off
	ds_load_b64 v[102:103], v97
	s_wait_xcnt 0x0
	v_dual_add_nc_u32 v97, 8, v97 :: v_dual_add_nc_u32 v98, 8, v98
	s_wait_loadcnt_dscnt 0x0
	v_pk_mul_f32 v[104:105], v[102:103], v[100:101] op_sel:[1,1] op_sel_hi:[0,1]
	s_delay_alu instid0(VALU_DEP_1) | instskip(SKIP_2) | instid1(VALU_DEP_3)
	v_pk_fma_f32 v[106:107], v[102:103], v[100:101], v[104:105] op_sel_hi:[1,0,1]
	v_add_nc_u32_e32 v99, 1, v99
	v_pk_fma_f32 v[100:101], v[102:103], v[100:101], v[104:105] neg_lo:[0,0,1] neg_hi:[0,0,1]
	v_mov_b32_e32 v101, v107
	s_delay_alu instid0(VALU_DEP_3) | instskip(NEXT) | instid1(VALU_DEP_2)
	v_cmp_lt_u32_e32 vcc_lo, 10, v99
	v_pk_add_f32 v[94:95], v[94:95], v[100:101]
	s_or_b32 s5, vcc_lo, s5
	s_delay_alu instid0(SALU_CYCLE_1)
	s_and_not1_b32 exec_lo, exec_lo, s5
	s_cbranch_execnz .LBB108_557
; %bb.558:
	s_or_b32 exec_lo, exec_lo, s5
.LBB108_559:
	s_delay_alu instid0(SALU_CYCLE_1) | instskip(SKIP_4) | instid1(VALU_DEP_1)
	s_or_b32 exec_lo, exec_lo, s4
	v_mov_b32_e32 v97, 0
	ds_load_b64 v[98:99], v97 offset:96
	s_wait_dscnt 0x0
	v_pk_mul_f32 v[100:101], v[94:95], v[98:99] op_sel:[1,1] op_sel_hi:[0,1]
	v_pk_fma_f32 v[102:103], v[94:95], v[98:99], v[100:101] op_sel_hi:[1,0,1]
	v_pk_fma_f32 v[94:95], v[94:95], v[98:99], v[100:101] neg_lo:[0,0,1] neg_hi:[0,0,1]
	s_delay_alu instid0(VALU_DEP_2)
	v_mov_b32_e32 v95, v103
	scratch_store_b64 off, v[94:95], off offset:96
.LBB108_560:
	s_wait_xcnt 0x0
	s_or_b32 exec_lo, exec_lo, s0
	scratch_load_b64 v[94:95], off, off offset:104
	s_mov_b32 s0, exec_lo
	s_wait_loadcnt 0x0
	ds_store_b64 v1, v[94:95]
	s_wait_storecnt_dscnt 0x0
	s_barrier_signal -1
	s_barrier_wait -1
	s_wait_xcnt 0x0
	v_cmpx_gt_u32_e32 13, v0
	s_cbranch_execz .LBB108_570
; %bb.561:
	v_cmp_ne_u32_e32 vcc_lo, 1, v96
	s_cbranch_vccnz .LBB108_563
; %bb.562:
	scratch_load_b64 v[94:95], v59, off
	ds_load_b64 v[98:99], v1
	s_wait_loadcnt_dscnt 0x0
	v_pk_mul_f32 v[100:101], v[98:99], v[94:95] op_sel:[1,1] op_sel_hi:[0,1]
	s_delay_alu instid0(VALU_DEP_1) | instskip(SKIP_1) | instid1(VALU_DEP_2)
	v_pk_fma_f32 v[102:103], v[98:99], v[94:95], v[100:101] op_sel_hi:[1,0,1]
	v_pk_fma_f32 v[94:95], v[98:99], v[94:95], v[100:101] neg_lo:[0,0,1] neg_hi:[0,0,1]
	v_mov_b32_e32 v95, v103
	s_cbranch_execz .LBB108_564
	s_branch .LBB108_565
.LBB108_563:
                                        ; implicit-def: $vgpr94_vgpr95
.LBB108_564:
	ds_load_b64 v[94:95], v1
.LBB108_565:
	s_mov_b32 s4, exec_lo
	v_cmpx_ne_u32_e32 12, v0
	s_cbranch_execz .LBB108_569
; %bb.566:
	v_add_nc_u32_e32 v97, 0x178, v58
	v_add3_u32 v98, 0, v58, 8
	v_mov_b32_e32 v99, v0
	s_mov_b32 s5, 0
.LBB108_567:                            ; =>This Inner Loop Header: Depth=1
	scratch_load_b64 v[100:101], v98, off
	ds_load_b64 v[102:103], v97
	s_wait_xcnt 0x0
	v_dual_add_nc_u32 v97, 8, v97 :: v_dual_add_nc_u32 v98, 8, v98
	s_wait_loadcnt_dscnt 0x0
	v_pk_mul_f32 v[104:105], v[102:103], v[100:101] op_sel:[1,1] op_sel_hi:[0,1]
	s_delay_alu instid0(VALU_DEP_1) | instskip(SKIP_2) | instid1(VALU_DEP_3)
	v_pk_fma_f32 v[106:107], v[102:103], v[100:101], v[104:105] op_sel_hi:[1,0,1]
	v_add_nc_u32_e32 v99, 1, v99
	v_pk_fma_f32 v[100:101], v[102:103], v[100:101], v[104:105] neg_lo:[0,0,1] neg_hi:[0,0,1]
	v_mov_b32_e32 v101, v107
	s_delay_alu instid0(VALU_DEP_3) | instskip(NEXT) | instid1(VALU_DEP_2)
	v_cmp_lt_u32_e32 vcc_lo, 11, v99
	v_pk_add_f32 v[94:95], v[94:95], v[100:101]
	s_or_b32 s5, vcc_lo, s5
	s_delay_alu instid0(SALU_CYCLE_1)
	s_and_not1_b32 exec_lo, exec_lo, s5
	s_cbranch_execnz .LBB108_567
; %bb.568:
	s_or_b32 exec_lo, exec_lo, s5
.LBB108_569:
	s_delay_alu instid0(SALU_CYCLE_1) | instskip(SKIP_4) | instid1(VALU_DEP_1)
	s_or_b32 exec_lo, exec_lo, s4
	v_mov_b32_e32 v97, 0
	ds_load_b64 v[98:99], v97 offset:104
	s_wait_dscnt 0x0
	v_pk_mul_f32 v[100:101], v[94:95], v[98:99] op_sel:[1,1] op_sel_hi:[0,1]
	v_pk_fma_f32 v[102:103], v[94:95], v[98:99], v[100:101] op_sel_hi:[1,0,1]
	v_pk_fma_f32 v[94:95], v[94:95], v[98:99], v[100:101] neg_lo:[0,0,1] neg_hi:[0,0,1]
	s_delay_alu instid0(VALU_DEP_2)
	v_mov_b32_e32 v95, v103
	scratch_store_b64 off, v[94:95], off offset:104
.LBB108_570:
	s_wait_xcnt 0x0
	s_or_b32 exec_lo, exec_lo, s0
	scratch_load_b64 v[94:95], off, off offset:112
	s_mov_b32 s0, exec_lo
	s_wait_loadcnt 0x0
	ds_store_b64 v1, v[94:95]
	s_wait_storecnt_dscnt 0x0
	s_barrier_signal -1
	s_barrier_wait -1
	s_wait_xcnt 0x0
	v_cmpx_gt_u32_e32 14, v0
	s_cbranch_execz .LBB108_580
; %bb.571:
	v_cmp_ne_u32_e32 vcc_lo, 1, v96
	s_cbranch_vccnz .LBB108_573
; %bb.572:
	scratch_load_b64 v[94:95], v59, off
	ds_load_b64 v[98:99], v1
	s_wait_loadcnt_dscnt 0x0
	v_pk_mul_f32 v[100:101], v[98:99], v[94:95] op_sel:[1,1] op_sel_hi:[0,1]
	s_delay_alu instid0(VALU_DEP_1) | instskip(SKIP_1) | instid1(VALU_DEP_2)
	v_pk_fma_f32 v[102:103], v[98:99], v[94:95], v[100:101] op_sel_hi:[1,0,1]
	v_pk_fma_f32 v[94:95], v[98:99], v[94:95], v[100:101] neg_lo:[0,0,1] neg_hi:[0,0,1]
	v_mov_b32_e32 v95, v103
	s_cbranch_execz .LBB108_574
	s_branch .LBB108_575
.LBB108_573:
                                        ; implicit-def: $vgpr94_vgpr95
.LBB108_574:
	ds_load_b64 v[94:95], v1
.LBB108_575:
	s_mov_b32 s4, exec_lo
	v_cmpx_ne_u32_e32 13, v0
	s_cbranch_execz .LBB108_579
; %bb.576:
	v_add_nc_u32_e32 v97, 0x178, v58
	v_add3_u32 v98, 0, v58, 8
	v_mov_b32_e32 v99, v0
	s_mov_b32 s5, 0
.LBB108_577:                            ; =>This Inner Loop Header: Depth=1
	scratch_load_b64 v[100:101], v98, off
	ds_load_b64 v[102:103], v97
	s_wait_xcnt 0x0
	v_dual_add_nc_u32 v97, 8, v97 :: v_dual_add_nc_u32 v98, 8, v98
	s_wait_loadcnt_dscnt 0x0
	v_pk_mul_f32 v[104:105], v[102:103], v[100:101] op_sel:[1,1] op_sel_hi:[0,1]
	s_delay_alu instid0(VALU_DEP_1) | instskip(SKIP_2) | instid1(VALU_DEP_3)
	v_pk_fma_f32 v[106:107], v[102:103], v[100:101], v[104:105] op_sel_hi:[1,0,1]
	v_add_nc_u32_e32 v99, 1, v99
	v_pk_fma_f32 v[100:101], v[102:103], v[100:101], v[104:105] neg_lo:[0,0,1] neg_hi:[0,0,1]
	v_mov_b32_e32 v101, v107
	s_delay_alu instid0(VALU_DEP_3) | instskip(NEXT) | instid1(VALU_DEP_2)
	v_cmp_lt_u32_e32 vcc_lo, 12, v99
	v_pk_add_f32 v[94:95], v[94:95], v[100:101]
	s_or_b32 s5, vcc_lo, s5
	s_delay_alu instid0(SALU_CYCLE_1)
	s_and_not1_b32 exec_lo, exec_lo, s5
	s_cbranch_execnz .LBB108_577
; %bb.578:
	s_or_b32 exec_lo, exec_lo, s5
.LBB108_579:
	s_delay_alu instid0(SALU_CYCLE_1) | instskip(SKIP_4) | instid1(VALU_DEP_1)
	s_or_b32 exec_lo, exec_lo, s4
	v_mov_b32_e32 v97, 0
	ds_load_b64 v[98:99], v97 offset:112
	s_wait_dscnt 0x0
	v_pk_mul_f32 v[100:101], v[94:95], v[98:99] op_sel:[1,1] op_sel_hi:[0,1]
	v_pk_fma_f32 v[102:103], v[94:95], v[98:99], v[100:101] op_sel_hi:[1,0,1]
	v_pk_fma_f32 v[94:95], v[94:95], v[98:99], v[100:101] neg_lo:[0,0,1] neg_hi:[0,0,1]
	s_delay_alu instid0(VALU_DEP_2)
	v_mov_b32_e32 v95, v103
	scratch_store_b64 off, v[94:95], off offset:112
.LBB108_580:
	s_wait_xcnt 0x0
	s_or_b32 exec_lo, exec_lo, s0
	scratch_load_b64 v[94:95], off, off offset:120
	s_mov_b32 s0, exec_lo
	s_wait_loadcnt 0x0
	ds_store_b64 v1, v[94:95]
	s_wait_storecnt_dscnt 0x0
	s_barrier_signal -1
	s_barrier_wait -1
	s_wait_xcnt 0x0
	v_cmpx_gt_u32_e32 15, v0
	s_cbranch_execz .LBB108_590
; %bb.581:
	v_cmp_ne_u32_e32 vcc_lo, 1, v96
	s_cbranch_vccnz .LBB108_583
; %bb.582:
	scratch_load_b64 v[94:95], v59, off
	ds_load_b64 v[98:99], v1
	s_wait_loadcnt_dscnt 0x0
	v_pk_mul_f32 v[100:101], v[98:99], v[94:95] op_sel:[1,1] op_sel_hi:[0,1]
	s_delay_alu instid0(VALU_DEP_1) | instskip(SKIP_1) | instid1(VALU_DEP_2)
	v_pk_fma_f32 v[102:103], v[98:99], v[94:95], v[100:101] op_sel_hi:[1,0,1]
	v_pk_fma_f32 v[94:95], v[98:99], v[94:95], v[100:101] neg_lo:[0,0,1] neg_hi:[0,0,1]
	v_mov_b32_e32 v95, v103
	s_cbranch_execz .LBB108_584
	s_branch .LBB108_585
.LBB108_583:
                                        ; implicit-def: $vgpr94_vgpr95
.LBB108_584:
	ds_load_b64 v[94:95], v1
.LBB108_585:
	s_mov_b32 s4, exec_lo
	v_cmpx_ne_u32_e32 14, v0
	s_cbranch_execz .LBB108_589
; %bb.586:
	v_add_nc_u32_e32 v97, 0x178, v58
	v_add3_u32 v98, 0, v58, 8
	v_mov_b32_e32 v99, v0
	s_mov_b32 s5, 0
.LBB108_587:                            ; =>This Inner Loop Header: Depth=1
	scratch_load_b64 v[100:101], v98, off
	ds_load_b64 v[102:103], v97
	s_wait_xcnt 0x0
	v_dual_add_nc_u32 v97, 8, v97 :: v_dual_add_nc_u32 v98, 8, v98
	s_wait_loadcnt_dscnt 0x0
	v_pk_mul_f32 v[104:105], v[102:103], v[100:101] op_sel:[1,1] op_sel_hi:[0,1]
	s_delay_alu instid0(VALU_DEP_1) | instskip(SKIP_2) | instid1(VALU_DEP_3)
	v_pk_fma_f32 v[106:107], v[102:103], v[100:101], v[104:105] op_sel_hi:[1,0,1]
	v_add_nc_u32_e32 v99, 1, v99
	v_pk_fma_f32 v[100:101], v[102:103], v[100:101], v[104:105] neg_lo:[0,0,1] neg_hi:[0,0,1]
	v_mov_b32_e32 v101, v107
	s_delay_alu instid0(VALU_DEP_3) | instskip(NEXT) | instid1(VALU_DEP_2)
	v_cmp_lt_u32_e32 vcc_lo, 13, v99
	v_pk_add_f32 v[94:95], v[94:95], v[100:101]
	s_or_b32 s5, vcc_lo, s5
	s_delay_alu instid0(SALU_CYCLE_1)
	s_and_not1_b32 exec_lo, exec_lo, s5
	s_cbranch_execnz .LBB108_587
; %bb.588:
	s_or_b32 exec_lo, exec_lo, s5
.LBB108_589:
	s_delay_alu instid0(SALU_CYCLE_1) | instskip(SKIP_4) | instid1(VALU_DEP_1)
	s_or_b32 exec_lo, exec_lo, s4
	v_mov_b32_e32 v97, 0
	ds_load_b64 v[98:99], v97 offset:120
	s_wait_dscnt 0x0
	v_pk_mul_f32 v[100:101], v[94:95], v[98:99] op_sel:[1,1] op_sel_hi:[0,1]
	v_pk_fma_f32 v[102:103], v[94:95], v[98:99], v[100:101] op_sel_hi:[1,0,1]
	v_pk_fma_f32 v[94:95], v[94:95], v[98:99], v[100:101] neg_lo:[0,0,1] neg_hi:[0,0,1]
	s_delay_alu instid0(VALU_DEP_2)
	v_mov_b32_e32 v95, v103
	scratch_store_b64 off, v[94:95], off offset:120
.LBB108_590:
	s_wait_xcnt 0x0
	s_or_b32 exec_lo, exec_lo, s0
	scratch_load_b64 v[94:95], off, off offset:128
	s_mov_b32 s0, exec_lo
	s_wait_loadcnt 0x0
	ds_store_b64 v1, v[94:95]
	s_wait_storecnt_dscnt 0x0
	s_barrier_signal -1
	s_barrier_wait -1
	s_wait_xcnt 0x0
	v_cmpx_gt_u32_e32 16, v0
	s_cbranch_execz .LBB108_600
; %bb.591:
	v_cmp_ne_u32_e32 vcc_lo, 1, v96
	s_cbranch_vccnz .LBB108_593
; %bb.592:
	scratch_load_b64 v[94:95], v59, off
	ds_load_b64 v[98:99], v1
	s_wait_loadcnt_dscnt 0x0
	v_pk_mul_f32 v[100:101], v[98:99], v[94:95] op_sel:[1,1] op_sel_hi:[0,1]
	s_delay_alu instid0(VALU_DEP_1) | instskip(SKIP_1) | instid1(VALU_DEP_2)
	v_pk_fma_f32 v[102:103], v[98:99], v[94:95], v[100:101] op_sel_hi:[1,0,1]
	v_pk_fma_f32 v[94:95], v[98:99], v[94:95], v[100:101] neg_lo:[0,0,1] neg_hi:[0,0,1]
	v_mov_b32_e32 v95, v103
	s_cbranch_execz .LBB108_594
	s_branch .LBB108_595
.LBB108_593:
                                        ; implicit-def: $vgpr94_vgpr95
.LBB108_594:
	ds_load_b64 v[94:95], v1
.LBB108_595:
	s_mov_b32 s4, exec_lo
	v_cmpx_ne_u32_e32 15, v0
	s_cbranch_execz .LBB108_599
; %bb.596:
	v_add_nc_u32_e32 v97, 0x178, v58
	v_add3_u32 v98, 0, v58, 8
	v_mov_b32_e32 v99, v0
	s_mov_b32 s5, 0
.LBB108_597:                            ; =>This Inner Loop Header: Depth=1
	scratch_load_b64 v[100:101], v98, off
	ds_load_b64 v[102:103], v97
	s_wait_xcnt 0x0
	v_dual_add_nc_u32 v97, 8, v97 :: v_dual_add_nc_u32 v98, 8, v98
	s_wait_loadcnt_dscnt 0x0
	v_pk_mul_f32 v[104:105], v[102:103], v[100:101] op_sel:[1,1] op_sel_hi:[0,1]
	s_delay_alu instid0(VALU_DEP_1) | instskip(SKIP_2) | instid1(VALU_DEP_3)
	v_pk_fma_f32 v[106:107], v[102:103], v[100:101], v[104:105] op_sel_hi:[1,0,1]
	v_add_nc_u32_e32 v99, 1, v99
	v_pk_fma_f32 v[100:101], v[102:103], v[100:101], v[104:105] neg_lo:[0,0,1] neg_hi:[0,0,1]
	v_mov_b32_e32 v101, v107
	s_delay_alu instid0(VALU_DEP_3) | instskip(NEXT) | instid1(VALU_DEP_2)
	v_cmp_lt_u32_e32 vcc_lo, 14, v99
	v_pk_add_f32 v[94:95], v[94:95], v[100:101]
	s_or_b32 s5, vcc_lo, s5
	s_delay_alu instid0(SALU_CYCLE_1)
	s_and_not1_b32 exec_lo, exec_lo, s5
	s_cbranch_execnz .LBB108_597
; %bb.598:
	s_or_b32 exec_lo, exec_lo, s5
.LBB108_599:
	s_delay_alu instid0(SALU_CYCLE_1) | instskip(SKIP_4) | instid1(VALU_DEP_1)
	s_or_b32 exec_lo, exec_lo, s4
	v_mov_b32_e32 v97, 0
	ds_load_b64 v[98:99], v97 offset:128
	s_wait_dscnt 0x0
	v_pk_mul_f32 v[100:101], v[94:95], v[98:99] op_sel:[1,1] op_sel_hi:[0,1]
	v_pk_fma_f32 v[102:103], v[94:95], v[98:99], v[100:101] op_sel_hi:[1,0,1]
	v_pk_fma_f32 v[94:95], v[94:95], v[98:99], v[100:101] neg_lo:[0,0,1] neg_hi:[0,0,1]
	s_delay_alu instid0(VALU_DEP_2)
	v_mov_b32_e32 v95, v103
	scratch_store_b64 off, v[94:95], off offset:128
.LBB108_600:
	s_wait_xcnt 0x0
	s_or_b32 exec_lo, exec_lo, s0
	scratch_load_b64 v[94:95], off, off offset:136
	s_mov_b32 s0, exec_lo
	s_wait_loadcnt 0x0
	ds_store_b64 v1, v[94:95]
	s_wait_storecnt_dscnt 0x0
	s_barrier_signal -1
	s_barrier_wait -1
	s_wait_xcnt 0x0
	v_cmpx_gt_u32_e32 17, v0
	s_cbranch_execz .LBB108_610
; %bb.601:
	v_cmp_ne_u32_e32 vcc_lo, 1, v96
	s_cbranch_vccnz .LBB108_603
; %bb.602:
	scratch_load_b64 v[94:95], v59, off
	ds_load_b64 v[98:99], v1
	s_wait_loadcnt_dscnt 0x0
	v_pk_mul_f32 v[100:101], v[98:99], v[94:95] op_sel:[1,1] op_sel_hi:[0,1]
	s_delay_alu instid0(VALU_DEP_1) | instskip(SKIP_1) | instid1(VALU_DEP_2)
	v_pk_fma_f32 v[102:103], v[98:99], v[94:95], v[100:101] op_sel_hi:[1,0,1]
	v_pk_fma_f32 v[94:95], v[98:99], v[94:95], v[100:101] neg_lo:[0,0,1] neg_hi:[0,0,1]
	v_mov_b32_e32 v95, v103
	s_cbranch_execz .LBB108_604
	s_branch .LBB108_605
.LBB108_603:
                                        ; implicit-def: $vgpr94_vgpr95
.LBB108_604:
	ds_load_b64 v[94:95], v1
.LBB108_605:
	s_mov_b32 s4, exec_lo
	v_cmpx_ne_u32_e32 16, v0
	s_cbranch_execz .LBB108_609
; %bb.606:
	v_add_nc_u32_e32 v97, 0x178, v58
	v_add3_u32 v98, 0, v58, 8
	v_mov_b32_e32 v99, v0
	s_mov_b32 s5, 0
.LBB108_607:                            ; =>This Inner Loop Header: Depth=1
	scratch_load_b64 v[100:101], v98, off
	ds_load_b64 v[102:103], v97
	s_wait_xcnt 0x0
	v_dual_add_nc_u32 v97, 8, v97 :: v_dual_add_nc_u32 v98, 8, v98
	s_wait_loadcnt_dscnt 0x0
	v_pk_mul_f32 v[104:105], v[102:103], v[100:101] op_sel:[1,1] op_sel_hi:[0,1]
	s_delay_alu instid0(VALU_DEP_1) | instskip(SKIP_2) | instid1(VALU_DEP_3)
	v_pk_fma_f32 v[106:107], v[102:103], v[100:101], v[104:105] op_sel_hi:[1,0,1]
	v_add_nc_u32_e32 v99, 1, v99
	v_pk_fma_f32 v[100:101], v[102:103], v[100:101], v[104:105] neg_lo:[0,0,1] neg_hi:[0,0,1]
	v_mov_b32_e32 v101, v107
	s_delay_alu instid0(VALU_DEP_3) | instskip(NEXT) | instid1(VALU_DEP_2)
	v_cmp_lt_u32_e32 vcc_lo, 15, v99
	v_pk_add_f32 v[94:95], v[94:95], v[100:101]
	s_or_b32 s5, vcc_lo, s5
	s_delay_alu instid0(SALU_CYCLE_1)
	s_and_not1_b32 exec_lo, exec_lo, s5
	s_cbranch_execnz .LBB108_607
; %bb.608:
	s_or_b32 exec_lo, exec_lo, s5
.LBB108_609:
	s_delay_alu instid0(SALU_CYCLE_1) | instskip(SKIP_4) | instid1(VALU_DEP_1)
	s_or_b32 exec_lo, exec_lo, s4
	v_mov_b32_e32 v97, 0
	ds_load_b64 v[98:99], v97 offset:136
	s_wait_dscnt 0x0
	v_pk_mul_f32 v[100:101], v[94:95], v[98:99] op_sel:[1,1] op_sel_hi:[0,1]
	v_pk_fma_f32 v[102:103], v[94:95], v[98:99], v[100:101] op_sel_hi:[1,0,1]
	v_pk_fma_f32 v[94:95], v[94:95], v[98:99], v[100:101] neg_lo:[0,0,1] neg_hi:[0,0,1]
	s_delay_alu instid0(VALU_DEP_2)
	v_mov_b32_e32 v95, v103
	scratch_store_b64 off, v[94:95], off offset:136
.LBB108_610:
	s_wait_xcnt 0x0
	s_or_b32 exec_lo, exec_lo, s0
	scratch_load_b64 v[94:95], off, off offset:144
	s_mov_b32 s0, exec_lo
	s_wait_loadcnt 0x0
	ds_store_b64 v1, v[94:95]
	s_wait_storecnt_dscnt 0x0
	s_barrier_signal -1
	s_barrier_wait -1
	s_wait_xcnt 0x0
	v_cmpx_gt_u32_e32 18, v0
	s_cbranch_execz .LBB108_620
; %bb.611:
	v_cmp_ne_u32_e32 vcc_lo, 1, v96
	s_cbranch_vccnz .LBB108_613
; %bb.612:
	scratch_load_b64 v[94:95], v59, off
	ds_load_b64 v[98:99], v1
	s_wait_loadcnt_dscnt 0x0
	v_pk_mul_f32 v[100:101], v[98:99], v[94:95] op_sel:[1,1] op_sel_hi:[0,1]
	s_delay_alu instid0(VALU_DEP_1) | instskip(SKIP_1) | instid1(VALU_DEP_2)
	v_pk_fma_f32 v[102:103], v[98:99], v[94:95], v[100:101] op_sel_hi:[1,0,1]
	v_pk_fma_f32 v[94:95], v[98:99], v[94:95], v[100:101] neg_lo:[0,0,1] neg_hi:[0,0,1]
	v_mov_b32_e32 v95, v103
	s_cbranch_execz .LBB108_614
	s_branch .LBB108_615
.LBB108_613:
                                        ; implicit-def: $vgpr94_vgpr95
.LBB108_614:
	ds_load_b64 v[94:95], v1
.LBB108_615:
	s_mov_b32 s4, exec_lo
	v_cmpx_ne_u32_e32 17, v0
	s_cbranch_execz .LBB108_619
; %bb.616:
	v_add_nc_u32_e32 v97, 0x178, v58
	v_add3_u32 v98, 0, v58, 8
	v_mov_b32_e32 v99, v0
	s_mov_b32 s5, 0
.LBB108_617:                            ; =>This Inner Loop Header: Depth=1
	scratch_load_b64 v[100:101], v98, off
	ds_load_b64 v[102:103], v97
	s_wait_xcnt 0x0
	v_dual_add_nc_u32 v97, 8, v97 :: v_dual_add_nc_u32 v98, 8, v98
	s_wait_loadcnt_dscnt 0x0
	v_pk_mul_f32 v[104:105], v[102:103], v[100:101] op_sel:[1,1] op_sel_hi:[0,1]
	s_delay_alu instid0(VALU_DEP_1) | instskip(SKIP_2) | instid1(VALU_DEP_3)
	v_pk_fma_f32 v[106:107], v[102:103], v[100:101], v[104:105] op_sel_hi:[1,0,1]
	v_add_nc_u32_e32 v99, 1, v99
	v_pk_fma_f32 v[100:101], v[102:103], v[100:101], v[104:105] neg_lo:[0,0,1] neg_hi:[0,0,1]
	v_mov_b32_e32 v101, v107
	s_delay_alu instid0(VALU_DEP_3) | instskip(NEXT) | instid1(VALU_DEP_2)
	v_cmp_lt_u32_e32 vcc_lo, 16, v99
	v_pk_add_f32 v[94:95], v[94:95], v[100:101]
	s_or_b32 s5, vcc_lo, s5
	s_delay_alu instid0(SALU_CYCLE_1)
	s_and_not1_b32 exec_lo, exec_lo, s5
	s_cbranch_execnz .LBB108_617
; %bb.618:
	s_or_b32 exec_lo, exec_lo, s5
.LBB108_619:
	s_delay_alu instid0(SALU_CYCLE_1) | instskip(SKIP_4) | instid1(VALU_DEP_1)
	s_or_b32 exec_lo, exec_lo, s4
	v_mov_b32_e32 v97, 0
	ds_load_b64 v[98:99], v97 offset:144
	s_wait_dscnt 0x0
	v_pk_mul_f32 v[100:101], v[94:95], v[98:99] op_sel:[1,1] op_sel_hi:[0,1]
	v_pk_fma_f32 v[102:103], v[94:95], v[98:99], v[100:101] op_sel_hi:[1,0,1]
	v_pk_fma_f32 v[94:95], v[94:95], v[98:99], v[100:101] neg_lo:[0,0,1] neg_hi:[0,0,1]
	s_delay_alu instid0(VALU_DEP_2)
	v_mov_b32_e32 v95, v103
	scratch_store_b64 off, v[94:95], off offset:144
.LBB108_620:
	s_wait_xcnt 0x0
	s_or_b32 exec_lo, exec_lo, s0
	scratch_load_b64 v[94:95], off, off offset:152
	s_mov_b32 s0, exec_lo
	s_wait_loadcnt 0x0
	ds_store_b64 v1, v[94:95]
	s_wait_storecnt_dscnt 0x0
	s_barrier_signal -1
	s_barrier_wait -1
	s_wait_xcnt 0x0
	v_cmpx_gt_u32_e32 19, v0
	s_cbranch_execz .LBB108_630
; %bb.621:
	v_cmp_ne_u32_e32 vcc_lo, 1, v96
	s_cbranch_vccnz .LBB108_623
; %bb.622:
	scratch_load_b64 v[94:95], v59, off
	ds_load_b64 v[98:99], v1
	s_wait_loadcnt_dscnt 0x0
	v_pk_mul_f32 v[100:101], v[98:99], v[94:95] op_sel:[1,1] op_sel_hi:[0,1]
	s_delay_alu instid0(VALU_DEP_1) | instskip(SKIP_1) | instid1(VALU_DEP_2)
	v_pk_fma_f32 v[102:103], v[98:99], v[94:95], v[100:101] op_sel_hi:[1,0,1]
	v_pk_fma_f32 v[94:95], v[98:99], v[94:95], v[100:101] neg_lo:[0,0,1] neg_hi:[0,0,1]
	v_mov_b32_e32 v95, v103
	s_cbranch_execz .LBB108_624
	s_branch .LBB108_625
.LBB108_623:
                                        ; implicit-def: $vgpr94_vgpr95
.LBB108_624:
	ds_load_b64 v[94:95], v1
.LBB108_625:
	s_mov_b32 s4, exec_lo
	v_cmpx_ne_u32_e32 18, v0
	s_cbranch_execz .LBB108_629
; %bb.626:
	v_add_nc_u32_e32 v97, 0x178, v58
	v_add3_u32 v98, 0, v58, 8
	v_mov_b32_e32 v99, v0
	s_mov_b32 s5, 0
.LBB108_627:                            ; =>This Inner Loop Header: Depth=1
	scratch_load_b64 v[100:101], v98, off
	ds_load_b64 v[102:103], v97
	s_wait_xcnt 0x0
	v_dual_add_nc_u32 v97, 8, v97 :: v_dual_add_nc_u32 v98, 8, v98
	s_wait_loadcnt_dscnt 0x0
	v_pk_mul_f32 v[104:105], v[102:103], v[100:101] op_sel:[1,1] op_sel_hi:[0,1]
	s_delay_alu instid0(VALU_DEP_1) | instskip(SKIP_2) | instid1(VALU_DEP_3)
	v_pk_fma_f32 v[106:107], v[102:103], v[100:101], v[104:105] op_sel_hi:[1,0,1]
	v_add_nc_u32_e32 v99, 1, v99
	v_pk_fma_f32 v[100:101], v[102:103], v[100:101], v[104:105] neg_lo:[0,0,1] neg_hi:[0,0,1]
	v_mov_b32_e32 v101, v107
	s_delay_alu instid0(VALU_DEP_3) | instskip(NEXT) | instid1(VALU_DEP_2)
	v_cmp_lt_u32_e32 vcc_lo, 17, v99
	v_pk_add_f32 v[94:95], v[94:95], v[100:101]
	s_or_b32 s5, vcc_lo, s5
	s_delay_alu instid0(SALU_CYCLE_1)
	s_and_not1_b32 exec_lo, exec_lo, s5
	s_cbranch_execnz .LBB108_627
; %bb.628:
	s_or_b32 exec_lo, exec_lo, s5
.LBB108_629:
	s_delay_alu instid0(SALU_CYCLE_1) | instskip(SKIP_4) | instid1(VALU_DEP_1)
	s_or_b32 exec_lo, exec_lo, s4
	v_mov_b32_e32 v97, 0
	ds_load_b64 v[98:99], v97 offset:152
	s_wait_dscnt 0x0
	v_pk_mul_f32 v[100:101], v[94:95], v[98:99] op_sel:[1,1] op_sel_hi:[0,1]
	v_pk_fma_f32 v[102:103], v[94:95], v[98:99], v[100:101] op_sel_hi:[1,0,1]
	v_pk_fma_f32 v[94:95], v[94:95], v[98:99], v[100:101] neg_lo:[0,0,1] neg_hi:[0,0,1]
	s_delay_alu instid0(VALU_DEP_2)
	v_mov_b32_e32 v95, v103
	scratch_store_b64 off, v[94:95], off offset:152
.LBB108_630:
	s_wait_xcnt 0x0
	s_or_b32 exec_lo, exec_lo, s0
	scratch_load_b64 v[94:95], off, off offset:160
	s_mov_b32 s0, exec_lo
	s_wait_loadcnt 0x0
	ds_store_b64 v1, v[94:95]
	s_wait_storecnt_dscnt 0x0
	s_barrier_signal -1
	s_barrier_wait -1
	s_wait_xcnt 0x0
	v_cmpx_gt_u32_e32 20, v0
	s_cbranch_execz .LBB108_640
; %bb.631:
	v_cmp_ne_u32_e32 vcc_lo, 1, v96
	s_cbranch_vccnz .LBB108_633
; %bb.632:
	scratch_load_b64 v[94:95], v59, off
	ds_load_b64 v[98:99], v1
	s_wait_loadcnt_dscnt 0x0
	v_pk_mul_f32 v[100:101], v[98:99], v[94:95] op_sel:[1,1] op_sel_hi:[0,1]
	s_delay_alu instid0(VALU_DEP_1) | instskip(SKIP_1) | instid1(VALU_DEP_2)
	v_pk_fma_f32 v[102:103], v[98:99], v[94:95], v[100:101] op_sel_hi:[1,0,1]
	v_pk_fma_f32 v[94:95], v[98:99], v[94:95], v[100:101] neg_lo:[0,0,1] neg_hi:[0,0,1]
	v_mov_b32_e32 v95, v103
	s_cbranch_execz .LBB108_634
	s_branch .LBB108_635
.LBB108_633:
                                        ; implicit-def: $vgpr94_vgpr95
.LBB108_634:
	ds_load_b64 v[94:95], v1
.LBB108_635:
	s_mov_b32 s4, exec_lo
	v_cmpx_ne_u32_e32 19, v0
	s_cbranch_execz .LBB108_639
; %bb.636:
	v_add_nc_u32_e32 v97, 0x178, v58
	v_add3_u32 v98, 0, v58, 8
	v_mov_b32_e32 v99, v0
	s_mov_b32 s5, 0
.LBB108_637:                            ; =>This Inner Loop Header: Depth=1
	scratch_load_b64 v[100:101], v98, off
	ds_load_b64 v[102:103], v97
	s_wait_xcnt 0x0
	v_dual_add_nc_u32 v97, 8, v97 :: v_dual_add_nc_u32 v98, 8, v98
	s_wait_loadcnt_dscnt 0x0
	v_pk_mul_f32 v[104:105], v[102:103], v[100:101] op_sel:[1,1] op_sel_hi:[0,1]
	s_delay_alu instid0(VALU_DEP_1) | instskip(SKIP_2) | instid1(VALU_DEP_3)
	v_pk_fma_f32 v[106:107], v[102:103], v[100:101], v[104:105] op_sel_hi:[1,0,1]
	v_add_nc_u32_e32 v99, 1, v99
	v_pk_fma_f32 v[100:101], v[102:103], v[100:101], v[104:105] neg_lo:[0,0,1] neg_hi:[0,0,1]
	v_mov_b32_e32 v101, v107
	s_delay_alu instid0(VALU_DEP_3) | instskip(NEXT) | instid1(VALU_DEP_2)
	v_cmp_lt_u32_e32 vcc_lo, 18, v99
	v_pk_add_f32 v[94:95], v[94:95], v[100:101]
	s_or_b32 s5, vcc_lo, s5
	s_delay_alu instid0(SALU_CYCLE_1)
	s_and_not1_b32 exec_lo, exec_lo, s5
	s_cbranch_execnz .LBB108_637
; %bb.638:
	s_or_b32 exec_lo, exec_lo, s5
.LBB108_639:
	s_delay_alu instid0(SALU_CYCLE_1) | instskip(SKIP_4) | instid1(VALU_DEP_1)
	s_or_b32 exec_lo, exec_lo, s4
	v_mov_b32_e32 v97, 0
	ds_load_b64 v[98:99], v97 offset:160
	s_wait_dscnt 0x0
	v_pk_mul_f32 v[100:101], v[94:95], v[98:99] op_sel:[1,1] op_sel_hi:[0,1]
	v_pk_fma_f32 v[102:103], v[94:95], v[98:99], v[100:101] op_sel_hi:[1,0,1]
	v_pk_fma_f32 v[94:95], v[94:95], v[98:99], v[100:101] neg_lo:[0,0,1] neg_hi:[0,0,1]
	s_delay_alu instid0(VALU_DEP_2)
	v_mov_b32_e32 v95, v103
	scratch_store_b64 off, v[94:95], off offset:160
.LBB108_640:
	s_wait_xcnt 0x0
	s_or_b32 exec_lo, exec_lo, s0
	scratch_load_b64 v[94:95], off, off offset:168
	s_mov_b32 s0, exec_lo
	s_wait_loadcnt 0x0
	ds_store_b64 v1, v[94:95]
	s_wait_storecnt_dscnt 0x0
	s_barrier_signal -1
	s_barrier_wait -1
	s_wait_xcnt 0x0
	v_cmpx_gt_u32_e32 21, v0
	s_cbranch_execz .LBB108_650
; %bb.641:
	v_cmp_ne_u32_e32 vcc_lo, 1, v96
	s_cbranch_vccnz .LBB108_643
; %bb.642:
	scratch_load_b64 v[94:95], v59, off
	ds_load_b64 v[98:99], v1
	s_wait_loadcnt_dscnt 0x0
	v_pk_mul_f32 v[100:101], v[98:99], v[94:95] op_sel:[1,1] op_sel_hi:[0,1]
	s_delay_alu instid0(VALU_DEP_1) | instskip(SKIP_1) | instid1(VALU_DEP_2)
	v_pk_fma_f32 v[102:103], v[98:99], v[94:95], v[100:101] op_sel_hi:[1,0,1]
	v_pk_fma_f32 v[94:95], v[98:99], v[94:95], v[100:101] neg_lo:[0,0,1] neg_hi:[0,0,1]
	v_mov_b32_e32 v95, v103
	s_cbranch_execz .LBB108_644
	s_branch .LBB108_645
.LBB108_643:
                                        ; implicit-def: $vgpr94_vgpr95
.LBB108_644:
	ds_load_b64 v[94:95], v1
.LBB108_645:
	s_mov_b32 s4, exec_lo
	v_cmpx_ne_u32_e32 20, v0
	s_cbranch_execz .LBB108_649
; %bb.646:
	v_add_nc_u32_e32 v97, 0x178, v58
	v_add3_u32 v98, 0, v58, 8
	v_mov_b32_e32 v99, v0
	s_mov_b32 s5, 0
.LBB108_647:                            ; =>This Inner Loop Header: Depth=1
	scratch_load_b64 v[100:101], v98, off
	ds_load_b64 v[102:103], v97
	s_wait_xcnt 0x0
	v_dual_add_nc_u32 v97, 8, v97 :: v_dual_add_nc_u32 v98, 8, v98
	s_wait_loadcnt_dscnt 0x0
	v_pk_mul_f32 v[104:105], v[102:103], v[100:101] op_sel:[1,1] op_sel_hi:[0,1]
	s_delay_alu instid0(VALU_DEP_1) | instskip(SKIP_2) | instid1(VALU_DEP_3)
	v_pk_fma_f32 v[106:107], v[102:103], v[100:101], v[104:105] op_sel_hi:[1,0,1]
	v_add_nc_u32_e32 v99, 1, v99
	v_pk_fma_f32 v[100:101], v[102:103], v[100:101], v[104:105] neg_lo:[0,0,1] neg_hi:[0,0,1]
	v_mov_b32_e32 v101, v107
	s_delay_alu instid0(VALU_DEP_3) | instskip(NEXT) | instid1(VALU_DEP_2)
	v_cmp_lt_u32_e32 vcc_lo, 19, v99
	v_pk_add_f32 v[94:95], v[94:95], v[100:101]
	s_or_b32 s5, vcc_lo, s5
	s_delay_alu instid0(SALU_CYCLE_1)
	s_and_not1_b32 exec_lo, exec_lo, s5
	s_cbranch_execnz .LBB108_647
; %bb.648:
	s_or_b32 exec_lo, exec_lo, s5
.LBB108_649:
	s_delay_alu instid0(SALU_CYCLE_1) | instskip(SKIP_4) | instid1(VALU_DEP_1)
	s_or_b32 exec_lo, exec_lo, s4
	v_mov_b32_e32 v97, 0
	ds_load_b64 v[98:99], v97 offset:168
	s_wait_dscnt 0x0
	v_pk_mul_f32 v[100:101], v[94:95], v[98:99] op_sel:[1,1] op_sel_hi:[0,1]
	v_pk_fma_f32 v[102:103], v[94:95], v[98:99], v[100:101] op_sel_hi:[1,0,1]
	v_pk_fma_f32 v[94:95], v[94:95], v[98:99], v[100:101] neg_lo:[0,0,1] neg_hi:[0,0,1]
	s_delay_alu instid0(VALU_DEP_2)
	v_mov_b32_e32 v95, v103
	scratch_store_b64 off, v[94:95], off offset:168
.LBB108_650:
	s_wait_xcnt 0x0
	s_or_b32 exec_lo, exec_lo, s0
	scratch_load_b64 v[94:95], off, off offset:176
	s_mov_b32 s0, exec_lo
	s_wait_loadcnt 0x0
	ds_store_b64 v1, v[94:95]
	s_wait_storecnt_dscnt 0x0
	s_barrier_signal -1
	s_barrier_wait -1
	s_wait_xcnt 0x0
	v_cmpx_gt_u32_e32 22, v0
	s_cbranch_execz .LBB108_660
; %bb.651:
	v_cmp_ne_u32_e32 vcc_lo, 1, v96
	s_cbranch_vccnz .LBB108_653
; %bb.652:
	scratch_load_b64 v[94:95], v59, off
	ds_load_b64 v[98:99], v1
	s_wait_loadcnt_dscnt 0x0
	v_pk_mul_f32 v[100:101], v[98:99], v[94:95] op_sel:[1,1] op_sel_hi:[0,1]
	s_delay_alu instid0(VALU_DEP_1) | instskip(SKIP_1) | instid1(VALU_DEP_2)
	v_pk_fma_f32 v[102:103], v[98:99], v[94:95], v[100:101] op_sel_hi:[1,0,1]
	v_pk_fma_f32 v[94:95], v[98:99], v[94:95], v[100:101] neg_lo:[0,0,1] neg_hi:[0,0,1]
	v_mov_b32_e32 v95, v103
	s_cbranch_execz .LBB108_654
	s_branch .LBB108_655
.LBB108_653:
                                        ; implicit-def: $vgpr94_vgpr95
.LBB108_654:
	ds_load_b64 v[94:95], v1
.LBB108_655:
	s_mov_b32 s4, exec_lo
	v_cmpx_ne_u32_e32 21, v0
	s_cbranch_execz .LBB108_659
; %bb.656:
	v_add_nc_u32_e32 v97, 0x178, v58
	v_add3_u32 v98, 0, v58, 8
	v_mov_b32_e32 v99, v0
	s_mov_b32 s5, 0
.LBB108_657:                            ; =>This Inner Loop Header: Depth=1
	scratch_load_b64 v[100:101], v98, off
	ds_load_b64 v[102:103], v97
	s_wait_xcnt 0x0
	v_dual_add_nc_u32 v97, 8, v97 :: v_dual_add_nc_u32 v98, 8, v98
	s_wait_loadcnt_dscnt 0x0
	v_pk_mul_f32 v[104:105], v[102:103], v[100:101] op_sel:[1,1] op_sel_hi:[0,1]
	s_delay_alu instid0(VALU_DEP_1) | instskip(SKIP_2) | instid1(VALU_DEP_3)
	v_pk_fma_f32 v[106:107], v[102:103], v[100:101], v[104:105] op_sel_hi:[1,0,1]
	v_add_nc_u32_e32 v99, 1, v99
	v_pk_fma_f32 v[100:101], v[102:103], v[100:101], v[104:105] neg_lo:[0,0,1] neg_hi:[0,0,1]
	v_mov_b32_e32 v101, v107
	s_delay_alu instid0(VALU_DEP_3) | instskip(NEXT) | instid1(VALU_DEP_2)
	v_cmp_lt_u32_e32 vcc_lo, 20, v99
	v_pk_add_f32 v[94:95], v[94:95], v[100:101]
	s_or_b32 s5, vcc_lo, s5
	s_delay_alu instid0(SALU_CYCLE_1)
	s_and_not1_b32 exec_lo, exec_lo, s5
	s_cbranch_execnz .LBB108_657
; %bb.658:
	s_or_b32 exec_lo, exec_lo, s5
.LBB108_659:
	s_delay_alu instid0(SALU_CYCLE_1) | instskip(SKIP_4) | instid1(VALU_DEP_1)
	s_or_b32 exec_lo, exec_lo, s4
	v_mov_b32_e32 v97, 0
	ds_load_b64 v[98:99], v97 offset:176
	s_wait_dscnt 0x0
	v_pk_mul_f32 v[100:101], v[94:95], v[98:99] op_sel:[1,1] op_sel_hi:[0,1]
	v_pk_fma_f32 v[102:103], v[94:95], v[98:99], v[100:101] op_sel_hi:[1,0,1]
	v_pk_fma_f32 v[94:95], v[94:95], v[98:99], v[100:101] neg_lo:[0,0,1] neg_hi:[0,0,1]
	s_delay_alu instid0(VALU_DEP_2)
	v_mov_b32_e32 v95, v103
	scratch_store_b64 off, v[94:95], off offset:176
.LBB108_660:
	s_wait_xcnt 0x0
	s_or_b32 exec_lo, exec_lo, s0
	scratch_load_b64 v[94:95], off, off offset:184
	s_mov_b32 s0, exec_lo
	s_wait_loadcnt 0x0
	ds_store_b64 v1, v[94:95]
	s_wait_storecnt_dscnt 0x0
	s_barrier_signal -1
	s_barrier_wait -1
	s_wait_xcnt 0x0
	v_cmpx_gt_u32_e32 23, v0
	s_cbranch_execz .LBB108_670
; %bb.661:
	v_cmp_ne_u32_e32 vcc_lo, 1, v96
	s_cbranch_vccnz .LBB108_663
; %bb.662:
	scratch_load_b64 v[94:95], v59, off
	ds_load_b64 v[98:99], v1
	s_wait_loadcnt_dscnt 0x0
	v_pk_mul_f32 v[100:101], v[98:99], v[94:95] op_sel:[1,1] op_sel_hi:[0,1]
	s_delay_alu instid0(VALU_DEP_1) | instskip(SKIP_1) | instid1(VALU_DEP_2)
	v_pk_fma_f32 v[102:103], v[98:99], v[94:95], v[100:101] op_sel_hi:[1,0,1]
	v_pk_fma_f32 v[94:95], v[98:99], v[94:95], v[100:101] neg_lo:[0,0,1] neg_hi:[0,0,1]
	v_mov_b32_e32 v95, v103
	s_cbranch_execz .LBB108_664
	s_branch .LBB108_665
.LBB108_663:
                                        ; implicit-def: $vgpr94_vgpr95
.LBB108_664:
	ds_load_b64 v[94:95], v1
.LBB108_665:
	s_mov_b32 s4, exec_lo
	v_cmpx_ne_u32_e32 22, v0
	s_cbranch_execz .LBB108_669
; %bb.666:
	v_add_nc_u32_e32 v97, 0x178, v58
	v_add3_u32 v98, 0, v58, 8
	v_mov_b32_e32 v99, v0
	s_mov_b32 s5, 0
.LBB108_667:                            ; =>This Inner Loop Header: Depth=1
	scratch_load_b64 v[100:101], v98, off
	ds_load_b64 v[102:103], v97
	s_wait_xcnt 0x0
	v_dual_add_nc_u32 v97, 8, v97 :: v_dual_add_nc_u32 v98, 8, v98
	s_wait_loadcnt_dscnt 0x0
	v_pk_mul_f32 v[104:105], v[102:103], v[100:101] op_sel:[1,1] op_sel_hi:[0,1]
	s_delay_alu instid0(VALU_DEP_1) | instskip(SKIP_2) | instid1(VALU_DEP_3)
	v_pk_fma_f32 v[106:107], v[102:103], v[100:101], v[104:105] op_sel_hi:[1,0,1]
	v_add_nc_u32_e32 v99, 1, v99
	v_pk_fma_f32 v[100:101], v[102:103], v[100:101], v[104:105] neg_lo:[0,0,1] neg_hi:[0,0,1]
	v_mov_b32_e32 v101, v107
	s_delay_alu instid0(VALU_DEP_3) | instskip(NEXT) | instid1(VALU_DEP_2)
	v_cmp_lt_u32_e32 vcc_lo, 21, v99
	v_pk_add_f32 v[94:95], v[94:95], v[100:101]
	s_or_b32 s5, vcc_lo, s5
	s_delay_alu instid0(SALU_CYCLE_1)
	s_and_not1_b32 exec_lo, exec_lo, s5
	s_cbranch_execnz .LBB108_667
; %bb.668:
	s_or_b32 exec_lo, exec_lo, s5
.LBB108_669:
	s_delay_alu instid0(SALU_CYCLE_1) | instskip(SKIP_4) | instid1(VALU_DEP_1)
	s_or_b32 exec_lo, exec_lo, s4
	v_mov_b32_e32 v97, 0
	ds_load_b64 v[98:99], v97 offset:184
	s_wait_dscnt 0x0
	v_pk_mul_f32 v[100:101], v[94:95], v[98:99] op_sel:[1,1] op_sel_hi:[0,1]
	v_pk_fma_f32 v[102:103], v[94:95], v[98:99], v[100:101] op_sel_hi:[1,0,1]
	v_pk_fma_f32 v[94:95], v[94:95], v[98:99], v[100:101] neg_lo:[0,0,1] neg_hi:[0,0,1]
	s_delay_alu instid0(VALU_DEP_2)
	v_mov_b32_e32 v95, v103
	scratch_store_b64 off, v[94:95], off offset:184
.LBB108_670:
	s_wait_xcnt 0x0
	s_or_b32 exec_lo, exec_lo, s0
	scratch_load_b64 v[94:95], off, off offset:192
	s_mov_b32 s0, exec_lo
	s_wait_loadcnt 0x0
	ds_store_b64 v1, v[94:95]
	s_wait_storecnt_dscnt 0x0
	s_barrier_signal -1
	s_barrier_wait -1
	s_wait_xcnt 0x0
	v_cmpx_gt_u32_e32 24, v0
	s_cbranch_execz .LBB108_680
; %bb.671:
	v_cmp_ne_u32_e32 vcc_lo, 1, v96
	s_cbranch_vccnz .LBB108_673
; %bb.672:
	scratch_load_b64 v[94:95], v59, off
	ds_load_b64 v[98:99], v1
	s_wait_loadcnt_dscnt 0x0
	v_pk_mul_f32 v[100:101], v[98:99], v[94:95] op_sel:[1,1] op_sel_hi:[0,1]
	s_delay_alu instid0(VALU_DEP_1) | instskip(SKIP_1) | instid1(VALU_DEP_2)
	v_pk_fma_f32 v[102:103], v[98:99], v[94:95], v[100:101] op_sel_hi:[1,0,1]
	v_pk_fma_f32 v[94:95], v[98:99], v[94:95], v[100:101] neg_lo:[0,0,1] neg_hi:[0,0,1]
	v_mov_b32_e32 v95, v103
	s_cbranch_execz .LBB108_674
	s_branch .LBB108_675
.LBB108_673:
                                        ; implicit-def: $vgpr94_vgpr95
.LBB108_674:
	ds_load_b64 v[94:95], v1
.LBB108_675:
	s_mov_b32 s4, exec_lo
	v_cmpx_ne_u32_e32 23, v0
	s_cbranch_execz .LBB108_679
; %bb.676:
	v_add_nc_u32_e32 v97, 0x178, v58
	v_add3_u32 v98, 0, v58, 8
	v_mov_b32_e32 v99, v0
	s_mov_b32 s5, 0
.LBB108_677:                            ; =>This Inner Loop Header: Depth=1
	scratch_load_b64 v[100:101], v98, off
	ds_load_b64 v[102:103], v97
	s_wait_xcnt 0x0
	v_dual_add_nc_u32 v97, 8, v97 :: v_dual_add_nc_u32 v98, 8, v98
	s_wait_loadcnt_dscnt 0x0
	v_pk_mul_f32 v[104:105], v[102:103], v[100:101] op_sel:[1,1] op_sel_hi:[0,1]
	s_delay_alu instid0(VALU_DEP_1) | instskip(SKIP_2) | instid1(VALU_DEP_3)
	v_pk_fma_f32 v[106:107], v[102:103], v[100:101], v[104:105] op_sel_hi:[1,0,1]
	v_add_nc_u32_e32 v99, 1, v99
	v_pk_fma_f32 v[100:101], v[102:103], v[100:101], v[104:105] neg_lo:[0,0,1] neg_hi:[0,0,1]
	v_mov_b32_e32 v101, v107
	s_delay_alu instid0(VALU_DEP_3) | instskip(NEXT) | instid1(VALU_DEP_2)
	v_cmp_lt_u32_e32 vcc_lo, 22, v99
	v_pk_add_f32 v[94:95], v[94:95], v[100:101]
	s_or_b32 s5, vcc_lo, s5
	s_delay_alu instid0(SALU_CYCLE_1)
	s_and_not1_b32 exec_lo, exec_lo, s5
	s_cbranch_execnz .LBB108_677
; %bb.678:
	s_or_b32 exec_lo, exec_lo, s5
.LBB108_679:
	s_delay_alu instid0(SALU_CYCLE_1) | instskip(SKIP_4) | instid1(VALU_DEP_1)
	s_or_b32 exec_lo, exec_lo, s4
	v_mov_b32_e32 v97, 0
	ds_load_b64 v[98:99], v97 offset:192
	s_wait_dscnt 0x0
	v_pk_mul_f32 v[100:101], v[94:95], v[98:99] op_sel:[1,1] op_sel_hi:[0,1]
	v_pk_fma_f32 v[102:103], v[94:95], v[98:99], v[100:101] op_sel_hi:[1,0,1]
	v_pk_fma_f32 v[94:95], v[94:95], v[98:99], v[100:101] neg_lo:[0,0,1] neg_hi:[0,0,1]
	s_delay_alu instid0(VALU_DEP_2)
	v_mov_b32_e32 v95, v103
	scratch_store_b64 off, v[94:95], off offset:192
.LBB108_680:
	s_wait_xcnt 0x0
	s_or_b32 exec_lo, exec_lo, s0
	scratch_load_b64 v[94:95], off, off offset:200
	s_mov_b32 s0, exec_lo
	s_wait_loadcnt 0x0
	ds_store_b64 v1, v[94:95]
	s_wait_storecnt_dscnt 0x0
	s_barrier_signal -1
	s_barrier_wait -1
	s_wait_xcnt 0x0
	v_cmpx_gt_u32_e32 25, v0
	s_cbranch_execz .LBB108_690
; %bb.681:
	v_cmp_ne_u32_e32 vcc_lo, 1, v96
	s_cbranch_vccnz .LBB108_683
; %bb.682:
	scratch_load_b64 v[94:95], v59, off
	ds_load_b64 v[98:99], v1
	s_wait_loadcnt_dscnt 0x0
	v_pk_mul_f32 v[100:101], v[98:99], v[94:95] op_sel:[1,1] op_sel_hi:[0,1]
	s_delay_alu instid0(VALU_DEP_1) | instskip(SKIP_1) | instid1(VALU_DEP_2)
	v_pk_fma_f32 v[102:103], v[98:99], v[94:95], v[100:101] op_sel_hi:[1,0,1]
	v_pk_fma_f32 v[94:95], v[98:99], v[94:95], v[100:101] neg_lo:[0,0,1] neg_hi:[0,0,1]
	v_mov_b32_e32 v95, v103
	s_cbranch_execz .LBB108_684
	s_branch .LBB108_685
.LBB108_683:
                                        ; implicit-def: $vgpr94_vgpr95
.LBB108_684:
	ds_load_b64 v[94:95], v1
.LBB108_685:
	s_mov_b32 s4, exec_lo
	v_cmpx_ne_u32_e32 24, v0
	s_cbranch_execz .LBB108_689
; %bb.686:
	v_add_nc_u32_e32 v97, 0x178, v58
	v_add3_u32 v98, 0, v58, 8
	v_mov_b32_e32 v99, v0
	s_mov_b32 s5, 0
.LBB108_687:                            ; =>This Inner Loop Header: Depth=1
	scratch_load_b64 v[100:101], v98, off
	ds_load_b64 v[102:103], v97
	s_wait_xcnt 0x0
	v_dual_add_nc_u32 v97, 8, v97 :: v_dual_add_nc_u32 v98, 8, v98
	s_wait_loadcnt_dscnt 0x0
	v_pk_mul_f32 v[104:105], v[102:103], v[100:101] op_sel:[1,1] op_sel_hi:[0,1]
	s_delay_alu instid0(VALU_DEP_1) | instskip(SKIP_2) | instid1(VALU_DEP_3)
	v_pk_fma_f32 v[106:107], v[102:103], v[100:101], v[104:105] op_sel_hi:[1,0,1]
	v_add_nc_u32_e32 v99, 1, v99
	v_pk_fma_f32 v[100:101], v[102:103], v[100:101], v[104:105] neg_lo:[0,0,1] neg_hi:[0,0,1]
	v_mov_b32_e32 v101, v107
	s_delay_alu instid0(VALU_DEP_3) | instskip(NEXT) | instid1(VALU_DEP_2)
	v_cmp_lt_u32_e32 vcc_lo, 23, v99
	v_pk_add_f32 v[94:95], v[94:95], v[100:101]
	s_or_b32 s5, vcc_lo, s5
	s_delay_alu instid0(SALU_CYCLE_1)
	s_and_not1_b32 exec_lo, exec_lo, s5
	s_cbranch_execnz .LBB108_687
; %bb.688:
	s_or_b32 exec_lo, exec_lo, s5
.LBB108_689:
	s_delay_alu instid0(SALU_CYCLE_1) | instskip(SKIP_4) | instid1(VALU_DEP_1)
	s_or_b32 exec_lo, exec_lo, s4
	v_mov_b32_e32 v97, 0
	ds_load_b64 v[98:99], v97 offset:200
	s_wait_dscnt 0x0
	v_pk_mul_f32 v[100:101], v[94:95], v[98:99] op_sel:[1,1] op_sel_hi:[0,1]
	v_pk_fma_f32 v[102:103], v[94:95], v[98:99], v[100:101] op_sel_hi:[1,0,1]
	v_pk_fma_f32 v[94:95], v[94:95], v[98:99], v[100:101] neg_lo:[0,0,1] neg_hi:[0,0,1]
	s_delay_alu instid0(VALU_DEP_2)
	v_mov_b32_e32 v95, v103
	scratch_store_b64 off, v[94:95], off offset:200
.LBB108_690:
	s_wait_xcnt 0x0
	s_or_b32 exec_lo, exec_lo, s0
	scratch_load_b64 v[94:95], off, off offset:208
	s_mov_b32 s0, exec_lo
	s_wait_loadcnt 0x0
	ds_store_b64 v1, v[94:95]
	s_wait_storecnt_dscnt 0x0
	s_barrier_signal -1
	s_barrier_wait -1
	s_wait_xcnt 0x0
	v_cmpx_gt_u32_e32 26, v0
	s_cbranch_execz .LBB108_700
; %bb.691:
	v_cmp_ne_u32_e32 vcc_lo, 1, v96
	s_cbranch_vccnz .LBB108_693
; %bb.692:
	scratch_load_b64 v[94:95], v59, off
	ds_load_b64 v[98:99], v1
	s_wait_loadcnt_dscnt 0x0
	v_pk_mul_f32 v[100:101], v[98:99], v[94:95] op_sel:[1,1] op_sel_hi:[0,1]
	s_delay_alu instid0(VALU_DEP_1) | instskip(SKIP_1) | instid1(VALU_DEP_2)
	v_pk_fma_f32 v[102:103], v[98:99], v[94:95], v[100:101] op_sel_hi:[1,0,1]
	v_pk_fma_f32 v[94:95], v[98:99], v[94:95], v[100:101] neg_lo:[0,0,1] neg_hi:[0,0,1]
	v_mov_b32_e32 v95, v103
	s_cbranch_execz .LBB108_694
	s_branch .LBB108_695
.LBB108_693:
                                        ; implicit-def: $vgpr94_vgpr95
.LBB108_694:
	ds_load_b64 v[94:95], v1
.LBB108_695:
	s_mov_b32 s4, exec_lo
	v_cmpx_ne_u32_e32 25, v0
	s_cbranch_execz .LBB108_699
; %bb.696:
	v_add_nc_u32_e32 v97, 0x178, v58
	v_add3_u32 v98, 0, v58, 8
	v_mov_b32_e32 v99, v0
	s_mov_b32 s5, 0
.LBB108_697:                            ; =>This Inner Loop Header: Depth=1
	scratch_load_b64 v[100:101], v98, off
	ds_load_b64 v[102:103], v97
	s_wait_xcnt 0x0
	v_dual_add_nc_u32 v97, 8, v97 :: v_dual_add_nc_u32 v98, 8, v98
	s_wait_loadcnt_dscnt 0x0
	v_pk_mul_f32 v[104:105], v[102:103], v[100:101] op_sel:[1,1] op_sel_hi:[0,1]
	s_delay_alu instid0(VALU_DEP_1) | instskip(SKIP_2) | instid1(VALU_DEP_3)
	v_pk_fma_f32 v[106:107], v[102:103], v[100:101], v[104:105] op_sel_hi:[1,0,1]
	v_add_nc_u32_e32 v99, 1, v99
	v_pk_fma_f32 v[100:101], v[102:103], v[100:101], v[104:105] neg_lo:[0,0,1] neg_hi:[0,0,1]
	v_mov_b32_e32 v101, v107
	s_delay_alu instid0(VALU_DEP_3) | instskip(NEXT) | instid1(VALU_DEP_2)
	v_cmp_lt_u32_e32 vcc_lo, 24, v99
	v_pk_add_f32 v[94:95], v[94:95], v[100:101]
	s_or_b32 s5, vcc_lo, s5
	s_delay_alu instid0(SALU_CYCLE_1)
	s_and_not1_b32 exec_lo, exec_lo, s5
	s_cbranch_execnz .LBB108_697
; %bb.698:
	s_or_b32 exec_lo, exec_lo, s5
.LBB108_699:
	s_delay_alu instid0(SALU_CYCLE_1) | instskip(SKIP_4) | instid1(VALU_DEP_1)
	s_or_b32 exec_lo, exec_lo, s4
	v_mov_b32_e32 v97, 0
	ds_load_b64 v[98:99], v97 offset:208
	s_wait_dscnt 0x0
	v_pk_mul_f32 v[100:101], v[94:95], v[98:99] op_sel:[1,1] op_sel_hi:[0,1]
	v_pk_fma_f32 v[102:103], v[94:95], v[98:99], v[100:101] op_sel_hi:[1,0,1]
	v_pk_fma_f32 v[94:95], v[94:95], v[98:99], v[100:101] neg_lo:[0,0,1] neg_hi:[0,0,1]
	s_delay_alu instid0(VALU_DEP_2)
	v_mov_b32_e32 v95, v103
	scratch_store_b64 off, v[94:95], off offset:208
.LBB108_700:
	s_wait_xcnt 0x0
	s_or_b32 exec_lo, exec_lo, s0
	scratch_load_b64 v[94:95], off, off offset:216
	s_mov_b32 s0, exec_lo
	s_wait_loadcnt 0x0
	ds_store_b64 v1, v[94:95]
	s_wait_storecnt_dscnt 0x0
	s_barrier_signal -1
	s_barrier_wait -1
	s_wait_xcnt 0x0
	v_cmpx_gt_u32_e32 27, v0
	s_cbranch_execz .LBB108_710
; %bb.701:
	v_cmp_ne_u32_e32 vcc_lo, 1, v96
	s_cbranch_vccnz .LBB108_703
; %bb.702:
	scratch_load_b64 v[94:95], v59, off
	ds_load_b64 v[98:99], v1
	s_wait_loadcnt_dscnt 0x0
	v_pk_mul_f32 v[100:101], v[98:99], v[94:95] op_sel:[1,1] op_sel_hi:[0,1]
	s_delay_alu instid0(VALU_DEP_1) | instskip(SKIP_1) | instid1(VALU_DEP_2)
	v_pk_fma_f32 v[102:103], v[98:99], v[94:95], v[100:101] op_sel_hi:[1,0,1]
	v_pk_fma_f32 v[94:95], v[98:99], v[94:95], v[100:101] neg_lo:[0,0,1] neg_hi:[0,0,1]
	v_mov_b32_e32 v95, v103
	s_cbranch_execz .LBB108_704
	s_branch .LBB108_705
.LBB108_703:
                                        ; implicit-def: $vgpr94_vgpr95
.LBB108_704:
	ds_load_b64 v[94:95], v1
.LBB108_705:
	s_mov_b32 s4, exec_lo
	v_cmpx_ne_u32_e32 26, v0
	s_cbranch_execz .LBB108_709
; %bb.706:
	v_add_nc_u32_e32 v97, 0x178, v58
	v_add3_u32 v98, 0, v58, 8
	v_mov_b32_e32 v99, v0
	s_mov_b32 s5, 0
.LBB108_707:                            ; =>This Inner Loop Header: Depth=1
	scratch_load_b64 v[100:101], v98, off
	ds_load_b64 v[102:103], v97
	s_wait_xcnt 0x0
	v_dual_add_nc_u32 v97, 8, v97 :: v_dual_add_nc_u32 v98, 8, v98
	s_wait_loadcnt_dscnt 0x0
	v_pk_mul_f32 v[104:105], v[102:103], v[100:101] op_sel:[1,1] op_sel_hi:[0,1]
	s_delay_alu instid0(VALU_DEP_1) | instskip(SKIP_2) | instid1(VALU_DEP_3)
	v_pk_fma_f32 v[106:107], v[102:103], v[100:101], v[104:105] op_sel_hi:[1,0,1]
	v_add_nc_u32_e32 v99, 1, v99
	v_pk_fma_f32 v[100:101], v[102:103], v[100:101], v[104:105] neg_lo:[0,0,1] neg_hi:[0,0,1]
	v_mov_b32_e32 v101, v107
	s_delay_alu instid0(VALU_DEP_3) | instskip(NEXT) | instid1(VALU_DEP_2)
	v_cmp_lt_u32_e32 vcc_lo, 25, v99
	v_pk_add_f32 v[94:95], v[94:95], v[100:101]
	s_or_b32 s5, vcc_lo, s5
	s_delay_alu instid0(SALU_CYCLE_1)
	s_and_not1_b32 exec_lo, exec_lo, s5
	s_cbranch_execnz .LBB108_707
; %bb.708:
	s_or_b32 exec_lo, exec_lo, s5
.LBB108_709:
	s_delay_alu instid0(SALU_CYCLE_1) | instskip(SKIP_4) | instid1(VALU_DEP_1)
	s_or_b32 exec_lo, exec_lo, s4
	v_mov_b32_e32 v97, 0
	ds_load_b64 v[98:99], v97 offset:216
	s_wait_dscnt 0x0
	v_pk_mul_f32 v[100:101], v[94:95], v[98:99] op_sel:[1,1] op_sel_hi:[0,1]
	v_pk_fma_f32 v[102:103], v[94:95], v[98:99], v[100:101] op_sel_hi:[1,0,1]
	v_pk_fma_f32 v[94:95], v[94:95], v[98:99], v[100:101] neg_lo:[0,0,1] neg_hi:[0,0,1]
	s_delay_alu instid0(VALU_DEP_2)
	v_mov_b32_e32 v95, v103
	scratch_store_b64 off, v[94:95], off offset:216
.LBB108_710:
	s_wait_xcnt 0x0
	s_or_b32 exec_lo, exec_lo, s0
	scratch_load_b64 v[94:95], off, off offset:224
	s_mov_b32 s0, exec_lo
	s_wait_loadcnt 0x0
	ds_store_b64 v1, v[94:95]
	s_wait_storecnt_dscnt 0x0
	s_barrier_signal -1
	s_barrier_wait -1
	s_wait_xcnt 0x0
	v_cmpx_gt_u32_e32 28, v0
	s_cbranch_execz .LBB108_720
; %bb.711:
	v_cmp_ne_u32_e32 vcc_lo, 1, v96
	s_cbranch_vccnz .LBB108_713
; %bb.712:
	scratch_load_b64 v[94:95], v59, off
	ds_load_b64 v[98:99], v1
	s_wait_loadcnt_dscnt 0x0
	v_pk_mul_f32 v[100:101], v[98:99], v[94:95] op_sel:[1,1] op_sel_hi:[0,1]
	s_delay_alu instid0(VALU_DEP_1) | instskip(SKIP_1) | instid1(VALU_DEP_2)
	v_pk_fma_f32 v[102:103], v[98:99], v[94:95], v[100:101] op_sel_hi:[1,0,1]
	v_pk_fma_f32 v[94:95], v[98:99], v[94:95], v[100:101] neg_lo:[0,0,1] neg_hi:[0,0,1]
	v_mov_b32_e32 v95, v103
	s_cbranch_execz .LBB108_714
	s_branch .LBB108_715
.LBB108_713:
                                        ; implicit-def: $vgpr94_vgpr95
.LBB108_714:
	ds_load_b64 v[94:95], v1
.LBB108_715:
	s_mov_b32 s4, exec_lo
	v_cmpx_ne_u32_e32 27, v0
	s_cbranch_execz .LBB108_719
; %bb.716:
	v_add_nc_u32_e32 v97, 0x178, v58
	v_add3_u32 v98, 0, v58, 8
	v_mov_b32_e32 v99, v0
	s_mov_b32 s5, 0
.LBB108_717:                            ; =>This Inner Loop Header: Depth=1
	scratch_load_b64 v[100:101], v98, off
	ds_load_b64 v[102:103], v97
	s_wait_xcnt 0x0
	v_dual_add_nc_u32 v97, 8, v97 :: v_dual_add_nc_u32 v98, 8, v98
	s_wait_loadcnt_dscnt 0x0
	v_pk_mul_f32 v[104:105], v[102:103], v[100:101] op_sel:[1,1] op_sel_hi:[0,1]
	s_delay_alu instid0(VALU_DEP_1) | instskip(SKIP_2) | instid1(VALU_DEP_3)
	v_pk_fma_f32 v[106:107], v[102:103], v[100:101], v[104:105] op_sel_hi:[1,0,1]
	v_add_nc_u32_e32 v99, 1, v99
	v_pk_fma_f32 v[100:101], v[102:103], v[100:101], v[104:105] neg_lo:[0,0,1] neg_hi:[0,0,1]
	v_mov_b32_e32 v101, v107
	s_delay_alu instid0(VALU_DEP_3) | instskip(NEXT) | instid1(VALU_DEP_2)
	v_cmp_lt_u32_e32 vcc_lo, 26, v99
	v_pk_add_f32 v[94:95], v[94:95], v[100:101]
	s_or_b32 s5, vcc_lo, s5
	s_delay_alu instid0(SALU_CYCLE_1)
	s_and_not1_b32 exec_lo, exec_lo, s5
	s_cbranch_execnz .LBB108_717
; %bb.718:
	s_or_b32 exec_lo, exec_lo, s5
.LBB108_719:
	s_delay_alu instid0(SALU_CYCLE_1) | instskip(SKIP_4) | instid1(VALU_DEP_1)
	s_or_b32 exec_lo, exec_lo, s4
	v_mov_b32_e32 v97, 0
	ds_load_b64 v[98:99], v97 offset:224
	s_wait_dscnt 0x0
	v_pk_mul_f32 v[100:101], v[94:95], v[98:99] op_sel:[1,1] op_sel_hi:[0,1]
	v_pk_fma_f32 v[102:103], v[94:95], v[98:99], v[100:101] op_sel_hi:[1,0,1]
	v_pk_fma_f32 v[94:95], v[94:95], v[98:99], v[100:101] neg_lo:[0,0,1] neg_hi:[0,0,1]
	s_delay_alu instid0(VALU_DEP_2)
	v_mov_b32_e32 v95, v103
	scratch_store_b64 off, v[94:95], off offset:224
.LBB108_720:
	s_wait_xcnt 0x0
	s_or_b32 exec_lo, exec_lo, s0
	scratch_load_b64 v[94:95], off, off offset:232
	s_mov_b32 s0, exec_lo
	s_wait_loadcnt 0x0
	ds_store_b64 v1, v[94:95]
	s_wait_storecnt_dscnt 0x0
	s_barrier_signal -1
	s_barrier_wait -1
	s_wait_xcnt 0x0
	v_cmpx_gt_u32_e32 29, v0
	s_cbranch_execz .LBB108_730
; %bb.721:
	v_cmp_ne_u32_e32 vcc_lo, 1, v96
	s_cbranch_vccnz .LBB108_723
; %bb.722:
	scratch_load_b64 v[94:95], v59, off
	ds_load_b64 v[98:99], v1
	s_wait_loadcnt_dscnt 0x0
	v_pk_mul_f32 v[100:101], v[98:99], v[94:95] op_sel:[1,1] op_sel_hi:[0,1]
	s_delay_alu instid0(VALU_DEP_1) | instskip(SKIP_1) | instid1(VALU_DEP_2)
	v_pk_fma_f32 v[102:103], v[98:99], v[94:95], v[100:101] op_sel_hi:[1,0,1]
	v_pk_fma_f32 v[94:95], v[98:99], v[94:95], v[100:101] neg_lo:[0,0,1] neg_hi:[0,0,1]
	v_mov_b32_e32 v95, v103
	s_cbranch_execz .LBB108_724
	s_branch .LBB108_725
.LBB108_723:
                                        ; implicit-def: $vgpr94_vgpr95
.LBB108_724:
	ds_load_b64 v[94:95], v1
.LBB108_725:
	s_mov_b32 s4, exec_lo
	v_cmpx_ne_u32_e32 28, v0
	s_cbranch_execz .LBB108_729
; %bb.726:
	v_add_nc_u32_e32 v97, 0x178, v58
	v_add3_u32 v98, 0, v58, 8
	v_mov_b32_e32 v99, v0
	s_mov_b32 s5, 0
.LBB108_727:                            ; =>This Inner Loop Header: Depth=1
	scratch_load_b64 v[100:101], v98, off
	ds_load_b64 v[102:103], v97
	s_wait_xcnt 0x0
	v_dual_add_nc_u32 v97, 8, v97 :: v_dual_add_nc_u32 v98, 8, v98
	s_wait_loadcnt_dscnt 0x0
	v_pk_mul_f32 v[104:105], v[102:103], v[100:101] op_sel:[1,1] op_sel_hi:[0,1]
	s_delay_alu instid0(VALU_DEP_1) | instskip(SKIP_2) | instid1(VALU_DEP_3)
	v_pk_fma_f32 v[106:107], v[102:103], v[100:101], v[104:105] op_sel_hi:[1,0,1]
	v_add_nc_u32_e32 v99, 1, v99
	v_pk_fma_f32 v[100:101], v[102:103], v[100:101], v[104:105] neg_lo:[0,0,1] neg_hi:[0,0,1]
	v_mov_b32_e32 v101, v107
	s_delay_alu instid0(VALU_DEP_3) | instskip(NEXT) | instid1(VALU_DEP_2)
	v_cmp_lt_u32_e32 vcc_lo, 27, v99
	v_pk_add_f32 v[94:95], v[94:95], v[100:101]
	s_or_b32 s5, vcc_lo, s5
	s_delay_alu instid0(SALU_CYCLE_1)
	s_and_not1_b32 exec_lo, exec_lo, s5
	s_cbranch_execnz .LBB108_727
; %bb.728:
	s_or_b32 exec_lo, exec_lo, s5
.LBB108_729:
	s_delay_alu instid0(SALU_CYCLE_1) | instskip(SKIP_4) | instid1(VALU_DEP_1)
	s_or_b32 exec_lo, exec_lo, s4
	v_mov_b32_e32 v97, 0
	ds_load_b64 v[98:99], v97 offset:232
	s_wait_dscnt 0x0
	v_pk_mul_f32 v[100:101], v[94:95], v[98:99] op_sel:[1,1] op_sel_hi:[0,1]
	v_pk_fma_f32 v[102:103], v[94:95], v[98:99], v[100:101] op_sel_hi:[1,0,1]
	v_pk_fma_f32 v[94:95], v[94:95], v[98:99], v[100:101] neg_lo:[0,0,1] neg_hi:[0,0,1]
	s_delay_alu instid0(VALU_DEP_2)
	v_mov_b32_e32 v95, v103
	scratch_store_b64 off, v[94:95], off offset:232
.LBB108_730:
	s_wait_xcnt 0x0
	s_or_b32 exec_lo, exec_lo, s0
	scratch_load_b64 v[94:95], off, off offset:240
	s_mov_b32 s0, exec_lo
	s_wait_loadcnt 0x0
	ds_store_b64 v1, v[94:95]
	s_wait_storecnt_dscnt 0x0
	s_barrier_signal -1
	s_barrier_wait -1
	s_wait_xcnt 0x0
	v_cmpx_gt_u32_e32 30, v0
	s_cbranch_execz .LBB108_740
; %bb.731:
	v_cmp_ne_u32_e32 vcc_lo, 1, v96
	s_cbranch_vccnz .LBB108_733
; %bb.732:
	scratch_load_b64 v[94:95], v59, off
	ds_load_b64 v[98:99], v1
	s_wait_loadcnt_dscnt 0x0
	v_pk_mul_f32 v[100:101], v[98:99], v[94:95] op_sel:[1,1] op_sel_hi:[0,1]
	s_delay_alu instid0(VALU_DEP_1) | instskip(SKIP_1) | instid1(VALU_DEP_2)
	v_pk_fma_f32 v[102:103], v[98:99], v[94:95], v[100:101] op_sel_hi:[1,0,1]
	v_pk_fma_f32 v[94:95], v[98:99], v[94:95], v[100:101] neg_lo:[0,0,1] neg_hi:[0,0,1]
	v_mov_b32_e32 v95, v103
	s_cbranch_execz .LBB108_734
	s_branch .LBB108_735
.LBB108_733:
                                        ; implicit-def: $vgpr94_vgpr95
.LBB108_734:
	ds_load_b64 v[94:95], v1
.LBB108_735:
	s_mov_b32 s4, exec_lo
	v_cmpx_ne_u32_e32 29, v0
	s_cbranch_execz .LBB108_739
; %bb.736:
	v_add_nc_u32_e32 v97, 0x178, v58
	v_add3_u32 v98, 0, v58, 8
	v_mov_b32_e32 v99, v0
	s_mov_b32 s5, 0
.LBB108_737:                            ; =>This Inner Loop Header: Depth=1
	scratch_load_b64 v[100:101], v98, off
	ds_load_b64 v[102:103], v97
	s_wait_xcnt 0x0
	v_dual_add_nc_u32 v97, 8, v97 :: v_dual_add_nc_u32 v98, 8, v98
	s_wait_loadcnt_dscnt 0x0
	v_pk_mul_f32 v[104:105], v[102:103], v[100:101] op_sel:[1,1] op_sel_hi:[0,1]
	s_delay_alu instid0(VALU_DEP_1) | instskip(SKIP_2) | instid1(VALU_DEP_3)
	v_pk_fma_f32 v[106:107], v[102:103], v[100:101], v[104:105] op_sel_hi:[1,0,1]
	v_add_nc_u32_e32 v99, 1, v99
	v_pk_fma_f32 v[100:101], v[102:103], v[100:101], v[104:105] neg_lo:[0,0,1] neg_hi:[0,0,1]
	v_mov_b32_e32 v101, v107
	s_delay_alu instid0(VALU_DEP_3) | instskip(NEXT) | instid1(VALU_DEP_2)
	v_cmp_lt_u32_e32 vcc_lo, 28, v99
	v_pk_add_f32 v[94:95], v[94:95], v[100:101]
	s_or_b32 s5, vcc_lo, s5
	s_delay_alu instid0(SALU_CYCLE_1)
	s_and_not1_b32 exec_lo, exec_lo, s5
	s_cbranch_execnz .LBB108_737
; %bb.738:
	s_or_b32 exec_lo, exec_lo, s5
.LBB108_739:
	s_delay_alu instid0(SALU_CYCLE_1) | instskip(SKIP_4) | instid1(VALU_DEP_1)
	s_or_b32 exec_lo, exec_lo, s4
	v_mov_b32_e32 v97, 0
	ds_load_b64 v[98:99], v97 offset:240
	s_wait_dscnt 0x0
	v_pk_mul_f32 v[100:101], v[94:95], v[98:99] op_sel:[1,1] op_sel_hi:[0,1]
	v_pk_fma_f32 v[102:103], v[94:95], v[98:99], v[100:101] op_sel_hi:[1,0,1]
	v_pk_fma_f32 v[94:95], v[94:95], v[98:99], v[100:101] neg_lo:[0,0,1] neg_hi:[0,0,1]
	s_delay_alu instid0(VALU_DEP_2)
	v_mov_b32_e32 v95, v103
	scratch_store_b64 off, v[94:95], off offset:240
.LBB108_740:
	s_wait_xcnt 0x0
	s_or_b32 exec_lo, exec_lo, s0
	scratch_load_b64 v[94:95], off, off offset:248
	s_mov_b32 s0, exec_lo
	s_wait_loadcnt 0x0
	ds_store_b64 v1, v[94:95]
	s_wait_storecnt_dscnt 0x0
	s_barrier_signal -1
	s_barrier_wait -1
	s_wait_xcnt 0x0
	v_cmpx_gt_u32_e32 31, v0
	s_cbranch_execz .LBB108_750
; %bb.741:
	v_cmp_ne_u32_e32 vcc_lo, 1, v96
	s_cbranch_vccnz .LBB108_743
; %bb.742:
	scratch_load_b64 v[94:95], v59, off
	ds_load_b64 v[98:99], v1
	s_wait_loadcnt_dscnt 0x0
	v_pk_mul_f32 v[100:101], v[98:99], v[94:95] op_sel:[1,1] op_sel_hi:[0,1]
	s_delay_alu instid0(VALU_DEP_1) | instskip(SKIP_1) | instid1(VALU_DEP_2)
	v_pk_fma_f32 v[102:103], v[98:99], v[94:95], v[100:101] op_sel_hi:[1,0,1]
	v_pk_fma_f32 v[94:95], v[98:99], v[94:95], v[100:101] neg_lo:[0,0,1] neg_hi:[0,0,1]
	v_mov_b32_e32 v95, v103
	s_cbranch_execz .LBB108_744
	s_branch .LBB108_745
.LBB108_743:
                                        ; implicit-def: $vgpr94_vgpr95
.LBB108_744:
	ds_load_b64 v[94:95], v1
.LBB108_745:
	s_mov_b32 s4, exec_lo
	v_cmpx_ne_u32_e32 30, v0
	s_cbranch_execz .LBB108_749
; %bb.746:
	v_add_nc_u32_e32 v97, 0x178, v58
	v_add3_u32 v98, 0, v58, 8
	v_mov_b32_e32 v99, v0
	s_mov_b32 s5, 0
.LBB108_747:                            ; =>This Inner Loop Header: Depth=1
	scratch_load_b64 v[100:101], v98, off
	ds_load_b64 v[102:103], v97
	s_wait_xcnt 0x0
	v_dual_add_nc_u32 v97, 8, v97 :: v_dual_add_nc_u32 v98, 8, v98
	s_wait_loadcnt_dscnt 0x0
	v_pk_mul_f32 v[104:105], v[102:103], v[100:101] op_sel:[1,1] op_sel_hi:[0,1]
	s_delay_alu instid0(VALU_DEP_1) | instskip(SKIP_2) | instid1(VALU_DEP_3)
	v_pk_fma_f32 v[106:107], v[102:103], v[100:101], v[104:105] op_sel_hi:[1,0,1]
	v_add_nc_u32_e32 v99, 1, v99
	v_pk_fma_f32 v[100:101], v[102:103], v[100:101], v[104:105] neg_lo:[0,0,1] neg_hi:[0,0,1]
	v_mov_b32_e32 v101, v107
	s_delay_alu instid0(VALU_DEP_3) | instskip(NEXT) | instid1(VALU_DEP_2)
	v_cmp_lt_u32_e32 vcc_lo, 29, v99
	v_pk_add_f32 v[94:95], v[94:95], v[100:101]
	s_or_b32 s5, vcc_lo, s5
	s_delay_alu instid0(SALU_CYCLE_1)
	s_and_not1_b32 exec_lo, exec_lo, s5
	s_cbranch_execnz .LBB108_747
; %bb.748:
	s_or_b32 exec_lo, exec_lo, s5
.LBB108_749:
	s_delay_alu instid0(SALU_CYCLE_1) | instskip(SKIP_4) | instid1(VALU_DEP_1)
	s_or_b32 exec_lo, exec_lo, s4
	v_mov_b32_e32 v97, 0
	ds_load_b64 v[98:99], v97 offset:248
	s_wait_dscnt 0x0
	v_pk_mul_f32 v[100:101], v[94:95], v[98:99] op_sel:[1,1] op_sel_hi:[0,1]
	v_pk_fma_f32 v[102:103], v[94:95], v[98:99], v[100:101] op_sel_hi:[1,0,1]
	v_pk_fma_f32 v[94:95], v[94:95], v[98:99], v[100:101] neg_lo:[0,0,1] neg_hi:[0,0,1]
	s_delay_alu instid0(VALU_DEP_2)
	v_mov_b32_e32 v95, v103
	scratch_store_b64 off, v[94:95], off offset:248
.LBB108_750:
	s_wait_xcnt 0x0
	s_or_b32 exec_lo, exec_lo, s0
	scratch_load_b64 v[94:95], off, off offset:256
	s_mov_b32 s0, exec_lo
	s_wait_loadcnt 0x0
	ds_store_b64 v1, v[94:95]
	s_wait_storecnt_dscnt 0x0
	s_barrier_signal -1
	s_barrier_wait -1
	s_wait_xcnt 0x0
	v_cmpx_gt_u32_e32 32, v0
	s_cbranch_execz .LBB108_760
; %bb.751:
	v_cmp_ne_u32_e32 vcc_lo, 1, v96
	s_cbranch_vccnz .LBB108_753
; %bb.752:
	scratch_load_b64 v[94:95], v59, off
	ds_load_b64 v[98:99], v1
	s_wait_loadcnt_dscnt 0x0
	v_pk_mul_f32 v[100:101], v[98:99], v[94:95] op_sel:[1,1] op_sel_hi:[0,1]
	s_delay_alu instid0(VALU_DEP_1) | instskip(SKIP_1) | instid1(VALU_DEP_2)
	v_pk_fma_f32 v[102:103], v[98:99], v[94:95], v[100:101] op_sel_hi:[1,0,1]
	v_pk_fma_f32 v[94:95], v[98:99], v[94:95], v[100:101] neg_lo:[0,0,1] neg_hi:[0,0,1]
	v_mov_b32_e32 v95, v103
	s_cbranch_execz .LBB108_754
	s_branch .LBB108_755
.LBB108_753:
                                        ; implicit-def: $vgpr94_vgpr95
.LBB108_754:
	ds_load_b64 v[94:95], v1
.LBB108_755:
	s_mov_b32 s4, exec_lo
	v_cmpx_ne_u32_e32 31, v0
	s_cbranch_execz .LBB108_759
; %bb.756:
	v_add_nc_u32_e32 v97, 0x178, v58
	v_add3_u32 v98, 0, v58, 8
	v_mov_b32_e32 v99, v0
	s_mov_b32 s5, 0
.LBB108_757:                            ; =>This Inner Loop Header: Depth=1
	scratch_load_b64 v[100:101], v98, off
	ds_load_b64 v[102:103], v97
	s_wait_xcnt 0x0
	v_dual_add_nc_u32 v97, 8, v97 :: v_dual_add_nc_u32 v98, 8, v98
	s_wait_loadcnt_dscnt 0x0
	v_pk_mul_f32 v[104:105], v[102:103], v[100:101] op_sel:[1,1] op_sel_hi:[0,1]
	s_delay_alu instid0(VALU_DEP_1) | instskip(SKIP_2) | instid1(VALU_DEP_3)
	v_pk_fma_f32 v[106:107], v[102:103], v[100:101], v[104:105] op_sel_hi:[1,0,1]
	v_add_nc_u32_e32 v99, 1, v99
	v_pk_fma_f32 v[100:101], v[102:103], v[100:101], v[104:105] neg_lo:[0,0,1] neg_hi:[0,0,1]
	v_mov_b32_e32 v101, v107
	s_delay_alu instid0(VALU_DEP_3) | instskip(NEXT) | instid1(VALU_DEP_2)
	v_cmp_lt_u32_e32 vcc_lo, 30, v99
	v_pk_add_f32 v[94:95], v[94:95], v[100:101]
	s_or_b32 s5, vcc_lo, s5
	s_delay_alu instid0(SALU_CYCLE_1)
	s_and_not1_b32 exec_lo, exec_lo, s5
	s_cbranch_execnz .LBB108_757
; %bb.758:
	s_or_b32 exec_lo, exec_lo, s5
.LBB108_759:
	s_delay_alu instid0(SALU_CYCLE_1) | instskip(SKIP_4) | instid1(VALU_DEP_1)
	s_or_b32 exec_lo, exec_lo, s4
	v_mov_b32_e32 v97, 0
	ds_load_b64 v[98:99], v97 offset:256
	s_wait_dscnt 0x0
	v_pk_mul_f32 v[100:101], v[94:95], v[98:99] op_sel:[1,1] op_sel_hi:[0,1]
	v_pk_fma_f32 v[102:103], v[94:95], v[98:99], v[100:101] op_sel_hi:[1,0,1]
	v_pk_fma_f32 v[94:95], v[94:95], v[98:99], v[100:101] neg_lo:[0,0,1] neg_hi:[0,0,1]
	s_delay_alu instid0(VALU_DEP_2)
	v_mov_b32_e32 v95, v103
	scratch_store_b64 off, v[94:95], off offset:256
.LBB108_760:
	s_wait_xcnt 0x0
	s_or_b32 exec_lo, exec_lo, s0
	scratch_load_b64 v[94:95], off, off offset:264
	s_mov_b32 s0, exec_lo
	s_wait_loadcnt 0x0
	ds_store_b64 v1, v[94:95]
	s_wait_storecnt_dscnt 0x0
	s_barrier_signal -1
	s_barrier_wait -1
	s_wait_xcnt 0x0
	v_cmpx_gt_u32_e32 33, v0
	s_cbranch_execz .LBB108_770
; %bb.761:
	v_cmp_ne_u32_e32 vcc_lo, 1, v96
	s_cbranch_vccnz .LBB108_763
; %bb.762:
	scratch_load_b64 v[94:95], v59, off
	ds_load_b64 v[98:99], v1
	s_wait_loadcnt_dscnt 0x0
	v_pk_mul_f32 v[100:101], v[98:99], v[94:95] op_sel:[1,1] op_sel_hi:[0,1]
	s_delay_alu instid0(VALU_DEP_1) | instskip(SKIP_1) | instid1(VALU_DEP_2)
	v_pk_fma_f32 v[102:103], v[98:99], v[94:95], v[100:101] op_sel_hi:[1,0,1]
	v_pk_fma_f32 v[94:95], v[98:99], v[94:95], v[100:101] neg_lo:[0,0,1] neg_hi:[0,0,1]
	v_mov_b32_e32 v95, v103
	s_cbranch_execz .LBB108_764
	s_branch .LBB108_765
.LBB108_763:
                                        ; implicit-def: $vgpr94_vgpr95
.LBB108_764:
	ds_load_b64 v[94:95], v1
.LBB108_765:
	s_mov_b32 s4, exec_lo
	v_cmpx_ne_u32_e32 32, v0
	s_cbranch_execz .LBB108_769
; %bb.766:
	v_add_nc_u32_e32 v97, 0x178, v58
	v_add3_u32 v98, 0, v58, 8
	v_mov_b32_e32 v99, v0
	s_mov_b32 s5, 0
.LBB108_767:                            ; =>This Inner Loop Header: Depth=1
	scratch_load_b64 v[100:101], v98, off
	ds_load_b64 v[102:103], v97
	s_wait_xcnt 0x0
	v_dual_add_nc_u32 v97, 8, v97 :: v_dual_add_nc_u32 v98, 8, v98
	s_wait_loadcnt_dscnt 0x0
	v_pk_mul_f32 v[104:105], v[102:103], v[100:101] op_sel:[1,1] op_sel_hi:[0,1]
	s_delay_alu instid0(VALU_DEP_1) | instskip(SKIP_2) | instid1(VALU_DEP_3)
	v_pk_fma_f32 v[106:107], v[102:103], v[100:101], v[104:105] op_sel_hi:[1,0,1]
	v_add_nc_u32_e32 v99, 1, v99
	v_pk_fma_f32 v[100:101], v[102:103], v[100:101], v[104:105] neg_lo:[0,0,1] neg_hi:[0,0,1]
	v_mov_b32_e32 v101, v107
	s_delay_alu instid0(VALU_DEP_3) | instskip(NEXT) | instid1(VALU_DEP_2)
	v_cmp_lt_u32_e32 vcc_lo, 31, v99
	v_pk_add_f32 v[94:95], v[94:95], v[100:101]
	s_or_b32 s5, vcc_lo, s5
	s_delay_alu instid0(SALU_CYCLE_1)
	s_and_not1_b32 exec_lo, exec_lo, s5
	s_cbranch_execnz .LBB108_767
; %bb.768:
	s_or_b32 exec_lo, exec_lo, s5
.LBB108_769:
	s_delay_alu instid0(SALU_CYCLE_1) | instskip(SKIP_4) | instid1(VALU_DEP_1)
	s_or_b32 exec_lo, exec_lo, s4
	v_mov_b32_e32 v97, 0
	ds_load_b64 v[98:99], v97 offset:264
	s_wait_dscnt 0x0
	v_pk_mul_f32 v[100:101], v[94:95], v[98:99] op_sel:[1,1] op_sel_hi:[0,1]
	v_pk_fma_f32 v[102:103], v[94:95], v[98:99], v[100:101] op_sel_hi:[1,0,1]
	v_pk_fma_f32 v[94:95], v[94:95], v[98:99], v[100:101] neg_lo:[0,0,1] neg_hi:[0,0,1]
	s_delay_alu instid0(VALU_DEP_2)
	v_mov_b32_e32 v95, v103
	scratch_store_b64 off, v[94:95], off offset:264
.LBB108_770:
	s_wait_xcnt 0x0
	s_or_b32 exec_lo, exec_lo, s0
	scratch_load_b64 v[94:95], off, off offset:272
	s_mov_b32 s0, exec_lo
	s_wait_loadcnt 0x0
	ds_store_b64 v1, v[94:95]
	s_wait_storecnt_dscnt 0x0
	s_barrier_signal -1
	s_barrier_wait -1
	s_wait_xcnt 0x0
	v_cmpx_gt_u32_e32 34, v0
	s_cbranch_execz .LBB108_780
; %bb.771:
	v_cmp_ne_u32_e32 vcc_lo, 1, v96
	s_cbranch_vccnz .LBB108_773
; %bb.772:
	scratch_load_b64 v[94:95], v59, off
	ds_load_b64 v[98:99], v1
	s_wait_loadcnt_dscnt 0x0
	v_pk_mul_f32 v[100:101], v[98:99], v[94:95] op_sel:[1,1] op_sel_hi:[0,1]
	s_delay_alu instid0(VALU_DEP_1) | instskip(SKIP_1) | instid1(VALU_DEP_2)
	v_pk_fma_f32 v[102:103], v[98:99], v[94:95], v[100:101] op_sel_hi:[1,0,1]
	v_pk_fma_f32 v[94:95], v[98:99], v[94:95], v[100:101] neg_lo:[0,0,1] neg_hi:[0,0,1]
	v_mov_b32_e32 v95, v103
	s_cbranch_execz .LBB108_774
	s_branch .LBB108_775
.LBB108_773:
                                        ; implicit-def: $vgpr94_vgpr95
.LBB108_774:
	ds_load_b64 v[94:95], v1
.LBB108_775:
	s_mov_b32 s4, exec_lo
	v_cmpx_ne_u32_e32 33, v0
	s_cbranch_execz .LBB108_779
; %bb.776:
	v_add_nc_u32_e32 v97, 0x178, v58
	v_add3_u32 v98, 0, v58, 8
	v_mov_b32_e32 v99, v0
	s_mov_b32 s5, 0
.LBB108_777:                            ; =>This Inner Loop Header: Depth=1
	scratch_load_b64 v[100:101], v98, off
	ds_load_b64 v[102:103], v97
	s_wait_xcnt 0x0
	v_dual_add_nc_u32 v97, 8, v97 :: v_dual_add_nc_u32 v98, 8, v98
	s_wait_loadcnt_dscnt 0x0
	v_pk_mul_f32 v[104:105], v[102:103], v[100:101] op_sel:[1,1] op_sel_hi:[0,1]
	s_delay_alu instid0(VALU_DEP_1) | instskip(SKIP_2) | instid1(VALU_DEP_3)
	v_pk_fma_f32 v[106:107], v[102:103], v[100:101], v[104:105] op_sel_hi:[1,0,1]
	v_add_nc_u32_e32 v99, 1, v99
	v_pk_fma_f32 v[100:101], v[102:103], v[100:101], v[104:105] neg_lo:[0,0,1] neg_hi:[0,0,1]
	v_mov_b32_e32 v101, v107
	s_delay_alu instid0(VALU_DEP_3) | instskip(NEXT) | instid1(VALU_DEP_2)
	v_cmp_lt_u32_e32 vcc_lo, 32, v99
	v_pk_add_f32 v[94:95], v[94:95], v[100:101]
	s_or_b32 s5, vcc_lo, s5
	s_delay_alu instid0(SALU_CYCLE_1)
	s_and_not1_b32 exec_lo, exec_lo, s5
	s_cbranch_execnz .LBB108_777
; %bb.778:
	s_or_b32 exec_lo, exec_lo, s5
.LBB108_779:
	s_delay_alu instid0(SALU_CYCLE_1) | instskip(SKIP_4) | instid1(VALU_DEP_1)
	s_or_b32 exec_lo, exec_lo, s4
	v_mov_b32_e32 v97, 0
	ds_load_b64 v[98:99], v97 offset:272
	s_wait_dscnt 0x0
	v_pk_mul_f32 v[100:101], v[94:95], v[98:99] op_sel:[1,1] op_sel_hi:[0,1]
	v_pk_fma_f32 v[102:103], v[94:95], v[98:99], v[100:101] op_sel_hi:[1,0,1]
	v_pk_fma_f32 v[94:95], v[94:95], v[98:99], v[100:101] neg_lo:[0,0,1] neg_hi:[0,0,1]
	s_delay_alu instid0(VALU_DEP_2)
	v_mov_b32_e32 v95, v103
	scratch_store_b64 off, v[94:95], off offset:272
.LBB108_780:
	s_wait_xcnt 0x0
	s_or_b32 exec_lo, exec_lo, s0
	scratch_load_b64 v[94:95], off, off offset:280
	s_mov_b32 s0, exec_lo
	s_wait_loadcnt 0x0
	ds_store_b64 v1, v[94:95]
	s_wait_storecnt_dscnt 0x0
	s_barrier_signal -1
	s_barrier_wait -1
	s_wait_xcnt 0x0
	v_cmpx_gt_u32_e32 35, v0
	s_cbranch_execz .LBB108_790
; %bb.781:
	v_cmp_ne_u32_e32 vcc_lo, 1, v96
	s_cbranch_vccnz .LBB108_783
; %bb.782:
	scratch_load_b64 v[94:95], v59, off
	ds_load_b64 v[98:99], v1
	s_wait_loadcnt_dscnt 0x0
	v_pk_mul_f32 v[100:101], v[98:99], v[94:95] op_sel:[1,1] op_sel_hi:[0,1]
	s_delay_alu instid0(VALU_DEP_1) | instskip(SKIP_1) | instid1(VALU_DEP_2)
	v_pk_fma_f32 v[102:103], v[98:99], v[94:95], v[100:101] op_sel_hi:[1,0,1]
	v_pk_fma_f32 v[94:95], v[98:99], v[94:95], v[100:101] neg_lo:[0,0,1] neg_hi:[0,0,1]
	v_mov_b32_e32 v95, v103
	s_cbranch_execz .LBB108_784
	s_branch .LBB108_785
.LBB108_783:
                                        ; implicit-def: $vgpr94_vgpr95
.LBB108_784:
	ds_load_b64 v[94:95], v1
.LBB108_785:
	s_mov_b32 s4, exec_lo
	v_cmpx_ne_u32_e32 34, v0
	s_cbranch_execz .LBB108_789
; %bb.786:
	v_add_nc_u32_e32 v97, 0x178, v58
	v_add3_u32 v98, 0, v58, 8
	v_mov_b32_e32 v99, v0
	s_mov_b32 s5, 0
.LBB108_787:                            ; =>This Inner Loop Header: Depth=1
	scratch_load_b64 v[100:101], v98, off
	ds_load_b64 v[102:103], v97
	s_wait_xcnt 0x0
	v_dual_add_nc_u32 v97, 8, v97 :: v_dual_add_nc_u32 v98, 8, v98
	s_wait_loadcnt_dscnt 0x0
	v_pk_mul_f32 v[104:105], v[102:103], v[100:101] op_sel:[1,1] op_sel_hi:[0,1]
	s_delay_alu instid0(VALU_DEP_1) | instskip(SKIP_2) | instid1(VALU_DEP_3)
	v_pk_fma_f32 v[106:107], v[102:103], v[100:101], v[104:105] op_sel_hi:[1,0,1]
	v_add_nc_u32_e32 v99, 1, v99
	v_pk_fma_f32 v[100:101], v[102:103], v[100:101], v[104:105] neg_lo:[0,0,1] neg_hi:[0,0,1]
	v_mov_b32_e32 v101, v107
	s_delay_alu instid0(VALU_DEP_3) | instskip(NEXT) | instid1(VALU_DEP_2)
	v_cmp_lt_u32_e32 vcc_lo, 33, v99
	v_pk_add_f32 v[94:95], v[94:95], v[100:101]
	s_or_b32 s5, vcc_lo, s5
	s_delay_alu instid0(SALU_CYCLE_1)
	s_and_not1_b32 exec_lo, exec_lo, s5
	s_cbranch_execnz .LBB108_787
; %bb.788:
	s_or_b32 exec_lo, exec_lo, s5
.LBB108_789:
	s_delay_alu instid0(SALU_CYCLE_1) | instskip(SKIP_4) | instid1(VALU_DEP_1)
	s_or_b32 exec_lo, exec_lo, s4
	v_mov_b32_e32 v97, 0
	ds_load_b64 v[98:99], v97 offset:280
	s_wait_dscnt 0x0
	v_pk_mul_f32 v[100:101], v[94:95], v[98:99] op_sel:[1,1] op_sel_hi:[0,1]
	v_pk_fma_f32 v[102:103], v[94:95], v[98:99], v[100:101] op_sel_hi:[1,0,1]
	v_pk_fma_f32 v[94:95], v[94:95], v[98:99], v[100:101] neg_lo:[0,0,1] neg_hi:[0,0,1]
	s_delay_alu instid0(VALU_DEP_2)
	v_mov_b32_e32 v95, v103
	scratch_store_b64 off, v[94:95], off offset:280
.LBB108_790:
	s_wait_xcnt 0x0
	s_or_b32 exec_lo, exec_lo, s0
	scratch_load_b64 v[94:95], off, off offset:288
	s_mov_b32 s0, exec_lo
	s_wait_loadcnt 0x0
	ds_store_b64 v1, v[94:95]
	s_wait_storecnt_dscnt 0x0
	s_barrier_signal -1
	s_barrier_wait -1
	s_wait_xcnt 0x0
	v_cmpx_gt_u32_e32 36, v0
	s_cbranch_execz .LBB108_800
; %bb.791:
	v_cmp_ne_u32_e32 vcc_lo, 1, v96
	s_cbranch_vccnz .LBB108_793
; %bb.792:
	scratch_load_b64 v[94:95], v59, off
	ds_load_b64 v[98:99], v1
	s_wait_loadcnt_dscnt 0x0
	v_pk_mul_f32 v[100:101], v[98:99], v[94:95] op_sel:[1,1] op_sel_hi:[0,1]
	s_delay_alu instid0(VALU_DEP_1) | instskip(SKIP_1) | instid1(VALU_DEP_2)
	v_pk_fma_f32 v[102:103], v[98:99], v[94:95], v[100:101] op_sel_hi:[1,0,1]
	v_pk_fma_f32 v[94:95], v[98:99], v[94:95], v[100:101] neg_lo:[0,0,1] neg_hi:[0,0,1]
	v_mov_b32_e32 v95, v103
	s_cbranch_execz .LBB108_794
	s_branch .LBB108_795
.LBB108_793:
                                        ; implicit-def: $vgpr94_vgpr95
.LBB108_794:
	ds_load_b64 v[94:95], v1
.LBB108_795:
	s_mov_b32 s4, exec_lo
	v_cmpx_ne_u32_e32 35, v0
	s_cbranch_execz .LBB108_799
; %bb.796:
	v_add_nc_u32_e32 v97, 0x178, v58
	v_add3_u32 v98, 0, v58, 8
	v_mov_b32_e32 v99, v0
	s_mov_b32 s5, 0
.LBB108_797:                            ; =>This Inner Loop Header: Depth=1
	scratch_load_b64 v[100:101], v98, off
	ds_load_b64 v[102:103], v97
	s_wait_xcnt 0x0
	v_dual_add_nc_u32 v97, 8, v97 :: v_dual_add_nc_u32 v98, 8, v98
	s_wait_loadcnt_dscnt 0x0
	v_pk_mul_f32 v[104:105], v[102:103], v[100:101] op_sel:[1,1] op_sel_hi:[0,1]
	s_delay_alu instid0(VALU_DEP_1) | instskip(SKIP_2) | instid1(VALU_DEP_3)
	v_pk_fma_f32 v[106:107], v[102:103], v[100:101], v[104:105] op_sel_hi:[1,0,1]
	v_add_nc_u32_e32 v99, 1, v99
	v_pk_fma_f32 v[100:101], v[102:103], v[100:101], v[104:105] neg_lo:[0,0,1] neg_hi:[0,0,1]
	v_mov_b32_e32 v101, v107
	s_delay_alu instid0(VALU_DEP_3) | instskip(NEXT) | instid1(VALU_DEP_2)
	v_cmp_lt_u32_e32 vcc_lo, 34, v99
	v_pk_add_f32 v[94:95], v[94:95], v[100:101]
	s_or_b32 s5, vcc_lo, s5
	s_delay_alu instid0(SALU_CYCLE_1)
	s_and_not1_b32 exec_lo, exec_lo, s5
	s_cbranch_execnz .LBB108_797
; %bb.798:
	s_or_b32 exec_lo, exec_lo, s5
.LBB108_799:
	s_delay_alu instid0(SALU_CYCLE_1) | instskip(SKIP_4) | instid1(VALU_DEP_1)
	s_or_b32 exec_lo, exec_lo, s4
	v_mov_b32_e32 v97, 0
	ds_load_b64 v[98:99], v97 offset:288
	s_wait_dscnt 0x0
	v_pk_mul_f32 v[100:101], v[94:95], v[98:99] op_sel:[1,1] op_sel_hi:[0,1]
	v_pk_fma_f32 v[102:103], v[94:95], v[98:99], v[100:101] op_sel_hi:[1,0,1]
	v_pk_fma_f32 v[94:95], v[94:95], v[98:99], v[100:101] neg_lo:[0,0,1] neg_hi:[0,0,1]
	s_delay_alu instid0(VALU_DEP_2)
	v_mov_b32_e32 v95, v103
	scratch_store_b64 off, v[94:95], off offset:288
.LBB108_800:
	s_wait_xcnt 0x0
	s_or_b32 exec_lo, exec_lo, s0
	scratch_load_b64 v[94:95], off, off offset:296
	s_mov_b32 s0, exec_lo
	s_wait_loadcnt 0x0
	ds_store_b64 v1, v[94:95]
	s_wait_storecnt_dscnt 0x0
	s_barrier_signal -1
	s_barrier_wait -1
	s_wait_xcnt 0x0
	v_cmpx_gt_u32_e32 37, v0
	s_cbranch_execz .LBB108_810
; %bb.801:
	v_cmp_ne_u32_e32 vcc_lo, 1, v96
	s_cbranch_vccnz .LBB108_803
; %bb.802:
	scratch_load_b64 v[94:95], v59, off
	ds_load_b64 v[98:99], v1
	s_wait_loadcnt_dscnt 0x0
	v_pk_mul_f32 v[100:101], v[98:99], v[94:95] op_sel:[1,1] op_sel_hi:[0,1]
	s_delay_alu instid0(VALU_DEP_1) | instskip(SKIP_1) | instid1(VALU_DEP_2)
	v_pk_fma_f32 v[102:103], v[98:99], v[94:95], v[100:101] op_sel_hi:[1,0,1]
	v_pk_fma_f32 v[94:95], v[98:99], v[94:95], v[100:101] neg_lo:[0,0,1] neg_hi:[0,0,1]
	v_mov_b32_e32 v95, v103
	s_cbranch_execz .LBB108_804
	s_branch .LBB108_805
.LBB108_803:
                                        ; implicit-def: $vgpr94_vgpr95
.LBB108_804:
	ds_load_b64 v[94:95], v1
.LBB108_805:
	s_mov_b32 s4, exec_lo
	v_cmpx_ne_u32_e32 36, v0
	s_cbranch_execz .LBB108_809
; %bb.806:
	v_add_nc_u32_e32 v97, 0x178, v58
	v_add3_u32 v98, 0, v58, 8
	v_mov_b32_e32 v99, v0
	s_mov_b32 s5, 0
.LBB108_807:                            ; =>This Inner Loop Header: Depth=1
	scratch_load_b64 v[100:101], v98, off
	ds_load_b64 v[102:103], v97
	s_wait_xcnt 0x0
	v_dual_add_nc_u32 v97, 8, v97 :: v_dual_add_nc_u32 v98, 8, v98
	s_wait_loadcnt_dscnt 0x0
	v_pk_mul_f32 v[104:105], v[102:103], v[100:101] op_sel:[1,1] op_sel_hi:[0,1]
	s_delay_alu instid0(VALU_DEP_1) | instskip(SKIP_2) | instid1(VALU_DEP_3)
	v_pk_fma_f32 v[106:107], v[102:103], v[100:101], v[104:105] op_sel_hi:[1,0,1]
	v_add_nc_u32_e32 v99, 1, v99
	v_pk_fma_f32 v[100:101], v[102:103], v[100:101], v[104:105] neg_lo:[0,0,1] neg_hi:[0,0,1]
	v_mov_b32_e32 v101, v107
	s_delay_alu instid0(VALU_DEP_3) | instskip(NEXT) | instid1(VALU_DEP_2)
	v_cmp_lt_u32_e32 vcc_lo, 35, v99
	v_pk_add_f32 v[94:95], v[94:95], v[100:101]
	s_or_b32 s5, vcc_lo, s5
	s_delay_alu instid0(SALU_CYCLE_1)
	s_and_not1_b32 exec_lo, exec_lo, s5
	s_cbranch_execnz .LBB108_807
; %bb.808:
	s_or_b32 exec_lo, exec_lo, s5
.LBB108_809:
	s_delay_alu instid0(SALU_CYCLE_1) | instskip(SKIP_4) | instid1(VALU_DEP_1)
	s_or_b32 exec_lo, exec_lo, s4
	v_mov_b32_e32 v97, 0
	ds_load_b64 v[98:99], v97 offset:296
	s_wait_dscnt 0x0
	v_pk_mul_f32 v[100:101], v[94:95], v[98:99] op_sel:[1,1] op_sel_hi:[0,1]
	v_pk_fma_f32 v[102:103], v[94:95], v[98:99], v[100:101] op_sel_hi:[1,0,1]
	v_pk_fma_f32 v[94:95], v[94:95], v[98:99], v[100:101] neg_lo:[0,0,1] neg_hi:[0,0,1]
	s_delay_alu instid0(VALU_DEP_2)
	v_mov_b32_e32 v95, v103
	scratch_store_b64 off, v[94:95], off offset:296
.LBB108_810:
	s_wait_xcnt 0x0
	s_or_b32 exec_lo, exec_lo, s0
	scratch_load_b64 v[94:95], off, off offset:304
	s_mov_b32 s0, exec_lo
	s_wait_loadcnt 0x0
	ds_store_b64 v1, v[94:95]
	s_wait_storecnt_dscnt 0x0
	s_barrier_signal -1
	s_barrier_wait -1
	s_wait_xcnt 0x0
	v_cmpx_gt_u32_e32 38, v0
	s_cbranch_execz .LBB108_820
; %bb.811:
	v_cmp_ne_u32_e32 vcc_lo, 1, v96
	s_cbranch_vccnz .LBB108_813
; %bb.812:
	scratch_load_b64 v[94:95], v59, off
	ds_load_b64 v[98:99], v1
	s_wait_loadcnt_dscnt 0x0
	v_pk_mul_f32 v[100:101], v[98:99], v[94:95] op_sel:[1,1] op_sel_hi:[0,1]
	s_delay_alu instid0(VALU_DEP_1) | instskip(SKIP_1) | instid1(VALU_DEP_2)
	v_pk_fma_f32 v[102:103], v[98:99], v[94:95], v[100:101] op_sel_hi:[1,0,1]
	v_pk_fma_f32 v[94:95], v[98:99], v[94:95], v[100:101] neg_lo:[0,0,1] neg_hi:[0,0,1]
	v_mov_b32_e32 v95, v103
	s_cbranch_execz .LBB108_814
	s_branch .LBB108_815
.LBB108_813:
                                        ; implicit-def: $vgpr94_vgpr95
.LBB108_814:
	ds_load_b64 v[94:95], v1
.LBB108_815:
	s_mov_b32 s4, exec_lo
	v_cmpx_ne_u32_e32 37, v0
	s_cbranch_execz .LBB108_819
; %bb.816:
	v_add_nc_u32_e32 v97, 0x178, v58
	v_add3_u32 v98, 0, v58, 8
	v_mov_b32_e32 v99, v0
	s_mov_b32 s5, 0
.LBB108_817:                            ; =>This Inner Loop Header: Depth=1
	scratch_load_b64 v[100:101], v98, off
	ds_load_b64 v[102:103], v97
	s_wait_xcnt 0x0
	v_dual_add_nc_u32 v97, 8, v97 :: v_dual_add_nc_u32 v98, 8, v98
	s_wait_loadcnt_dscnt 0x0
	v_pk_mul_f32 v[104:105], v[102:103], v[100:101] op_sel:[1,1] op_sel_hi:[0,1]
	s_delay_alu instid0(VALU_DEP_1) | instskip(SKIP_2) | instid1(VALU_DEP_3)
	v_pk_fma_f32 v[106:107], v[102:103], v[100:101], v[104:105] op_sel_hi:[1,0,1]
	v_add_nc_u32_e32 v99, 1, v99
	v_pk_fma_f32 v[100:101], v[102:103], v[100:101], v[104:105] neg_lo:[0,0,1] neg_hi:[0,0,1]
	v_mov_b32_e32 v101, v107
	s_delay_alu instid0(VALU_DEP_3) | instskip(NEXT) | instid1(VALU_DEP_2)
	v_cmp_lt_u32_e32 vcc_lo, 36, v99
	v_pk_add_f32 v[94:95], v[94:95], v[100:101]
	s_or_b32 s5, vcc_lo, s5
	s_delay_alu instid0(SALU_CYCLE_1)
	s_and_not1_b32 exec_lo, exec_lo, s5
	s_cbranch_execnz .LBB108_817
; %bb.818:
	s_or_b32 exec_lo, exec_lo, s5
.LBB108_819:
	s_delay_alu instid0(SALU_CYCLE_1) | instskip(SKIP_4) | instid1(VALU_DEP_1)
	s_or_b32 exec_lo, exec_lo, s4
	v_mov_b32_e32 v97, 0
	ds_load_b64 v[98:99], v97 offset:304
	s_wait_dscnt 0x0
	v_pk_mul_f32 v[100:101], v[94:95], v[98:99] op_sel:[1,1] op_sel_hi:[0,1]
	v_pk_fma_f32 v[102:103], v[94:95], v[98:99], v[100:101] op_sel_hi:[1,0,1]
	v_pk_fma_f32 v[94:95], v[94:95], v[98:99], v[100:101] neg_lo:[0,0,1] neg_hi:[0,0,1]
	s_delay_alu instid0(VALU_DEP_2)
	v_mov_b32_e32 v95, v103
	scratch_store_b64 off, v[94:95], off offset:304
.LBB108_820:
	s_wait_xcnt 0x0
	s_or_b32 exec_lo, exec_lo, s0
	scratch_load_b64 v[94:95], off, off offset:312
	s_mov_b32 s0, exec_lo
	s_wait_loadcnt 0x0
	ds_store_b64 v1, v[94:95]
	s_wait_storecnt_dscnt 0x0
	s_barrier_signal -1
	s_barrier_wait -1
	s_wait_xcnt 0x0
	v_cmpx_gt_u32_e32 39, v0
	s_cbranch_execz .LBB108_830
; %bb.821:
	v_cmp_ne_u32_e32 vcc_lo, 1, v96
	s_cbranch_vccnz .LBB108_823
; %bb.822:
	scratch_load_b64 v[94:95], v59, off
	ds_load_b64 v[98:99], v1
	s_wait_loadcnt_dscnt 0x0
	v_pk_mul_f32 v[100:101], v[98:99], v[94:95] op_sel:[1,1] op_sel_hi:[0,1]
	s_delay_alu instid0(VALU_DEP_1) | instskip(SKIP_1) | instid1(VALU_DEP_2)
	v_pk_fma_f32 v[102:103], v[98:99], v[94:95], v[100:101] op_sel_hi:[1,0,1]
	v_pk_fma_f32 v[94:95], v[98:99], v[94:95], v[100:101] neg_lo:[0,0,1] neg_hi:[0,0,1]
	v_mov_b32_e32 v95, v103
	s_cbranch_execz .LBB108_824
	s_branch .LBB108_825
.LBB108_823:
                                        ; implicit-def: $vgpr94_vgpr95
.LBB108_824:
	ds_load_b64 v[94:95], v1
.LBB108_825:
	s_mov_b32 s4, exec_lo
	v_cmpx_ne_u32_e32 38, v0
	s_cbranch_execz .LBB108_829
; %bb.826:
	v_add_nc_u32_e32 v97, 0x178, v58
	v_add3_u32 v98, 0, v58, 8
	v_mov_b32_e32 v99, v0
	s_mov_b32 s5, 0
.LBB108_827:                            ; =>This Inner Loop Header: Depth=1
	scratch_load_b64 v[100:101], v98, off
	ds_load_b64 v[102:103], v97
	s_wait_xcnt 0x0
	v_dual_add_nc_u32 v97, 8, v97 :: v_dual_add_nc_u32 v98, 8, v98
	s_wait_loadcnt_dscnt 0x0
	v_pk_mul_f32 v[104:105], v[102:103], v[100:101] op_sel:[1,1] op_sel_hi:[0,1]
	s_delay_alu instid0(VALU_DEP_1) | instskip(SKIP_2) | instid1(VALU_DEP_3)
	v_pk_fma_f32 v[106:107], v[102:103], v[100:101], v[104:105] op_sel_hi:[1,0,1]
	v_add_nc_u32_e32 v99, 1, v99
	v_pk_fma_f32 v[100:101], v[102:103], v[100:101], v[104:105] neg_lo:[0,0,1] neg_hi:[0,0,1]
	v_mov_b32_e32 v101, v107
	s_delay_alu instid0(VALU_DEP_3) | instskip(NEXT) | instid1(VALU_DEP_2)
	v_cmp_lt_u32_e32 vcc_lo, 37, v99
	v_pk_add_f32 v[94:95], v[94:95], v[100:101]
	s_or_b32 s5, vcc_lo, s5
	s_delay_alu instid0(SALU_CYCLE_1)
	s_and_not1_b32 exec_lo, exec_lo, s5
	s_cbranch_execnz .LBB108_827
; %bb.828:
	s_or_b32 exec_lo, exec_lo, s5
.LBB108_829:
	s_delay_alu instid0(SALU_CYCLE_1) | instskip(SKIP_4) | instid1(VALU_DEP_1)
	s_or_b32 exec_lo, exec_lo, s4
	v_mov_b32_e32 v97, 0
	ds_load_b64 v[98:99], v97 offset:312
	s_wait_dscnt 0x0
	v_pk_mul_f32 v[100:101], v[94:95], v[98:99] op_sel:[1,1] op_sel_hi:[0,1]
	v_pk_fma_f32 v[102:103], v[94:95], v[98:99], v[100:101] op_sel_hi:[1,0,1]
	v_pk_fma_f32 v[94:95], v[94:95], v[98:99], v[100:101] neg_lo:[0,0,1] neg_hi:[0,0,1]
	s_delay_alu instid0(VALU_DEP_2)
	v_mov_b32_e32 v95, v103
	scratch_store_b64 off, v[94:95], off offset:312
.LBB108_830:
	s_wait_xcnt 0x0
	s_or_b32 exec_lo, exec_lo, s0
	scratch_load_b64 v[94:95], off, off offset:320
	s_mov_b32 s0, exec_lo
	s_wait_loadcnt 0x0
	ds_store_b64 v1, v[94:95]
	s_wait_storecnt_dscnt 0x0
	s_barrier_signal -1
	s_barrier_wait -1
	s_wait_xcnt 0x0
	v_cmpx_gt_u32_e32 40, v0
	s_cbranch_execz .LBB108_840
; %bb.831:
	v_cmp_ne_u32_e32 vcc_lo, 1, v96
	s_cbranch_vccnz .LBB108_833
; %bb.832:
	scratch_load_b64 v[94:95], v59, off
	ds_load_b64 v[98:99], v1
	s_wait_loadcnt_dscnt 0x0
	v_pk_mul_f32 v[100:101], v[98:99], v[94:95] op_sel:[1,1] op_sel_hi:[0,1]
	s_delay_alu instid0(VALU_DEP_1) | instskip(SKIP_1) | instid1(VALU_DEP_2)
	v_pk_fma_f32 v[102:103], v[98:99], v[94:95], v[100:101] op_sel_hi:[1,0,1]
	v_pk_fma_f32 v[94:95], v[98:99], v[94:95], v[100:101] neg_lo:[0,0,1] neg_hi:[0,0,1]
	v_mov_b32_e32 v95, v103
	s_cbranch_execz .LBB108_834
	s_branch .LBB108_835
.LBB108_833:
                                        ; implicit-def: $vgpr94_vgpr95
.LBB108_834:
	ds_load_b64 v[94:95], v1
.LBB108_835:
	s_mov_b32 s4, exec_lo
	v_cmpx_ne_u32_e32 39, v0
	s_cbranch_execz .LBB108_839
; %bb.836:
	v_add_nc_u32_e32 v97, 0x178, v58
	v_add3_u32 v98, 0, v58, 8
	v_mov_b32_e32 v99, v0
	s_mov_b32 s5, 0
.LBB108_837:                            ; =>This Inner Loop Header: Depth=1
	scratch_load_b64 v[100:101], v98, off
	ds_load_b64 v[102:103], v97
	s_wait_xcnt 0x0
	v_dual_add_nc_u32 v97, 8, v97 :: v_dual_add_nc_u32 v98, 8, v98
	s_wait_loadcnt_dscnt 0x0
	v_pk_mul_f32 v[104:105], v[102:103], v[100:101] op_sel:[1,1] op_sel_hi:[0,1]
	s_delay_alu instid0(VALU_DEP_1) | instskip(SKIP_2) | instid1(VALU_DEP_3)
	v_pk_fma_f32 v[106:107], v[102:103], v[100:101], v[104:105] op_sel_hi:[1,0,1]
	v_add_nc_u32_e32 v99, 1, v99
	v_pk_fma_f32 v[100:101], v[102:103], v[100:101], v[104:105] neg_lo:[0,0,1] neg_hi:[0,0,1]
	v_mov_b32_e32 v101, v107
	s_delay_alu instid0(VALU_DEP_3) | instskip(NEXT) | instid1(VALU_DEP_2)
	v_cmp_lt_u32_e32 vcc_lo, 38, v99
	v_pk_add_f32 v[94:95], v[94:95], v[100:101]
	s_or_b32 s5, vcc_lo, s5
	s_delay_alu instid0(SALU_CYCLE_1)
	s_and_not1_b32 exec_lo, exec_lo, s5
	s_cbranch_execnz .LBB108_837
; %bb.838:
	s_or_b32 exec_lo, exec_lo, s5
.LBB108_839:
	s_delay_alu instid0(SALU_CYCLE_1) | instskip(SKIP_4) | instid1(VALU_DEP_1)
	s_or_b32 exec_lo, exec_lo, s4
	v_mov_b32_e32 v97, 0
	ds_load_b64 v[98:99], v97 offset:320
	s_wait_dscnt 0x0
	v_pk_mul_f32 v[100:101], v[94:95], v[98:99] op_sel:[1,1] op_sel_hi:[0,1]
	v_pk_fma_f32 v[102:103], v[94:95], v[98:99], v[100:101] op_sel_hi:[1,0,1]
	v_pk_fma_f32 v[94:95], v[94:95], v[98:99], v[100:101] neg_lo:[0,0,1] neg_hi:[0,0,1]
	s_delay_alu instid0(VALU_DEP_2)
	v_mov_b32_e32 v95, v103
	scratch_store_b64 off, v[94:95], off offset:320
.LBB108_840:
	s_wait_xcnt 0x0
	s_or_b32 exec_lo, exec_lo, s0
	scratch_load_b64 v[94:95], off, off offset:328
	s_mov_b32 s0, exec_lo
	s_wait_loadcnt 0x0
	ds_store_b64 v1, v[94:95]
	s_wait_storecnt_dscnt 0x0
	s_barrier_signal -1
	s_barrier_wait -1
	s_wait_xcnt 0x0
	v_cmpx_gt_u32_e32 41, v0
	s_cbranch_execz .LBB108_850
; %bb.841:
	v_cmp_ne_u32_e32 vcc_lo, 1, v96
	s_cbranch_vccnz .LBB108_843
; %bb.842:
	scratch_load_b64 v[94:95], v59, off
	ds_load_b64 v[98:99], v1
	s_wait_loadcnt_dscnt 0x0
	v_pk_mul_f32 v[100:101], v[98:99], v[94:95] op_sel:[1,1] op_sel_hi:[0,1]
	s_delay_alu instid0(VALU_DEP_1) | instskip(SKIP_1) | instid1(VALU_DEP_2)
	v_pk_fma_f32 v[102:103], v[98:99], v[94:95], v[100:101] op_sel_hi:[1,0,1]
	v_pk_fma_f32 v[94:95], v[98:99], v[94:95], v[100:101] neg_lo:[0,0,1] neg_hi:[0,0,1]
	v_mov_b32_e32 v95, v103
	s_cbranch_execz .LBB108_844
	s_branch .LBB108_845
.LBB108_843:
                                        ; implicit-def: $vgpr94_vgpr95
.LBB108_844:
	ds_load_b64 v[94:95], v1
.LBB108_845:
	s_mov_b32 s4, exec_lo
	v_cmpx_ne_u32_e32 40, v0
	s_cbranch_execz .LBB108_849
; %bb.846:
	v_add_nc_u32_e32 v97, 0x178, v58
	v_add3_u32 v98, 0, v58, 8
	v_mov_b32_e32 v99, v0
	s_mov_b32 s5, 0
.LBB108_847:                            ; =>This Inner Loop Header: Depth=1
	scratch_load_b64 v[100:101], v98, off
	ds_load_b64 v[102:103], v97
	s_wait_xcnt 0x0
	v_dual_add_nc_u32 v97, 8, v97 :: v_dual_add_nc_u32 v98, 8, v98
	s_wait_loadcnt_dscnt 0x0
	v_pk_mul_f32 v[104:105], v[102:103], v[100:101] op_sel:[1,1] op_sel_hi:[0,1]
	s_delay_alu instid0(VALU_DEP_1) | instskip(SKIP_2) | instid1(VALU_DEP_3)
	v_pk_fma_f32 v[106:107], v[102:103], v[100:101], v[104:105] op_sel_hi:[1,0,1]
	v_add_nc_u32_e32 v99, 1, v99
	v_pk_fma_f32 v[100:101], v[102:103], v[100:101], v[104:105] neg_lo:[0,0,1] neg_hi:[0,0,1]
	v_mov_b32_e32 v101, v107
	s_delay_alu instid0(VALU_DEP_3) | instskip(NEXT) | instid1(VALU_DEP_2)
	v_cmp_lt_u32_e32 vcc_lo, 39, v99
	v_pk_add_f32 v[94:95], v[94:95], v[100:101]
	s_or_b32 s5, vcc_lo, s5
	s_delay_alu instid0(SALU_CYCLE_1)
	s_and_not1_b32 exec_lo, exec_lo, s5
	s_cbranch_execnz .LBB108_847
; %bb.848:
	s_or_b32 exec_lo, exec_lo, s5
.LBB108_849:
	s_delay_alu instid0(SALU_CYCLE_1) | instskip(SKIP_4) | instid1(VALU_DEP_1)
	s_or_b32 exec_lo, exec_lo, s4
	v_mov_b32_e32 v97, 0
	ds_load_b64 v[98:99], v97 offset:328
	s_wait_dscnt 0x0
	v_pk_mul_f32 v[100:101], v[94:95], v[98:99] op_sel:[1,1] op_sel_hi:[0,1]
	v_pk_fma_f32 v[102:103], v[94:95], v[98:99], v[100:101] op_sel_hi:[1,0,1]
	v_pk_fma_f32 v[94:95], v[94:95], v[98:99], v[100:101] neg_lo:[0,0,1] neg_hi:[0,0,1]
	s_delay_alu instid0(VALU_DEP_2)
	v_mov_b32_e32 v95, v103
	scratch_store_b64 off, v[94:95], off offset:328
.LBB108_850:
	s_wait_xcnt 0x0
	s_or_b32 exec_lo, exec_lo, s0
	scratch_load_b64 v[94:95], off, off offset:336
	s_mov_b32 s0, exec_lo
	s_wait_loadcnt 0x0
	ds_store_b64 v1, v[94:95]
	s_wait_storecnt_dscnt 0x0
	s_barrier_signal -1
	s_barrier_wait -1
	s_wait_xcnt 0x0
	v_cmpx_gt_u32_e32 42, v0
	s_cbranch_execz .LBB108_860
; %bb.851:
	v_cmp_ne_u32_e32 vcc_lo, 1, v96
	s_cbranch_vccnz .LBB108_853
; %bb.852:
	scratch_load_b64 v[94:95], v59, off
	ds_load_b64 v[98:99], v1
	s_wait_loadcnt_dscnt 0x0
	v_pk_mul_f32 v[100:101], v[98:99], v[94:95] op_sel:[1,1] op_sel_hi:[0,1]
	s_delay_alu instid0(VALU_DEP_1) | instskip(SKIP_1) | instid1(VALU_DEP_2)
	v_pk_fma_f32 v[102:103], v[98:99], v[94:95], v[100:101] op_sel_hi:[1,0,1]
	v_pk_fma_f32 v[94:95], v[98:99], v[94:95], v[100:101] neg_lo:[0,0,1] neg_hi:[0,0,1]
	v_mov_b32_e32 v95, v103
	s_cbranch_execz .LBB108_854
	s_branch .LBB108_855
.LBB108_853:
                                        ; implicit-def: $vgpr94_vgpr95
.LBB108_854:
	ds_load_b64 v[94:95], v1
.LBB108_855:
	s_mov_b32 s4, exec_lo
	v_cmpx_ne_u32_e32 41, v0
	s_cbranch_execz .LBB108_859
; %bb.856:
	v_add_nc_u32_e32 v97, 0x178, v58
	v_add3_u32 v98, 0, v58, 8
	v_mov_b32_e32 v99, v0
	s_mov_b32 s5, 0
.LBB108_857:                            ; =>This Inner Loop Header: Depth=1
	scratch_load_b64 v[100:101], v98, off
	ds_load_b64 v[102:103], v97
	s_wait_xcnt 0x0
	v_dual_add_nc_u32 v97, 8, v97 :: v_dual_add_nc_u32 v98, 8, v98
	s_wait_loadcnt_dscnt 0x0
	v_pk_mul_f32 v[104:105], v[102:103], v[100:101] op_sel:[1,1] op_sel_hi:[0,1]
	s_delay_alu instid0(VALU_DEP_1) | instskip(SKIP_2) | instid1(VALU_DEP_3)
	v_pk_fma_f32 v[106:107], v[102:103], v[100:101], v[104:105] op_sel_hi:[1,0,1]
	v_add_nc_u32_e32 v99, 1, v99
	v_pk_fma_f32 v[100:101], v[102:103], v[100:101], v[104:105] neg_lo:[0,0,1] neg_hi:[0,0,1]
	v_mov_b32_e32 v101, v107
	s_delay_alu instid0(VALU_DEP_3) | instskip(NEXT) | instid1(VALU_DEP_2)
	v_cmp_lt_u32_e32 vcc_lo, 40, v99
	v_pk_add_f32 v[94:95], v[94:95], v[100:101]
	s_or_b32 s5, vcc_lo, s5
	s_delay_alu instid0(SALU_CYCLE_1)
	s_and_not1_b32 exec_lo, exec_lo, s5
	s_cbranch_execnz .LBB108_857
; %bb.858:
	s_or_b32 exec_lo, exec_lo, s5
.LBB108_859:
	s_delay_alu instid0(SALU_CYCLE_1) | instskip(SKIP_4) | instid1(VALU_DEP_1)
	s_or_b32 exec_lo, exec_lo, s4
	v_mov_b32_e32 v97, 0
	ds_load_b64 v[98:99], v97 offset:336
	s_wait_dscnt 0x0
	v_pk_mul_f32 v[100:101], v[94:95], v[98:99] op_sel:[1,1] op_sel_hi:[0,1]
	v_pk_fma_f32 v[102:103], v[94:95], v[98:99], v[100:101] op_sel_hi:[1,0,1]
	v_pk_fma_f32 v[94:95], v[94:95], v[98:99], v[100:101] neg_lo:[0,0,1] neg_hi:[0,0,1]
	s_delay_alu instid0(VALU_DEP_2)
	v_mov_b32_e32 v95, v103
	scratch_store_b64 off, v[94:95], off offset:336
.LBB108_860:
	s_wait_xcnt 0x0
	s_or_b32 exec_lo, exec_lo, s0
	scratch_load_b64 v[94:95], off, off offset:344
	v_cmp_gt_u32_e64 s0, 43, v0
	s_wait_loadcnt 0x0
	ds_store_b64 v1, v[94:95]
	s_wait_storecnt_dscnt 0x0
	s_barrier_signal -1
	s_barrier_wait -1
	s_wait_xcnt 0x0
	s_and_saveexec_b32 s4, s0
	s_cbranch_execz .LBB108_870
; %bb.861:
	v_cmp_ne_u32_e32 vcc_lo, 1, v96
	s_cbranch_vccnz .LBB108_863
; %bb.862:
	scratch_load_b64 v[94:95], v59, off
	ds_load_b64 v[98:99], v1
	s_wait_loadcnt_dscnt 0x0
	v_pk_mul_f32 v[100:101], v[98:99], v[94:95] op_sel:[1,1] op_sel_hi:[0,1]
	s_delay_alu instid0(VALU_DEP_1) | instskip(SKIP_1) | instid1(VALU_DEP_2)
	v_pk_fma_f32 v[102:103], v[98:99], v[94:95], v[100:101] op_sel_hi:[1,0,1]
	v_pk_fma_f32 v[94:95], v[98:99], v[94:95], v[100:101] neg_lo:[0,0,1] neg_hi:[0,0,1]
	v_mov_b32_e32 v95, v103
	s_cbranch_execz .LBB108_864
	s_branch .LBB108_865
.LBB108_863:
                                        ; implicit-def: $vgpr94_vgpr95
.LBB108_864:
	ds_load_b64 v[94:95], v1
.LBB108_865:
	s_mov_b32 s5, exec_lo
	v_cmpx_ne_u32_e32 42, v0
	s_cbranch_execz .LBB108_869
; %bb.866:
	v_add_nc_u32_e32 v97, 0x178, v58
	v_add3_u32 v98, 0, v58, 8
	v_mov_b32_e32 v99, v0
	s_mov_b32 s6, 0
.LBB108_867:                            ; =>This Inner Loop Header: Depth=1
	scratch_load_b64 v[100:101], v98, off
	ds_load_b64 v[102:103], v97
	s_wait_xcnt 0x0
	v_dual_add_nc_u32 v97, 8, v97 :: v_dual_add_nc_u32 v98, 8, v98
	s_wait_loadcnt_dscnt 0x0
	v_pk_mul_f32 v[104:105], v[102:103], v[100:101] op_sel:[1,1] op_sel_hi:[0,1]
	s_delay_alu instid0(VALU_DEP_1) | instskip(SKIP_2) | instid1(VALU_DEP_3)
	v_pk_fma_f32 v[106:107], v[102:103], v[100:101], v[104:105] op_sel_hi:[1,0,1]
	v_add_nc_u32_e32 v99, 1, v99
	v_pk_fma_f32 v[100:101], v[102:103], v[100:101], v[104:105] neg_lo:[0,0,1] neg_hi:[0,0,1]
	v_mov_b32_e32 v101, v107
	s_delay_alu instid0(VALU_DEP_3) | instskip(NEXT) | instid1(VALU_DEP_2)
	v_cmp_lt_u32_e32 vcc_lo, 41, v99
	v_pk_add_f32 v[94:95], v[94:95], v[100:101]
	s_or_b32 s6, vcc_lo, s6
	s_delay_alu instid0(SALU_CYCLE_1)
	s_and_not1_b32 exec_lo, exec_lo, s6
	s_cbranch_execnz .LBB108_867
; %bb.868:
	s_or_b32 exec_lo, exec_lo, s6
.LBB108_869:
	s_delay_alu instid0(SALU_CYCLE_1) | instskip(SKIP_4) | instid1(VALU_DEP_1)
	s_or_b32 exec_lo, exec_lo, s5
	v_mov_b32_e32 v97, 0
	ds_load_b64 v[98:99], v97 offset:344
	s_wait_dscnt 0x0
	v_pk_mul_f32 v[100:101], v[94:95], v[98:99] op_sel:[1,1] op_sel_hi:[0,1]
	v_pk_fma_f32 v[102:103], v[94:95], v[98:99], v[100:101] op_sel_hi:[1,0,1]
	v_pk_fma_f32 v[94:95], v[94:95], v[98:99], v[100:101] neg_lo:[0,0,1] neg_hi:[0,0,1]
	s_delay_alu instid0(VALU_DEP_2)
	v_mov_b32_e32 v95, v103
	scratch_store_b64 off, v[94:95], off offset:344
.LBB108_870:
	s_wait_xcnt 0x0
	s_or_b32 exec_lo, exec_lo, s4
	scratch_load_b64 v[94:95], off, off offset:352
	s_mov_b32 s4, exec_lo
                                        ; implicit-def: $vgpr134
                                        ; implicit-def: $sgpr7
	s_wait_loadcnt 0x0
	ds_store_b64 v1, v[94:95]
	s_wait_storecnt_dscnt 0x0
	s_barrier_signal -1
	s_barrier_wait -1
	s_wait_xcnt 0x0
	v_cmpx_ne_u32_e32 44, v0
	s_cbranch_execz .LBB108_880
; %bb.871:
	v_cmp_ne_u32_e32 vcc_lo, 1, v96
	s_cbranch_vccnz .LBB108_873
; %bb.872:
	scratch_load_b64 v[96:97], v59, off
	ds_load_b64 v[98:99], v1
	s_wait_loadcnt_dscnt 0x0
	v_dual_mul_f32 v59, v99, v97 :: v_dual_mul_f32 v95, v98, v97
	s_delay_alu instid0(VALU_DEP_1) | instskip(NEXT) | instid1(VALU_DEP_2)
	v_fma_f32 v94, v98, v96, -v59
	v_fmac_f32_e32 v95, v99, v96
	s_cbranch_execz .LBB108_874
	s_branch .LBB108_875
.LBB108_873:
                                        ; implicit-def: $vgpr95
.LBB108_874:
	ds_load_b64 v[94:95], v1
.LBB108_875:
	s_and_saveexec_b32 s5, s0
	s_cbranch_execz .LBB108_879
; %bb.876:
	v_add_nc_u32_e32 v1, 0x178, v58
	v_add3_u32 v58, 0, v58, 8
	s_mov_b32 s0, 0
.LBB108_877:                            ; =>This Inner Loop Header: Depth=1
	scratch_load_b64 v[96:97], v58, off
	ds_load_b64 v[98:99], v1
	v_dual_add_nc_u32 v0, 1, v0 :: v_dual_add_nc_u32 v1, 8, v1
	s_delay_alu instid0(VALU_DEP_1) | instskip(SKIP_3) | instid1(VALU_DEP_1)
	v_cmp_lt_u32_e32 vcc_lo, 42, v0
	s_or_b32 s0, vcc_lo, s0
	s_wait_loadcnt_dscnt 0x0
	v_dual_mul_f32 v59, v99, v97 :: v_dual_mul_f32 v97, v98, v97
	v_dual_fma_f32 v59, v98, v96, -v59 :: v_dual_fmac_f32 v97, v99, v96
	s_delay_alu instid0(VALU_DEP_1) | instskip(NEXT) | instid1(VALU_DEP_2)
	v_dual_add_nc_u32 v58, 8, v58 :: v_dual_add_f32 v94, v94, v59
	v_add_f32_e32 v95, v95, v97
	s_and_not1_b32 exec_lo, exec_lo, s0
	s_cbranch_execnz .LBB108_877
; %bb.878:
	s_or_b32 exec_lo, exec_lo, s0
.LBB108_879:
	s_delay_alu instid0(SALU_CYCLE_1)
	s_or_b32 exec_lo, exec_lo, s5
	v_mov_b32_e32 v0, 0
	s_movk_i32 s7, 0x164
	s_or_b32 s1, s1, exec_lo
	ds_load_b64 v[0:1], v0 offset:352
	s_wait_dscnt 0x0
	v_dual_mul_f32 v58, v95, v1 :: v_dual_mul_f32 v134, v94, v1
	s_delay_alu instid0(VALU_DEP_1) | instskip(NEXT) | instid1(VALU_DEP_2)
	v_fma_f32 v1, v94, v0, -v58
	v_fmac_f32_e32 v134, v95, v0
	scratch_store_b32 off, v1, off offset:352
.LBB108_880:
	s_wait_xcnt 0x0
	s_or_b32 exec_lo, exec_lo, s4
.LBB108_881:
	v_lshl_add_u64 v[132:133], v[6:7], 3, s[2:3]
	v_lshl_add_u64 v[130:131], v[8:9], 3, s[2:3]
	;; [unrolled: 1-line block ×43, first 2 shown]
	s_and_saveexec_b32 s0, s1
	s_cbranch_execz .LBB108_883
; %bb.882:
	scratch_store_b32 off, v134, s7
.LBB108_883:
	s_wait_xcnt 0x0
	s_or_b32 exec_lo, exec_lo, s0
	scratch_load_b64 v[48:49], off, off
	s_wait_loadcnt 0x0
	flat_store_b64 v[2:3], v[48:49]
	scratch_load_b64 v[2:3], off, off offset:8
	s_wait_loadcnt 0x0
	flat_store_b64 v[4:5], v[2:3]
	scratch_load_b64 v[2:3], off, off offset:16
	;; [unrolled: 3-line block ×44, first 2 shown]
	s_wait_loadcnt 0x0
	flat_store_b64 v[0:1], v[2:3]
.LBB108_884:
	s_sendmsg sendmsg(MSG_DEALLOC_VGPRS)
	s_endpgm
	.section	.rodata,"a",@progbits
	.p2align	6, 0x0
	.amdhsa_kernel _ZN9rocsolver6v33100L18trti2_kernel_smallILi45E19rocblas_complex_numIfEPKPS3_EEv13rocblas_fill_17rocblas_diagonal_T1_iil
		.amdhsa_group_segment_fixed_size 728
		.amdhsa_private_segment_fixed_size 368
		.amdhsa_kernarg_size 32
		.amdhsa_user_sgpr_count 2
		.amdhsa_user_sgpr_dispatch_ptr 0
		.amdhsa_user_sgpr_queue_ptr 0
		.amdhsa_user_sgpr_kernarg_segment_ptr 1
		.amdhsa_user_sgpr_dispatch_id 0
		.amdhsa_user_sgpr_kernarg_preload_length 0
		.amdhsa_user_sgpr_kernarg_preload_offset 0
		.amdhsa_user_sgpr_private_segment_size 0
		.amdhsa_wavefront_size32 1
		.amdhsa_uses_dynamic_stack 0
		.amdhsa_enable_private_segment 1
		.amdhsa_system_sgpr_workgroup_id_x 1
		.amdhsa_system_sgpr_workgroup_id_y 0
		.amdhsa_system_sgpr_workgroup_id_z 0
		.amdhsa_system_sgpr_workgroup_info 0
		.amdhsa_system_vgpr_workitem_id 0
		.amdhsa_next_free_vgpr 135
		.amdhsa_next_free_sgpr 51
		.amdhsa_named_barrier_count 0
		.amdhsa_reserve_vcc 1
		.amdhsa_float_round_mode_32 0
		.amdhsa_float_round_mode_16_64 0
		.amdhsa_float_denorm_mode_32 3
		.amdhsa_float_denorm_mode_16_64 3
		.amdhsa_fp16_overflow 0
		.amdhsa_memory_ordered 1
		.amdhsa_forward_progress 1
		.amdhsa_inst_pref_size 255
		.amdhsa_round_robin_scheduling 0
		.amdhsa_exception_fp_ieee_invalid_op 0
		.amdhsa_exception_fp_denorm_src 0
		.amdhsa_exception_fp_ieee_div_zero 0
		.amdhsa_exception_fp_ieee_overflow 0
		.amdhsa_exception_fp_ieee_underflow 0
		.amdhsa_exception_fp_ieee_inexact 0
		.amdhsa_exception_int_div_zero 0
	.end_amdhsa_kernel
	.section	.text._ZN9rocsolver6v33100L18trti2_kernel_smallILi45E19rocblas_complex_numIfEPKPS3_EEv13rocblas_fill_17rocblas_diagonal_T1_iil,"axG",@progbits,_ZN9rocsolver6v33100L18trti2_kernel_smallILi45E19rocblas_complex_numIfEPKPS3_EEv13rocblas_fill_17rocblas_diagonal_T1_iil,comdat
.Lfunc_end108:
	.size	_ZN9rocsolver6v33100L18trti2_kernel_smallILi45E19rocblas_complex_numIfEPKPS3_EEv13rocblas_fill_17rocblas_diagonal_T1_iil, .Lfunc_end108-_ZN9rocsolver6v33100L18trti2_kernel_smallILi45E19rocblas_complex_numIfEPKPS3_EEv13rocblas_fill_17rocblas_diagonal_T1_iil
                                        ; -- End function
	.set _ZN9rocsolver6v33100L18trti2_kernel_smallILi45E19rocblas_complex_numIfEPKPS3_EEv13rocblas_fill_17rocblas_diagonal_T1_iil.num_vgpr, 135
	.set _ZN9rocsolver6v33100L18trti2_kernel_smallILi45E19rocblas_complex_numIfEPKPS3_EEv13rocblas_fill_17rocblas_diagonal_T1_iil.num_agpr, 0
	.set _ZN9rocsolver6v33100L18trti2_kernel_smallILi45E19rocblas_complex_numIfEPKPS3_EEv13rocblas_fill_17rocblas_diagonal_T1_iil.numbered_sgpr, 51
	.set _ZN9rocsolver6v33100L18trti2_kernel_smallILi45E19rocblas_complex_numIfEPKPS3_EEv13rocblas_fill_17rocblas_diagonal_T1_iil.num_named_barrier, 0
	.set _ZN9rocsolver6v33100L18trti2_kernel_smallILi45E19rocblas_complex_numIfEPKPS3_EEv13rocblas_fill_17rocblas_diagonal_T1_iil.private_seg_size, 368
	.set _ZN9rocsolver6v33100L18trti2_kernel_smallILi45E19rocblas_complex_numIfEPKPS3_EEv13rocblas_fill_17rocblas_diagonal_T1_iil.uses_vcc, 1
	.set _ZN9rocsolver6v33100L18trti2_kernel_smallILi45E19rocblas_complex_numIfEPKPS3_EEv13rocblas_fill_17rocblas_diagonal_T1_iil.uses_flat_scratch, 0
	.set _ZN9rocsolver6v33100L18trti2_kernel_smallILi45E19rocblas_complex_numIfEPKPS3_EEv13rocblas_fill_17rocblas_diagonal_T1_iil.has_dyn_sized_stack, 0
	.set _ZN9rocsolver6v33100L18trti2_kernel_smallILi45E19rocblas_complex_numIfEPKPS3_EEv13rocblas_fill_17rocblas_diagonal_T1_iil.has_recursion, 0
	.set _ZN9rocsolver6v33100L18trti2_kernel_smallILi45E19rocblas_complex_numIfEPKPS3_EEv13rocblas_fill_17rocblas_diagonal_T1_iil.has_indirect_call, 0
	.section	.AMDGPU.csdata,"",@progbits
; Kernel info:
; codeLenInByte = 34724
; TotalNumSgprs: 53
; NumVgprs: 135
; ScratchSize: 368
; MemoryBound: 0
; FloatMode: 240
; IeeeMode: 1
; LDSByteSize: 728 bytes/workgroup (compile time only)
; SGPRBlocks: 0
; VGPRBlocks: 8
; NumSGPRsForWavesPerEU: 53
; NumVGPRsForWavesPerEU: 135
; NamedBarCnt: 0
; Occupancy: 7
; WaveLimiterHint : 1
; COMPUTE_PGM_RSRC2:SCRATCH_EN: 1
; COMPUTE_PGM_RSRC2:USER_SGPR: 2
; COMPUTE_PGM_RSRC2:TRAP_HANDLER: 0
; COMPUTE_PGM_RSRC2:TGID_X_EN: 1
; COMPUTE_PGM_RSRC2:TGID_Y_EN: 0
; COMPUTE_PGM_RSRC2:TGID_Z_EN: 0
; COMPUTE_PGM_RSRC2:TIDIG_COMP_CNT: 0
	.section	.text._ZN9rocsolver6v33100L18trti2_kernel_smallILi46E19rocblas_complex_numIfEPKPS3_EEv13rocblas_fill_17rocblas_diagonal_T1_iil,"axG",@progbits,_ZN9rocsolver6v33100L18trti2_kernel_smallILi46E19rocblas_complex_numIfEPKPS3_EEv13rocblas_fill_17rocblas_diagonal_T1_iil,comdat
	.globl	_ZN9rocsolver6v33100L18trti2_kernel_smallILi46E19rocblas_complex_numIfEPKPS3_EEv13rocblas_fill_17rocblas_diagonal_T1_iil ; -- Begin function _ZN9rocsolver6v33100L18trti2_kernel_smallILi46E19rocblas_complex_numIfEPKPS3_EEv13rocblas_fill_17rocblas_diagonal_T1_iil
	.p2align	8
	.type	_ZN9rocsolver6v33100L18trti2_kernel_smallILi46E19rocblas_complex_numIfEPKPS3_EEv13rocblas_fill_17rocblas_diagonal_T1_iil,@function
_ZN9rocsolver6v33100L18trti2_kernel_smallILi46E19rocblas_complex_numIfEPKPS3_EEv13rocblas_fill_17rocblas_diagonal_T1_iil: ; @_ZN9rocsolver6v33100L18trti2_kernel_smallILi46E19rocblas_complex_numIfEPKPS3_EEv13rocblas_fill_17rocblas_diagonal_T1_iil
; %bb.0:
	s_mov_b32 s2, exec_lo
	v_cmpx_gt_u32_e32 46, v0
	s_cbranch_execz .LBB109_904
; %bb.1:
	s_clause 0x1
	s_load_b64 s[2:3], s[0:1], 0x10
	s_load_b128 s[4:7], s[0:1], 0x0
	s_wait_xcnt 0x0
	s_bfe_u32 s0, ttmp6, 0x4000c
	s_and_b32 s1, ttmp6, 15
	s_add_co_i32 s0, s0, 1
	s_getreg_b32 s8, hwreg(HW_REG_IB_STS2, 6, 4)
	s_mul_i32 s0, ttmp9, s0
	v_dual_mov_b32 v59, 0 :: v_dual_lshlrev_b32 v58, 3, v0
	s_add_co_i32 s0, s1, s0
	s_wait_kmcnt 0x0
	s_ashr_i32 s1, s2, 31
	s_cmp_eq_u32 s8, 0
	s_cselect_b32 s8, ttmp9, s0
	s_mov_b32 s0, s2
	s_ashr_i32 s9, s8, 31
	s_lshl_b64 s[0:1], s[0:1], 3
	s_lshl_b64 s[8:9], s[8:9], 3
	s_delay_alu instid0(SALU_CYCLE_1)
	s_add_nc_u64 s[6:7], s[6:7], s[8:9]
	s_load_b64 s[6:7], s[6:7], 0x0
	s_wait_kmcnt 0x0
	s_add_nc_u64 s[6:7], s[6:7], s[0:1]
	s_mov_b32 s0, s3
	flat_load_b64 v[6:7], v0, s[6:7] scale_offset
	v_add_nc_u64_e32 v[2:3], s[6:7], v[58:59]
	s_ashr_i32 s1, s3, 31
	s_cmp_lg_u32 s5, 0x84
	s_delay_alu instid0(VALU_DEP_1)
	v_lshl_add_u64 v[4:5], s[0:1], 3, v[2:3]
	s_mov_b32 s0, -1
	s_wait_loadcnt_dscnt 0x0
	scratch_store_b64 off, v[6:7], off
	flat_load_b64 v[8:9], v[4:5]
	s_wait_xcnt 0x1
	v_add3_u32 v6, s3, s3, v0
	s_wait_loadcnt_dscnt 0x0
	scratch_store_b64 off, v[8:9], off offset:8
	flat_load_b64 v[10:11], v6, s[6:7] scale_offset
	s_wait_xcnt 0x1
	v_add_nc_u32_e32 v8, s3, v6
	s_wait_loadcnt_dscnt 0x0
	scratch_store_b64 off, v[10:11], off offset:16
	flat_load_b64 v[12:13], v8, s[6:7] scale_offset
	s_wait_xcnt 0x1
	v_add_nc_u32_e32 v10, s3, v8
	s_wait_loadcnt_dscnt 0x0
	scratch_store_b64 off, v[12:13], off offset:24
	flat_load_b64 v[14:15], v10, s[6:7] scale_offset
	s_wait_xcnt 0x1
	v_add_nc_u32_e32 v12, s3, v10
	s_wait_loadcnt_dscnt 0x0
	scratch_store_b64 off, v[14:15], off offset:32
	flat_load_b64 v[16:17], v12, s[6:7] scale_offset
	s_wait_xcnt 0x1
	v_add_nc_u32_e32 v14, s3, v12
	s_wait_loadcnt_dscnt 0x0
	scratch_store_b64 off, v[16:17], off offset:40
	flat_load_b64 v[18:19], v14, s[6:7] scale_offset
	s_wait_xcnt 0x1
	v_add_nc_u32_e32 v16, s3, v14
	s_wait_loadcnt_dscnt 0x0
	scratch_store_b64 off, v[18:19], off offset:48
	flat_load_b64 v[20:21], v16, s[6:7] scale_offset
	s_wait_xcnt 0x1
	v_add_nc_u32_e32 v18, s3, v16
	s_wait_loadcnt_dscnt 0x0
	scratch_store_b64 off, v[20:21], off offset:56
	flat_load_b64 v[22:23], v18, s[6:7] scale_offset
	s_wait_xcnt 0x1
	v_add_nc_u32_e32 v20, s3, v18
	s_wait_loadcnt_dscnt 0x0
	scratch_store_b64 off, v[22:23], off offset:64
	flat_load_b64 v[24:25], v20, s[6:7] scale_offset
	s_wait_xcnt 0x1
	v_add_nc_u32_e32 v22, s3, v20
	s_wait_loadcnt_dscnt 0x0
	scratch_store_b64 off, v[24:25], off offset:72
	flat_load_b64 v[26:27], v22, s[6:7] scale_offset
	s_wait_xcnt 0x1
	v_add_nc_u32_e32 v24, s3, v22
	s_wait_loadcnt_dscnt 0x0
	scratch_store_b64 off, v[26:27], off offset:80
	flat_load_b64 v[28:29], v24, s[6:7] scale_offset
	s_wait_xcnt 0x1
	v_add_nc_u32_e32 v26, s3, v24
	s_wait_loadcnt_dscnt 0x0
	scratch_store_b64 off, v[28:29], off offset:88
	flat_load_b64 v[30:31], v26, s[6:7] scale_offset
	s_wait_xcnt 0x1
	v_add_nc_u32_e32 v28, s3, v26
	s_wait_loadcnt_dscnt 0x0
	scratch_store_b64 off, v[30:31], off offset:96
	flat_load_b64 v[32:33], v28, s[6:7] scale_offset
	s_wait_xcnt 0x1
	v_add_nc_u32_e32 v30, s3, v28
	s_wait_loadcnt_dscnt 0x0
	scratch_store_b64 off, v[32:33], off offset:104
	flat_load_b64 v[34:35], v30, s[6:7] scale_offset
	s_wait_xcnt 0x1
	v_add_nc_u32_e32 v32, s3, v30
	s_wait_loadcnt_dscnt 0x0
	scratch_store_b64 off, v[34:35], off offset:112
	flat_load_b64 v[36:37], v32, s[6:7] scale_offset
	s_wait_xcnt 0x1
	v_add_nc_u32_e32 v34, s3, v32
	s_wait_loadcnt_dscnt 0x0
	scratch_store_b64 off, v[36:37], off offset:120
	flat_load_b64 v[38:39], v34, s[6:7] scale_offset
	s_wait_xcnt 0x1
	v_add_nc_u32_e32 v36, s3, v34
	s_wait_loadcnt_dscnt 0x0
	scratch_store_b64 off, v[38:39], off offset:128
	flat_load_b64 v[40:41], v36, s[6:7] scale_offset
	s_wait_xcnt 0x1
	v_add_nc_u32_e32 v38, s3, v36
	s_wait_loadcnt_dscnt 0x0
	scratch_store_b64 off, v[40:41], off offset:136
	flat_load_b64 v[42:43], v38, s[6:7] scale_offset
	s_wait_xcnt 0x1
	v_add_nc_u32_e32 v40, s3, v38
	s_wait_loadcnt_dscnt 0x0
	scratch_store_b64 off, v[42:43], off offset:144
	flat_load_b64 v[44:45], v40, s[6:7] scale_offset
	s_wait_xcnt 0x1
	v_add_nc_u32_e32 v42, s3, v40
	s_wait_loadcnt_dscnt 0x0
	scratch_store_b64 off, v[44:45], off offset:152
	flat_load_b64 v[46:47], v42, s[6:7] scale_offset
	s_wait_xcnt 0x1
	v_add_nc_u32_e32 v44, s3, v42
	s_wait_loadcnt_dscnt 0x0
	scratch_store_b64 off, v[46:47], off offset:160
	flat_load_b64 v[48:49], v44, s[6:7] scale_offset
	s_wait_xcnt 0x1
	v_add_nc_u32_e32 v46, s3, v44
	s_wait_loadcnt_dscnt 0x0
	scratch_store_b64 off, v[48:49], off offset:168
	flat_load_b64 v[50:51], v46, s[6:7] scale_offset
	s_wait_xcnt 0x1
	v_add_nc_u32_e32 v48, s3, v46
	s_wait_loadcnt_dscnt 0x0
	scratch_store_b64 off, v[50:51], off offset:176
	flat_load_b64 v[52:53], v48, s[6:7] scale_offset
	s_wait_xcnt 0x1
	v_add_nc_u32_e32 v50, s3, v48
	s_wait_loadcnt_dscnt 0x0
	scratch_store_b64 off, v[52:53], off offset:184
	flat_load_b64 v[54:55], v50, s[6:7] scale_offset
	s_wait_xcnt 0x1
	v_add_nc_u32_e32 v52, s3, v50
	s_wait_loadcnt_dscnt 0x0
	scratch_store_b64 off, v[54:55], off offset:192
	flat_load_b64 v[56:57], v52, s[6:7] scale_offset
	s_wait_xcnt 0x1
	v_add_nc_u32_e32 v54, s3, v52
	s_wait_loadcnt_dscnt 0x0
	scratch_store_b64 off, v[56:57], off offset:200
	flat_load_b64 v[60:61], v54, s[6:7] scale_offset
	s_wait_xcnt 0x1
	v_add_nc_u32_e32 v56, s3, v54
	s_wait_loadcnt_dscnt 0x0
	scratch_store_b64 off, v[60:61], off offset:208
	flat_load_b64 v[62:63], v56, s[6:7] scale_offset
	s_wait_xcnt 0x1
	v_add_nc_u32_e32 v60, s3, v56
	s_wait_loadcnt_dscnt 0x0
	scratch_store_b64 off, v[62:63], off offset:216
	flat_load_b64 v[64:65], v60, s[6:7] scale_offset
	s_wait_xcnt 0x1
	v_add_nc_u32_e32 v62, s3, v60
	s_wait_loadcnt_dscnt 0x0
	scratch_store_b64 off, v[64:65], off offset:224
	flat_load_b64 v[66:67], v62, s[6:7] scale_offset
	s_wait_xcnt 0x1
	v_add_nc_u32_e32 v64, s3, v62
	s_wait_loadcnt_dscnt 0x0
	scratch_store_b64 off, v[66:67], off offset:232
	flat_load_b64 v[68:69], v64, s[6:7] scale_offset
	s_wait_xcnt 0x1
	v_add_nc_u32_e32 v66, s3, v64
	s_wait_loadcnt_dscnt 0x0
	scratch_store_b64 off, v[68:69], off offset:240
	flat_load_b64 v[70:71], v66, s[6:7] scale_offset
	s_wait_xcnt 0x1
	v_add_nc_u32_e32 v68, s3, v66
	s_wait_loadcnt_dscnt 0x0
	scratch_store_b64 off, v[70:71], off offset:248
	flat_load_b64 v[72:73], v68, s[6:7] scale_offset
	s_wait_xcnt 0x1
	v_add_nc_u32_e32 v70, s3, v68
	s_wait_loadcnt_dscnt 0x0
	scratch_store_b64 off, v[72:73], off offset:256
	flat_load_b64 v[74:75], v70, s[6:7] scale_offset
	s_wait_xcnt 0x1
	v_add_nc_u32_e32 v72, s3, v70
	s_wait_loadcnt_dscnt 0x0
	scratch_store_b64 off, v[74:75], off offset:264
	flat_load_b64 v[76:77], v72, s[6:7] scale_offset
	s_wait_xcnt 0x1
	v_add_nc_u32_e32 v74, s3, v72
	s_wait_loadcnt_dscnt 0x0
	scratch_store_b64 off, v[76:77], off offset:272
	flat_load_b64 v[78:79], v74, s[6:7] scale_offset
	s_wait_xcnt 0x1
	v_add_nc_u32_e32 v76, s3, v74
	s_wait_loadcnt_dscnt 0x0
	scratch_store_b64 off, v[78:79], off offset:280
	flat_load_b64 v[80:81], v76, s[6:7] scale_offset
	s_wait_xcnt 0x1
	v_add_nc_u32_e32 v78, s3, v76
	s_wait_loadcnt_dscnt 0x0
	scratch_store_b64 off, v[80:81], off offset:288
	flat_load_b64 v[82:83], v78, s[6:7] scale_offset
	s_wait_xcnt 0x1
	v_add_nc_u32_e32 v80, s3, v78
	s_wait_loadcnt_dscnt 0x0
	scratch_store_b64 off, v[82:83], off offset:296
	flat_load_b64 v[84:85], v80, s[6:7] scale_offset
	s_wait_xcnt 0x1
	v_add_nc_u32_e32 v82, s3, v80
	s_wait_loadcnt_dscnt 0x0
	scratch_store_b64 off, v[84:85], off offset:304
	flat_load_b64 v[86:87], v82, s[6:7] scale_offset
	s_wait_xcnt 0x1
	v_add_nc_u32_e32 v84, s3, v82
	s_wait_loadcnt_dscnt 0x0
	scratch_store_b64 off, v[86:87], off offset:312
	flat_load_b64 v[88:89], v84, s[6:7] scale_offset
	s_wait_xcnt 0x1
	v_add_nc_u32_e32 v86, s3, v84
	s_wait_loadcnt_dscnt 0x0
	scratch_store_b64 off, v[88:89], off offset:320
	flat_load_b64 v[90:91], v86, s[6:7] scale_offset
	s_wait_xcnt 0x1
	v_add_nc_u32_e32 v88, s3, v86
	s_wait_loadcnt_dscnt 0x0
	scratch_store_b64 off, v[90:91], off offset:328
	flat_load_b64 v[92:93], v88, s[6:7] scale_offset
	s_wait_xcnt 0x1
	v_add_nc_u32_e32 v90, s3, v88
	s_wait_loadcnt_dscnt 0x0
	scratch_store_b64 off, v[92:93], off offset:336
	flat_load_b64 v[94:95], v90, s[6:7] scale_offset
	s_wait_xcnt 0x1
	v_add_nc_u32_e32 v92, s3, v90
	s_wait_loadcnt_dscnt 0x0
	scratch_store_b64 off, v[94:95], off offset:344
	flat_load_b64 v[96:97], v92, s[6:7] scale_offset
	s_wait_xcnt 0x1
	v_add_nc_u32_e32 v94, s3, v92
	s_cselect_b32 s3, -1, 0
	s_delay_alu instid0(SALU_CYCLE_1)
	s_and_b32 vcc_lo, exec_lo, s3
	s_wait_loadcnt_dscnt 0x0
	scratch_store_b64 off, v[96:97], off offset:352
	flat_load_b64 v[96:97], v94, s[6:7] scale_offset
	s_wait_loadcnt_dscnt 0x0
	scratch_store_b64 off, v[96:97], off offset:360
	s_cbranch_vccz .LBB109_7
; %bb.2:
	scratch_load_b64 v[96:97], v0, off scale_offset
                                        ; implicit-def: $vgpr101
                                        ; implicit-def: $vgpr98
	s_wait_loadcnt 0x0
	v_cmp_ngt_f32_e64 s0, |v96|, |v97|
	s_wait_xcnt 0x0
	s_and_saveexec_b32 s1, s0
	s_delay_alu instid0(SALU_CYCLE_1)
	s_xor_b32 s0, exec_lo, s1
	s_cbranch_execz .LBB109_4
; %bb.3:
	v_div_scale_f32 v1, null, v97, v97, v96
	v_div_scale_f32 v11, vcc_lo, v96, v97, v96
	s_delay_alu instid0(VALU_DEP_2) | instskip(SKIP_1) | instid1(TRANS32_DEP_1)
	v_rcp_f32_e32 v7, v1
	v_nop
	v_fma_f32 v9, -v1, v7, 1.0
	s_delay_alu instid0(VALU_DEP_1) | instskip(NEXT) | instid1(VALU_DEP_1)
	v_fmac_f32_e32 v7, v9, v7
	v_mul_f32_e32 v9, v11, v7
	s_delay_alu instid0(VALU_DEP_1) | instskip(NEXT) | instid1(VALU_DEP_1)
	v_fma_f32 v13, -v1, v9, v11
	v_fmac_f32_e32 v9, v13, v7
	s_delay_alu instid0(VALU_DEP_1) | instskip(NEXT) | instid1(VALU_DEP_1)
	v_fma_f32 v1, -v1, v9, v11
	v_div_fmas_f32 v1, v1, v7, v9
	s_delay_alu instid0(VALU_DEP_1) | instskip(NEXT) | instid1(VALU_DEP_1)
	v_div_fixup_f32 v1, v1, v97, v96
	v_fmac_f32_e32 v97, v96, v1
	s_delay_alu instid0(VALU_DEP_1) | instskip(NEXT) | instid1(VALU_DEP_1)
	v_div_scale_f32 v7, null, v97, v97, -1.0
	v_rcp_f32_e32 v9, v7
	v_nop
	s_delay_alu instid0(TRANS32_DEP_1) | instskip(NEXT) | instid1(VALU_DEP_1)
	v_fma_f32 v11, -v7, v9, 1.0
	v_fmac_f32_e32 v9, v11, v9
	v_div_scale_f32 v11, vcc_lo, -1.0, v97, -1.0
	s_delay_alu instid0(VALU_DEP_1) | instskip(NEXT) | instid1(VALU_DEP_1)
	v_mul_f32_e32 v13, v11, v9
	v_fma_f32 v15, -v7, v13, v11
	s_delay_alu instid0(VALU_DEP_1) | instskip(NEXT) | instid1(VALU_DEP_1)
	v_fmac_f32_e32 v13, v15, v9
	v_fma_f32 v7, -v7, v13, v11
	s_delay_alu instid0(VALU_DEP_1) | instskip(NEXT) | instid1(VALU_DEP_1)
	v_div_fmas_f32 v7, v7, v9, v13
	v_div_fixup_f32 v101, v7, v97, -1.0
                                        ; implicit-def: $vgpr96_vgpr97
	s_delay_alu instid0(VALU_DEP_1) | instskip(NEXT) | instid1(VALU_DEP_1)
	v_mul_f32_e32 v98, v1, v101
	v_xor_b32_e32 v100, 0x80000000, v98
.LBB109_4:
	s_or_saveexec_b32 s0, s0
	v_lshl_add_u32 v1, v0, 3, 0
	s_xor_b32 exec_lo, exec_lo, s0
	s_cbranch_execz .LBB109_6
; %bb.5:
	v_div_scale_f32 v7, null, v96, v96, v97
	v_div_scale_f32 v13, vcc_lo, v97, v96, v97
	s_delay_alu instid0(VALU_DEP_2) | instskip(SKIP_1) | instid1(TRANS32_DEP_1)
	v_rcp_f32_e32 v9, v7
	v_nop
	v_fma_f32 v11, -v7, v9, 1.0
	s_delay_alu instid0(VALU_DEP_1) | instskip(NEXT) | instid1(VALU_DEP_1)
	v_fmac_f32_e32 v9, v11, v9
	v_mul_f32_e32 v11, v13, v9
	s_delay_alu instid0(VALU_DEP_1) | instskip(NEXT) | instid1(VALU_DEP_1)
	v_fma_f32 v15, -v7, v11, v13
	v_fmac_f32_e32 v11, v15, v9
	s_delay_alu instid0(VALU_DEP_1) | instskip(NEXT) | instid1(VALU_DEP_1)
	v_fma_f32 v7, -v7, v11, v13
	v_div_fmas_f32 v7, v7, v9, v11
	s_delay_alu instid0(VALU_DEP_1) | instskip(NEXT) | instid1(VALU_DEP_1)
	v_div_fixup_f32 v7, v7, v96, v97
	v_fmac_f32_e32 v96, v97, v7
	s_delay_alu instid0(VALU_DEP_1) | instskip(SKIP_1) | instid1(VALU_DEP_2)
	v_div_scale_f32 v9, null, v96, v96, 1.0
	v_div_scale_f32 v15, vcc_lo, 1.0, v96, 1.0
	v_rcp_f32_e32 v11, v9
	v_nop
	s_delay_alu instid0(TRANS32_DEP_1) | instskip(NEXT) | instid1(VALU_DEP_1)
	v_fma_f32 v13, -v9, v11, 1.0
	v_fmac_f32_e32 v11, v13, v11
	s_delay_alu instid0(VALU_DEP_1) | instskip(NEXT) | instid1(VALU_DEP_1)
	v_mul_f32_e32 v13, v15, v11
	v_fma_f32 v17, -v9, v13, v15
	s_delay_alu instid0(VALU_DEP_1) | instskip(NEXT) | instid1(VALU_DEP_1)
	v_fmac_f32_e32 v13, v17, v11
	v_fma_f32 v9, -v9, v13, v15
	s_delay_alu instid0(VALU_DEP_1) | instskip(NEXT) | instid1(VALU_DEP_1)
	v_div_fmas_f32 v9, v9, v11, v13
	v_div_fixup_f32 v100, v9, v96, 1.0
	s_delay_alu instid0(VALU_DEP_1)
	v_xor_b32_e32 v98, 0x80000000, v100
	v_mul_f32_e64 v101, v7, -v100
.LBB109_6:
	s_or_b32 exec_lo, exec_lo, s0
	s_delay_alu instid0(VALU_DEP_1)
	v_xor_b32_e32 v99, 0x80000000, v101
	s_mov_b32 s0, 0
	scratch_store_b64 v1, v[100:101], off
	ds_store_b64 v58, v[98:99]
.LBB109_7:
	s_and_b32 vcc_lo, exec_lo, s0
	s_cbranch_vccz .LBB109_9
; %bb.8:
	s_mov_b64 s[0:1], 0xbf800000
	s_wait_xcnt 0x0
	v_mov_b64_e32 v[96:97], s[0:1]
	ds_store_b64 v58, v[96:97]
.LBB109_9:
	v_dual_ashrrev_i32 v7, 31, v6 :: v_dual_ashrrev_i32 v9, 31, v8
	v_dual_ashrrev_i32 v11, 31, v10 :: v_dual_ashrrev_i32 v13, 31, v12
	;; [unrolled: 1-line block ×22, first 2 shown]
	s_wait_xcnt 0x0
	v_add_nc_u32_e32 v1, 0x170, v58
	v_mov_b32_e32 v59, v58
	s_cmp_eq_u32 s4, 0x79
	s_cbranch_scc1 .LBB109_13
; %bb.10:
	scratch_load_b64 v[96:97], off, off offset:352
	v_cmp_eq_u32_e64 s0, 45, v0
	s_movk_i32 s1, 0x48
	s_movk_i32 s14, 0x50
	;; [unrolled: 1-line block ×35, first 2 shown]
	s_wait_loadcnt 0x0
	ds_store_b64 v1, v[96:97]
	s_wait_storecnt_dscnt 0x0
	s_barrier_signal -1
	s_barrier_wait -1
	s_wait_xcnt 0x0
	s_and_saveexec_b32 s2, s0
	s_cbranch_execz .LBB109_17
; %bb.11:
	s_and_b32 vcc_lo, exec_lo, s3
	s_cbranch_vccz .LBB109_14
; %bb.12:
	scratch_load_b64 v[96:97], v59, off
	ds_load_b64 v[98:99], v1
	s_wait_loadcnt_dscnt 0x0
	v_pk_mul_f32 v[100:101], v[98:99], v[96:97] op_sel:[1,1] op_sel_hi:[0,1]
	v_pk_mul_f32 v[102:103], v[98:99], v[96:97] op_sel_hi:[1,0]
	s_delay_alu instid0(VALU_DEP_2) | instskip(NEXT) | instid1(VALU_DEP_2)
	v_pk_fma_f32 v[96:97], v[98:99], v[96:97], v[100:101] op_sel_hi:[1,0,1]
	v_sub_f32_e32 v96, v102, v100
	s_cbranch_execz .LBB109_15
	s_branch .LBB109_16
.LBB109_13:
	s_mov_b32 s1, 0
                                        ; implicit-def: $vgpr136
                                        ; implicit-def: $sgpr5
	s_cbranch_execnz .LBB109_456
	s_branch .LBB109_901
.LBB109_14:
                                        ; implicit-def: $vgpr97
.LBB109_15:
	ds_load_b64 v[96:97], v1
.LBB109_16:
	s_wait_dscnt 0x0
	v_dual_mov_b32 v98, 0 :: v_dual_mov_b32 v100, v97
	v_mov_b32_e32 v101, v96
	ds_load_b64 v[98:99], v98 offset:352
	s_wait_dscnt 0x0
	v_pk_mul_f32 v[100:101], v[100:101], v[98:99] op_sel:[0,1]
	s_delay_alu instid0(VALU_DEP_1) | instskip(SKIP_1) | instid1(VALU_DEP_2)
	v_pk_fma_f32 v[102:103], v[96:97], v[98:99], v[100:101] op_sel_hi:[1,0,1]
	v_pk_fma_f32 v[96:97], v[96:97], v[98:99], v[100:101] neg_lo:[0,0,1] neg_hi:[0,0,1]
	v_mov_b32_e32 v97, v103
	scratch_store_b64 off, v[96:97], off offset:352
.LBB109_17:
	s_wait_xcnt 0x0
	s_or_b32 exec_lo, exec_lo, s2
	scratch_load_b64 v[96:97], off, off offset:344
	s_mov_b32 s13, s1
	v_cmp_lt_u32_e64 s1, 43, v0
	s_or_b32 s4, 0, 8
	s_mov_b32 s5, 16
	s_mov_b32 s8, 24
	;; [unrolled: 1-line block ×7, first 2 shown]
	s_wait_loadcnt 0x0
	ds_store_b64 v1, v[96:97]
	s_wait_storecnt_dscnt 0x0
	s_barrier_signal -1
	s_barrier_wait -1
	s_wait_xcnt 0x0
	s_and_saveexec_b32 s49, s1
	s_cbranch_execz .LBB109_25
; %bb.18:
	s_and_not1_b32 vcc_lo, exec_lo, s3
	s_cbranch_vccnz .LBB109_20
; %bb.19:
	scratch_load_b64 v[96:97], v59, off
	ds_load_b64 v[98:99], v1
	s_wait_loadcnt_dscnt 0x0
	v_pk_mul_f32 v[100:101], v[98:99], v[96:97] op_sel:[1,1] op_sel_hi:[0,1]
	s_delay_alu instid0(VALU_DEP_1) | instskip(SKIP_1) | instid1(VALU_DEP_2)
	v_pk_fma_f32 v[102:103], v[98:99], v[96:97], v[100:101] op_sel_hi:[1,0,1]
	v_pk_fma_f32 v[96:97], v[98:99], v[96:97], v[100:101] neg_lo:[0,0,1] neg_hi:[0,0,1]
	v_mov_b32_e32 v97, v103
	s_cbranch_execz .LBB109_21
	s_branch .LBB109_22
.LBB109_20:
                                        ; implicit-def: $vgpr96_vgpr97
.LBB109_21:
	ds_load_b64 v[96:97], v1
.LBB109_22:
	s_and_saveexec_b32 s50, s0
	s_cbranch_execz .LBB109_24
; %bb.23:
	scratch_load_b64 v[98:99], off, off offset:352
	v_mov_b32_e32 v100, 0
	ds_load_b64 v[100:101], v100 offset:720
	s_wait_loadcnt_dscnt 0x0
	v_pk_mul_f32 v[102:103], v[100:101], v[98:99] op_sel:[1,1] op_sel_hi:[0,1]
	s_delay_alu instid0(VALU_DEP_1) | instskip(SKIP_1) | instid1(VALU_DEP_2)
	v_pk_fma_f32 v[104:105], v[100:101], v[98:99], v[102:103] op_sel_hi:[1,0,1]
	v_pk_fma_f32 v[98:99], v[100:101], v[98:99], v[102:103] neg_lo:[0,0,1] neg_hi:[0,0,1]
	v_mov_b32_e32 v99, v105
	s_delay_alu instid0(VALU_DEP_1)
	v_pk_add_f32 v[96:97], v[96:97], v[98:99]
.LBB109_24:
	s_or_b32 exec_lo, exec_lo, s50
	v_mov_b32_e32 v98, 0
	ds_load_b64 v[98:99], v98 offset:344
	s_wait_dscnt 0x0
	v_pk_mul_f32 v[100:101], v[96:97], v[98:99] op_sel:[1,1] op_sel_hi:[0,1]
	s_delay_alu instid0(VALU_DEP_1) | instskip(SKIP_1) | instid1(VALU_DEP_2)
	v_pk_fma_f32 v[102:103], v[96:97], v[98:99], v[100:101] op_sel_hi:[1,0,1]
	v_pk_fma_f32 v[96:97], v[96:97], v[98:99], v[100:101] neg_lo:[0,0,1] neg_hi:[0,0,1]
	v_mov_b32_e32 v97, v103
	scratch_store_b64 off, v[96:97], off offset:344
.LBB109_25:
	s_wait_xcnt 0x0
	s_or_b32 exec_lo, exec_lo, s49
	scratch_load_b64 v[96:97], off, off offset:336
	v_cmp_lt_u32_e64 s0, 42, v0
	s_wait_loadcnt 0x0
	ds_store_b64 v1, v[96:97]
	s_wait_storecnt_dscnt 0x0
	s_barrier_signal -1
	s_barrier_wait -1
	s_wait_xcnt 0x0
	s_and_saveexec_b32 s49, s0
	s_cbranch_execz .LBB109_35
; %bb.26:
	s_and_not1_b32 vcc_lo, exec_lo, s3
	s_cbranch_vccnz .LBB109_28
; %bb.27:
	scratch_load_b64 v[96:97], v59, off
	ds_load_b64 v[98:99], v1
	s_wait_loadcnt_dscnt 0x0
	v_pk_mul_f32 v[100:101], v[98:99], v[96:97] op_sel:[1,1] op_sel_hi:[0,1]
	s_delay_alu instid0(VALU_DEP_1) | instskip(SKIP_1) | instid1(VALU_DEP_2)
	v_pk_fma_f32 v[102:103], v[98:99], v[96:97], v[100:101] op_sel_hi:[1,0,1]
	v_pk_fma_f32 v[96:97], v[98:99], v[96:97], v[100:101] neg_lo:[0,0,1] neg_hi:[0,0,1]
	v_mov_b32_e32 v97, v103
	s_cbranch_execz .LBB109_29
	s_branch .LBB109_30
.LBB109_28:
                                        ; implicit-def: $vgpr96_vgpr97
.LBB109_29:
	ds_load_b64 v[96:97], v1
.LBB109_30:
	s_and_saveexec_b32 s50, s1
	s_cbranch_execz .LBB109_34
; %bb.31:
	v_subrev_nc_u32_e32 v98, 43, v0
	s_movk_i32 s51, 0x2c8
	s_mov_b32 s1, 0
.LBB109_32:                             ; =>This Inner Loop Header: Depth=1
	scratch_load_b64 v[100:101], off, s48
	v_dual_mov_b32 v99, s51 :: v_dual_add_nc_u32 v98, -1, v98
	s_add_co_i32 s51, s51, 8
	s_wait_xcnt 0x0
	s_add_co_i32 s48, s48, 8
	ds_load_b64 v[102:103], v99
	v_cmp_eq_u32_e32 vcc_lo, 0, v98
	s_or_b32 s1, vcc_lo, s1
	s_wait_loadcnt_dscnt 0x0
	v_pk_mul_f32 v[104:105], v[102:103], v[100:101] op_sel:[1,1] op_sel_hi:[0,1]
	s_delay_alu instid0(VALU_DEP_1) | instskip(SKIP_1) | instid1(VALU_DEP_2)
	v_pk_fma_f32 v[106:107], v[102:103], v[100:101], v[104:105] op_sel_hi:[1,0,1]
	v_pk_fma_f32 v[100:101], v[102:103], v[100:101], v[104:105] neg_lo:[0,0,1] neg_hi:[0,0,1]
	v_mov_b32_e32 v101, v107
	s_delay_alu instid0(VALU_DEP_1)
	v_pk_add_f32 v[96:97], v[96:97], v[100:101]
	s_and_not1_b32 exec_lo, exec_lo, s1
	s_cbranch_execnz .LBB109_32
; %bb.33:
	s_or_b32 exec_lo, exec_lo, s1
.LBB109_34:
	s_delay_alu instid0(SALU_CYCLE_1) | instskip(SKIP_4) | instid1(VALU_DEP_1)
	s_or_b32 exec_lo, exec_lo, s50
	v_mov_b32_e32 v98, 0
	ds_load_b64 v[98:99], v98 offset:336
	s_wait_dscnt 0x0
	v_pk_mul_f32 v[100:101], v[96:97], v[98:99] op_sel:[1,1] op_sel_hi:[0,1]
	v_pk_fma_f32 v[102:103], v[96:97], v[98:99], v[100:101] op_sel_hi:[1,0,1]
	v_pk_fma_f32 v[96:97], v[96:97], v[98:99], v[100:101] neg_lo:[0,0,1] neg_hi:[0,0,1]
	s_delay_alu instid0(VALU_DEP_2)
	v_mov_b32_e32 v97, v103
	scratch_store_b64 off, v[96:97], off offset:336
.LBB109_35:
	s_wait_xcnt 0x0
	s_or_b32 exec_lo, exec_lo, s49
	scratch_load_b64 v[96:97], off, off offset:328
	v_cmp_lt_u32_e64 s1, 41, v0
	s_wait_loadcnt 0x0
	ds_store_b64 v1, v[96:97]
	s_wait_storecnt_dscnt 0x0
	s_barrier_signal -1
	s_barrier_wait -1
	s_wait_xcnt 0x0
	s_and_saveexec_b32 s48, s1
	s_cbranch_execz .LBB109_45
; %bb.36:
	s_and_not1_b32 vcc_lo, exec_lo, s3
	s_cbranch_vccnz .LBB109_38
; %bb.37:
	scratch_load_b64 v[96:97], v59, off
	ds_load_b64 v[98:99], v1
	s_wait_loadcnt_dscnt 0x0
	v_pk_mul_f32 v[100:101], v[98:99], v[96:97] op_sel:[1,1] op_sel_hi:[0,1]
	s_delay_alu instid0(VALU_DEP_1) | instskip(SKIP_1) | instid1(VALU_DEP_2)
	v_pk_fma_f32 v[102:103], v[98:99], v[96:97], v[100:101] op_sel_hi:[1,0,1]
	v_pk_fma_f32 v[96:97], v[98:99], v[96:97], v[100:101] neg_lo:[0,0,1] neg_hi:[0,0,1]
	v_mov_b32_e32 v97, v103
	s_cbranch_execz .LBB109_39
	s_branch .LBB109_40
.LBB109_38:
                                        ; implicit-def: $vgpr96_vgpr97
.LBB109_39:
	ds_load_b64 v[96:97], v1
.LBB109_40:
	s_and_saveexec_b32 s49, s0
	s_cbranch_execz .LBB109_44
; %bb.41:
	v_subrev_nc_u32_e32 v98, 42, v0
	s_movk_i32 s50, 0x2c0
	s_mov_b32 s0, 0
.LBB109_42:                             ; =>This Inner Loop Header: Depth=1
	scratch_load_b64 v[100:101], off, s47
	v_dual_mov_b32 v99, s50 :: v_dual_add_nc_u32 v98, -1, v98
	s_add_co_i32 s50, s50, 8
	s_wait_xcnt 0x0
	s_add_co_i32 s47, s47, 8
	ds_load_b64 v[102:103], v99
	v_cmp_eq_u32_e32 vcc_lo, 0, v98
	s_or_b32 s0, vcc_lo, s0
	s_wait_loadcnt_dscnt 0x0
	v_pk_mul_f32 v[104:105], v[102:103], v[100:101] op_sel:[1,1] op_sel_hi:[0,1]
	s_delay_alu instid0(VALU_DEP_1) | instskip(SKIP_1) | instid1(VALU_DEP_2)
	v_pk_fma_f32 v[106:107], v[102:103], v[100:101], v[104:105] op_sel_hi:[1,0,1]
	v_pk_fma_f32 v[100:101], v[102:103], v[100:101], v[104:105] neg_lo:[0,0,1] neg_hi:[0,0,1]
	v_mov_b32_e32 v101, v107
	s_delay_alu instid0(VALU_DEP_1)
	v_pk_add_f32 v[96:97], v[96:97], v[100:101]
	s_and_not1_b32 exec_lo, exec_lo, s0
	s_cbranch_execnz .LBB109_42
; %bb.43:
	s_or_b32 exec_lo, exec_lo, s0
.LBB109_44:
	s_delay_alu instid0(SALU_CYCLE_1) | instskip(SKIP_4) | instid1(VALU_DEP_1)
	s_or_b32 exec_lo, exec_lo, s49
	v_mov_b32_e32 v98, 0
	ds_load_b64 v[98:99], v98 offset:328
	s_wait_dscnt 0x0
	v_pk_mul_f32 v[100:101], v[96:97], v[98:99] op_sel:[1,1] op_sel_hi:[0,1]
	v_pk_fma_f32 v[102:103], v[96:97], v[98:99], v[100:101] op_sel_hi:[1,0,1]
	v_pk_fma_f32 v[96:97], v[96:97], v[98:99], v[100:101] neg_lo:[0,0,1] neg_hi:[0,0,1]
	s_delay_alu instid0(VALU_DEP_2)
	v_mov_b32_e32 v97, v103
	scratch_store_b64 off, v[96:97], off offset:328
.LBB109_45:
	s_wait_xcnt 0x0
	s_or_b32 exec_lo, exec_lo, s48
	scratch_load_b64 v[96:97], off, off offset:320
	v_cmp_lt_u32_e64 s0, 40, v0
	s_wait_loadcnt 0x0
	ds_store_b64 v1, v[96:97]
	s_wait_storecnt_dscnt 0x0
	s_barrier_signal -1
	s_barrier_wait -1
	s_wait_xcnt 0x0
	s_and_saveexec_b32 s47, s0
	s_cbranch_execz .LBB109_55
; %bb.46:
	s_and_not1_b32 vcc_lo, exec_lo, s3
	s_cbranch_vccnz .LBB109_48
; %bb.47:
	scratch_load_b64 v[96:97], v59, off
	ds_load_b64 v[98:99], v1
	s_wait_loadcnt_dscnt 0x0
	v_pk_mul_f32 v[100:101], v[98:99], v[96:97] op_sel:[1,1] op_sel_hi:[0,1]
	s_delay_alu instid0(VALU_DEP_1) | instskip(SKIP_1) | instid1(VALU_DEP_2)
	v_pk_fma_f32 v[102:103], v[98:99], v[96:97], v[100:101] op_sel_hi:[1,0,1]
	v_pk_fma_f32 v[96:97], v[98:99], v[96:97], v[100:101] neg_lo:[0,0,1] neg_hi:[0,0,1]
	v_mov_b32_e32 v97, v103
	s_cbranch_execz .LBB109_49
	s_branch .LBB109_50
.LBB109_48:
                                        ; implicit-def: $vgpr96_vgpr97
.LBB109_49:
	ds_load_b64 v[96:97], v1
.LBB109_50:
	s_and_saveexec_b32 s48, s1
	s_cbranch_execz .LBB109_54
; %bb.51:
	v_subrev_nc_u32_e32 v98, 41, v0
	s_movk_i32 s49, 0x2b8
	s_mov_b32 s1, 0
.LBB109_52:                             ; =>This Inner Loop Header: Depth=1
	scratch_load_b64 v[100:101], off, s46
	v_dual_mov_b32 v99, s49 :: v_dual_add_nc_u32 v98, -1, v98
	s_add_co_i32 s49, s49, 8
	s_wait_xcnt 0x0
	s_add_co_i32 s46, s46, 8
	ds_load_b64 v[102:103], v99
	v_cmp_eq_u32_e32 vcc_lo, 0, v98
	s_or_b32 s1, vcc_lo, s1
	s_wait_loadcnt_dscnt 0x0
	v_pk_mul_f32 v[104:105], v[102:103], v[100:101] op_sel:[1,1] op_sel_hi:[0,1]
	s_delay_alu instid0(VALU_DEP_1) | instskip(SKIP_1) | instid1(VALU_DEP_2)
	v_pk_fma_f32 v[106:107], v[102:103], v[100:101], v[104:105] op_sel_hi:[1,0,1]
	v_pk_fma_f32 v[100:101], v[102:103], v[100:101], v[104:105] neg_lo:[0,0,1] neg_hi:[0,0,1]
	v_mov_b32_e32 v101, v107
	s_delay_alu instid0(VALU_DEP_1)
	v_pk_add_f32 v[96:97], v[96:97], v[100:101]
	s_and_not1_b32 exec_lo, exec_lo, s1
	s_cbranch_execnz .LBB109_52
; %bb.53:
	s_or_b32 exec_lo, exec_lo, s1
.LBB109_54:
	s_delay_alu instid0(SALU_CYCLE_1) | instskip(SKIP_4) | instid1(VALU_DEP_1)
	s_or_b32 exec_lo, exec_lo, s48
	v_mov_b32_e32 v98, 0
	ds_load_b64 v[98:99], v98 offset:320
	s_wait_dscnt 0x0
	v_pk_mul_f32 v[100:101], v[96:97], v[98:99] op_sel:[1,1] op_sel_hi:[0,1]
	v_pk_fma_f32 v[102:103], v[96:97], v[98:99], v[100:101] op_sel_hi:[1,0,1]
	v_pk_fma_f32 v[96:97], v[96:97], v[98:99], v[100:101] neg_lo:[0,0,1] neg_hi:[0,0,1]
	s_delay_alu instid0(VALU_DEP_2)
	v_mov_b32_e32 v97, v103
	scratch_store_b64 off, v[96:97], off offset:320
.LBB109_55:
	s_wait_xcnt 0x0
	s_or_b32 exec_lo, exec_lo, s47
	scratch_load_b64 v[96:97], off, off offset:312
	v_cmp_lt_u32_e64 s1, 39, v0
	s_wait_loadcnt 0x0
	ds_store_b64 v1, v[96:97]
	s_wait_storecnt_dscnt 0x0
	s_barrier_signal -1
	s_barrier_wait -1
	s_wait_xcnt 0x0
	s_and_saveexec_b32 s46, s1
	s_cbranch_execz .LBB109_65
; %bb.56:
	s_and_not1_b32 vcc_lo, exec_lo, s3
	s_cbranch_vccnz .LBB109_58
; %bb.57:
	scratch_load_b64 v[96:97], v59, off
	ds_load_b64 v[98:99], v1
	s_wait_loadcnt_dscnt 0x0
	v_pk_mul_f32 v[100:101], v[98:99], v[96:97] op_sel:[1,1] op_sel_hi:[0,1]
	s_delay_alu instid0(VALU_DEP_1) | instskip(SKIP_1) | instid1(VALU_DEP_2)
	v_pk_fma_f32 v[102:103], v[98:99], v[96:97], v[100:101] op_sel_hi:[1,0,1]
	v_pk_fma_f32 v[96:97], v[98:99], v[96:97], v[100:101] neg_lo:[0,0,1] neg_hi:[0,0,1]
	v_mov_b32_e32 v97, v103
	s_cbranch_execz .LBB109_59
	s_branch .LBB109_60
.LBB109_58:
                                        ; implicit-def: $vgpr96_vgpr97
.LBB109_59:
	ds_load_b64 v[96:97], v1
.LBB109_60:
	s_and_saveexec_b32 s47, s0
	s_cbranch_execz .LBB109_64
; %bb.61:
	v_subrev_nc_u32_e32 v98, 40, v0
	s_movk_i32 s48, 0x2b0
	s_mov_b32 s0, 0
.LBB109_62:                             ; =>This Inner Loop Header: Depth=1
	scratch_load_b64 v[100:101], off, s45
	v_dual_mov_b32 v99, s48 :: v_dual_add_nc_u32 v98, -1, v98
	s_add_co_i32 s48, s48, 8
	s_wait_xcnt 0x0
	s_add_co_i32 s45, s45, 8
	ds_load_b64 v[102:103], v99
	v_cmp_eq_u32_e32 vcc_lo, 0, v98
	s_or_b32 s0, vcc_lo, s0
	s_wait_loadcnt_dscnt 0x0
	v_pk_mul_f32 v[104:105], v[102:103], v[100:101] op_sel:[1,1] op_sel_hi:[0,1]
	s_delay_alu instid0(VALU_DEP_1) | instskip(SKIP_1) | instid1(VALU_DEP_2)
	v_pk_fma_f32 v[106:107], v[102:103], v[100:101], v[104:105] op_sel_hi:[1,0,1]
	v_pk_fma_f32 v[100:101], v[102:103], v[100:101], v[104:105] neg_lo:[0,0,1] neg_hi:[0,0,1]
	v_mov_b32_e32 v101, v107
	s_delay_alu instid0(VALU_DEP_1)
	v_pk_add_f32 v[96:97], v[96:97], v[100:101]
	s_and_not1_b32 exec_lo, exec_lo, s0
	s_cbranch_execnz .LBB109_62
; %bb.63:
	s_or_b32 exec_lo, exec_lo, s0
.LBB109_64:
	s_delay_alu instid0(SALU_CYCLE_1) | instskip(SKIP_4) | instid1(VALU_DEP_1)
	s_or_b32 exec_lo, exec_lo, s47
	v_mov_b32_e32 v98, 0
	ds_load_b64 v[98:99], v98 offset:312
	s_wait_dscnt 0x0
	v_pk_mul_f32 v[100:101], v[96:97], v[98:99] op_sel:[1,1] op_sel_hi:[0,1]
	v_pk_fma_f32 v[102:103], v[96:97], v[98:99], v[100:101] op_sel_hi:[1,0,1]
	v_pk_fma_f32 v[96:97], v[96:97], v[98:99], v[100:101] neg_lo:[0,0,1] neg_hi:[0,0,1]
	s_delay_alu instid0(VALU_DEP_2)
	v_mov_b32_e32 v97, v103
	scratch_store_b64 off, v[96:97], off offset:312
.LBB109_65:
	s_wait_xcnt 0x0
	s_or_b32 exec_lo, exec_lo, s46
	scratch_load_b64 v[96:97], off, off offset:304
	v_cmp_lt_u32_e64 s0, 38, v0
	s_wait_loadcnt 0x0
	ds_store_b64 v1, v[96:97]
	s_wait_storecnt_dscnt 0x0
	s_barrier_signal -1
	s_barrier_wait -1
	s_wait_xcnt 0x0
	s_and_saveexec_b32 s45, s0
	s_cbranch_execz .LBB109_75
; %bb.66:
	s_and_not1_b32 vcc_lo, exec_lo, s3
	s_cbranch_vccnz .LBB109_68
; %bb.67:
	scratch_load_b64 v[96:97], v59, off
	ds_load_b64 v[98:99], v1
	s_wait_loadcnt_dscnt 0x0
	v_pk_mul_f32 v[100:101], v[98:99], v[96:97] op_sel:[1,1] op_sel_hi:[0,1]
	s_delay_alu instid0(VALU_DEP_1) | instskip(SKIP_1) | instid1(VALU_DEP_2)
	v_pk_fma_f32 v[102:103], v[98:99], v[96:97], v[100:101] op_sel_hi:[1,0,1]
	v_pk_fma_f32 v[96:97], v[98:99], v[96:97], v[100:101] neg_lo:[0,0,1] neg_hi:[0,0,1]
	v_mov_b32_e32 v97, v103
	s_cbranch_execz .LBB109_69
	s_branch .LBB109_70
.LBB109_68:
                                        ; implicit-def: $vgpr96_vgpr97
.LBB109_69:
	ds_load_b64 v[96:97], v1
.LBB109_70:
	s_and_saveexec_b32 s46, s1
	s_cbranch_execz .LBB109_74
; %bb.71:
	v_subrev_nc_u32_e32 v98, 39, v0
	s_movk_i32 s47, 0x2a8
	s_mov_b32 s1, 0
.LBB109_72:                             ; =>This Inner Loop Header: Depth=1
	scratch_load_b64 v[100:101], off, s44
	v_dual_mov_b32 v99, s47 :: v_dual_add_nc_u32 v98, -1, v98
	s_add_co_i32 s47, s47, 8
	s_wait_xcnt 0x0
	s_add_co_i32 s44, s44, 8
	ds_load_b64 v[102:103], v99
	v_cmp_eq_u32_e32 vcc_lo, 0, v98
	s_or_b32 s1, vcc_lo, s1
	s_wait_loadcnt_dscnt 0x0
	v_pk_mul_f32 v[104:105], v[102:103], v[100:101] op_sel:[1,1] op_sel_hi:[0,1]
	s_delay_alu instid0(VALU_DEP_1) | instskip(SKIP_1) | instid1(VALU_DEP_2)
	v_pk_fma_f32 v[106:107], v[102:103], v[100:101], v[104:105] op_sel_hi:[1,0,1]
	v_pk_fma_f32 v[100:101], v[102:103], v[100:101], v[104:105] neg_lo:[0,0,1] neg_hi:[0,0,1]
	v_mov_b32_e32 v101, v107
	s_delay_alu instid0(VALU_DEP_1)
	v_pk_add_f32 v[96:97], v[96:97], v[100:101]
	s_and_not1_b32 exec_lo, exec_lo, s1
	s_cbranch_execnz .LBB109_72
; %bb.73:
	s_or_b32 exec_lo, exec_lo, s1
.LBB109_74:
	s_delay_alu instid0(SALU_CYCLE_1) | instskip(SKIP_4) | instid1(VALU_DEP_1)
	s_or_b32 exec_lo, exec_lo, s46
	v_mov_b32_e32 v98, 0
	ds_load_b64 v[98:99], v98 offset:304
	s_wait_dscnt 0x0
	v_pk_mul_f32 v[100:101], v[96:97], v[98:99] op_sel:[1,1] op_sel_hi:[0,1]
	v_pk_fma_f32 v[102:103], v[96:97], v[98:99], v[100:101] op_sel_hi:[1,0,1]
	v_pk_fma_f32 v[96:97], v[96:97], v[98:99], v[100:101] neg_lo:[0,0,1] neg_hi:[0,0,1]
	s_delay_alu instid0(VALU_DEP_2)
	v_mov_b32_e32 v97, v103
	scratch_store_b64 off, v[96:97], off offset:304
.LBB109_75:
	s_wait_xcnt 0x0
	s_or_b32 exec_lo, exec_lo, s45
	scratch_load_b64 v[96:97], off, off offset:296
	v_cmp_lt_u32_e64 s1, 37, v0
	s_wait_loadcnt 0x0
	ds_store_b64 v1, v[96:97]
	s_wait_storecnt_dscnt 0x0
	s_barrier_signal -1
	s_barrier_wait -1
	s_wait_xcnt 0x0
	s_and_saveexec_b32 s44, s1
	s_cbranch_execz .LBB109_85
; %bb.76:
	s_and_not1_b32 vcc_lo, exec_lo, s3
	s_cbranch_vccnz .LBB109_78
; %bb.77:
	scratch_load_b64 v[96:97], v59, off
	ds_load_b64 v[98:99], v1
	s_wait_loadcnt_dscnt 0x0
	v_pk_mul_f32 v[100:101], v[98:99], v[96:97] op_sel:[1,1] op_sel_hi:[0,1]
	s_delay_alu instid0(VALU_DEP_1) | instskip(SKIP_1) | instid1(VALU_DEP_2)
	v_pk_fma_f32 v[102:103], v[98:99], v[96:97], v[100:101] op_sel_hi:[1,0,1]
	v_pk_fma_f32 v[96:97], v[98:99], v[96:97], v[100:101] neg_lo:[0,0,1] neg_hi:[0,0,1]
	v_mov_b32_e32 v97, v103
	s_cbranch_execz .LBB109_79
	s_branch .LBB109_80
.LBB109_78:
                                        ; implicit-def: $vgpr96_vgpr97
.LBB109_79:
	ds_load_b64 v[96:97], v1
.LBB109_80:
	s_and_saveexec_b32 s45, s0
	s_cbranch_execz .LBB109_84
; %bb.81:
	v_subrev_nc_u32_e32 v98, 38, v0
	s_movk_i32 s46, 0x2a0
	s_mov_b32 s0, 0
.LBB109_82:                             ; =>This Inner Loop Header: Depth=1
	scratch_load_b64 v[100:101], off, s43
	v_dual_mov_b32 v99, s46 :: v_dual_add_nc_u32 v98, -1, v98
	s_add_co_i32 s46, s46, 8
	s_wait_xcnt 0x0
	s_add_co_i32 s43, s43, 8
	ds_load_b64 v[102:103], v99
	v_cmp_eq_u32_e32 vcc_lo, 0, v98
	s_or_b32 s0, vcc_lo, s0
	s_wait_loadcnt_dscnt 0x0
	v_pk_mul_f32 v[104:105], v[102:103], v[100:101] op_sel:[1,1] op_sel_hi:[0,1]
	s_delay_alu instid0(VALU_DEP_1) | instskip(SKIP_1) | instid1(VALU_DEP_2)
	v_pk_fma_f32 v[106:107], v[102:103], v[100:101], v[104:105] op_sel_hi:[1,0,1]
	v_pk_fma_f32 v[100:101], v[102:103], v[100:101], v[104:105] neg_lo:[0,0,1] neg_hi:[0,0,1]
	v_mov_b32_e32 v101, v107
	s_delay_alu instid0(VALU_DEP_1)
	v_pk_add_f32 v[96:97], v[96:97], v[100:101]
	s_and_not1_b32 exec_lo, exec_lo, s0
	s_cbranch_execnz .LBB109_82
; %bb.83:
	s_or_b32 exec_lo, exec_lo, s0
.LBB109_84:
	s_delay_alu instid0(SALU_CYCLE_1) | instskip(SKIP_4) | instid1(VALU_DEP_1)
	s_or_b32 exec_lo, exec_lo, s45
	v_mov_b32_e32 v98, 0
	ds_load_b64 v[98:99], v98 offset:296
	s_wait_dscnt 0x0
	v_pk_mul_f32 v[100:101], v[96:97], v[98:99] op_sel:[1,1] op_sel_hi:[0,1]
	v_pk_fma_f32 v[102:103], v[96:97], v[98:99], v[100:101] op_sel_hi:[1,0,1]
	v_pk_fma_f32 v[96:97], v[96:97], v[98:99], v[100:101] neg_lo:[0,0,1] neg_hi:[0,0,1]
	s_delay_alu instid0(VALU_DEP_2)
	v_mov_b32_e32 v97, v103
	scratch_store_b64 off, v[96:97], off offset:296
.LBB109_85:
	s_wait_xcnt 0x0
	s_or_b32 exec_lo, exec_lo, s44
	scratch_load_b64 v[96:97], off, off offset:288
	v_cmp_lt_u32_e64 s0, 36, v0
	s_wait_loadcnt 0x0
	ds_store_b64 v1, v[96:97]
	s_wait_storecnt_dscnt 0x0
	s_barrier_signal -1
	s_barrier_wait -1
	s_wait_xcnt 0x0
	s_and_saveexec_b32 s43, s0
	s_cbranch_execz .LBB109_95
; %bb.86:
	s_and_not1_b32 vcc_lo, exec_lo, s3
	s_cbranch_vccnz .LBB109_88
; %bb.87:
	scratch_load_b64 v[96:97], v59, off
	ds_load_b64 v[98:99], v1
	s_wait_loadcnt_dscnt 0x0
	v_pk_mul_f32 v[100:101], v[98:99], v[96:97] op_sel:[1,1] op_sel_hi:[0,1]
	s_delay_alu instid0(VALU_DEP_1) | instskip(SKIP_1) | instid1(VALU_DEP_2)
	v_pk_fma_f32 v[102:103], v[98:99], v[96:97], v[100:101] op_sel_hi:[1,0,1]
	v_pk_fma_f32 v[96:97], v[98:99], v[96:97], v[100:101] neg_lo:[0,0,1] neg_hi:[0,0,1]
	v_mov_b32_e32 v97, v103
	s_cbranch_execz .LBB109_89
	s_branch .LBB109_90
.LBB109_88:
                                        ; implicit-def: $vgpr96_vgpr97
.LBB109_89:
	ds_load_b64 v[96:97], v1
.LBB109_90:
	s_and_saveexec_b32 s44, s1
	s_cbranch_execz .LBB109_94
; %bb.91:
	v_subrev_nc_u32_e32 v98, 37, v0
	s_movk_i32 s45, 0x298
	s_mov_b32 s1, 0
.LBB109_92:                             ; =>This Inner Loop Header: Depth=1
	scratch_load_b64 v[100:101], off, s42
	v_dual_mov_b32 v99, s45 :: v_dual_add_nc_u32 v98, -1, v98
	s_add_co_i32 s45, s45, 8
	s_wait_xcnt 0x0
	s_add_co_i32 s42, s42, 8
	ds_load_b64 v[102:103], v99
	v_cmp_eq_u32_e32 vcc_lo, 0, v98
	s_or_b32 s1, vcc_lo, s1
	s_wait_loadcnt_dscnt 0x0
	v_pk_mul_f32 v[104:105], v[102:103], v[100:101] op_sel:[1,1] op_sel_hi:[0,1]
	s_delay_alu instid0(VALU_DEP_1) | instskip(SKIP_1) | instid1(VALU_DEP_2)
	v_pk_fma_f32 v[106:107], v[102:103], v[100:101], v[104:105] op_sel_hi:[1,0,1]
	v_pk_fma_f32 v[100:101], v[102:103], v[100:101], v[104:105] neg_lo:[0,0,1] neg_hi:[0,0,1]
	v_mov_b32_e32 v101, v107
	s_delay_alu instid0(VALU_DEP_1)
	v_pk_add_f32 v[96:97], v[96:97], v[100:101]
	s_and_not1_b32 exec_lo, exec_lo, s1
	s_cbranch_execnz .LBB109_92
; %bb.93:
	s_or_b32 exec_lo, exec_lo, s1
.LBB109_94:
	s_delay_alu instid0(SALU_CYCLE_1) | instskip(SKIP_4) | instid1(VALU_DEP_1)
	s_or_b32 exec_lo, exec_lo, s44
	v_mov_b32_e32 v98, 0
	ds_load_b64 v[98:99], v98 offset:288
	s_wait_dscnt 0x0
	v_pk_mul_f32 v[100:101], v[96:97], v[98:99] op_sel:[1,1] op_sel_hi:[0,1]
	v_pk_fma_f32 v[102:103], v[96:97], v[98:99], v[100:101] op_sel_hi:[1,0,1]
	v_pk_fma_f32 v[96:97], v[96:97], v[98:99], v[100:101] neg_lo:[0,0,1] neg_hi:[0,0,1]
	s_delay_alu instid0(VALU_DEP_2)
	v_mov_b32_e32 v97, v103
	scratch_store_b64 off, v[96:97], off offset:288
.LBB109_95:
	s_wait_xcnt 0x0
	s_or_b32 exec_lo, exec_lo, s43
	scratch_load_b64 v[96:97], off, off offset:280
	v_cmp_lt_u32_e64 s1, 35, v0
	s_wait_loadcnt 0x0
	ds_store_b64 v1, v[96:97]
	s_wait_storecnt_dscnt 0x0
	s_barrier_signal -1
	s_barrier_wait -1
	s_wait_xcnt 0x0
	s_and_saveexec_b32 s42, s1
	s_cbranch_execz .LBB109_105
; %bb.96:
	s_and_not1_b32 vcc_lo, exec_lo, s3
	s_cbranch_vccnz .LBB109_98
; %bb.97:
	scratch_load_b64 v[96:97], v59, off
	ds_load_b64 v[98:99], v1
	s_wait_loadcnt_dscnt 0x0
	v_pk_mul_f32 v[100:101], v[98:99], v[96:97] op_sel:[1,1] op_sel_hi:[0,1]
	s_delay_alu instid0(VALU_DEP_1) | instskip(SKIP_1) | instid1(VALU_DEP_2)
	v_pk_fma_f32 v[102:103], v[98:99], v[96:97], v[100:101] op_sel_hi:[1,0,1]
	v_pk_fma_f32 v[96:97], v[98:99], v[96:97], v[100:101] neg_lo:[0,0,1] neg_hi:[0,0,1]
	v_mov_b32_e32 v97, v103
	s_cbranch_execz .LBB109_99
	s_branch .LBB109_100
.LBB109_98:
                                        ; implicit-def: $vgpr96_vgpr97
.LBB109_99:
	ds_load_b64 v[96:97], v1
.LBB109_100:
	s_and_saveexec_b32 s43, s0
	s_cbranch_execz .LBB109_104
; %bb.101:
	v_subrev_nc_u32_e32 v98, 36, v0
	s_movk_i32 s44, 0x290
	s_mov_b32 s0, 0
.LBB109_102:                            ; =>This Inner Loop Header: Depth=1
	scratch_load_b64 v[100:101], off, s41
	v_dual_mov_b32 v99, s44 :: v_dual_add_nc_u32 v98, -1, v98
	s_add_co_i32 s44, s44, 8
	s_wait_xcnt 0x0
	s_add_co_i32 s41, s41, 8
	ds_load_b64 v[102:103], v99
	v_cmp_eq_u32_e32 vcc_lo, 0, v98
	s_or_b32 s0, vcc_lo, s0
	s_wait_loadcnt_dscnt 0x0
	v_pk_mul_f32 v[104:105], v[102:103], v[100:101] op_sel:[1,1] op_sel_hi:[0,1]
	s_delay_alu instid0(VALU_DEP_1) | instskip(SKIP_1) | instid1(VALU_DEP_2)
	v_pk_fma_f32 v[106:107], v[102:103], v[100:101], v[104:105] op_sel_hi:[1,0,1]
	v_pk_fma_f32 v[100:101], v[102:103], v[100:101], v[104:105] neg_lo:[0,0,1] neg_hi:[0,0,1]
	v_mov_b32_e32 v101, v107
	s_delay_alu instid0(VALU_DEP_1)
	v_pk_add_f32 v[96:97], v[96:97], v[100:101]
	s_and_not1_b32 exec_lo, exec_lo, s0
	s_cbranch_execnz .LBB109_102
; %bb.103:
	s_or_b32 exec_lo, exec_lo, s0
.LBB109_104:
	s_delay_alu instid0(SALU_CYCLE_1) | instskip(SKIP_4) | instid1(VALU_DEP_1)
	s_or_b32 exec_lo, exec_lo, s43
	v_mov_b32_e32 v98, 0
	ds_load_b64 v[98:99], v98 offset:280
	s_wait_dscnt 0x0
	v_pk_mul_f32 v[100:101], v[96:97], v[98:99] op_sel:[1,1] op_sel_hi:[0,1]
	v_pk_fma_f32 v[102:103], v[96:97], v[98:99], v[100:101] op_sel_hi:[1,0,1]
	v_pk_fma_f32 v[96:97], v[96:97], v[98:99], v[100:101] neg_lo:[0,0,1] neg_hi:[0,0,1]
	s_delay_alu instid0(VALU_DEP_2)
	v_mov_b32_e32 v97, v103
	scratch_store_b64 off, v[96:97], off offset:280
.LBB109_105:
	s_wait_xcnt 0x0
	s_or_b32 exec_lo, exec_lo, s42
	scratch_load_b64 v[96:97], off, off offset:272
	v_cmp_lt_u32_e64 s0, 34, v0
	s_wait_loadcnt 0x0
	ds_store_b64 v1, v[96:97]
	s_wait_storecnt_dscnt 0x0
	s_barrier_signal -1
	s_barrier_wait -1
	s_wait_xcnt 0x0
	s_and_saveexec_b32 s41, s0
	s_cbranch_execz .LBB109_115
; %bb.106:
	s_and_not1_b32 vcc_lo, exec_lo, s3
	s_cbranch_vccnz .LBB109_108
; %bb.107:
	scratch_load_b64 v[96:97], v59, off
	ds_load_b64 v[98:99], v1
	s_wait_loadcnt_dscnt 0x0
	v_pk_mul_f32 v[100:101], v[98:99], v[96:97] op_sel:[1,1] op_sel_hi:[0,1]
	s_delay_alu instid0(VALU_DEP_1) | instskip(SKIP_1) | instid1(VALU_DEP_2)
	v_pk_fma_f32 v[102:103], v[98:99], v[96:97], v[100:101] op_sel_hi:[1,0,1]
	v_pk_fma_f32 v[96:97], v[98:99], v[96:97], v[100:101] neg_lo:[0,0,1] neg_hi:[0,0,1]
	v_mov_b32_e32 v97, v103
	s_cbranch_execz .LBB109_109
	s_branch .LBB109_110
.LBB109_108:
                                        ; implicit-def: $vgpr96_vgpr97
.LBB109_109:
	ds_load_b64 v[96:97], v1
.LBB109_110:
	s_and_saveexec_b32 s42, s1
	s_cbranch_execz .LBB109_114
; %bb.111:
	v_subrev_nc_u32_e32 v98, 35, v0
	s_movk_i32 s43, 0x288
	s_mov_b32 s1, 0
.LBB109_112:                            ; =>This Inner Loop Header: Depth=1
	scratch_load_b64 v[100:101], off, s40
	v_dual_mov_b32 v99, s43 :: v_dual_add_nc_u32 v98, -1, v98
	s_add_co_i32 s43, s43, 8
	s_wait_xcnt 0x0
	s_add_co_i32 s40, s40, 8
	ds_load_b64 v[102:103], v99
	v_cmp_eq_u32_e32 vcc_lo, 0, v98
	s_or_b32 s1, vcc_lo, s1
	s_wait_loadcnt_dscnt 0x0
	v_pk_mul_f32 v[104:105], v[102:103], v[100:101] op_sel:[1,1] op_sel_hi:[0,1]
	s_delay_alu instid0(VALU_DEP_1) | instskip(SKIP_1) | instid1(VALU_DEP_2)
	v_pk_fma_f32 v[106:107], v[102:103], v[100:101], v[104:105] op_sel_hi:[1,0,1]
	v_pk_fma_f32 v[100:101], v[102:103], v[100:101], v[104:105] neg_lo:[0,0,1] neg_hi:[0,0,1]
	v_mov_b32_e32 v101, v107
	s_delay_alu instid0(VALU_DEP_1)
	v_pk_add_f32 v[96:97], v[96:97], v[100:101]
	s_and_not1_b32 exec_lo, exec_lo, s1
	s_cbranch_execnz .LBB109_112
; %bb.113:
	s_or_b32 exec_lo, exec_lo, s1
.LBB109_114:
	s_delay_alu instid0(SALU_CYCLE_1) | instskip(SKIP_4) | instid1(VALU_DEP_1)
	s_or_b32 exec_lo, exec_lo, s42
	v_mov_b32_e32 v98, 0
	ds_load_b64 v[98:99], v98 offset:272
	s_wait_dscnt 0x0
	v_pk_mul_f32 v[100:101], v[96:97], v[98:99] op_sel:[1,1] op_sel_hi:[0,1]
	v_pk_fma_f32 v[102:103], v[96:97], v[98:99], v[100:101] op_sel_hi:[1,0,1]
	v_pk_fma_f32 v[96:97], v[96:97], v[98:99], v[100:101] neg_lo:[0,0,1] neg_hi:[0,0,1]
	s_delay_alu instid0(VALU_DEP_2)
	v_mov_b32_e32 v97, v103
	scratch_store_b64 off, v[96:97], off offset:272
.LBB109_115:
	s_wait_xcnt 0x0
	s_or_b32 exec_lo, exec_lo, s41
	scratch_load_b64 v[96:97], off, off offset:264
	v_cmp_lt_u32_e64 s1, 33, v0
	s_wait_loadcnt 0x0
	ds_store_b64 v1, v[96:97]
	s_wait_storecnt_dscnt 0x0
	s_barrier_signal -1
	s_barrier_wait -1
	s_wait_xcnt 0x0
	s_and_saveexec_b32 s40, s1
	s_cbranch_execz .LBB109_125
; %bb.116:
	s_and_not1_b32 vcc_lo, exec_lo, s3
	s_cbranch_vccnz .LBB109_118
; %bb.117:
	scratch_load_b64 v[96:97], v59, off
	ds_load_b64 v[98:99], v1
	s_wait_loadcnt_dscnt 0x0
	v_pk_mul_f32 v[100:101], v[98:99], v[96:97] op_sel:[1,1] op_sel_hi:[0,1]
	s_delay_alu instid0(VALU_DEP_1) | instskip(SKIP_1) | instid1(VALU_DEP_2)
	v_pk_fma_f32 v[102:103], v[98:99], v[96:97], v[100:101] op_sel_hi:[1,0,1]
	v_pk_fma_f32 v[96:97], v[98:99], v[96:97], v[100:101] neg_lo:[0,0,1] neg_hi:[0,0,1]
	v_mov_b32_e32 v97, v103
	s_cbranch_execz .LBB109_119
	s_branch .LBB109_120
.LBB109_118:
                                        ; implicit-def: $vgpr96_vgpr97
.LBB109_119:
	ds_load_b64 v[96:97], v1
.LBB109_120:
	s_and_saveexec_b32 s41, s0
	s_cbranch_execz .LBB109_124
; %bb.121:
	v_subrev_nc_u32_e32 v98, 34, v0
	s_movk_i32 s42, 0x280
	s_mov_b32 s0, 0
.LBB109_122:                            ; =>This Inner Loop Header: Depth=1
	scratch_load_b64 v[100:101], off, s39
	v_dual_mov_b32 v99, s42 :: v_dual_add_nc_u32 v98, -1, v98
	s_add_co_i32 s42, s42, 8
	s_wait_xcnt 0x0
	s_add_co_i32 s39, s39, 8
	ds_load_b64 v[102:103], v99
	v_cmp_eq_u32_e32 vcc_lo, 0, v98
	s_or_b32 s0, vcc_lo, s0
	s_wait_loadcnt_dscnt 0x0
	v_pk_mul_f32 v[104:105], v[102:103], v[100:101] op_sel:[1,1] op_sel_hi:[0,1]
	s_delay_alu instid0(VALU_DEP_1) | instskip(SKIP_1) | instid1(VALU_DEP_2)
	v_pk_fma_f32 v[106:107], v[102:103], v[100:101], v[104:105] op_sel_hi:[1,0,1]
	v_pk_fma_f32 v[100:101], v[102:103], v[100:101], v[104:105] neg_lo:[0,0,1] neg_hi:[0,0,1]
	v_mov_b32_e32 v101, v107
	s_delay_alu instid0(VALU_DEP_1)
	v_pk_add_f32 v[96:97], v[96:97], v[100:101]
	s_and_not1_b32 exec_lo, exec_lo, s0
	s_cbranch_execnz .LBB109_122
; %bb.123:
	s_or_b32 exec_lo, exec_lo, s0
.LBB109_124:
	s_delay_alu instid0(SALU_CYCLE_1) | instskip(SKIP_4) | instid1(VALU_DEP_1)
	s_or_b32 exec_lo, exec_lo, s41
	v_mov_b32_e32 v98, 0
	ds_load_b64 v[98:99], v98 offset:264
	s_wait_dscnt 0x0
	v_pk_mul_f32 v[100:101], v[96:97], v[98:99] op_sel:[1,1] op_sel_hi:[0,1]
	v_pk_fma_f32 v[102:103], v[96:97], v[98:99], v[100:101] op_sel_hi:[1,0,1]
	v_pk_fma_f32 v[96:97], v[96:97], v[98:99], v[100:101] neg_lo:[0,0,1] neg_hi:[0,0,1]
	s_delay_alu instid0(VALU_DEP_2)
	v_mov_b32_e32 v97, v103
	scratch_store_b64 off, v[96:97], off offset:264
.LBB109_125:
	s_wait_xcnt 0x0
	s_or_b32 exec_lo, exec_lo, s40
	scratch_load_b64 v[96:97], off, off offset:256
	v_cmp_lt_u32_e64 s0, 32, v0
	s_wait_loadcnt 0x0
	ds_store_b64 v1, v[96:97]
	s_wait_storecnt_dscnt 0x0
	s_barrier_signal -1
	s_barrier_wait -1
	s_wait_xcnt 0x0
	s_and_saveexec_b32 s39, s0
	s_cbranch_execz .LBB109_135
; %bb.126:
	s_and_not1_b32 vcc_lo, exec_lo, s3
	s_cbranch_vccnz .LBB109_128
; %bb.127:
	scratch_load_b64 v[96:97], v59, off
	ds_load_b64 v[98:99], v1
	s_wait_loadcnt_dscnt 0x0
	v_pk_mul_f32 v[100:101], v[98:99], v[96:97] op_sel:[1,1] op_sel_hi:[0,1]
	s_delay_alu instid0(VALU_DEP_1) | instskip(SKIP_1) | instid1(VALU_DEP_2)
	v_pk_fma_f32 v[102:103], v[98:99], v[96:97], v[100:101] op_sel_hi:[1,0,1]
	v_pk_fma_f32 v[96:97], v[98:99], v[96:97], v[100:101] neg_lo:[0,0,1] neg_hi:[0,0,1]
	v_mov_b32_e32 v97, v103
	s_cbranch_execz .LBB109_129
	s_branch .LBB109_130
.LBB109_128:
                                        ; implicit-def: $vgpr96_vgpr97
.LBB109_129:
	ds_load_b64 v[96:97], v1
.LBB109_130:
	s_and_saveexec_b32 s40, s1
	s_cbranch_execz .LBB109_134
; %bb.131:
	v_subrev_nc_u32_e32 v98, 33, v0
	s_movk_i32 s41, 0x278
	s_mov_b32 s1, 0
.LBB109_132:                            ; =>This Inner Loop Header: Depth=1
	scratch_load_b64 v[100:101], off, s38
	v_dual_mov_b32 v99, s41 :: v_dual_add_nc_u32 v98, -1, v98
	s_add_co_i32 s41, s41, 8
	s_wait_xcnt 0x0
	s_add_co_i32 s38, s38, 8
	ds_load_b64 v[102:103], v99
	v_cmp_eq_u32_e32 vcc_lo, 0, v98
	s_or_b32 s1, vcc_lo, s1
	s_wait_loadcnt_dscnt 0x0
	v_pk_mul_f32 v[104:105], v[102:103], v[100:101] op_sel:[1,1] op_sel_hi:[0,1]
	s_delay_alu instid0(VALU_DEP_1) | instskip(SKIP_1) | instid1(VALU_DEP_2)
	v_pk_fma_f32 v[106:107], v[102:103], v[100:101], v[104:105] op_sel_hi:[1,0,1]
	v_pk_fma_f32 v[100:101], v[102:103], v[100:101], v[104:105] neg_lo:[0,0,1] neg_hi:[0,0,1]
	v_mov_b32_e32 v101, v107
	s_delay_alu instid0(VALU_DEP_1)
	v_pk_add_f32 v[96:97], v[96:97], v[100:101]
	s_and_not1_b32 exec_lo, exec_lo, s1
	s_cbranch_execnz .LBB109_132
; %bb.133:
	s_or_b32 exec_lo, exec_lo, s1
.LBB109_134:
	s_delay_alu instid0(SALU_CYCLE_1) | instskip(SKIP_4) | instid1(VALU_DEP_1)
	s_or_b32 exec_lo, exec_lo, s40
	v_mov_b32_e32 v98, 0
	ds_load_b64 v[98:99], v98 offset:256
	s_wait_dscnt 0x0
	v_pk_mul_f32 v[100:101], v[96:97], v[98:99] op_sel:[1,1] op_sel_hi:[0,1]
	v_pk_fma_f32 v[102:103], v[96:97], v[98:99], v[100:101] op_sel_hi:[1,0,1]
	v_pk_fma_f32 v[96:97], v[96:97], v[98:99], v[100:101] neg_lo:[0,0,1] neg_hi:[0,0,1]
	s_delay_alu instid0(VALU_DEP_2)
	v_mov_b32_e32 v97, v103
	scratch_store_b64 off, v[96:97], off offset:256
.LBB109_135:
	s_wait_xcnt 0x0
	s_or_b32 exec_lo, exec_lo, s39
	scratch_load_b64 v[96:97], off, off offset:248
	v_cmp_lt_u32_e64 s1, 31, v0
	s_wait_loadcnt 0x0
	ds_store_b64 v1, v[96:97]
	s_wait_storecnt_dscnt 0x0
	s_barrier_signal -1
	s_barrier_wait -1
	s_wait_xcnt 0x0
	s_and_saveexec_b32 s38, s1
	s_cbranch_execz .LBB109_145
; %bb.136:
	s_and_not1_b32 vcc_lo, exec_lo, s3
	s_cbranch_vccnz .LBB109_138
; %bb.137:
	scratch_load_b64 v[96:97], v59, off
	ds_load_b64 v[98:99], v1
	s_wait_loadcnt_dscnt 0x0
	v_pk_mul_f32 v[100:101], v[98:99], v[96:97] op_sel:[1,1] op_sel_hi:[0,1]
	s_delay_alu instid0(VALU_DEP_1) | instskip(SKIP_1) | instid1(VALU_DEP_2)
	v_pk_fma_f32 v[102:103], v[98:99], v[96:97], v[100:101] op_sel_hi:[1,0,1]
	v_pk_fma_f32 v[96:97], v[98:99], v[96:97], v[100:101] neg_lo:[0,0,1] neg_hi:[0,0,1]
	v_mov_b32_e32 v97, v103
	s_cbranch_execz .LBB109_139
	s_branch .LBB109_140
.LBB109_138:
                                        ; implicit-def: $vgpr96_vgpr97
.LBB109_139:
	ds_load_b64 v[96:97], v1
.LBB109_140:
	s_and_saveexec_b32 s39, s0
	s_cbranch_execz .LBB109_144
; %bb.141:
	v_subrev_nc_u32_e32 v98, 32, v0
	s_movk_i32 s40, 0x270
	s_mov_b32 s0, 0
.LBB109_142:                            ; =>This Inner Loop Header: Depth=1
	scratch_load_b64 v[100:101], off, s37
	v_dual_mov_b32 v99, s40 :: v_dual_add_nc_u32 v98, -1, v98
	s_add_co_i32 s40, s40, 8
	s_wait_xcnt 0x0
	s_add_co_i32 s37, s37, 8
	ds_load_b64 v[102:103], v99
	v_cmp_eq_u32_e32 vcc_lo, 0, v98
	s_or_b32 s0, vcc_lo, s0
	s_wait_loadcnt_dscnt 0x0
	v_pk_mul_f32 v[104:105], v[102:103], v[100:101] op_sel:[1,1] op_sel_hi:[0,1]
	s_delay_alu instid0(VALU_DEP_1) | instskip(SKIP_1) | instid1(VALU_DEP_2)
	v_pk_fma_f32 v[106:107], v[102:103], v[100:101], v[104:105] op_sel_hi:[1,0,1]
	v_pk_fma_f32 v[100:101], v[102:103], v[100:101], v[104:105] neg_lo:[0,0,1] neg_hi:[0,0,1]
	v_mov_b32_e32 v101, v107
	s_delay_alu instid0(VALU_DEP_1)
	v_pk_add_f32 v[96:97], v[96:97], v[100:101]
	s_and_not1_b32 exec_lo, exec_lo, s0
	s_cbranch_execnz .LBB109_142
; %bb.143:
	s_or_b32 exec_lo, exec_lo, s0
.LBB109_144:
	s_delay_alu instid0(SALU_CYCLE_1) | instskip(SKIP_4) | instid1(VALU_DEP_1)
	s_or_b32 exec_lo, exec_lo, s39
	v_mov_b32_e32 v98, 0
	ds_load_b64 v[98:99], v98 offset:248
	s_wait_dscnt 0x0
	v_pk_mul_f32 v[100:101], v[96:97], v[98:99] op_sel:[1,1] op_sel_hi:[0,1]
	v_pk_fma_f32 v[102:103], v[96:97], v[98:99], v[100:101] op_sel_hi:[1,0,1]
	v_pk_fma_f32 v[96:97], v[96:97], v[98:99], v[100:101] neg_lo:[0,0,1] neg_hi:[0,0,1]
	s_delay_alu instid0(VALU_DEP_2)
	v_mov_b32_e32 v97, v103
	scratch_store_b64 off, v[96:97], off offset:248
.LBB109_145:
	s_wait_xcnt 0x0
	s_or_b32 exec_lo, exec_lo, s38
	scratch_load_b64 v[96:97], off, off offset:240
	v_cmp_lt_u32_e64 s0, 30, v0
	s_wait_loadcnt 0x0
	ds_store_b64 v1, v[96:97]
	s_wait_storecnt_dscnt 0x0
	s_barrier_signal -1
	s_barrier_wait -1
	s_wait_xcnt 0x0
	s_and_saveexec_b32 s37, s0
	s_cbranch_execz .LBB109_155
; %bb.146:
	s_and_not1_b32 vcc_lo, exec_lo, s3
	s_cbranch_vccnz .LBB109_148
; %bb.147:
	scratch_load_b64 v[96:97], v59, off
	ds_load_b64 v[98:99], v1
	s_wait_loadcnt_dscnt 0x0
	v_pk_mul_f32 v[100:101], v[98:99], v[96:97] op_sel:[1,1] op_sel_hi:[0,1]
	s_delay_alu instid0(VALU_DEP_1) | instskip(SKIP_1) | instid1(VALU_DEP_2)
	v_pk_fma_f32 v[102:103], v[98:99], v[96:97], v[100:101] op_sel_hi:[1,0,1]
	v_pk_fma_f32 v[96:97], v[98:99], v[96:97], v[100:101] neg_lo:[0,0,1] neg_hi:[0,0,1]
	v_mov_b32_e32 v97, v103
	s_cbranch_execz .LBB109_149
	s_branch .LBB109_150
.LBB109_148:
                                        ; implicit-def: $vgpr96_vgpr97
.LBB109_149:
	ds_load_b64 v[96:97], v1
.LBB109_150:
	s_and_saveexec_b32 s38, s1
	s_cbranch_execz .LBB109_154
; %bb.151:
	v_subrev_nc_u32_e32 v98, 31, v0
	s_movk_i32 s39, 0x268
	s_mov_b32 s1, 0
.LBB109_152:                            ; =>This Inner Loop Header: Depth=1
	scratch_load_b64 v[100:101], off, s36
	v_dual_mov_b32 v99, s39 :: v_dual_add_nc_u32 v98, -1, v98
	s_add_co_i32 s39, s39, 8
	s_wait_xcnt 0x0
	s_add_co_i32 s36, s36, 8
	ds_load_b64 v[102:103], v99
	v_cmp_eq_u32_e32 vcc_lo, 0, v98
	s_or_b32 s1, vcc_lo, s1
	s_wait_loadcnt_dscnt 0x0
	v_pk_mul_f32 v[104:105], v[102:103], v[100:101] op_sel:[1,1] op_sel_hi:[0,1]
	s_delay_alu instid0(VALU_DEP_1) | instskip(SKIP_1) | instid1(VALU_DEP_2)
	v_pk_fma_f32 v[106:107], v[102:103], v[100:101], v[104:105] op_sel_hi:[1,0,1]
	v_pk_fma_f32 v[100:101], v[102:103], v[100:101], v[104:105] neg_lo:[0,0,1] neg_hi:[0,0,1]
	v_mov_b32_e32 v101, v107
	s_delay_alu instid0(VALU_DEP_1)
	v_pk_add_f32 v[96:97], v[96:97], v[100:101]
	s_and_not1_b32 exec_lo, exec_lo, s1
	s_cbranch_execnz .LBB109_152
; %bb.153:
	s_or_b32 exec_lo, exec_lo, s1
.LBB109_154:
	s_delay_alu instid0(SALU_CYCLE_1) | instskip(SKIP_4) | instid1(VALU_DEP_1)
	s_or_b32 exec_lo, exec_lo, s38
	v_mov_b32_e32 v98, 0
	ds_load_b64 v[98:99], v98 offset:240
	s_wait_dscnt 0x0
	v_pk_mul_f32 v[100:101], v[96:97], v[98:99] op_sel:[1,1] op_sel_hi:[0,1]
	v_pk_fma_f32 v[102:103], v[96:97], v[98:99], v[100:101] op_sel_hi:[1,0,1]
	v_pk_fma_f32 v[96:97], v[96:97], v[98:99], v[100:101] neg_lo:[0,0,1] neg_hi:[0,0,1]
	s_delay_alu instid0(VALU_DEP_2)
	v_mov_b32_e32 v97, v103
	scratch_store_b64 off, v[96:97], off offset:240
.LBB109_155:
	s_wait_xcnt 0x0
	s_or_b32 exec_lo, exec_lo, s37
	scratch_load_b64 v[96:97], off, off offset:232
	v_cmp_lt_u32_e64 s1, 29, v0
	s_wait_loadcnt 0x0
	ds_store_b64 v1, v[96:97]
	s_wait_storecnt_dscnt 0x0
	s_barrier_signal -1
	s_barrier_wait -1
	s_wait_xcnt 0x0
	s_and_saveexec_b32 s36, s1
	s_cbranch_execz .LBB109_165
; %bb.156:
	s_and_not1_b32 vcc_lo, exec_lo, s3
	s_cbranch_vccnz .LBB109_158
; %bb.157:
	scratch_load_b64 v[96:97], v59, off
	ds_load_b64 v[98:99], v1
	s_wait_loadcnt_dscnt 0x0
	v_pk_mul_f32 v[100:101], v[98:99], v[96:97] op_sel:[1,1] op_sel_hi:[0,1]
	s_delay_alu instid0(VALU_DEP_1) | instskip(SKIP_1) | instid1(VALU_DEP_2)
	v_pk_fma_f32 v[102:103], v[98:99], v[96:97], v[100:101] op_sel_hi:[1,0,1]
	v_pk_fma_f32 v[96:97], v[98:99], v[96:97], v[100:101] neg_lo:[0,0,1] neg_hi:[0,0,1]
	v_mov_b32_e32 v97, v103
	s_cbranch_execz .LBB109_159
	s_branch .LBB109_160
.LBB109_158:
                                        ; implicit-def: $vgpr96_vgpr97
.LBB109_159:
	ds_load_b64 v[96:97], v1
.LBB109_160:
	s_and_saveexec_b32 s37, s0
	s_cbranch_execz .LBB109_164
; %bb.161:
	v_subrev_nc_u32_e32 v98, 30, v0
	s_movk_i32 s38, 0x260
	s_mov_b32 s0, 0
.LBB109_162:                            ; =>This Inner Loop Header: Depth=1
	scratch_load_b64 v[100:101], off, s35
	v_dual_mov_b32 v99, s38 :: v_dual_add_nc_u32 v98, -1, v98
	s_add_co_i32 s38, s38, 8
	s_wait_xcnt 0x0
	s_add_co_i32 s35, s35, 8
	ds_load_b64 v[102:103], v99
	v_cmp_eq_u32_e32 vcc_lo, 0, v98
	s_or_b32 s0, vcc_lo, s0
	s_wait_loadcnt_dscnt 0x0
	v_pk_mul_f32 v[104:105], v[102:103], v[100:101] op_sel:[1,1] op_sel_hi:[0,1]
	s_delay_alu instid0(VALU_DEP_1) | instskip(SKIP_1) | instid1(VALU_DEP_2)
	v_pk_fma_f32 v[106:107], v[102:103], v[100:101], v[104:105] op_sel_hi:[1,0,1]
	v_pk_fma_f32 v[100:101], v[102:103], v[100:101], v[104:105] neg_lo:[0,0,1] neg_hi:[0,0,1]
	v_mov_b32_e32 v101, v107
	s_delay_alu instid0(VALU_DEP_1)
	v_pk_add_f32 v[96:97], v[96:97], v[100:101]
	s_and_not1_b32 exec_lo, exec_lo, s0
	s_cbranch_execnz .LBB109_162
; %bb.163:
	s_or_b32 exec_lo, exec_lo, s0
.LBB109_164:
	s_delay_alu instid0(SALU_CYCLE_1) | instskip(SKIP_4) | instid1(VALU_DEP_1)
	s_or_b32 exec_lo, exec_lo, s37
	v_mov_b32_e32 v98, 0
	ds_load_b64 v[98:99], v98 offset:232
	s_wait_dscnt 0x0
	v_pk_mul_f32 v[100:101], v[96:97], v[98:99] op_sel:[1,1] op_sel_hi:[0,1]
	v_pk_fma_f32 v[102:103], v[96:97], v[98:99], v[100:101] op_sel_hi:[1,0,1]
	v_pk_fma_f32 v[96:97], v[96:97], v[98:99], v[100:101] neg_lo:[0,0,1] neg_hi:[0,0,1]
	s_delay_alu instid0(VALU_DEP_2)
	v_mov_b32_e32 v97, v103
	scratch_store_b64 off, v[96:97], off offset:232
.LBB109_165:
	s_wait_xcnt 0x0
	s_or_b32 exec_lo, exec_lo, s36
	scratch_load_b64 v[96:97], off, off offset:224
	v_cmp_lt_u32_e64 s0, 28, v0
	s_wait_loadcnt 0x0
	ds_store_b64 v1, v[96:97]
	s_wait_storecnt_dscnt 0x0
	s_barrier_signal -1
	s_barrier_wait -1
	s_wait_xcnt 0x0
	s_and_saveexec_b32 s35, s0
	s_cbranch_execz .LBB109_175
; %bb.166:
	s_and_not1_b32 vcc_lo, exec_lo, s3
	s_cbranch_vccnz .LBB109_168
; %bb.167:
	scratch_load_b64 v[96:97], v59, off
	ds_load_b64 v[98:99], v1
	s_wait_loadcnt_dscnt 0x0
	v_pk_mul_f32 v[100:101], v[98:99], v[96:97] op_sel:[1,1] op_sel_hi:[0,1]
	s_delay_alu instid0(VALU_DEP_1) | instskip(SKIP_1) | instid1(VALU_DEP_2)
	v_pk_fma_f32 v[102:103], v[98:99], v[96:97], v[100:101] op_sel_hi:[1,0,1]
	v_pk_fma_f32 v[96:97], v[98:99], v[96:97], v[100:101] neg_lo:[0,0,1] neg_hi:[0,0,1]
	v_mov_b32_e32 v97, v103
	s_cbranch_execz .LBB109_169
	s_branch .LBB109_170
.LBB109_168:
                                        ; implicit-def: $vgpr96_vgpr97
.LBB109_169:
	ds_load_b64 v[96:97], v1
.LBB109_170:
	s_and_saveexec_b32 s36, s1
	s_cbranch_execz .LBB109_174
; %bb.171:
	v_subrev_nc_u32_e32 v98, 29, v0
	s_movk_i32 s37, 0x258
	s_mov_b32 s1, 0
.LBB109_172:                            ; =>This Inner Loop Header: Depth=1
	scratch_load_b64 v[100:101], off, s34
	v_dual_mov_b32 v99, s37 :: v_dual_add_nc_u32 v98, -1, v98
	s_add_co_i32 s37, s37, 8
	s_wait_xcnt 0x0
	s_add_co_i32 s34, s34, 8
	ds_load_b64 v[102:103], v99
	v_cmp_eq_u32_e32 vcc_lo, 0, v98
	s_or_b32 s1, vcc_lo, s1
	s_wait_loadcnt_dscnt 0x0
	v_pk_mul_f32 v[104:105], v[102:103], v[100:101] op_sel:[1,1] op_sel_hi:[0,1]
	s_delay_alu instid0(VALU_DEP_1) | instskip(SKIP_1) | instid1(VALU_DEP_2)
	v_pk_fma_f32 v[106:107], v[102:103], v[100:101], v[104:105] op_sel_hi:[1,0,1]
	v_pk_fma_f32 v[100:101], v[102:103], v[100:101], v[104:105] neg_lo:[0,0,1] neg_hi:[0,0,1]
	v_mov_b32_e32 v101, v107
	s_delay_alu instid0(VALU_DEP_1)
	v_pk_add_f32 v[96:97], v[96:97], v[100:101]
	s_and_not1_b32 exec_lo, exec_lo, s1
	s_cbranch_execnz .LBB109_172
; %bb.173:
	s_or_b32 exec_lo, exec_lo, s1
.LBB109_174:
	s_delay_alu instid0(SALU_CYCLE_1) | instskip(SKIP_4) | instid1(VALU_DEP_1)
	s_or_b32 exec_lo, exec_lo, s36
	v_mov_b32_e32 v98, 0
	ds_load_b64 v[98:99], v98 offset:224
	s_wait_dscnt 0x0
	v_pk_mul_f32 v[100:101], v[96:97], v[98:99] op_sel:[1,1] op_sel_hi:[0,1]
	v_pk_fma_f32 v[102:103], v[96:97], v[98:99], v[100:101] op_sel_hi:[1,0,1]
	v_pk_fma_f32 v[96:97], v[96:97], v[98:99], v[100:101] neg_lo:[0,0,1] neg_hi:[0,0,1]
	s_delay_alu instid0(VALU_DEP_2)
	v_mov_b32_e32 v97, v103
	scratch_store_b64 off, v[96:97], off offset:224
.LBB109_175:
	s_wait_xcnt 0x0
	s_or_b32 exec_lo, exec_lo, s35
	scratch_load_b64 v[96:97], off, off offset:216
	v_cmp_lt_u32_e64 s1, 27, v0
	s_wait_loadcnt 0x0
	ds_store_b64 v1, v[96:97]
	s_wait_storecnt_dscnt 0x0
	s_barrier_signal -1
	s_barrier_wait -1
	s_wait_xcnt 0x0
	s_and_saveexec_b32 s34, s1
	s_cbranch_execz .LBB109_185
; %bb.176:
	s_and_not1_b32 vcc_lo, exec_lo, s3
	s_cbranch_vccnz .LBB109_178
; %bb.177:
	scratch_load_b64 v[96:97], v59, off
	ds_load_b64 v[98:99], v1
	s_wait_loadcnt_dscnt 0x0
	v_pk_mul_f32 v[100:101], v[98:99], v[96:97] op_sel:[1,1] op_sel_hi:[0,1]
	s_delay_alu instid0(VALU_DEP_1) | instskip(SKIP_1) | instid1(VALU_DEP_2)
	v_pk_fma_f32 v[102:103], v[98:99], v[96:97], v[100:101] op_sel_hi:[1,0,1]
	v_pk_fma_f32 v[96:97], v[98:99], v[96:97], v[100:101] neg_lo:[0,0,1] neg_hi:[0,0,1]
	v_mov_b32_e32 v97, v103
	s_cbranch_execz .LBB109_179
	s_branch .LBB109_180
.LBB109_178:
                                        ; implicit-def: $vgpr96_vgpr97
.LBB109_179:
	ds_load_b64 v[96:97], v1
.LBB109_180:
	s_and_saveexec_b32 s35, s0
	s_cbranch_execz .LBB109_184
; %bb.181:
	v_subrev_nc_u32_e32 v98, 28, v0
	s_movk_i32 s36, 0x250
	s_mov_b32 s0, 0
.LBB109_182:                            ; =>This Inner Loop Header: Depth=1
	scratch_load_b64 v[100:101], off, s33
	v_dual_mov_b32 v99, s36 :: v_dual_add_nc_u32 v98, -1, v98
	s_add_co_i32 s36, s36, 8
	s_wait_xcnt 0x0
	s_add_co_i32 s33, s33, 8
	ds_load_b64 v[102:103], v99
	v_cmp_eq_u32_e32 vcc_lo, 0, v98
	s_or_b32 s0, vcc_lo, s0
	s_wait_loadcnt_dscnt 0x0
	v_pk_mul_f32 v[104:105], v[102:103], v[100:101] op_sel:[1,1] op_sel_hi:[0,1]
	s_delay_alu instid0(VALU_DEP_1) | instskip(SKIP_1) | instid1(VALU_DEP_2)
	v_pk_fma_f32 v[106:107], v[102:103], v[100:101], v[104:105] op_sel_hi:[1,0,1]
	v_pk_fma_f32 v[100:101], v[102:103], v[100:101], v[104:105] neg_lo:[0,0,1] neg_hi:[0,0,1]
	v_mov_b32_e32 v101, v107
	s_delay_alu instid0(VALU_DEP_1)
	v_pk_add_f32 v[96:97], v[96:97], v[100:101]
	s_and_not1_b32 exec_lo, exec_lo, s0
	s_cbranch_execnz .LBB109_182
; %bb.183:
	s_or_b32 exec_lo, exec_lo, s0
.LBB109_184:
	s_delay_alu instid0(SALU_CYCLE_1) | instskip(SKIP_4) | instid1(VALU_DEP_1)
	s_or_b32 exec_lo, exec_lo, s35
	v_mov_b32_e32 v98, 0
	ds_load_b64 v[98:99], v98 offset:216
	s_wait_dscnt 0x0
	v_pk_mul_f32 v[100:101], v[96:97], v[98:99] op_sel:[1,1] op_sel_hi:[0,1]
	v_pk_fma_f32 v[102:103], v[96:97], v[98:99], v[100:101] op_sel_hi:[1,0,1]
	v_pk_fma_f32 v[96:97], v[96:97], v[98:99], v[100:101] neg_lo:[0,0,1] neg_hi:[0,0,1]
	s_delay_alu instid0(VALU_DEP_2)
	v_mov_b32_e32 v97, v103
	scratch_store_b64 off, v[96:97], off offset:216
.LBB109_185:
	s_wait_xcnt 0x0
	s_or_b32 exec_lo, exec_lo, s34
	scratch_load_b64 v[96:97], off, off offset:208
	v_cmp_lt_u32_e64 s0, 26, v0
	s_wait_loadcnt 0x0
	ds_store_b64 v1, v[96:97]
	s_wait_storecnt_dscnt 0x0
	s_barrier_signal -1
	s_barrier_wait -1
	s_wait_xcnt 0x0
	s_and_saveexec_b32 s33, s0
	s_cbranch_execz .LBB109_195
; %bb.186:
	s_and_not1_b32 vcc_lo, exec_lo, s3
	s_cbranch_vccnz .LBB109_188
; %bb.187:
	scratch_load_b64 v[96:97], v59, off
	ds_load_b64 v[98:99], v1
	s_wait_loadcnt_dscnt 0x0
	v_pk_mul_f32 v[100:101], v[98:99], v[96:97] op_sel:[1,1] op_sel_hi:[0,1]
	s_delay_alu instid0(VALU_DEP_1) | instskip(SKIP_1) | instid1(VALU_DEP_2)
	v_pk_fma_f32 v[102:103], v[98:99], v[96:97], v[100:101] op_sel_hi:[1,0,1]
	v_pk_fma_f32 v[96:97], v[98:99], v[96:97], v[100:101] neg_lo:[0,0,1] neg_hi:[0,0,1]
	v_mov_b32_e32 v97, v103
	s_cbranch_execz .LBB109_189
	s_branch .LBB109_190
.LBB109_188:
                                        ; implicit-def: $vgpr96_vgpr97
.LBB109_189:
	ds_load_b64 v[96:97], v1
.LBB109_190:
	s_and_saveexec_b32 s34, s1
	s_cbranch_execz .LBB109_194
; %bb.191:
	v_subrev_nc_u32_e32 v98, 27, v0
	s_movk_i32 s35, 0x248
	s_mov_b32 s1, 0
.LBB109_192:                            ; =>This Inner Loop Header: Depth=1
	scratch_load_b64 v[100:101], off, s31
	v_dual_mov_b32 v99, s35 :: v_dual_add_nc_u32 v98, -1, v98
	s_add_co_i32 s35, s35, 8
	s_wait_xcnt 0x0
	s_add_co_i32 s31, s31, 8
	ds_load_b64 v[102:103], v99
	v_cmp_eq_u32_e32 vcc_lo, 0, v98
	s_or_b32 s1, vcc_lo, s1
	s_wait_loadcnt_dscnt 0x0
	v_pk_mul_f32 v[104:105], v[102:103], v[100:101] op_sel:[1,1] op_sel_hi:[0,1]
	s_delay_alu instid0(VALU_DEP_1) | instskip(SKIP_1) | instid1(VALU_DEP_2)
	v_pk_fma_f32 v[106:107], v[102:103], v[100:101], v[104:105] op_sel_hi:[1,0,1]
	v_pk_fma_f32 v[100:101], v[102:103], v[100:101], v[104:105] neg_lo:[0,0,1] neg_hi:[0,0,1]
	v_mov_b32_e32 v101, v107
	s_delay_alu instid0(VALU_DEP_1)
	v_pk_add_f32 v[96:97], v[96:97], v[100:101]
	s_and_not1_b32 exec_lo, exec_lo, s1
	s_cbranch_execnz .LBB109_192
; %bb.193:
	s_or_b32 exec_lo, exec_lo, s1
.LBB109_194:
	s_delay_alu instid0(SALU_CYCLE_1) | instskip(SKIP_4) | instid1(VALU_DEP_1)
	s_or_b32 exec_lo, exec_lo, s34
	v_mov_b32_e32 v98, 0
	ds_load_b64 v[98:99], v98 offset:208
	s_wait_dscnt 0x0
	v_pk_mul_f32 v[100:101], v[96:97], v[98:99] op_sel:[1,1] op_sel_hi:[0,1]
	v_pk_fma_f32 v[102:103], v[96:97], v[98:99], v[100:101] op_sel_hi:[1,0,1]
	v_pk_fma_f32 v[96:97], v[96:97], v[98:99], v[100:101] neg_lo:[0,0,1] neg_hi:[0,0,1]
	s_delay_alu instid0(VALU_DEP_2)
	v_mov_b32_e32 v97, v103
	scratch_store_b64 off, v[96:97], off offset:208
.LBB109_195:
	s_wait_xcnt 0x0
	s_or_b32 exec_lo, exec_lo, s33
	scratch_load_b64 v[96:97], off, off offset:200
	v_cmp_lt_u32_e64 s1, 25, v0
	s_wait_loadcnt 0x0
	ds_store_b64 v1, v[96:97]
	s_wait_storecnt_dscnt 0x0
	s_barrier_signal -1
	s_barrier_wait -1
	s_wait_xcnt 0x0
	s_and_saveexec_b32 s31, s1
	s_cbranch_execz .LBB109_205
; %bb.196:
	s_and_not1_b32 vcc_lo, exec_lo, s3
	s_cbranch_vccnz .LBB109_198
; %bb.197:
	scratch_load_b64 v[96:97], v59, off
	ds_load_b64 v[98:99], v1
	s_wait_loadcnt_dscnt 0x0
	v_pk_mul_f32 v[100:101], v[98:99], v[96:97] op_sel:[1,1] op_sel_hi:[0,1]
	s_delay_alu instid0(VALU_DEP_1) | instskip(SKIP_1) | instid1(VALU_DEP_2)
	v_pk_fma_f32 v[102:103], v[98:99], v[96:97], v[100:101] op_sel_hi:[1,0,1]
	v_pk_fma_f32 v[96:97], v[98:99], v[96:97], v[100:101] neg_lo:[0,0,1] neg_hi:[0,0,1]
	v_mov_b32_e32 v97, v103
	s_cbranch_execz .LBB109_199
	s_branch .LBB109_200
.LBB109_198:
                                        ; implicit-def: $vgpr96_vgpr97
.LBB109_199:
	ds_load_b64 v[96:97], v1
.LBB109_200:
	s_and_saveexec_b32 s33, s0
	s_cbranch_execz .LBB109_204
; %bb.201:
	v_subrev_nc_u32_e32 v98, 26, v0
	s_movk_i32 s34, 0x240
	s_mov_b32 s0, 0
.LBB109_202:                            ; =>This Inner Loop Header: Depth=1
	scratch_load_b64 v[100:101], off, s30
	v_dual_mov_b32 v99, s34 :: v_dual_add_nc_u32 v98, -1, v98
	s_add_co_i32 s34, s34, 8
	s_wait_xcnt 0x0
	s_add_co_i32 s30, s30, 8
	ds_load_b64 v[102:103], v99
	v_cmp_eq_u32_e32 vcc_lo, 0, v98
	s_or_b32 s0, vcc_lo, s0
	s_wait_loadcnt_dscnt 0x0
	v_pk_mul_f32 v[104:105], v[102:103], v[100:101] op_sel:[1,1] op_sel_hi:[0,1]
	s_delay_alu instid0(VALU_DEP_1) | instskip(SKIP_1) | instid1(VALU_DEP_2)
	v_pk_fma_f32 v[106:107], v[102:103], v[100:101], v[104:105] op_sel_hi:[1,0,1]
	v_pk_fma_f32 v[100:101], v[102:103], v[100:101], v[104:105] neg_lo:[0,0,1] neg_hi:[0,0,1]
	v_mov_b32_e32 v101, v107
	s_delay_alu instid0(VALU_DEP_1)
	v_pk_add_f32 v[96:97], v[96:97], v[100:101]
	s_and_not1_b32 exec_lo, exec_lo, s0
	s_cbranch_execnz .LBB109_202
; %bb.203:
	s_or_b32 exec_lo, exec_lo, s0
.LBB109_204:
	s_delay_alu instid0(SALU_CYCLE_1) | instskip(SKIP_4) | instid1(VALU_DEP_1)
	s_or_b32 exec_lo, exec_lo, s33
	v_mov_b32_e32 v98, 0
	ds_load_b64 v[98:99], v98 offset:200
	s_wait_dscnt 0x0
	v_pk_mul_f32 v[100:101], v[96:97], v[98:99] op_sel:[1,1] op_sel_hi:[0,1]
	v_pk_fma_f32 v[102:103], v[96:97], v[98:99], v[100:101] op_sel_hi:[1,0,1]
	v_pk_fma_f32 v[96:97], v[96:97], v[98:99], v[100:101] neg_lo:[0,0,1] neg_hi:[0,0,1]
	s_delay_alu instid0(VALU_DEP_2)
	v_mov_b32_e32 v97, v103
	scratch_store_b64 off, v[96:97], off offset:200
.LBB109_205:
	s_wait_xcnt 0x0
	s_or_b32 exec_lo, exec_lo, s31
	scratch_load_b64 v[96:97], off, off offset:192
	v_cmp_lt_u32_e64 s0, 24, v0
	s_wait_loadcnt 0x0
	ds_store_b64 v1, v[96:97]
	s_wait_storecnt_dscnt 0x0
	s_barrier_signal -1
	s_barrier_wait -1
	s_wait_xcnt 0x0
	s_and_saveexec_b32 s30, s0
	s_cbranch_execz .LBB109_215
; %bb.206:
	s_and_not1_b32 vcc_lo, exec_lo, s3
	s_cbranch_vccnz .LBB109_208
; %bb.207:
	scratch_load_b64 v[96:97], v59, off
	ds_load_b64 v[98:99], v1
	s_wait_loadcnt_dscnt 0x0
	v_pk_mul_f32 v[100:101], v[98:99], v[96:97] op_sel:[1,1] op_sel_hi:[0,1]
	s_delay_alu instid0(VALU_DEP_1) | instskip(SKIP_1) | instid1(VALU_DEP_2)
	v_pk_fma_f32 v[102:103], v[98:99], v[96:97], v[100:101] op_sel_hi:[1,0,1]
	v_pk_fma_f32 v[96:97], v[98:99], v[96:97], v[100:101] neg_lo:[0,0,1] neg_hi:[0,0,1]
	v_mov_b32_e32 v97, v103
	s_cbranch_execz .LBB109_209
	s_branch .LBB109_210
.LBB109_208:
                                        ; implicit-def: $vgpr96_vgpr97
.LBB109_209:
	ds_load_b64 v[96:97], v1
.LBB109_210:
	s_and_saveexec_b32 s31, s1
	s_cbranch_execz .LBB109_214
; %bb.211:
	v_subrev_nc_u32_e32 v98, 25, v0
	s_movk_i32 s33, 0x238
	s_mov_b32 s1, 0
.LBB109_212:                            ; =>This Inner Loop Header: Depth=1
	scratch_load_b64 v[100:101], off, s29
	v_dual_mov_b32 v99, s33 :: v_dual_add_nc_u32 v98, -1, v98
	s_add_co_i32 s33, s33, 8
	s_wait_xcnt 0x0
	s_add_co_i32 s29, s29, 8
	ds_load_b64 v[102:103], v99
	v_cmp_eq_u32_e32 vcc_lo, 0, v98
	s_or_b32 s1, vcc_lo, s1
	s_wait_loadcnt_dscnt 0x0
	v_pk_mul_f32 v[104:105], v[102:103], v[100:101] op_sel:[1,1] op_sel_hi:[0,1]
	s_delay_alu instid0(VALU_DEP_1) | instskip(SKIP_1) | instid1(VALU_DEP_2)
	v_pk_fma_f32 v[106:107], v[102:103], v[100:101], v[104:105] op_sel_hi:[1,0,1]
	v_pk_fma_f32 v[100:101], v[102:103], v[100:101], v[104:105] neg_lo:[0,0,1] neg_hi:[0,0,1]
	v_mov_b32_e32 v101, v107
	s_delay_alu instid0(VALU_DEP_1)
	v_pk_add_f32 v[96:97], v[96:97], v[100:101]
	s_and_not1_b32 exec_lo, exec_lo, s1
	s_cbranch_execnz .LBB109_212
; %bb.213:
	s_or_b32 exec_lo, exec_lo, s1
.LBB109_214:
	s_delay_alu instid0(SALU_CYCLE_1) | instskip(SKIP_4) | instid1(VALU_DEP_1)
	s_or_b32 exec_lo, exec_lo, s31
	v_mov_b32_e32 v98, 0
	ds_load_b64 v[98:99], v98 offset:192
	s_wait_dscnt 0x0
	v_pk_mul_f32 v[100:101], v[96:97], v[98:99] op_sel:[1,1] op_sel_hi:[0,1]
	v_pk_fma_f32 v[102:103], v[96:97], v[98:99], v[100:101] op_sel_hi:[1,0,1]
	v_pk_fma_f32 v[96:97], v[96:97], v[98:99], v[100:101] neg_lo:[0,0,1] neg_hi:[0,0,1]
	s_delay_alu instid0(VALU_DEP_2)
	v_mov_b32_e32 v97, v103
	scratch_store_b64 off, v[96:97], off offset:192
.LBB109_215:
	s_wait_xcnt 0x0
	s_or_b32 exec_lo, exec_lo, s30
	scratch_load_b64 v[96:97], off, off offset:184
	v_cmp_lt_u32_e64 s1, 23, v0
	s_wait_loadcnt 0x0
	ds_store_b64 v1, v[96:97]
	s_wait_storecnt_dscnt 0x0
	s_barrier_signal -1
	s_barrier_wait -1
	s_wait_xcnt 0x0
	s_and_saveexec_b32 s29, s1
	s_cbranch_execz .LBB109_225
; %bb.216:
	s_and_not1_b32 vcc_lo, exec_lo, s3
	s_cbranch_vccnz .LBB109_218
; %bb.217:
	scratch_load_b64 v[96:97], v59, off
	ds_load_b64 v[98:99], v1
	s_wait_loadcnt_dscnt 0x0
	v_pk_mul_f32 v[100:101], v[98:99], v[96:97] op_sel:[1,1] op_sel_hi:[0,1]
	s_delay_alu instid0(VALU_DEP_1) | instskip(SKIP_1) | instid1(VALU_DEP_2)
	v_pk_fma_f32 v[102:103], v[98:99], v[96:97], v[100:101] op_sel_hi:[1,0,1]
	v_pk_fma_f32 v[96:97], v[98:99], v[96:97], v[100:101] neg_lo:[0,0,1] neg_hi:[0,0,1]
	v_mov_b32_e32 v97, v103
	s_cbranch_execz .LBB109_219
	s_branch .LBB109_220
.LBB109_218:
                                        ; implicit-def: $vgpr96_vgpr97
.LBB109_219:
	ds_load_b64 v[96:97], v1
.LBB109_220:
	s_and_saveexec_b32 s30, s0
	s_cbranch_execz .LBB109_224
; %bb.221:
	v_subrev_nc_u32_e32 v98, 24, v0
	s_movk_i32 s31, 0x230
	s_mov_b32 s0, 0
.LBB109_222:                            ; =>This Inner Loop Header: Depth=1
	scratch_load_b64 v[100:101], off, s28
	v_dual_mov_b32 v99, s31 :: v_dual_add_nc_u32 v98, -1, v98
	s_add_co_i32 s31, s31, 8
	s_wait_xcnt 0x0
	s_add_co_i32 s28, s28, 8
	ds_load_b64 v[102:103], v99
	v_cmp_eq_u32_e32 vcc_lo, 0, v98
	s_or_b32 s0, vcc_lo, s0
	s_wait_loadcnt_dscnt 0x0
	v_pk_mul_f32 v[104:105], v[102:103], v[100:101] op_sel:[1,1] op_sel_hi:[0,1]
	s_delay_alu instid0(VALU_DEP_1) | instskip(SKIP_1) | instid1(VALU_DEP_2)
	v_pk_fma_f32 v[106:107], v[102:103], v[100:101], v[104:105] op_sel_hi:[1,0,1]
	v_pk_fma_f32 v[100:101], v[102:103], v[100:101], v[104:105] neg_lo:[0,0,1] neg_hi:[0,0,1]
	v_mov_b32_e32 v101, v107
	s_delay_alu instid0(VALU_DEP_1)
	v_pk_add_f32 v[96:97], v[96:97], v[100:101]
	s_and_not1_b32 exec_lo, exec_lo, s0
	s_cbranch_execnz .LBB109_222
; %bb.223:
	s_or_b32 exec_lo, exec_lo, s0
.LBB109_224:
	s_delay_alu instid0(SALU_CYCLE_1) | instskip(SKIP_4) | instid1(VALU_DEP_1)
	s_or_b32 exec_lo, exec_lo, s30
	v_mov_b32_e32 v98, 0
	ds_load_b64 v[98:99], v98 offset:184
	s_wait_dscnt 0x0
	v_pk_mul_f32 v[100:101], v[96:97], v[98:99] op_sel:[1,1] op_sel_hi:[0,1]
	v_pk_fma_f32 v[102:103], v[96:97], v[98:99], v[100:101] op_sel_hi:[1,0,1]
	v_pk_fma_f32 v[96:97], v[96:97], v[98:99], v[100:101] neg_lo:[0,0,1] neg_hi:[0,0,1]
	s_delay_alu instid0(VALU_DEP_2)
	v_mov_b32_e32 v97, v103
	scratch_store_b64 off, v[96:97], off offset:184
.LBB109_225:
	s_wait_xcnt 0x0
	s_or_b32 exec_lo, exec_lo, s29
	scratch_load_b64 v[96:97], off, off offset:176
	v_cmp_lt_u32_e64 s0, 22, v0
	s_wait_loadcnt 0x0
	ds_store_b64 v1, v[96:97]
	s_wait_storecnt_dscnt 0x0
	s_barrier_signal -1
	s_barrier_wait -1
	s_wait_xcnt 0x0
	s_and_saveexec_b32 s28, s0
	s_cbranch_execz .LBB109_235
; %bb.226:
	s_and_not1_b32 vcc_lo, exec_lo, s3
	s_cbranch_vccnz .LBB109_228
; %bb.227:
	scratch_load_b64 v[96:97], v59, off
	ds_load_b64 v[98:99], v1
	s_wait_loadcnt_dscnt 0x0
	v_pk_mul_f32 v[100:101], v[98:99], v[96:97] op_sel:[1,1] op_sel_hi:[0,1]
	s_delay_alu instid0(VALU_DEP_1) | instskip(SKIP_1) | instid1(VALU_DEP_2)
	v_pk_fma_f32 v[102:103], v[98:99], v[96:97], v[100:101] op_sel_hi:[1,0,1]
	v_pk_fma_f32 v[96:97], v[98:99], v[96:97], v[100:101] neg_lo:[0,0,1] neg_hi:[0,0,1]
	v_mov_b32_e32 v97, v103
	s_cbranch_execz .LBB109_229
	s_branch .LBB109_230
.LBB109_228:
                                        ; implicit-def: $vgpr96_vgpr97
.LBB109_229:
	ds_load_b64 v[96:97], v1
.LBB109_230:
	s_and_saveexec_b32 s29, s1
	s_cbranch_execz .LBB109_234
; %bb.231:
	v_subrev_nc_u32_e32 v98, 23, v0
	s_movk_i32 s30, 0x228
	s_mov_b32 s1, 0
.LBB109_232:                            ; =>This Inner Loop Header: Depth=1
	scratch_load_b64 v[100:101], off, s27
	v_dual_mov_b32 v99, s30 :: v_dual_add_nc_u32 v98, -1, v98
	s_add_co_i32 s30, s30, 8
	s_wait_xcnt 0x0
	s_add_co_i32 s27, s27, 8
	ds_load_b64 v[102:103], v99
	v_cmp_eq_u32_e32 vcc_lo, 0, v98
	s_or_b32 s1, vcc_lo, s1
	s_wait_loadcnt_dscnt 0x0
	v_pk_mul_f32 v[104:105], v[102:103], v[100:101] op_sel:[1,1] op_sel_hi:[0,1]
	s_delay_alu instid0(VALU_DEP_1) | instskip(SKIP_1) | instid1(VALU_DEP_2)
	v_pk_fma_f32 v[106:107], v[102:103], v[100:101], v[104:105] op_sel_hi:[1,0,1]
	v_pk_fma_f32 v[100:101], v[102:103], v[100:101], v[104:105] neg_lo:[0,0,1] neg_hi:[0,0,1]
	v_mov_b32_e32 v101, v107
	s_delay_alu instid0(VALU_DEP_1)
	v_pk_add_f32 v[96:97], v[96:97], v[100:101]
	s_and_not1_b32 exec_lo, exec_lo, s1
	s_cbranch_execnz .LBB109_232
; %bb.233:
	s_or_b32 exec_lo, exec_lo, s1
.LBB109_234:
	s_delay_alu instid0(SALU_CYCLE_1) | instskip(SKIP_4) | instid1(VALU_DEP_1)
	s_or_b32 exec_lo, exec_lo, s29
	v_mov_b32_e32 v98, 0
	ds_load_b64 v[98:99], v98 offset:176
	s_wait_dscnt 0x0
	v_pk_mul_f32 v[100:101], v[96:97], v[98:99] op_sel:[1,1] op_sel_hi:[0,1]
	v_pk_fma_f32 v[102:103], v[96:97], v[98:99], v[100:101] op_sel_hi:[1,0,1]
	v_pk_fma_f32 v[96:97], v[96:97], v[98:99], v[100:101] neg_lo:[0,0,1] neg_hi:[0,0,1]
	s_delay_alu instid0(VALU_DEP_2)
	v_mov_b32_e32 v97, v103
	scratch_store_b64 off, v[96:97], off offset:176
.LBB109_235:
	s_wait_xcnt 0x0
	s_or_b32 exec_lo, exec_lo, s28
	scratch_load_b64 v[96:97], off, off offset:168
	v_cmp_lt_u32_e64 s1, 21, v0
	s_wait_loadcnt 0x0
	ds_store_b64 v1, v[96:97]
	s_wait_storecnt_dscnt 0x0
	s_barrier_signal -1
	s_barrier_wait -1
	s_wait_xcnt 0x0
	s_and_saveexec_b32 s27, s1
	s_cbranch_execz .LBB109_245
; %bb.236:
	s_and_not1_b32 vcc_lo, exec_lo, s3
	s_cbranch_vccnz .LBB109_238
; %bb.237:
	scratch_load_b64 v[96:97], v59, off
	ds_load_b64 v[98:99], v1
	s_wait_loadcnt_dscnt 0x0
	v_pk_mul_f32 v[100:101], v[98:99], v[96:97] op_sel:[1,1] op_sel_hi:[0,1]
	s_delay_alu instid0(VALU_DEP_1) | instskip(SKIP_1) | instid1(VALU_DEP_2)
	v_pk_fma_f32 v[102:103], v[98:99], v[96:97], v[100:101] op_sel_hi:[1,0,1]
	v_pk_fma_f32 v[96:97], v[98:99], v[96:97], v[100:101] neg_lo:[0,0,1] neg_hi:[0,0,1]
	v_mov_b32_e32 v97, v103
	s_cbranch_execz .LBB109_239
	s_branch .LBB109_240
.LBB109_238:
                                        ; implicit-def: $vgpr96_vgpr97
.LBB109_239:
	ds_load_b64 v[96:97], v1
.LBB109_240:
	s_and_saveexec_b32 s28, s0
	s_cbranch_execz .LBB109_244
; %bb.241:
	v_subrev_nc_u32_e32 v98, 22, v0
	s_movk_i32 s29, 0x220
	s_mov_b32 s0, 0
.LBB109_242:                            ; =>This Inner Loop Header: Depth=1
	scratch_load_b64 v[100:101], off, s26
	v_dual_mov_b32 v99, s29 :: v_dual_add_nc_u32 v98, -1, v98
	s_add_co_i32 s29, s29, 8
	s_wait_xcnt 0x0
	s_add_co_i32 s26, s26, 8
	ds_load_b64 v[102:103], v99
	v_cmp_eq_u32_e32 vcc_lo, 0, v98
	s_or_b32 s0, vcc_lo, s0
	s_wait_loadcnt_dscnt 0x0
	v_pk_mul_f32 v[104:105], v[102:103], v[100:101] op_sel:[1,1] op_sel_hi:[0,1]
	s_delay_alu instid0(VALU_DEP_1) | instskip(SKIP_1) | instid1(VALU_DEP_2)
	v_pk_fma_f32 v[106:107], v[102:103], v[100:101], v[104:105] op_sel_hi:[1,0,1]
	v_pk_fma_f32 v[100:101], v[102:103], v[100:101], v[104:105] neg_lo:[0,0,1] neg_hi:[0,0,1]
	v_mov_b32_e32 v101, v107
	s_delay_alu instid0(VALU_DEP_1)
	v_pk_add_f32 v[96:97], v[96:97], v[100:101]
	s_and_not1_b32 exec_lo, exec_lo, s0
	s_cbranch_execnz .LBB109_242
; %bb.243:
	s_or_b32 exec_lo, exec_lo, s0
.LBB109_244:
	s_delay_alu instid0(SALU_CYCLE_1) | instskip(SKIP_4) | instid1(VALU_DEP_1)
	s_or_b32 exec_lo, exec_lo, s28
	v_mov_b32_e32 v98, 0
	ds_load_b64 v[98:99], v98 offset:168
	s_wait_dscnt 0x0
	v_pk_mul_f32 v[100:101], v[96:97], v[98:99] op_sel:[1,1] op_sel_hi:[0,1]
	v_pk_fma_f32 v[102:103], v[96:97], v[98:99], v[100:101] op_sel_hi:[1,0,1]
	v_pk_fma_f32 v[96:97], v[96:97], v[98:99], v[100:101] neg_lo:[0,0,1] neg_hi:[0,0,1]
	s_delay_alu instid0(VALU_DEP_2)
	v_mov_b32_e32 v97, v103
	scratch_store_b64 off, v[96:97], off offset:168
.LBB109_245:
	s_wait_xcnt 0x0
	s_or_b32 exec_lo, exec_lo, s27
	scratch_load_b64 v[96:97], off, off offset:160
	v_cmp_lt_u32_e64 s0, 20, v0
	s_wait_loadcnt 0x0
	ds_store_b64 v1, v[96:97]
	s_wait_storecnt_dscnt 0x0
	s_barrier_signal -1
	s_barrier_wait -1
	s_wait_xcnt 0x0
	s_and_saveexec_b32 s26, s0
	s_cbranch_execz .LBB109_255
; %bb.246:
	s_and_not1_b32 vcc_lo, exec_lo, s3
	s_cbranch_vccnz .LBB109_248
; %bb.247:
	scratch_load_b64 v[96:97], v59, off
	ds_load_b64 v[98:99], v1
	s_wait_loadcnt_dscnt 0x0
	v_pk_mul_f32 v[100:101], v[98:99], v[96:97] op_sel:[1,1] op_sel_hi:[0,1]
	s_delay_alu instid0(VALU_DEP_1) | instskip(SKIP_1) | instid1(VALU_DEP_2)
	v_pk_fma_f32 v[102:103], v[98:99], v[96:97], v[100:101] op_sel_hi:[1,0,1]
	v_pk_fma_f32 v[96:97], v[98:99], v[96:97], v[100:101] neg_lo:[0,0,1] neg_hi:[0,0,1]
	v_mov_b32_e32 v97, v103
	s_cbranch_execz .LBB109_249
	s_branch .LBB109_250
.LBB109_248:
                                        ; implicit-def: $vgpr96_vgpr97
.LBB109_249:
	ds_load_b64 v[96:97], v1
.LBB109_250:
	s_and_saveexec_b32 s27, s1
	s_cbranch_execz .LBB109_254
; %bb.251:
	v_subrev_nc_u32_e32 v98, 21, v0
	s_movk_i32 s28, 0x218
	s_mov_b32 s1, 0
.LBB109_252:                            ; =>This Inner Loop Header: Depth=1
	scratch_load_b64 v[100:101], off, s25
	v_dual_mov_b32 v99, s28 :: v_dual_add_nc_u32 v98, -1, v98
	s_add_co_i32 s28, s28, 8
	s_wait_xcnt 0x0
	s_add_co_i32 s25, s25, 8
	ds_load_b64 v[102:103], v99
	v_cmp_eq_u32_e32 vcc_lo, 0, v98
	s_or_b32 s1, vcc_lo, s1
	s_wait_loadcnt_dscnt 0x0
	v_pk_mul_f32 v[104:105], v[102:103], v[100:101] op_sel:[1,1] op_sel_hi:[0,1]
	s_delay_alu instid0(VALU_DEP_1) | instskip(SKIP_1) | instid1(VALU_DEP_2)
	v_pk_fma_f32 v[106:107], v[102:103], v[100:101], v[104:105] op_sel_hi:[1,0,1]
	v_pk_fma_f32 v[100:101], v[102:103], v[100:101], v[104:105] neg_lo:[0,0,1] neg_hi:[0,0,1]
	v_mov_b32_e32 v101, v107
	s_delay_alu instid0(VALU_DEP_1)
	v_pk_add_f32 v[96:97], v[96:97], v[100:101]
	s_and_not1_b32 exec_lo, exec_lo, s1
	s_cbranch_execnz .LBB109_252
; %bb.253:
	s_or_b32 exec_lo, exec_lo, s1
.LBB109_254:
	s_delay_alu instid0(SALU_CYCLE_1) | instskip(SKIP_4) | instid1(VALU_DEP_1)
	s_or_b32 exec_lo, exec_lo, s27
	v_mov_b32_e32 v98, 0
	ds_load_b64 v[98:99], v98 offset:160
	s_wait_dscnt 0x0
	v_pk_mul_f32 v[100:101], v[96:97], v[98:99] op_sel:[1,1] op_sel_hi:[0,1]
	v_pk_fma_f32 v[102:103], v[96:97], v[98:99], v[100:101] op_sel_hi:[1,0,1]
	v_pk_fma_f32 v[96:97], v[96:97], v[98:99], v[100:101] neg_lo:[0,0,1] neg_hi:[0,0,1]
	s_delay_alu instid0(VALU_DEP_2)
	v_mov_b32_e32 v97, v103
	scratch_store_b64 off, v[96:97], off offset:160
.LBB109_255:
	s_wait_xcnt 0x0
	s_or_b32 exec_lo, exec_lo, s26
	scratch_load_b64 v[96:97], off, off offset:152
	v_cmp_lt_u32_e64 s1, 19, v0
	s_wait_loadcnt 0x0
	ds_store_b64 v1, v[96:97]
	s_wait_storecnt_dscnt 0x0
	s_barrier_signal -1
	s_barrier_wait -1
	s_wait_xcnt 0x0
	s_and_saveexec_b32 s25, s1
	s_cbranch_execz .LBB109_265
; %bb.256:
	s_and_not1_b32 vcc_lo, exec_lo, s3
	s_cbranch_vccnz .LBB109_258
; %bb.257:
	scratch_load_b64 v[96:97], v59, off
	ds_load_b64 v[98:99], v1
	s_wait_loadcnt_dscnt 0x0
	v_pk_mul_f32 v[100:101], v[98:99], v[96:97] op_sel:[1,1] op_sel_hi:[0,1]
	s_delay_alu instid0(VALU_DEP_1) | instskip(SKIP_1) | instid1(VALU_DEP_2)
	v_pk_fma_f32 v[102:103], v[98:99], v[96:97], v[100:101] op_sel_hi:[1,0,1]
	v_pk_fma_f32 v[96:97], v[98:99], v[96:97], v[100:101] neg_lo:[0,0,1] neg_hi:[0,0,1]
	v_mov_b32_e32 v97, v103
	s_cbranch_execz .LBB109_259
	s_branch .LBB109_260
.LBB109_258:
                                        ; implicit-def: $vgpr96_vgpr97
.LBB109_259:
	ds_load_b64 v[96:97], v1
.LBB109_260:
	s_and_saveexec_b32 s26, s0
	s_cbranch_execz .LBB109_264
; %bb.261:
	v_subrev_nc_u32_e32 v98, 20, v0
	s_movk_i32 s27, 0x210
	s_mov_b32 s0, 0
.LBB109_262:                            ; =>This Inner Loop Header: Depth=1
	scratch_load_b64 v[100:101], off, s24
	v_dual_mov_b32 v99, s27 :: v_dual_add_nc_u32 v98, -1, v98
	s_add_co_i32 s27, s27, 8
	s_wait_xcnt 0x0
	s_add_co_i32 s24, s24, 8
	ds_load_b64 v[102:103], v99
	v_cmp_eq_u32_e32 vcc_lo, 0, v98
	s_or_b32 s0, vcc_lo, s0
	s_wait_loadcnt_dscnt 0x0
	v_pk_mul_f32 v[104:105], v[102:103], v[100:101] op_sel:[1,1] op_sel_hi:[0,1]
	s_delay_alu instid0(VALU_DEP_1) | instskip(SKIP_1) | instid1(VALU_DEP_2)
	v_pk_fma_f32 v[106:107], v[102:103], v[100:101], v[104:105] op_sel_hi:[1,0,1]
	v_pk_fma_f32 v[100:101], v[102:103], v[100:101], v[104:105] neg_lo:[0,0,1] neg_hi:[0,0,1]
	v_mov_b32_e32 v101, v107
	s_delay_alu instid0(VALU_DEP_1)
	v_pk_add_f32 v[96:97], v[96:97], v[100:101]
	s_and_not1_b32 exec_lo, exec_lo, s0
	s_cbranch_execnz .LBB109_262
; %bb.263:
	s_or_b32 exec_lo, exec_lo, s0
.LBB109_264:
	s_delay_alu instid0(SALU_CYCLE_1) | instskip(SKIP_4) | instid1(VALU_DEP_1)
	s_or_b32 exec_lo, exec_lo, s26
	v_mov_b32_e32 v98, 0
	ds_load_b64 v[98:99], v98 offset:152
	s_wait_dscnt 0x0
	v_pk_mul_f32 v[100:101], v[96:97], v[98:99] op_sel:[1,1] op_sel_hi:[0,1]
	v_pk_fma_f32 v[102:103], v[96:97], v[98:99], v[100:101] op_sel_hi:[1,0,1]
	v_pk_fma_f32 v[96:97], v[96:97], v[98:99], v[100:101] neg_lo:[0,0,1] neg_hi:[0,0,1]
	s_delay_alu instid0(VALU_DEP_2)
	v_mov_b32_e32 v97, v103
	scratch_store_b64 off, v[96:97], off offset:152
.LBB109_265:
	s_wait_xcnt 0x0
	s_or_b32 exec_lo, exec_lo, s25
	scratch_load_b64 v[96:97], off, off offset:144
	v_cmp_lt_u32_e64 s0, 18, v0
	s_wait_loadcnt 0x0
	ds_store_b64 v1, v[96:97]
	s_wait_storecnt_dscnt 0x0
	s_barrier_signal -1
	s_barrier_wait -1
	s_wait_xcnt 0x0
	s_and_saveexec_b32 s24, s0
	s_cbranch_execz .LBB109_275
; %bb.266:
	s_and_not1_b32 vcc_lo, exec_lo, s3
	s_cbranch_vccnz .LBB109_268
; %bb.267:
	scratch_load_b64 v[96:97], v59, off
	ds_load_b64 v[98:99], v1
	s_wait_loadcnt_dscnt 0x0
	v_pk_mul_f32 v[100:101], v[98:99], v[96:97] op_sel:[1,1] op_sel_hi:[0,1]
	s_delay_alu instid0(VALU_DEP_1) | instskip(SKIP_1) | instid1(VALU_DEP_2)
	v_pk_fma_f32 v[102:103], v[98:99], v[96:97], v[100:101] op_sel_hi:[1,0,1]
	v_pk_fma_f32 v[96:97], v[98:99], v[96:97], v[100:101] neg_lo:[0,0,1] neg_hi:[0,0,1]
	v_mov_b32_e32 v97, v103
	s_cbranch_execz .LBB109_269
	s_branch .LBB109_270
.LBB109_268:
                                        ; implicit-def: $vgpr96_vgpr97
.LBB109_269:
	ds_load_b64 v[96:97], v1
.LBB109_270:
	s_and_saveexec_b32 s25, s1
	s_cbranch_execz .LBB109_274
; %bb.271:
	v_subrev_nc_u32_e32 v98, 19, v0
	s_movk_i32 s26, 0x208
	s_mov_b32 s1, 0
.LBB109_272:                            ; =>This Inner Loop Header: Depth=1
	scratch_load_b64 v[100:101], off, s23
	v_dual_mov_b32 v99, s26 :: v_dual_add_nc_u32 v98, -1, v98
	s_add_co_i32 s26, s26, 8
	s_wait_xcnt 0x0
	s_add_co_i32 s23, s23, 8
	ds_load_b64 v[102:103], v99
	v_cmp_eq_u32_e32 vcc_lo, 0, v98
	s_or_b32 s1, vcc_lo, s1
	s_wait_loadcnt_dscnt 0x0
	v_pk_mul_f32 v[104:105], v[102:103], v[100:101] op_sel:[1,1] op_sel_hi:[0,1]
	s_delay_alu instid0(VALU_DEP_1) | instskip(SKIP_1) | instid1(VALU_DEP_2)
	v_pk_fma_f32 v[106:107], v[102:103], v[100:101], v[104:105] op_sel_hi:[1,0,1]
	v_pk_fma_f32 v[100:101], v[102:103], v[100:101], v[104:105] neg_lo:[0,0,1] neg_hi:[0,0,1]
	v_mov_b32_e32 v101, v107
	s_delay_alu instid0(VALU_DEP_1)
	v_pk_add_f32 v[96:97], v[96:97], v[100:101]
	s_and_not1_b32 exec_lo, exec_lo, s1
	s_cbranch_execnz .LBB109_272
; %bb.273:
	s_or_b32 exec_lo, exec_lo, s1
.LBB109_274:
	s_delay_alu instid0(SALU_CYCLE_1) | instskip(SKIP_4) | instid1(VALU_DEP_1)
	s_or_b32 exec_lo, exec_lo, s25
	v_mov_b32_e32 v98, 0
	ds_load_b64 v[98:99], v98 offset:144
	s_wait_dscnt 0x0
	v_pk_mul_f32 v[100:101], v[96:97], v[98:99] op_sel:[1,1] op_sel_hi:[0,1]
	v_pk_fma_f32 v[102:103], v[96:97], v[98:99], v[100:101] op_sel_hi:[1,0,1]
	v_pk_fma_f32 v[96:97], v[96:97], v[98:99], v[100:101] neg_lo:[0,0,1] neg_hi:[0,0,1]
	s_delay_alu instid0(VALU_DEP_2)
	v_mov_b32_e32 v97, v103
	scratch_store_b64 off, v[96:97], off offset:144
.LBB109_275:
	s_wait_xcnt 0x0
	s_or_b32 exec_lo, exec_lo, s24
	scratch_load_b64 v[96:97], off, off offset:136
	v_cmp_lt_u32_e64 s1, 17, v0
	s_wait_loadcnt 0x0
	ds_store_b64 v1, v[96:97]
	s_wait_storecnt_dscnt 0x0
	s_barrier_signal -1
	s_barrier_wait -1
	s_wait_xcnt 0x0
	s_and_saveexec_b32 s23, s1
	s_cbranch_execz .LBB109_285
; %bb.276:
	s_and_not1_b32 vcc_lo, exec_lo, s3
	s_cbranch_vccnz .LBB109_278
; %bb.277:
	scratch_load_b64 v[96:97], v59, off
	ds_load_b64 v[98:99], v1
	s_wait_loadcnt_dscnt 0x0
	v_pk_mul_f32 v[100:101], v[98:99], v[96:97] op_sel:[1,1] op_sel_hi:[0,1]
	s_delay_alu instid0(VALU_DEP_1) | instskip(SKIP_1) | instid1(VALU_DEP_2)
	v_pk_fma_f32 v[102:103], v[98:99], v[96:97], v[100:101] op_sel_hi:[1,0,1]
	v_pk_fma_f32 v[96:97], v[98:99], v[96:97], v[100:101] neg_lo:[0,0,1] neg_hi:[0,0,1]
	v_mov_b32_e32 v97, v103
	s_cbranch_execz .LBB109_279
	s_branch .LBB109_280
.LBB109_278:
                                        ; implicit-def: $vgpr96_vgpr97
.LBB109_279:
	ds_load_b64 v[96:97], v1
.LBB109_280:
	s_and_saveexec_b32 s24, s0
	s_cbranch_execz .LBB109_284
; %bb.281:
	v_subrev_nc_u32_e32 v98, 18, v0
	s_movk_i32 s25, 0x200
	s_mov_b32 s0, 0
.LBB109_282:                            ; =>This Inner Loop Header: Depth=1
	scratch_load_b64 v[100:101], off, s22
	v_dual_mov_b32 v99, s25 :: v_dual_add_nc_u32 v98, -1, v98
	s_add_co_i32 s25, s25, 8
	s_wait_xcnt 0x0
	s_add_co_i32 s22, s22, 8
	ds_load_b64 v[102:103], v99
	v_cmp_eq_u32_e32 vcc_lo, 0, v98
	s_or_b32 s0, vcc_lo, s0
	s_wait_loadcnt_dscnt 0x0
	v_pk_mul_f32 v[104:105], v[102:103], v[100:101] op_sel:[1,1] op_sel_hi:[0,1]
	s_delay_alu instid0(VALU_DEP_1) | instskip(SKIP_1) | instid1(VALU_DEP_2)
	v_pk_fma_f32 v[106:107], v[102:103], v[100:101], v[104:105] op_sel_hi:[1,0,1]
	v_pk_fma_f32 v[100:101], v[102:103], v[100:101], v[104:105] neg_lo:[0,0,1] neg_hi:[0,0,1]
	v_mov_b32_e32 v101, v107
	s_delay_alu instid0(VALU_DEP_1)
	v_pk_add_f32 v[96:97], v[96:97], v[100:101]
	s_and_not1_b32 exec_lo, exec_lo, s0
	s_cbranch_execnz .LBB109_282
; %bb.283:
	s_or_b32 exec_lo, exec_lo, s0
.LBB109_284:
	s_delay_alu instid0(SALU_CYCLE_1) | instskip(SKIP_4) | instid1(VALU_DEP_1)
	s_or_b32 exec_lo, exec_lo, s24
	v_mov_b32_e32 v98, 0
	ds_load_b64 v[98:99], v98 offset:136
	s_wait_dscnt 0x0
	v_pk_mul_f32 v[100:101], v[96:97], v[98:99] op_sel:[1,1] op_sel_hi:[0,1]
	v_pk_fma_f32 v[102:103], v[96:97], v[98:99], v[100:101] op_sel_hi:[1,0,1]
	v_pk_fma_f32 v[96:97], v[96:97], v[98:99], v[100:101] neg_lo:[0,0,1] neg_hi:[0,0,1]
	s_delay_alu instid0(VALU_DEP_2)
	v_mov_b32_e32 v97, v103
	scratch_store_b64 off, v[96:97], off offset:136
.LBB109_285:
	s_wait_xcnt 0x0
	s_or_b32 exec_lo, exec_lo, s23
	scratch_load_b64 v[96:97], off, off offset:128
	v_cmp_lt_u32_e64 s0, 16, v0
	s_wait_loadcnt 0x0
	ds_store_b64 v1, v[96:97]
	s_wait_storecnt_dscnt 0x0
	s_barrier_signal -1
	s_barrier_wait -1
	s_wait_xcnt 0x0
	s_and_saveexec_b32 s22, s0
	s_cbranch_execz .LBB109_295
; %bb.286:
	s_and_not1_b32 vcc_lo, exec_lo, s3
	s_cbranch_vccnz .LBB109_288
; %bb.287:
	scratch_load_b64 v[96:97], v59, off
	ds_load_b64 v[98:99], v1
	s_wait_loadcnt_dscnt 0x0
	v_pk_mul_f32 v[100:101], v[98:99], v[96:97] op_sel:[1,1] op_sel_hi:[0,1]
	s_delay_alu instid0(VALU_DEP_1) | instskip(SKIP_1) | instid1(VALU_DEP_2)
	v_pk_fma_f32 v[102:103], v[98:99], v[96:97], v[100:101] op_sel_hi:[1,0,1]
	v_pk_fma_f32 v[96:97], v[98:99], v[96:97], v[100:101] neg_lo:[0,0,1] neg_hi:[0,0,1]
	v_mov_b32_e32 v97, v103
	s_cbranch_execz .LBB109_289
	s_branch .LBB109_290
.LBB109_288:
                                        ; implicit-def: $vgpr96_vgpr97
.LBB109_289:
	ds_load_b64 v[96:97], v1
.LBB109_290:
	s_and_saveexec_b32 s23, s1
	s_cbranch_execz .LBB109_294
; %bb.291:
	v_subrev_nc_u32_e32 v98, 17, v0
	s_movk_i32 s24, 0x1f8
	s_mov_b32 s1, 0
.LBB109_292:                            ; =>This Inner Loop Header: Depth=1
	scratch_load_b64 v[100:101], off, s21
	v_dual_mov_b32 v99, s24 :: v_dual_add_nc_u32 v98, -1, v98
	s_add_co_i32 s24, s24, 8
	s_wait_xcnt 0x0
	s_add_co_i32 s21, s21, 8
	ds_load_b64 v[102:103], v99
	v_cmp_eq_u32_e32 vcc_lo, 0, v98
	s_or_b32 s1, vcc_lo, s1
	s_wait_loadcnt_dscnt 0x0
	v_pk_mul_f32 v[104:105], v[102:103], v[100:101] op_sel:[1,1] op_sel_hi:[0,1]
	s_delay_alu instid0(VALU_DEP_1) | instskip(SKIP_1) | instid1(VALU_DEP_2)
	v_pk_fma_f32 v[106:107], v[102:103], v[100:101], v[104:105] op_sel_hi:[1,0,1]
	v_pk_fma_f32 v[100:101], v[102:103], v[100:101], v[104:105] neg_lo:[0,0,1] neg_hi:[0,0,1]
	v_mov_b32_e32 v101, v107
	s_delay_alu instid0(VALU_DEP_1)
	v_pk_add_f32 v[96:97], v[96:97], v[100:101]
	s_and_not1_b32 exec_lo, exec_lo, s1
	s_cbranch_execnz .LBB109_292
; %bb.293:
	s_or_b32 exec_lo, exec_lo, s1
.LBB109_294:
	s_delay_alu instid0(SALU_CYCLE_1) | instskip(SKIP_4) | instid1(VALU_DEP_1)
	s_or_b32 exec_lo, exec_lo, s23
	v_mov_b32_e32 v98, 0
	ds_load_b64 v[98:99], v98 offset:128
	s_wait_dscnt 0x0
	v_pk_mul_f32 v[100:101], v[96:97], v[98:99] op_sel:[1,1] op_sel_hi:[0,1]
	v_pk_fma_f32 v[102:103], v[96:97], v[98:99], v[100:101] op_sel_hi:[1,0,1]
	v_pk_fma_f32 v[96:97], v[96:97], v[98:99], v[100:101] neg_lo:[0,0,1] neg_hi:[0,0,1]
	s_delay_alu instid0(VALU_DEP_2)
	v_mov_b32_e32 v97, v103
	scratch_store_b64 off, v[96:97], off offset:128
.LBB109_295:
	s_wait_xcnt 0x0
	s_or_b32 exec_lo, exec_lo, s22
	scratch_load_b64 v[96:97], off, off offset:120
	v_cmp_lt_u32_e64 s1, 15, v0
	s_wait_loadcnt 0x0
	ds_store_b64 v1, v[96:97]
	s_wait_storecnt_dscnt 0x0
	s_barrier_signal -1
	s_barrier_wait -1
	s_wait_xcnt 0x0
	s_and_saveexec_b32 s21, s1
	s_cbranch_execz .LBB109_305
; %bb.296:
	s_and_not1_b32 vcc_lo, exec_lo, s3
	s_cbranch_vccnz .LBB109_298
; %bb.297:
	scratch_load_b64 v[96:97], v59, off
	ds_load_b64 v[98:99], v1
	s_wait_loadcnt_dscnt 0x0
	v_pk_mul_f32 v[100:101], v[98:99], v[96:97] op_sel:[1,1] op_sel_hi:[0,1]
	s_delay_alu instid0(VALU_DEP_1) | instskip(SKIP_1) | instid1(VALU_DEP_2)
	v_pk_fma_f32 v[102:103], v[98:99], v[96:97], v[100:101] op_sel_hi:[1,0,1]
	v_pk_fma_f32 v[96:97], v[98:99], v[96:97], v[100:101] neg_lo:[0,0,1] neg_hi:[0,0,1]
	v_mov_b32_e32 v97, v103
	s_cbranch_execz .LBB109_299
	s_branch .LBB109_300
.LBB109_298:
                                        ; implicit-def: $vgpr96_vgpr97
.LBB109_299:
	ds_load_b64 v[96:97], v1
.LBB109_300:
	s_and_saveexec_b32 s22, s0
	s_cbranch_execz .LBB109_304
; %bb.301:
	v_add_nc_u32_e32 v98, -16, v0
	s_movk_i32 s23, 0x1f0
	s_mov_b32 s0, 0
.LBB109_302:                            ; =>This Inner Loop Header: Depth=1
	scratch_load_b64 v[100:101], off, s20
	v_dual_mov_b32 v99, s23 :: v_dual_add_nc_u32 v98, -1, v98
	s_add_co_i32 s23, s23, 8
	s_wait_xcnt 0x0
	s_add_co_i32 s20, s20, 8
	ds_load_b64 v[102:103], v99
	v_cmp_eq_u32_e32 vcc_lo, 0, v98
	s_or_b32 s0, vcc_lo, s0
	s_wait_loadcnt_dscnt 0x0
	v_pk_mul_f32 v[104:105], v[102:103], v[100:101] op_sel:[1,1] op_sel_hi:[0,1]
	s_delay_alu instid0(VALU_DEP_1) | instskip(SKIP_1) | instid1(VALU_DEP_2)
	v_pk_fma_f32 v[106:107], v[102:103], v[100:101], v[104:105] op_sel_hi:[1,0,1]
	v_pk_fma_f32 v[100:101], v[102:103], v[100:101], v[104:105] neg_lo:[0,0,1] neg_hi:[0,0,1]
	v_mov_b32_e32 v101, v107
	s_delay_alu instid0(VALU_DEP_1)
	v_pk_add_f32 v[96:97], v[96:97], v[100:101]
	s_and_not1_b32 exec_lo, exec_lo, s0
	s_cbranch_execnz .LBB109_302
; %bb.303:
	s_or_b32 exec_lo, exec_lo, s0
.LBB109_304:
	s_delay_alu instid0(SALU_CYCLE_1) | instskip(SKIP_4) | instid1(VALU_DEP_1)
	s_or_b32 exec_lo, exec_lo, s22
	v_mov_b32_e32 v98, 0
	ds_load_b64 v[98:99], v98 offset:120
	s_wait_dscnt 0x0
	v_pk_mul_f32 v[100:101], v[96:97], v[98:99] op_sel:[1,1] op_sel_hi:[0,1]
	v_pk_fma_f32 v[102:103], v[96:97], v[98:99], v[100:101] op_sel_hi:[1,0,1]
	v_pk_fma_f32 v[96:97], v[96:97], v[98:99], v[100:101] neg_lo:[0,0,1] neg_hi:[0,0,1]
	s_delay_alu instid0(VALU_DEP_2)
	v_mov_b32_e32 v97, v103
	scratch_store_b64 off, v[96:97], off offset:120
.LBB109_305:
	s_wait_xcnt 0x0
	s_or_b32 exec_lo, exec_lo, s21
	scratch_load_b64 v[96:97], off, off offset:112
	v_cmp_lt_u32_e64 s0, 14, v0
	s_wait_loadcnt 0x0
	ds_store_b64 v1, v[96:97]
	s_wait_storecnt_dscnt 0x0
	s_barrier_signal -1
	s_barrier_wait -1
	s_wait_xcnt 0x0
	s_and_saveexec_b32 s20, s0
	s_cbranch_execz .LBB109_315
; %bb.306:
	s_and_not1_b32 vcc_lo, exec_lo, s3
	s_cbranch_vccnz .LBB109_308
; %bb.307:
	scratch_load_b64 v[96:97], v59, off
	ds_load_b64 v[98:99], v1
	s_wait_loadcnt_dscnt 0x0
	v_pk_mul_f32 v[100:101], v[98:99], v[96:97] op_sel:[1,1] op_sel_hi:[0,1]
	s_delay_alu instid0(VALU_DEP_1) | instskip(SKIP_1) | instid1(VALU_DEP_2)
	v_pk_fma_f32 v[102:103], v[98:99], v[96:97], v[100:101] op_sel_hi:[1,0,1]
	v_pk_fma_f32 v[96:97], v[98:99], v[96:97], v[100:101] neg_lo:[0,0,1] neg_hi:[0,0,1]
	v_mov_b32_e32 v97, v103
	s_cbranch_execz .LBB109_309
	s_branch .LBB109_310
.LBB109_308:
                                        ; implicit-def: $vgpr96_vgpr97
.LBB109_309:
	ds_load_b64 v[96:97], v1
.LBB109_310:
	s_and_saveexec_b32 s21, s1
	s_cbranch_execz .LBB109_314
; %bb.311:
	v_add_nc_u32_e32 v98, -15, v0
	s_movk_i32 s22, 0x1e8
	s_mov_b32 s1, 0
.LBB109_312:                            ; =>This Inner Loop Header: Depth=1
	scratch_load_b64 v[100:101], off, s19
	v_dual_mov_b32 v99, s22 :: v_dual_add_nc_u32 v98, -1, v98
	s_add_co_i32 s22, s22, 8
	s_wait_xcnt 0x0
	s_add_co_i32 s19, s19, 8
	ds_load_b64 v[102:103], v99
	v_cmp_eq_u32_e32 vcc_lo, 0, v98
	s_or_b32 s1, vcc_lo, s1
	s_wait_loadcnt_dscnt 0x0
	v_pk_mul_f32 v[104:105], v[102:103], v[100:101] op_sel:[1,1] op_sel_hi:[0,1]
	s_delay_alu instid0(VALU_DEP_1) | instskip(SKIP_1) | instid1(VALU_DEP_2)
	v_pk_fma_f32 v[106:107], v[102:103], v[100:101], v[104:105] op_sel_hi:[1,0,1]
	v_pk_fma_f32 v[100:101], v[102:103], v[100:101], v[104:105] neg_lo:[0,0,1] neg_hi:[0,0,1]
	v_mov_b32_e32 v101, v107
	s_delay_alu instid0(VALU_DEP_1)
	v_pk_add_f32 v[96:97], v[96:97], v[100:101]
	s_and_not1_b32 exec_lo, exec_lo, s1
	s_cbranch_execnz .LBB109_312
; %bb.313:
	s_or_b32 exec_lo, exec_lo, s1
.LBB109_314:
	s_delay_alu instid0(SALU_CYCLE_1) | instskip(SKIP_4) | instid1(VALU_DEP_1)
	s_or_b32 exec_lo, exec_lo, s21
	v_mov_b32_e32 v98, 0
	ds_load_b64 v[98:99], v98 offset:112
	s_wait_dscnt 0x0
	v_pk_mul_f32 v[100:101], v[96:97], v[98:99] op_sel:[1,1] op_sel_hi:[0,1]
	v_pk_fma_f32 v[102:103], v[96:97], v[98:99], v[100:101] op_sel_hi:[1,0,1]
	v_pk_fma_f32 v[96:97], v[96:97], v[98:99], v[100:101] neg_lo:[0,0,1] neg_hi:[0,0,1]
	s_delay_alu instid0(VALU_DEP_2)
	v_mov_b32_e32 v97, v103
	scratch_store_b64 off, v[96:97], off offset:112
.LBB109_315:
	s_wait_xcnt 0x0
	s_or_b32 exec_lo, exec_lo, s20
	scratch_load_b64 v[96:97], off, off offset:104
	v_cmp_lt_u32_e64 s1, 13, v0
	s_wait_loadcnt 0x0
	ds_store_b64 v1, v[96:97]
	s_wait_storecnt_dscnt 0x0
	s_barrier_signal -1
	s_barrier_wait -1
	s_wait_xcnt 0x0
	s_and_saveexec_b32 s19, s1
	s_cbranch_execz .LBB109_325
; %bb.316:
	s_and_not1_b32 vcc_lo, exec_lo, s3
	s_cbranch_vccnz .LBB109_318
; %bb.317:
	scratch_load_b64 v[96:97], v59, off
	ds_load_b64 v[98:99], v1
	s_wait_loadcnt_dscnt 0x0
	v_pk_mul_f32 v[100:101], v[98:99], v[96:97] op_sel:[1,1] op_sel_hi:[0,1]
	s_delay_alu instid0(VALU_DEP_1) | instskip(SKIP_1) | instid1(VALU_DEP_2)
	v_pk_fma_f32 v[102:103], v[98:99], v[96:97], v[100:101] op_sel_hi:[1,0,1]
	v_pk_fma_f32 v[96:97], v[98:99], v[96:97], v[100:101] neg_lo:[0,0,1] neg_hi:[0,0,1]
	v_mov_b32_e32 v97, v103
	s_cbranch_execz .LBB109_319
	s_branch .LBB109_320
.LBB109_318:
                                        ; implicit-def: $vgpr96_vgpr97
.LBB109_319:
	ds_load_b64 v[96:97], v1
.LBB109_320:
	s_and_saveexec_b32 s20, s0
	s_cbranch_execz .LBB109_324
; %bb.321:
	v_add_nc_u32_e32 v98, -14, v0
	s_movk_i32 s21, 0x1e0
	s_mov_b32 s0, 0
.LBB109_322:                            ; =>This Inner Loop Header: Depth=1
	scratch_load_b64 v[100:101], off, s18
	v_dual_mov_b32 v99, s21 :: v_dual_add_nc_u32 v98, -1, v98
	s_add_co_i32 s21, s21, 8
	s_wait_xcnt 0x0
	s_add_co_i32 s18, s18, 8
	ds_load_b64 v[102:103], v99
	v_cmp_eq_u32_e32 vcc_lo, 0, v98
	s_or_b32 s0, vcc_lo, s0
	s_wait_loadcnt_dscnt 0x0
	v_pk_mul_f32 v[104:105], v[102:103], v[100:101] op_sel:[1,1] op_sel_hi:[0,1]
	s_delay_alu instid0(VALU_DEP_1) | instskip(SKIP_1) | instid1(VALU_DEP_2)
	v_pk_fma_f32 v[106:107], v[102:103], v[100:101], v[104:105] op_sel_hi:[1,0,1]
	v_pk_fma_f32 v[100:101], v[102:103], v[100:101], v[104:105] neg_lo:[0,0,1] neg_hi:[0,0,1]
	v_mov_b32_e32 v101, v107
	s_delay_alu instid0(VALU_DEP_1)
	v_pk_add_f32 v[96:97], v[96:97], v[100:101]
	s_and_not1_b32 exec_lo, exec_lo, s0
	s_cbranch_execnz .LBB109_322
; %bb.323:
	s_or_b32 exec_lo, exec_lo, s0
.LBB109_324:
	s_delay_alu instid0(SALU_CYCLE_1) | instskip(SKIP_4) | instid1(VALU_DEP_1)
	s_or_b32 exec_lo, exec_lo, s20
	v_mov_b32_e32 v98, 0
	ds_load_b64 v[98:99], v98 offset:104
	s_wait_dscnt 0x0
	v_pk_mul_f32 v[100:101], v[96:97], v[98:99] op_sel:[1,1] op_sel_hi:[0,1]
	v_pk_fma_f32 v[102:103], v[96:97], v[98:99], v[100:101] op_sel_hi:[1,0,1]
	v_pk_fma_f32 v[96:97], v[96:97], v[98:99], v[100:101] neg_lo:[0,0,1] neg_hi:[0,0,1]
	s_delay_alu instid0(VALU_DEP_2)
	v_mov_b32_e32 v97, v103
	scratch_store_b64 off, v[96:97], off offset:104
.LBB109_325:
	s_wait_xcnt 0x0
	s_or_b32 exec_lo, exec_lo, s19
	scratch_load_b64 v[96:97], off, off offset:96
	v_cmp_lt_u32_e64 s0, 12, v0
	s_wait_loadcnt 0x0
	ds_store_b64 v1, v[96:97]
	s_wait_storecnt_dscnt 0x0
	s_barrier_signal -1
	s_barrier_wait -1
	s_wait_xcnt 0x0
	s_and_saveexec_b32 s18, s0
	s_cbranch_execz .LBB109_335
; %bb.326:
	s_and_not1_b32 vcc_lo, exec_lo, s3
	s_cbranch_vccnz .LBB109_328
; %bb.327:
	scratch_load_b64 v[96:97], v59, off
	ds_load_b64 v[98:99], v1
	s_wait_loadcnt_dscnt 0x0
	v_pk_mul_f32 v[100:101], v[98:99], v[96:97] op_sel:[1,1] op_sel_hi:[0,1]
	s_delay_alu instid0(VALU_DEP_1) | instskip(SKIP_1) | instid1(VALU_DEP_2)
	v_pk_fma_f32 v[102:103], v[98:99], v[96:97], v[100:101] op_sel_hi:[1,0,1]
	v_pk_fma_f32 v[96:97], v[98:99], v[96:97], v[100:101] neg_lo:[0,0,1] neg_hi:[0,0,1]
	v_mov_b32_e32 v97, v103
	s_cbranch_execz .LBB109_329
	s_branch .LBB109_330
.LBB109_328:
                                        ; implicit-def: $vgpr96_vgpr97
.LBB109_329:
	ds_load_b64 v[96:97], v1
.LBB109_330:
	s_and_saveexec_b32 s19, s1
	s_cbranch_execz .LBB109_334
; %bb.331:
	v_add_nc_u32_e32 v98, -13, v0
	s_movk_i32 s20, 0x1d8
	s_mov_b32 s1, 0
.LBB109_332:                            ; =>This Inner Loop Header: Depth=1
	scratch_load_b64 v[100:101], off, s17
	v_dual_mov_b32 v99, s20 :: v_dual_add_nc_u32 v98, -1, v98
	s_add_co_i32 s20, s20, 8
	s_wait_xcnt 0x0
	s_add_co_i32 s17, s17, 8
	ds_load_b64 v[102:103], v99
	v_cmp_eq_u32_e32 vcc_lo, 0, v98
	s_or_b32 s1, vcc_lo, s1
	s_wait_loadcnt_dscnt 0x0
	v_pk_mul_f32 v[104:105], v[102:103], v[100:101] op_sel:[1,1] op_sel_hi:[0,1]
	s_delay_alu instid0(VALU_DEP_1) | instskip(SKIP_1) | instid1(VALU_DEP_2)
	v_pk_fma_f32 v[106:107], v[102:103], v[100:101], v[104:105] op_sel_hi:[1,0,1]
	v_pk_fma_f32 v[100:101], v[102:103], v[100:101], v[104:105] neg_lo:[0,0,1] neg_hi:[0,0,1]
	v_mov_b32_e32 v101, v107
	s_delay_alu instid0(VALU_DEP_1)
	v_pk_add_f32 v[96:97], v[96:97], v[100:101]
	s_and_not1_b32 exec_lo, exec_lo, s1
	s_cbranch_execnz .LBB109_332
; %bb.333:
	s_or_b32 exec_lo, exec_lo, s1
.LBB109_334:
	s_delay_alu instid0(SALU_CYCLE_1) | instskip(SKIP_4) | instid1(VALU_DEP_1)
	s_or_b32 exec_lo, exec_lo, s19
	v_mov_b32_e32 v98, 0
	ds_load_b64 v[98:99], v98 offset:96
	s_wait_dscnt 0x0
	v_pk_mul_f32 v[100:101], v[96:97], v[98:99] op_sel:[1,1] op_sel_hi:[0,1]
	v_pk_fma_f32 v[102:103], v[96:97], v[98:99], v[100:101] op_sel_hi:[1,0,1]
	v_pk_fma_f32 v[96:97], v[96:97], v[98:99], v[100:101] neg_lo:[0,0,1] neg_hi:[0,0,1]
	s_delay_alu instid0(VALU_DEP_2)
	v_mov_b32_e32 v97, v103
	scratch_store_b64 off, v[96:97], off offset:96
.LBB109_335:
	s_wait_xcnt 0x0
	s_or_b32 exec_lo, exec_lo, s18
	scratch_load_b64 v[96:97], off, off offset:88
	v_cmp_lt_u32_e64 s1, 11, v0
	s_wait_loadcnt 0x0
	ds_store_b64 v1, v[96:97]
	s_wait_storecnt_dscnt 0x0
	s_barrier_signal -1
	s_barrier_wait -1
	s_wait_xcnt 0x0
	s_and_saveexec_b32 s17, s1
	s_cbranch_execz .LBB109_345
; %bb.336:
	s_and_not1_b32 vcc_lo, exec_lo, s3
	s_cbranch_vccnz .LBB109_338
; %bb.337:
	scratch_load_b64 v[96:97], v59, off
	ds_load_b64 v[98:99], v1
	s_wait_loadcnt_dscnt 0x0
	v_pk_mul_f32 v[100:101], v[98:99], v[96:97] op_sel:[1,1] op_sel_hi:[0,1]
	s_delay_alu instid0(VALU_DEP_1) | instskip(SKIP_1) | instid1(VALU_DEP_2)
	v_pk_fma_f32 v[102:103], v[98:99], v[96:97], v[100:101] op_sel_hi:[1,0,1]
	v_pk_fma_f32 v[96:97], v[98:99], v[96:97], v[100:101] neg_lo:[0,0,1] neg_hi:[0,0,1]
	v_mov_b32_e32 v97, v103
	s_cbranch_execz .LBB109_339
	s_branch .LBB109_340
.LBB109_338:
                                        ; implicit-def: $vgpr96_vgpr97
.LBB109_339:
	ds_load_b64 v[96:97], v1
.LBB109_340:
	s_and_saveexec_b32 s18, s0
	s_cbranch_execz .LBB109_344
; %bb.341:
	v_add_nc_u32_e32 v98, -12, v0
	s_movk_i32 s19, 0x1d0
	s_mov_b32 s0, 0
.LBB109_342:                            ; =>This Inner Loop Header: Depth=1
	scratch_load_b64 v[100:101], off, s16
	v_dual_mov_b32 v99, s19 :: v_dual_add_nc_u32 v98, -1, v98
	s_add_co_i32 s19, s19, 8
	s_wait_xcnt 0x0
	s_add_co_i32 s16, s16, 8
	ds_load_b64 v[102:103], v99
	v_cmp_eq_u32_e32 vcc_lo, 0, v98
	s_or_b32 s0, vcc_lo, s0
	s_wait_loadcnt_dscnt 0x0
	v_pk_mul_f32 v[104:105], v[102:103], v[100:101] op_sel:[1,1] op_sel_hi:[0,1]
	s_delay_alu instid0(VALU_DEP_1) | instskip(SKIP_1) | instid1(VALU_DEP_2)
	v_pk_fma_f32 v[106:107], v[102:103], v[100:101], v[104:105] op_sel_hi:[1,0,1]
	v_pk_fma_f32 v[100:101], v[102:103], v[100:101], v[104:105] neg_lo:[0,0,1] neg_hi:[0,0,1]
	v_mov_b32_e32 v101, v107
	s_delay_alu instid0(VALU_DEP_1)
	v_pk_add_f32 v[96:97], v[96:97], v[100:101]
	s_and_not1_b32 exec_lo, exec_lo, s0
	s_cbranch_execnz .LBB109_342
; %bb.343:
	s_or_b32 exec_lo, exec_lo, s0
.LBB109_344:
	s_delay_alu instid0(SALU_CYCLE_1) | instskip(SKIP_4) | instid1(VALU_DEP_1)
	s_or_b32 exec_lo, exec_lo, s18
	v_mov_b32_e32 v98, 0
	ds_load_b64 v[98:99], v98 offset:88
	s_wait_dscnt 0x0
	v_pk_mul_f32 v[100:101], v[96:97], v[98:99] op_sel:[1,1] op_sel_hi:[0,1]
	v_pk_fma_f32 v[102:103], v[96:97], v[98:99], v[100:101] op_sel_hi:[1,0,1]
	v_pk_fma_f32 v[96:97], v[96:97], v[98:99], v[100:101] neg_lo:[0,0,1] neg_hi:[0,0,1]
	s_delay_alu instid0(VALU_DEP_2)
	v_mov_b32_e32 v97, v103
	scratch_store_b64 off, v[96:97], off offset:88
.LBB109_345:
	s_wait_xcnt 0x0
	s_or_b32 exec_lo, exec_lo, s17
	scratch_load_b64 v[96:97], off, off offset:80
	v_cmp_lt_u32_e64 s0, 10, v0
	s_wait_loadcnt 0x0
	ds_store_b64 v1, v[96:97]
	s_wait_storecnt_dscnt 0x0
	s_barrier_signal -1
	s_barrier_wait -1
	s_wait_xcnt 0x0
	s_and_saveexec_b32 s16, s0
	s_cbranch_execz .LBB109_355
; %bb.346:
	s_and_not1_b32 vcc_lo, exec_lo, s3
	s_cbranch_vccnz .LBB109_348
; %bb.347:
	scratch_load_b64 v[96:97], v59, off
	ds_load_b64 v[98:99], v1
	s_wait_loadcnt_dscnt 0x0
	v_pk_mul_f32 v[100:101], v[98:99], v[96:97] op_sel:[1,1] op_sel_hi:[0,1]
	s_delay_alu instid0(VALU_DEP_1) | instskip(SKIP_1) | instid1(VALU_DEP_2)
	v_pk_fma_f32 v[102:103], v[98:99], v[96:97], v[100:101] op_sel_hi:[1,0,1]
	v_pk_fma_f32 v[96:97], v[98:99], v[96:97], v[100:101] neg_lo:[0,0,1] neg_hi:[0,0,1]
	v_mov_b32_e32 v97, v103
	s_cbranch_execz .LBB109_349
	s_branch .LBB109_350
.LBB109_348:
                                        ; implicit-def: $vgpr96_vgpr97
.LBB109_349:
	ds_load_b64 v[96:97], v1
.LBB109_350:
	s_and_saveexec_b32 s17, s1
	s_cbranch_execz .LBB109_354
; %bb.351:
	v_add_nc_u32_e32 v98, -11, v0
	s_movk_i32 s18, 0x1c8
	s_mov_b32 s1, 0
.LBB109_352:                            ; =>This Inner Loop Header: Depth=1
	scratch_load_b64 v[100:101], off, s15
	v_dual_mov_b32 v99, s18 :: v_dual_add_nc_u32 v98, -1, v98
	s_add_co_i32 s18, s18, 8
	s_wait_xcnt 0x0
	s_add_co_i32 s15, s15, 8
	ds_load_b64 v[102:103], v99
	v_cmp_eq_u32_e32 vcc_lo, 0, v98
	s_or_b32 s1, vcc_lo, s1
	s_wait_loadcnt_dscnt 0x0
	v_pk_mul_f32 v[104:105], v[102:103], v[100:101] op_sel:[1,1] op_sel_hi:[0,1]
	s_delay_alu instid0(VALU_DEP_1) | instskip(SKIP_1) | instid1(VALU_DEP_2)
	v_pk_fma_f32 v[106:107], v[102:103], v[100:101], v[104:105] op_sel_hi:[1,0,1]
	v_pk_fma_f32 v[100:101], v[102:103], v[100:101], v[104:105] neg_lo:[0,0,1] neg_hi:[0,0,1]
	v_mov_b32_e32 v101, v107
	s_delay_alu instid0(VALU_DEP_1)
	v_pk_add_f32 v[96:97], v[96:97], v[100:101]
	s_and_not1_b32 exec_lo, exec_lo, s1
	s_cbranch_execnz .LBB109_352
; %bb.353:
	s_or_b32 exec_lo, exec_lo, s1
.LBB109_354:
	s_delay_alu instid0(SALU_CYCLE_1) | instskip(SKIP_4) | instid1(VALU_DEP_1)
	s_or_b32 exec_lo, exec_lo, s17
	v_mov_b32_e32 v98, 0
	ds_load_b64 v[98:99], v98 offset:80
	s_wait_dscnt 0x0
	v_pk_mul_f32 v[100:101], v[96:97], v[98:99] op_sel:[1,1] op_sel_hi:[0,1]
	v_pk_fma_f32 v[102:103], v[96:97], v[98:99], v[100:101] op_sel_hi:[1,0,1]
	v_pk_fma_f32 v[96:97], v[96:97], v[98:99], v[100:101] neg_lo:[0,0,1] neg_hi:[0,0,1]
	s_delay_alu instid0(VALU_DEP_2)
	v_mov_b32_e32 v97, v103
	scratch_store_b64 off, v[96:97], off offset:80
.LBB109_355:
	s_wait_xcnt 0x0
	s_or_b32 exec_lo, exec_lo, s16
	scratch_load_b64 v[96:97], off, off offset:72
	v_cmp_lt_u32_e64 s1, 9, v0
	s_wait_loadcnt 0x0
	ds_store_b64 v1, v[96:97]
	s_wait_storecnt_dscnt 0x0
	s_barrier_signal -1
	s_barrier_wait -1
	s_wait_xcnt 0x0
	s_and_saveexec_b32 s15, s1
	s_cbranch_execz .LBB109_365
; %bb.356:
	s_and_not1_b32 vcc_lo, exec_lo, s3
	s_cbranch_vccnz .LBB109_358
; %bb.357:
	scratch_load_b64 v[96:97], v59, off
	ds_load_b64 v[98:99], v1
	s_wait_loadcnt_dscnt 0x0
	v_pk_mul_f32 v[100:101], v[98:99], v[96:97] op_sel:[1,1] op_sel_hi:[0,1]
	s_delay_alu instid0(VALU_DEP_1) | instskip(SKIP_1) | instid1(VALU_DEP_2)
	v_pk_fma_f32 v[102:103], v[98:99], v[96:97], v[100:101] op_sel_hi:[1,0,1]
	v_pk_fma_f32 v[96:97], v[98:99], v[96:97], v[100:101] neg_lo:[0,0,1] neg_hi:[0,0,1]
	v_mov_b32_e32 v97, v103
	s_cbranch_execz .LBB109_359
	s_branch .LBB109_360
.LBB109_358:
                                        ; implicit-def: $vgpr96_vgpr97
.LBB109_359:
	ds_load_b64 v[96:97], v1
.LBB109_360:
	s_and_saveexec_b32 s16, s0
	s_cbranch_execz .LBB109_364
; %bb.361:
	v_add_nc_u32_e32 v98, -10, v0
	s_movk_i32 s17, 0x1c0
	s_mov_b32 s0, 0
.LBB109_362:                            ; =>This Inner Loop Header: Depth=1
	scratch_load_b64 v[100:101], off, s14
	v_dual_mov_b32 v99, s17 :: v_dual_add_nc_u32 v98, -1, v98
	s_add_co_i32 s17, s17, 8
	s_wait_xcnt 0x0
	s_add_co_i32 s14, s14, 8
	ds_load_b64 v[102:103], v99
	v_cmp_eq_u32_e32 vcc_lo, 0, v98
	s_or_b32 s0, vcc_lo, s0
	s_wait_loadcnt_dscnt 0x0
	v_pk_mul_f32 v[104:105], v[102:103], v[100:101] op_sel:[1,1] op_sel_hi:[0,1]
	s_delay_alu instid0(VALU_DEP_1) | instskip(SKIP_1) | instid1(VALU_DEP_2)
	v_pk_fma_f32 v[106:107], v[102:103], v[100:101], v[104:105] op_sel_hi:[1,0,1]
	v_pk_fma_f32 v[100:101], v[102:103], v[100:101], v[104:105] neg_lo:[0,0,1] neg_hi:[0,0,1]
	v_mov_b32_e32 v101, v107
	s_delay_alu instid0(VALU_DEP_1)
	v_pk_add_f32 v[96:97], v[96:97], v[100:101]
	s_and_not1_b32 exec_lo, exec_lo, s0
	s_cbranch_execnz .LBB109_362
; %bb.363:
	s_or_b32 exec_lo, exec_lo, s0
.LBB109_364:
	s_delay_alu instid0(SALU_CYCLE_1) | instskip(SKIP_4) | instid1(VALU_DEP_1)
	s_or_b32 exec_lo, exec_lo, s16
	v_mov_b32_e32 v98, 0
	ds_load_b64 v[98:99], v98 offset:72
	s_wait_dscnt 0x0
	v_pk_mul_f32 v[100:101], v[96:97], v[98:99] op_sel:[1,1] op_sel_hi:[0,1]
	v_pk_fma_f32 v[102:103], v[96:97], v[98:99], v[100:101] op_sel_hi:[1,0,1]
	v_pk_fma_f32 v[96:97], v[96:97], v[98:99], v[100:101] neg_lo:[0,0,1] neg_hi:[0,0,1]
	s_delay_alu instid0(VALU_DEP_2)
	v_mov_b32_e32 v97, v103
	scratch_store_b64 off, v[96:97], off offset:72
.LBB109_365:
	s_wait_xcnt 0x0
	s_or_b32 exec_lo, exec_lo, s15
	scratch_load_b64 v[96:97], off, off offset:64
	v_cmp_lt_u32_e64 s0, 8, v0
	s_wait_loadcnt 0x0
	ds_store_b64 v1, v[96:97]
	s_wait_storecnt_dscnt 0x0
	s_barrier_signal -1
	s_barrier_wait -1
	s_wait_xcnt 0x0
	s_and_saveexec_b32 s14, s0
	s_cbranch_execz .LBB109_375
; %bb.366:
	s_and_not1_b32 vcc_lo, exec_lo, s3
	s_cbranch_vccnz .LBB109_368
; %bb.367:
	scratch_load_b64 v[96:97], v59, off
	ds_load_b64 v[98:99], v1
	s_wait_loadcnt_dscnt 0x0
	v_pk_mul_f32 v[100:101], v[98:99], v[96:97] op_sel:[1,1] op_sel_hi:[0,1]
	s_delay_alu instid0(VALU_DEP_1) | instskip(SKIP_1) | instid1(VALU_DEP_2)
	v_pk_fma_f32 v[102:103], v[98:99], v[96:97], v[100:101] op_sel_hi:[1,0,1]
	v_pk_fma_f32 v[96:97], v[98:99], v[96:97], v[100:101] neg_lo:[0,0,1] neg_hi:[0,0,1]
	v_mov_b32_e32 v97, v103
	s_cbranch_execz .LBB109_369
	s_branch .LBB109_370
.LBB109_368:
                                        ; implicit-def: $vgpr96_vgpr97
.LBB109_369:
	ds_load_b64 v[96:97], v1
.LBB109_370:
	s_and_saveexec_b32 s15, s1
	s_cbranch_execz .LBB109_374
; %bb.371:
	v_add_nc_u32_e32 v98, -9, v0
	s_movk_i32 s16, 0x1b8
	s_mov_b32 s1, 0
.LBB109_372:                            ; =>This Inner Loop Header: Depth=1
	scratch_load_b64 v[100:101], off, s13
	v_dual_mov_b32 v99, s16 :: v_dual_add_nc_u32 v98, -1, v98
	s_add_co_i32 s16, s16, 8
	s_wait_xcnt 0x0
	s_add_co_i32 s13, s13, 8
	ds_load_b64 v[102:103], v99
	v_cmp_eq_u32_e32 vcc_lo, 0, v98
	s_or_b32 s1, vcc_lo, s1
	s_wait_loadcnt_dscnt 0x0
	v_pk_mul_f32 v[104:105], v[102:103], v[100:101] op_sel:[1,1] op_sel_hi:[0,1]
	s_delay_alu instid0(VALU_DEP_1) | instskip(SKIP_1) | instid1(VALU_DEP_2)
	v_pk_fma_f32 v[106:107], v[102:103], v[100:101], v[104:105] op_sel_hi:[1,0,1]
	v_pk_fma_f32 v[100:101], v[102:103], v[100:101], v[104:105] neg_lo:[0,0,1] neg_hi:[0,0,1]
	v_mov_b32_e32 v101, v107
	s_delay_alu instid0(VALU_DEP_1)
	v_pk_add_f32 v[96:97], v[96:97], v[100:101]
	s_and_not1_b32 exec_lo, exec_lo, s1
	s_cbranch_execnz .LBB109_372
; %bb.373:
	s_or_b32 exec_lo, exec_lo, s1
.LBB109_374:
	s_delay_alu instid0(SALU_CYCLE_1) | instskip(SKIP_4) | instid1(VALU_DEP_1)
	s_or_b32 exec_lo, exec_lo, s15
	v_mov_b32_e32 v98, 0
	ds_load_b64 v[98:99], v98 offset:64
	s_wait_dscnt 0x0
	v_pk_mul_f32 v[100:101], v[96:97], v[98:99] op_sel:[1,1] op_sel_hi:[0,1]
	v_pk_fma_f32 v[102:103], v[96:97], v[98:99], v[100:101] op_sel_hi:[1,0,1]
	v_pk_fma_f32 v[96:97], v[96:97], v[98:99], v[100:101] neg_lo:[0,0,1] neg_hi:[0,0,1]
	s_delay_alu instid0(VALU_DEP_2)
	v_mov_b32_e32 v97, v103
	scratch_store_b64 off, v[96:97], off offset:64
.LBB109_375:
	s_wait_xcnt 0x0
	s_or_b32 exec_lo, exec_lo, s14
	scratch_load_b64 v[96:97], off, off offset:56
	v_cmp_lt_u32_e64 s1, 7, v0
	s_wait_loadcnt 0x0
	ds_store_b64 v1, v[96:97]
	s_wait_storecnt_dscnt 0x0
	s_barrier_signal -1
	s_barrier_wait -1
	s_wait_xcnt 0x0
	s_and_saveexec_b32 s13, s1
	s_cbranch_execz .LBB109_385
; %bb.376:
	s_and_not1_b32 vcc_lo, exec_lo, s3
	s_cbranch_vccnz .LBB109_378
; %bb.377:
	scratch_load_b64 v[96:97], v59, off
	ds_load_b64 v[98:99], v1
	s_wait_loadcnt_dscnt 0x0
	v_pk_mul_f32 v[100:101], v[98:99], v[96:97] op_sel:[1,1] op_sel_hi:[0,1]
	s_delay_alu instid0(VALU_DEP_1) | instskip(SKIP_1) | instid1(VALU_DEP_2)
	v_pk_fma_f32 v[102:103], v[98:99], v[96:97], v[100:101] op_sel_hi:[1,0,1]
	v_pk_fma_f32 v[96:97], v[98:99], v[96:97], v[100:101] neg_lo:[0,0,1] neg_hi:[0,0,1]
	v_mov_b32_e32 v97, v103
	s_cbranch_execz .LBB109_379
	s_branch .LBB109_380
.LBB109_378:
                                        ; implicit-def: $vgpr96_vgpr97
.LBB109_379:
	ds_load_b64 v[96:97], v1
.LBB109_380:
	s_and_saveexec_b32 s14, s0
	s_cbranch_execz .LBB109_384
; %bb.381:
	v_add_nc_u32_e32 v98, -8, v0
	s_movk_i32 s15, 0x1b0
	s_mov_b32 s0, 0
.LBB109_382:                            ; =>This Inner Loop Header: Depth=1
	scratch_load_b64 v[100:101], off, s12
	v_dual_mov_b32 v99, s15 :: v_dual_add_nc_u32 v98, -1, v98
	s_add_co_i32 s15, s15, 8
	s_wait_xcnt 0x0
	s_add_co_i32 s12, s12, 8
	ds_load_b64 v[102:103], v99
	v_cmp_eq_u32_e32 vcc_lo, 0, v98
	s_or_b32 s0, vcc_lo, s0
	s_wait_loadcnt_dscnt 0x0
	v_pk_mul_f32 v[104:105], v[102:103], v[100:101] op_sel:[1,1] op_sel_hi:[0,1]
	s_delay_alu instid0(VALU_DEP_1) | instskip(SKIP_1) | instid1(VALU_DEP_2)
	v_pk_fma_f32 v[106:107], v[102:103], v[100:101], v[104:105] op_sel_hi:[1,0,1]
	v_pk_fma_f32 v[100:101], v[102:103], v[100:101], v[104:105] neg_lo:[0,0,1] neg_hi:[0,0,1]
	v_mov_b32_e32 v101, v107
	s_delay_alu instid0(VALU_DEP_1)
	v_pk_add_f32 v[96:97], v[96:97], v[100:101]
	s_and_not1_b32 exec_lo, exec_lo, s0
	s_cbranch_execnz .LBB109_382
; %bb.383:
	s_or_b32 exec_lo, exec_lo, s0
.LBB109_384:
	s_delay_alu instid0(SALU_CYCLE_1) | instskip(SKIP_4) | instid1(VALU_DEP_1)
	s_or_b32 exec_lo, exec_lo, s14
	v_mov_b32_e32 v98, 0
	ds_load_b64 v[98:99], v98 offset:56
	s_wait_dscnt 0x0
	v_pk_mul_f32 v[100:101], v[96:97], v[98:99] op_sel:[1,1] op_sel_hi:[0,1]
	v_pk_fma_f32 v[102:103], v[96:97], v[98:99], v[100:101] op_sel_hi:[1,0,1]
	v_pk_fma_f32 v[96:97], v[96:97], v[98:99], v[100:101] neg_lo:[0,0,1] neg_hi:[0,0,1]
	s_delay_alu instid0(VALU_DEP_2)
	v_mov_b32_e32 v97, v103
	scratch_store_b64 off, v[96:97], off offset:56
.LBB109_385:
	s_wait_xcnt 0x0
	s_or_b32 exec_lo, exec_lo, s13
	scratch_load_b64 v[96:97], off, off offset:48
	v_cmp_lt_u32_e64 s0, 6, v0
	s_wait_loadcnt 0x0
	ds_store_b64 v1, v[96:97]
	s_wait_storecnt_dscnt 0x0
	s_barrier_signal -1
	s_barrier_wait -1
	s_wait_xcnt 0x0
	s_and_saveexec_b32 s12, s0
	s_cbranch_execz .LBB109_395
; %bb.386:
	s_and_not1_b32 vcc_lo, exec_lo, s3
	s_cbranch_vccnz .LBB109_388
; %bb.387:
	scratch_load_b64 v[96:97], v59, off
	ds_load_b64 v[98:99], v1
	s_wait_loadcnt_dscnt 0x0
	v_pk_mul_f32 v[100:101], v[98:99], v[96:97] op_sel:[1,1] op_sel_hi:[0,1]
	s_delay_alu instid0(VALU_DEP_1) | instskip(SKIP_1) | instid1(VALU_DEP_2)
	v_pk_fma_f32 v[102:103], v[98:99], v[96:97], v[100:101] op_sel_hi:[1,0,1]
	v_pk_fma_f32 v[96:97], v[98:99], v[96:97], v[100:101] neg_lo:[0,0,1] neg_hi:[0,0,1]
	v_mov_b32_e32 v97, v103
	s_cbranch_execz .LBB109_389
	s_branch .LBB109_390
.LBB109_388:
                                        ; implicit-def: $vgpr96_vgpr97
.LBB109_389:
	ds_load_b64 v[96:97], v1
.LBB109_390:
	s_and_saveexec_b32 s13, s1
	s_cbranch_execz .LBB109_394
; %bb.391:
	v_add_nc_u32_e32 v98, -7, v0
	s_movk_i32 s14, 0x1a8
	s_mov_b32 s1, 0
.LBB109_392:                            ; =>This Inner Loop Header: Depth=1
	scratch_load_b64 v[100:101], off, s11
	v_dual_mov_b32 v99, s14 :: v_dual_add_nc_u32 v98, -1, v98
	s_add_co_i32 s14, s14, 8
	s_wait_xcnt 0x0
	s_add_co_i32 s11, s11, 8
	ds_load_b64 v[102:103], v99
	v_cmp_eq_u32_e32 vcc_lo, 0, v98
	s_or_b32 s1, vcc_lo, s1
	s_wait_loadcnt_dscnt 0x0
	v_pk_mul_f32 v[104:105], v[102:103], v[100:101] op_sel:[1,1] op_sel_hi:[0,1]
	s_delay_alu instid0(VALU_DEP_1) | instskip(SKIP_1) | instid1(VALU_DEP_2)
	v_pk_fma_f32 v[106:107], v[102:103], v[100:101], v[104:105] op_sel_hi:[1,0,1]
	v_pk_fma_f32 v[100:101], v[102:103], v[100:101], v[104:105] neg_lo:[0,0,1] neg_hi:[0,0,1]
	v_mov_b32_e32 v101, v107
	s_delay_alu instid0(VALU_DEP_1)
	v_pk_add_f32 v[96:97], v[96:97], v[100:101]
	s_and_not1_b32 exec_lo, exec_lo, s1
	s_cbranch_execnz .LBB109_392
; %bb.393:
	s_or_b32 exec_lo, exec_lo, s1
.LBB109_394:
	s_delay_alu instid0(SALU_CYCLE_1) | instskip(SKIP_4) | instid1(VALU_DEP_1)
	s_or_b32 exec_lo, exec_lo, s13
	v_mov_b32_e32 v98, 0
	ds_load_b64 v[98:99], v98 offset:48
	s_wait_dscnt 0x0
	v_pk_mul_f32 v[100:101], v[96:97], v[98:99] op_sel:[1,1] op_sel_hi:[0,1]
	v_pk_fma_f32 v[102:103], v[96:97], v[98:99], v[100:101] op_sel_hi:[1,0,1]
	v_pk_fma_f32 v[96:97], v[96:97], v[98:99], v[100:101] neg_lo:[0,0,1] neg_hi:[0,0,1]
	s_delay_alu instid0(VALU_DEP_2)
	v_mov_b32_e32 v97, v103
	scratch_store_b64 off, v[96:97], off offset:48
.LBB109_395:
	s_wait_xcnt 0x0
	s_or_b32 exec_lo, exec_lo, s12
	scratch_load_b64 v[96:97], off, off offset:40
	v_cmp_lt_u32_e64 s1, 5, v0
	s_wait_loadcnt 0x0
	ds_store_b64 v1, v[96:97]
	s_wait_storecnt_dscnt 0x0
	s_barrier_signal -1
	s_barrier_wait -1
	s_wait_xcnt 0x0
	s_and_saveexec_b32 s11, s1
	s_cbranch_execz .LBB109_405
; %bb.396:
	s_and_not1_b32 vcc_lo, exec_lo, s3
	s_cbranch_vccnz .LBB109_398
; %bb.397:
	scratch_load_b64 v[96:97], v59, off
	ds_load_b64 v[98:99], v1
	s_wait_loadcnt_dscnt 0x0
	v_pk_mul_f32 v[100:101], v[98:99], v[96:97] op_sel:[1,1] op_sel_hi:[0,1]
	s_delay_alu instid0(VALU_DEP_1) | instskip(SKIP_1) | instid1(VALU_DEP_2)
	v_pk_fma_f32 v[102:103], v[98:99], v[96:97], v[100:101] op_sel_hi:[1,0,1]
	v_pk_fma_f32 v[96:97], v[98:99], v[96:97], v[100:101] neg_lo:[0,0,1] neg_hi:[0,0,1]
	v_mov_b32_e32 v97, v103
	s_cbranch_execz .LBB109_399
	s_branch .LBB109_400
.LBB109_398:
                                        ; implicit-def: $vgpr96_vgpr97
.LBB109_399:
	ds_load_b64 v[96:97], v1
.LBB109_400:
	s_and_saveexec_b32 s12, s0
	s_cbranch_execz .LBB109_404
; %bb.401:
	v_add_nc_u32_e32 v98, -6, v0
	s_movk_i32 s13, 0x1a0
	s_mov_b32 s0, 0
.LBB109_402:                            ; =>This Inner Loop Header: Depth=1
	scratch_load_b64 v[100:101], off, s10
	v_dual_mov_b32 v99, s13 :: v_dual_add_nc_u32 v98, -1, v98
	s_add_co_i32 s13, s13, 8
	s_wait_xcnt 0x0
	s_add_co_i32 s10, s10, 8
	ds_load_b64 v[102:103], v99
	v_cmp_eq_u32_e32 vcc_lo, 0, v98
	s_or_b32 s0, vcc_lo, s0
	s_wait_loadcnt_dscnt 0x0
	v_pk_mul_f32 v[104:105], v[102:103], v[100:101] op_sel:[1,1] op_sel_hi:[0,1]
	s_delay_alu instid0(VALU_DEP_1) | instskip(SKIP_1) | instid1(VALU_DEP_2)
	v_pk_fma_f32 v[106:107], v[102:103], v[100:101], v[104:105] op_sel_hi:[1,0,1]
	v_pk_fma_f32 v[100:101], v[102:103], v[100:101], v[104:105] neg_lo:[0,0,1] neg_hi:[0,0,1]
	v_mov_b32_e32 v101, v107
	s_delay_alu instid0(VALU_DEP_1)
	v_pk_add_f32 v[96:97], v[96:97], v[100:101]
	s_and_not1_b32 exec_lo, exec_lo, s0
	s_cbranch_execnz .LBB109_402
; %bb.403:
	s_or_b32 exec_lo, exec_lo, s0
.LBB109_404:
	s_delay_alu instid0(SALU_CYCLE_1) | instskip(SKIP_4) | instid1(VALU_DEP_1)
	s_or_b32 exec_lo, exec_lo, s12
	v_mov_b32_e32 v98, 0
	ds_load_b64 v[98:99], v98 offset:40
	s_wait_dscnt 0x0
	v_pk_mul_f32 v[100:101], v[96:97], v[98:99] op_sel:[1,1] op_sel_hi:[0,1]
	v_pk_fma_f32 v[102:103], v[96:97], v[98:99], v[100:101] op_sel_hi:[1,0,1]
	v_pk_fma_f32 v[96:97], v[96:97], v[98:99], v[100:101] neg_lo:[0,0,1] neg_hi:[0,0,1]
	s_delay_alu instid0(VALU_DEP_2)
	v_mov_b32_e32 v97, v103
	scratch_store_b64 off, v[96:97], off offset:40
.LBB109_405:
	s_wait_xcnt 0x0
	s_or_b32 exec_lo, exec_lo, s11
	scratch_load_b64 v[96:97], off, off offset:32
	v_cmp_lt_u32_e64 s0, 4, v0
	s_wait_loadcnt 0x0
	ds_store_b64 v1, v[96:97]
	s_wait_storecnt_dscnt 0x0
	s_barrier_signal -1
	s_barrier_wait -1
	s_wait_xcnt 0x0
	s_and_saveexec_b32 s10, s0
	s_cbranch_execz .LBB109_415
; %bb.406:
	s_and_not1_b32 vcc_lo, exec_lo, s3
	s_cbranch_vccnz .LBB109_408
; %bb.407:
	scratch_load_b64 v[96:97], v59, off
	ds_load_b64 v[98:99], v1
	s_wait_loadcnt_dscnt 0x0
	v_pk_mul_f32 v[100:101], v[98:99], v[96:97] op_sel:[1,1] op_sel_hi:[0,1]
	s_delay_alu instid0(VALU_DEP_1) | instskip(SKIP_1) | instid1(VALU_DEP_2)
	v_pk_fma_f32 v[102:103], v[98:99], v[96:97], v[100:101] op_sel_hi:[1,0,1]
	v_pk_fma_f32 v[96:97], v[98:99], v[96:97], v[100:101] neg_lo:[0,0,1] neg_hi:[0,0,1]
	v_mov_b32_e32 v97, v103
	s_cbranch_execz .LBB109_409
	s_branch .LBB109_410
.LBB109_408:
                                        ; implicit-def: $vgpr96_vgpr97
.LBB109_409:
	ds_load_b64 v[96:97], v1
.LBB109_410:
	s_and_saveexec_b32 s11, s1
	s_cbranch_execz .LBB109_414
; %bb.411:
	v_add_nc_u32_e32 v98, -5, v0
	s_movk_i32 s12, 0x198
	s_mov_b32 s1, 0
.LBB109_412:                            ; =>This Inner Loop Header: Depth=1
	scratch_load_b64 v[100:101], off, s9
	v_dual_mov_b32 v99, s12 :: v_dual_add_nc_u32 v98, -1, v98
	s_add_co_i32 s12, s12, 8
	s_wait_xcnt 0x0
	s_add_co_i32 s9, s9, 8
	ds_load_b64 v[102:103], v99
	v_cmp_eq_u32_e32 vcc_lo, 0, v98
	s_or_b32 s1, vcc_lo, s1
	s_wait_loadcnt_dscnt 0x0
	v_pk_mul_f32 v[104:105], v[102:103], v[100:101] op_sel:[1,1] op_sel_hi:[0,1]
	s_delay_alu instid0(VALU_DEP_1) | instskip(SKIP_1) | instid1(VALU_DEP_2)
	v_pk_fma_f32 v[106:107], v[102:103], v[100:101], v[104:105] op_sel_hi:[1,0,1]
	v_pk_fma_f32 v[100:101], v[102:103], v[100:101], v[104:105] neg_lo:[0,0,1] neg_hi:[0,0,1]
	v_mov_b32_e32 v101, v107
	s_delay_alu instid0(VALU_DEP_1)
	v_pk_add_f32 v[96:97], v[96:97], v[100:101]
	s_and_not1_b32 exec_lo, exec_lo, s1
	s_cbranch_execnz .LBB109_412
; %bb.413:
	s_or_b32 exec_lo, exec_lo, s1
.LBB109_414:
	s_delay_alu instid0(SALU_CYCLE_1) | instskip(SKIP_4) | instid1(VALU_DEP_1)
	s_or_b32 exec_lo, exec_lo, s11
	v_mov_b32_e32 v98, 0
	ds_load_b64 v[98:99], v98 offset:32
	s_wait_dscnt 0x0
	v_pk_mul_f32 v[100:101], v[96:97], v[98:99] op_sel:[1,1] op_sel_hi:[0,1]
	v_pk_fma_f32 v[102:103], v[96:97], v[98:99], v[100:101] op_sel_hi:[1,0,1]
	v_pk_fma_f32 v[96:97], v[96:97], v[98:99], v[100:101] neg_lo:[0,0,1] neg_hi:[0,0,1]
	s_delay_alu instid0(VALU_DEP_2)
	v_mov_b32_e32 v97, v103
	scratch_store_b64 off, v[96:97], off offset:32
.LBB109_415:
	s_wait_xcnt 0x0
	s_or_b32 exec_lo, exec_lo, s10
	scratch_load_b64 v[96:97], off, off offset:24
	v_cmp_lt_u32_e64 s1, 3, v0
	s_wait_loadcnt 0x0
	ds_store_b64 v1, v[96:97]
	s_wait_storecnt_dscnt 0x0
	s_barrier_signal -1
	s_barrier_wait -1
	s_wait_xcnt 0x0
	s_and_saveexec_b32 s9, s1
	s_cbranch_execz .LBB109_425
; %bb.416:
	s_and_not1_b32 vcc_lo, exec_lo, s3
	s_cbranch_vccnz .LBB109_418
; %bb.417:
	scratch_load_b64 v[96:97], v59, off
	ds_load_b64 v[98:99], v1
	s_wait_loadcnt_dscnt 0x0
	v_pk_mul_f32 v[100:101], v[98:99], v[96:97] op_sel:[1,1] op_sel_hi:[0,1]
	s_delay_alu instid0(VALU_DEP_1) | instskip(SKIP_1) | instid1(VALU_DEP_2)
	v_pk_fma_f32 v[102:103], v[98:99], v[96:97], v[100:101] op_sel_hi:[1,0,1]
	v_pk_fma_f32 v[96:97], v[98:99], v[96:97], v[100:101] neg_lo:[0,0,1] neg_hi:[0,0,1]
	v_mov_b32_e32 v97, v103
	s_cbranch_execz .LBB109_419
	s_branch .LBB109_420
.LBB109_418:
                                        ; implicit-def: $vgpr96_vgpr97
.LBB109_419:
	ds_load_b64 v[96:97], v1
.LBB109_420:
	s_and_saveexec_b32 s10, s0
	s_cbranch_execz .LBB109_424
; %bb.421:
	v_add_nc_u32_e32 v98, -4, v0
	s_movk_i32 s11, 0x190
	s_mov_b32 s0, 0
.LBB109_422:                            ; =>This Inner Loop Header: Depth=1
	scratch_load_b64 v[100:101], off, s2
	v_dual_mov_b32 v99, s11 :: v_dual_add_nc_u32 v98, -1, v98
	s_add_co_i32 s11, s11, 8
	s_wait_xcnt 0x0
	s_add_co_i32 s2, s2, 8
	ds_load_b64 v[102:103], v99
	v_cmp_eq_u32_e32 vcc_lo, 0, v98
	s_or_b32 s0, vcc_lo, s0
	s_wait_loadcnt_dscnt 0x0
	v_pk_mul_f32 v[104:105], v[102:103], v[100:101] op_sel:[1,1] op_sel_hi:[0,1]
	s_delay_alu instid0(VALU_DEP_1) | instskip(SKIP_1) | instid1(VALU_DEP_2)
	v_pk_fma_f32 v[106:107], v[102:103], v[100:101], v[104:105] op_sel_hi:[1,0,1]
	v_pk_fma_f32 v[100:101], v[102:103], v[100:101], v[104:105] neg_lo:[0,0,1] neg_hi:[0,0,1]
	v_mov_b32_e32 v101, v107
	s_delay_alu instid0(VALU_DEP_1)
	v_pk_add_f32 v[96:97], v[96:97], v[100:101]
	s_and_not1_b32 exec_lo, exec_lo, s0
	s_cbranch_execnz .LBB109_422
; %bb.423:
	s_or_b32 exec_lo, exec_lo, s0
.LBB109_424:
	s_delay_alu instid0(SALU_CYCLE_1) | instskip(SKIP_4) | instid1(VALU_DEP_1)
	s_or_b32 exec_lo, exec_lo, s10
	v_mov_b32_e32 v98, 0
	ds_load_b64 v[98:99], v98 offset:24
	s_wait_dscnt 0x0
	v_pk_mul_f32 v[100:101], v[96:97], v[98:99] op_sel:[1,1] op_sel_hi:[0,1]
	v_pk_fma_f32 v[102:103], v[96:97], v[98:99], v[100:101] op_sel_hi:[1,0,1]
	v_pk_fma_f32 v[96:97], v[96:97], v[98:99], v[100:101] neg_lo:[0,0,1] neg_hi:[0,0,1]
	s_delay_alu instid0(VALU_DEP_2)
	v_mov_b32_e32 v97, v103
	scratch_store_b64 off, v[96:97], off offset:24
.LBB109_425:
	s_wait_xcnt 0x0
	s_or_b32 exec_lo, exec_lo, s9
	scratch_load_b64 v[96:97], off, off offset:16
	v_cmp_lt_u32_e64 s2, 2, v0
	s_wait_loadcnt 0x0
	ds_store_b64 v1, v[96:97]
	s_wait_storecnt_dscnt 0x0
	s_barrier_signal -1
	s_barrier_wait -1
	s_wait_xcnt 0x0
	s_and_saveexec_b32 s0, s2
	s_cbranch_execz .LBB109_435
; %bb.426:
	s_and_not1_b32 vcc_lo, exec_lo, s3
	s_cbranch_vccnz .LBB109_428
; %bb.427:
	scratch_load_b64 v[96:97], v59, off
	ds_load_b64 v[98:99], v1
	s_wait_loadcnt_dscnt 0x0
	v_pk_mul_f32 v[100:101], v[98:99], v[96:97] op_sel:[1,1] op_sel_hi:[0,1]
	s_delay_alu instid0(VALU_DEP_1) | instskip(SKIP_1) | instid1(VALU_DEP_2)
	v_pk_fma_f32 v[102:103], v[98:99], v[96:97], v[100:101] op_sel_hi:[1,0,1]
	v_pk_fma_f32 v[96:97], v[98:99], v[96:97], v[100:101] neg_lo:[0,0,1] neg_hi:[0,0,1]
	v_mov_b32_e32 v97, v103
	s_cbranch_execz .LBB109_429
	s_branch .LBB109_430
.LBB109_428:
                                        ; implicit-def: $vgpr96_vgpr97
.LBB109_429:
	ds_load_b64 v[96:97], v1
.LBB109_430:
	s_and_saveexec_b32 s9, s1
	s_cbranch_execz .LBB109_434
; %bb.431:
	v_add_nc_u32_e32 v98, -3, v0
	s_movk_i32 s10, 0x188
	s_mov_b32 s1, 0
.LBB109_432:                            ; =>This Inner Loop Header: Depth=1
	scratch_load_b64 v[100:101], off, s8
	v_dual_mov_b32 v99, s10 :: v_dual_add_nc_u32 v98, -1, v98
	s_add_co_i32 s10, s10, 8
	s_wait_xcnt 0x0
	s_add_co_i32 s8, s8, 8
	ds_load_b64 v[102:103], v99
	v_cmp_eq_u32_e32 vcc_lo, 0, v98
	s_or_b32 s1, vcc_lo, s1
	s_wait_loadcnt_dscnt 0x0
	v_pk_mul_f32 v[104:105], v[102:103], v[100:101] op_sel:[1,1] op_sel_hi:[0,1]
	s_delay_alu instid0(VALU_DEP_1) | instskip(SKIP_1) | instid1(VALU_DEP_2)
	v_pk_fma_f32 v[106:107], v[102:103], v[100:101], v[104:105] op_sel_hi:[1,0,1]
	v_pk_fma_f32 v[100:101], v[102:103], v[100:101], v[104:105] neg_lo:[0,0,1] neg_hi:[0,0,1]
	v_mov_b32_e32 v101, v107
	s_delay_alu instid0(VALU_DEP_1)
	v_pk_add_f32 v[96:97], v[96:97], v[100:101]
	s_and_not1_b32 exec_lo, exec_lo, s1
	s_cbranch_execnz .LBB109_432
; %bb.433:
	s_or_b32 exec_lo, exec_lo, s1
.LBB109_434:
	s_delay_alu instid0(SALU_CYCLE_1) | instskip(SKIP_4) | instid1(VALU_DEP_1)
	s_or_b32 exec_lo, exec_lo, s9
	v_mov_b32_e32 v98, 0
	ds_load_b64 v[98:99], v98 offset:16
	s_wait_dscnt 0x0
	v_pk_mul_f32 v[100:101], v[96:97], v[98:99] op_sel:[1,1] op_sel_hi:[0,1]
	v_pk_fma_f32 v[102:103], v[96:97], v[98:99], v[100:101] op_sel_hi:[1,0,1]
	v_pk_fma_f32 v[96:97], v[96:97], v[98:99], v[100:101] neg_lo:[0,0,1] neg_hi:[0,0,1]
	s_delay_alu instid0(VALU_DEP_2)
	v_mov_b32_e32 v97, v103
	scratch_store_b64 off, v[96:97], off offset:16
.LBB109_435:
	s_wait_xcnt 0x0
	s_or_b32 exec_lo, exec_lo, s0
	scratch_load_b64 v[96:97], off, off offset:8
	v_cmp_lt_u32_e64 s0, 1, v0
	s_wait_loadcnt 0x0
	ds_store_b64 v1, v[96:97]
	s_wait_storecnt_dscnt 0x0
	s_barrier_signal -1
	s_barrier_wait -1
	s_wait_xcnt 0x0
	s_and_saveexec_b32 s1, s0
	s_cbranch_execz .LBB109_445
; %bb.436:
	s_and_not1_b32 vcc_lo, exec_lo, s3
	s_cbranch_vccnz .LBB109_438
; %bb.437:
	scratch_load_b64 v[96:97], v59, off
	ds_load_b64 v[98:99], v1
	s_wait_loadcnt_dscnt 0x0
	v_pk_mul_f32 v[100:101], v[98:99], v[96:97] op_sel:[1,1] op_sel_hi:[0,1]
	s_delay_alu instid0(VALU_DEP_1) | instskip(SKIP_1) | instid1(VALU_DEP_2)
	v_pk_fma_f32 v[102:103], v[98:99], v[96:97], v[100:101] op_sel_hi:[1,0,1]
	v_pk_fma_f32 v[96:97], v[98:99], v[96:97], v[100:101] neg_lo:[0,0,1] neg_hi:[0,0,1]
	v_mov_b32_e32 v97, v103
	s_cbranch_execz .LBB109_439
	s_branch .LBB109_440
.LBB109_438:
                                        ; implicit-def: $vgpr96_vgpr97
.LBB109_439:
	ds_load_b64 v[96:97], v1
.LBB109_440:
	s_and_saveexec_b32 s8, s2
	s_cbranch_execz .LBB109_444
; %bb.441:
	v_add_nc_u32_e32 v98, -2, v0
	s_movk_i32 s9, 0x180
	s_mov_b32 s2, 0
.LBB109_442:                            ; =>This Inner Loop Header: Depth=1
	scratch_load_b64 v[100:101], off, s5
	v_dual_mov_b32 v99, s9 :: v_dual_add_nc_u32 v98, -1, v98
	s_add_co_i32 s9, s9, 8
	s_wait_xcnt 0x0
	s_add_co_i32 s5, s5, 8
	ds_load_b64 v[102:103], v99
	v_cmp_eq_u32_e32 vcc_lo, 0, v98
	s_or_b32 s2, vcc_lo, s2
	s_wait_loadcnt_dscnt 0x0
	v_pk_mul_f32 v[104:105], v[102:103], v[100:101] op_sel:[1,1] op_sel_hi:[0,1]
	s_delay_alu instid0(VALU_DEP_1) | instskip(SKIP_1) | instid1(VALU_DEP_2)
	v_pk_fma_f32 v[106:107], v[102:103], v[100:101], v[104:105] op_sel_hi:[1,0,1]
	v_pk_fma_f32 v[100:101], v[102:103], v[100:101], v[104:105] neg_lo:[0,0,1] neg_hi:[0,0,1]
	v_mov_b32_e32 v101, v107
	s_delay_alu instid0(VALU_DEP_1)
	v_pk_add_f32 v[96:97], v[96:97], v[100:101]
	s_and_not1_b32 exec_lo, exec_lo, s2
	s_cbranch_execnz .LBB109_442
; %bb.443:
	s_or_b32 exec_lo, exec_lo, s2
.LBB109_444:
	s_delay_alu instid0(SALU_CYCLE_1) | instskip(SKIP_4) | instid1(VALU_DEP_1)
	s_or_b32 exec_lo, exec_lo, s8
	v_mov_b32_e32 v98, 0
	ds_load_b64 v[98:99], v98 offset:8
	s_wait_dscnt 0x0
	v_pk_mul_f32 v[100:101], v[96:97], v[98:99] op_sel:[1,1] op_sel_hi:[0,1]
	v_pk_fma_f32 v[102:103], v[96:97], v[98:99], v[100:101] op_sel_hi:[1,0,1]
	v_pk_fma_f32 v[96:97], v[96:97], v[98:99], v[100:101] neg_lo:[0,0,1] neg_hi:[0,0,1]
	s_delay_alu instid0(VALU_DEP_2)
	v_mov_b32_e32 v97, v103
	scratch_store_b64 off, v[96:97], off offset:8
.LBB109_445:
	s_wait_xcnt 0x0
	s_or_b32 exec_lo, exec_lo, s1
	scratch_load_b64 v[96:97], off, off
	s_mov_b32 s2, 0
	s_mov_b32 s1, 0
	s_mov_b32 s8, exec_lo
                                        ; implicit-def: $vgpr136
                                        ; implicit-def: $sgpr5
	s_wait_loadcnt 0x0
	ds_store_b64 v1, v[96:97]
	s_wait_storecnt_dscnt 0x0
	s_barrier_signal -1
	s_barrier_wait -1
	s_wait_xcnt 0x0
	v_cmpx_ne_u32_e32 0, v0
	s_cbranch_execz .LBB109_455
; %bb.446:
	s_and_not1_b32 vcc_lo, exec_lo, s3
	s_cbranch_vccnz .LBB109_448
; %bb.447:
	scratch_load_b64 v[98:99], v59, off
	ds_load_b64 v[100:101], v1
	s_wait_loadcnt_dscnt 0x0
	v_dual_mul_f32 v96, v101, v99 :: v_dual_mul_f32 v97, v100, v99
	s_delay_alu instid0(VALU_DEP_1)
	v_dual_fma_f32 v96, v100, v98, -v96 :: v_dual_fmac_f32 v97, v101, v98
	s_and_not1_b32 vcc_lo, exec_lo, s1
	s_cbranch_vccz .LBB109_449
	s_branch .LBB109_450
.LBB109_448:
                                        ; implicit-def: $vgpr96
.LBB109_449:
	ds_load_b64 v[96:97], v1
.LBB109_450:
	s_and_saveexec_b32 s1, s0
	s_cbranch_execz .LBB109_454
; %bb.451:
	v_add_nc_u32_e32 v98, -1, v0
	s_movk_i32 s5, 0x178
	s_mov_b32 s0, 0
.LBB109_452:                            ; =>This Inner Loop Header: Depth=1
	scratch_load_b64 v[100:101], off, s4
	v_mov_b32_e32 v99, s5
	s_add_co_i32 s5, s5, 8
	s_wait_xcnt 0x0
	s_add_co_i32 s4, s4, 8
	v_add_nc_u32_e32 v98, -1, v98
	ds_load_b64 v[102:103], v99
	v_cmp_eq_u32_e32 vcc_lo, 0, v98
	s_or_b32 s0, vcc_lo, s0
	s_wait_loadcnt_dscnt 0x0
	v_dual_mul_f32 v99, v103, v101 :: v_dual_mul_f32 v101, v102, v101
	s_delay_alu instid0(VALU_DEP_1) | instskip(NEXT) | instid1(VALU_DEP_1)
	v_dual_fma_f32 v99, v102, v100, -v99 :: v_dual_fmac_f32 v101, v103, v100
	v_dual_add_f32 v96, v96, v99 :: v_dual_add_f32 v97, v97, v101
	s_and_not1_b32 exec_lo, exec_lo, s0
	s_cbranch_execnz .LBB109_452
; %bb.453:
	s_or_b32 exec_lo, exec_lo, s0
.LBB109_454:
	s_delay_alu instid0(SALU_CYCLE_1)
	s_or_b32 exec_lo, exec_lo, s1
	v_mov_b32_e32 v98, 0
	s_mov_b32 s1, exec_lo
	s_or_b32 s5, 0, 4
	ds_load_b64 v[98:99], v98
	s_wait_dscnt 0x0
	v_dual_mul_f32 v100, v97, v99 :: v_dual_mul_f32 v136, v96, v99
	s_delay_alu instid0(VALU_DEP_1) | instskip(NEXT) | instid1(VALU_DEP_2)
	v_fma_f32 v96, v96, v98, -v100
	v_fmac_f32_e32 v136, v97, v98
	scratch_store_b32 off, v96, off
.LBB109_455:
	s_wait_xcnt 0x0
	s_or_b32 exec_lo, exec_lo, s8
	s_delay_alu instid0(SALU_CYCLE_1)
	s_and_b32 vcc_lo, exec_lo, s2
	s_cbranch_vccz .LBB109_901
.LBB109_456:
	scratch_load_b64 v[96:97], off, off offset:8
	v_cmp_eq_u32_e64 s0, 0, v0
	s_wait_loadcnt 0x0
	ds_store_b64 v1, v[96:97]
	s_wait_storecnt_dscnt 0x0
	s_barrier_signal -1
	s_barrier_wait -1
	s_wait_xcnt 0x0
	s_and_saveexec_b32 s2, s0
	s_cbranch_execz .LBB109_462
; %bb.457:
	s_and_b32 vcc_lo, exec_lo, s3
	s_cbranch_vccz .LBB109_459
; %bb.458:
	scratch_load_b64 v[96:97], v59, off
	ds_load_b64 v[98:99], v1
	s_wait_loadcnt_dscnt 0x0
	v_pk_mul_f32 v[100:101], v[98:99], v[96:97] op_sel:[1,1] op_sel_hi:[0,1]
	v_pk_mul_f32 v[102:103], v[98:99], v[96:97] op_sel_hi:[1,0]
	s_delay_alu instid0(VALU_DEP_2) | instskip(NEXT) | instid1(VALU_DEP_2)
	v_pk_fma_f32 v[96:97], v[98:99], v[96:97], v[100:101] op_sel_hi:[1,0,1]
	v_sub_f32_e32 v96, v102, v100
	s_cbranch_execz .LBB109_460
	s_branch .LBB109_461
.LBB109_459:
                                        ; implicit-def: $vgpr97
.LBB109_460:
	ds_load_b64 v[96:97], v1
.LBB109_461:
	s_wait_dscnt 0x0
	v_dual_mov_b32 v98, 0 :: v_dual_mov_b32 v100, v97
	v_mov_b32_e32 v101, v96
	ds_load_b64 v[98:99], v98 offset:8
	s_wait_dscnt 0x0
	v_pk_mul_f32 v[100:101], v[100:101], v[98:99] op_sel:[0,1]
	s_delay_alu instid0(VALU_DEP_1) | instskip(SKIP_1) | instid1(VALU_DEP_2)
	v_pk_fma_f32 v[102:103], v[96:97], v[98:99], v[100:101] op_sel_hi:[1,0,1]
	v_pk_fma_f32 v[96:97], v[96:97], v[98:99], v[100:101] neg_lo:[0,0,1] neg_hi:[0,0,1]
	v_mov_b32_e32 v97, v103
	scratch_store_b64 off, v[96:97], off offset:8
.LBB109_462:
	s_wait_xcnt 0x0
	s_or_b32 exec_lo, exec_lo, s2
	scratch_load_b64 v[96:97], off, off offset:16
	v_cndmask_b32_e64 v98, 0, 1, s3
	s_mov_b32 s2, exec_lo
	s_wait_loadcnt 0x0
	ds_store_b64 v1, v[96:97]
	s_wait_storecnt_dscnt 0x0
	s_barrier_signal -1
	s_barrier_wait -1
	s_wait_xcnt 0x0
	v_cmpx_gt_u32_e32 2, v0
	s_cbranch_execz .LBB109_470
; %bb.463:
	s_and_not1_b32 vcc_lo, exec_lo, s3
	s_cbranch_vccnz .LBB109_465
; %bb.464:
	scratch_load_b64 v[96:97], v59, off
	ds_load_b64 v[100:101], v1
	s_wait_loadcnt_dscnt 0x0
	v_pk_mul_f32 v[102:103], v[100:101], v[96:97] op_sel:[1,1] op_sel_hi:[0,1]
	s_delay_alu instid0(VALU_DEP_1) | instskip(SKIP_1) | instid1(VALU_DEP_2)
	v_pk_fma_f32 v[104:105], v[100:101], v[96:97], v[102:103] op_sel_hi:[1,0,1]
	v_pk_fma_f32 v[96:97], v[100:101], v[96:97], v[102:103] neg_lo:[0,0,1] neg_hi:[0,0,1]
	v_mov_b32_e32 v97, v105
	s_cbranch_execz .LBB109_466
	s_branch .LBB109_467
.LBB109_465:
                                        ; implicit-def: $vgpr96_vgpr97
.LBB109_466:
	ds_load_b64 v[96:97], v1
.LBB109_467:
	s_and_saveexec_b32 s3, s0
	s_cbranch_execz .LBB109_469
; %bb.468:
	scratch_load_b64 v[100:101], off, off offset:8
	v_mov_b32_e32 v99, 0
	ds_load_b64 v[102:103], v99 offset:376
	s_wait_loadcnt_dscnt 0x0
	v_pk_mul_f32 v[104:105], v[102:103], v[100:101] op_sel:[1,1] op_sel_hi:[0,1]
	s_delay_alu instid0(VALU_DEP_1) | instskip(SKIP_1) | instid1(VALU_DEP_2)
	v_pk_fma_f32 v[106:107], v[102:103], v[100:101], v[104:105] op_sel_hi:[1,0,1]
	v_pk_fma_f32 v[100:101], v[102:103], v[100:101], v[104:105] neg_lo:[0,0,1] neg_hi:[0,0,1]
	v_mov_b32_e32 v101, v107
	s_delay_alu instid0(VALU_DEP_1)
	v_pk_add_f32 v[96:97], v[96:97], v[100:101]
.LBB109_469:
	s_or_b32 exec_lo, exec_lo, s3
	v_mov_b32_e32 v99, 0
	ds_load_b64 v[100:101], v99 offset:16
	s_wait_dscnt 0x0
	v_pk_mul_f32 v[102:103], v[96:97], v[100:101] op_sel:[1,1] op_sel_hi:[0,1]
	s_delay_alu instid0(VALU_DEP_1) | instskip(SKIP_1) | instid1(VALU_DEP_2)
	v_pk_fma_f32 v[104:105], v[96:97], v[100:101], v[102:103] op_sel_hi:[1,0,1]
	v_pk_fma_f32 v[96:97], v[96:97], v[100:101], v[102:103] neg_lo:[0,0,1] neg_hi:[0,0,1]
	v_mov_b32_e32 v97, v105
	scratch_store_b64 off, v[96:97], off offset:16
.LBB109_470:
	s_wait_xcnt 0x0
	s_or_b32 exec_lo, exec_lo, s2
	scratch_load_b64 v[96:97], off, off offset:24
	s_mov_b32 s2, exec_lo
	s_wait_loadcnt 0x0
	ds_store_b64 v1, v[96:97]
	s_wait_storecnt_dscnt 0x0
	s_barrier_signal -1
	s_barrier_wait -1
	s_wait_xcnt 0x0
	v_cmpx_gt_u32_e32 3, v0
	s_cbranch_execz .LBB109_480
; %bb.471:
	v_cmp_ne_u32_e32 vcc_lo, 1, v98
	s_cbranch_vccnz .LBB109_473
; %bb.472:
	scratch_load_b64 v[96:97], v59, off
	ds_load_b64 v[100:101], v1
	s_wait_loadcnt_dscnt 0x0
	v_pk_mul_f32 v[102:103], v[100:101], v[96:97] op_sel:[1,1] op_sel_hi:[0,1]
	s_delay_alu instid0(VALU_DEP_1) | instskip(SKIP_1) | instid1(VALU_DEP_2)
	v_pk_fma_f32 v[104:105], v[100:101], v[96:97], v[102:103] op_sel_hi:[1,0,1]
	v_pk_fma_f32 v[96:97], v[100:101], v[96:97], v[102:103] neg_lo:[0,0,1] neg_hi:[0,0,1]
	v_mov_b32_e32 v97, v105
	s_cbranch_execz .LBB109_474
	s_branch .LBB109_475
.LBB109_473:
                                        ; implicit-def: $vgpr96_vgpr97
.LBB109_474:
	ds_load_b64 v[96:97], v1
.LBB109_475:
	s_mov_b32 s3, exec_lo
	v_cmpx_ne_u32_e32 2, v0
	s_cbranch_execz .LBB109_479
; %bb.476:
	scratch_load_b64 v[100:101], v59, off offset:8
	ds_load_b64 v[102:103], v1 offset:8
	s_wait_loadcnt_dscnt 0x0
	v_pk_mul_f32 v[104:105], v[102:103], v[100:101] op_sel:[1,1] op_sel_hi:[0,1]
	s_delay_alu instid0(VALU_DEP_1) | instskip(SKIP_1) | instid1(VALU_DEP_2)
	v_pk_fma_f32 v[106:107], v[102:103], v[100:101], v[104:105] op_sel_hi:[1,0,1]
	v_pk_fma_f32 v[100:101], v[102:103], v[100:101], v[104:105] neg_lo:[0,0,1] neg_hi:[0,0,1]
	v_mov_b32_e32 v101, v107
	s_delay_alu instid0(VALU_DEP_1)
	v_pk_add_f32 v[96:97], v[96:97], v[100:101]
	s_and_saveexec_b32 s4, s0
	s_cbranch_execz .LBB109_478
; %bb.477:
	scratch_load_b64 v[100:101], off, off offset:16
	v_mov_b32_e32 v99, 0
	ds_load_b64 v[102:103], v99 offset:384
	s_wait_loadcnt_dscnt 0x0
	v_pk_mul_f32 v[104:105], v[102:103], v[100:101] op_sel:[1,1] op_sel_hi:[0,1]
	s_delay_alu instid0(VALU_DEP_1) | instskip(SKIP_1) | instid1(VALU_DEP_2)
	v_pk_fma_f32 v[106:107], v[102:103], v[100:101], v[104:105] op_sel_hi:[1,0,1]
	v_pk_fma_f32 v[100:101], v[102:103], v[100:101], v[104:105] neg_lo:[0,0,1] neg_hi:[0,0,1]
	v_mov_b32_e32 v101, v107
	s_delay_alu instid0(VALU_DEP_1)
	v_pk_add_f32 v[96:97], v[96:97], v[100:101]
.LBB109_478:
	s_or_b32 exec_lo, exec_lo, s4
.LBB109_479:
	s_delay_alu instid0(SALU_CYCLE_1) | instskip(SKIP_4) | instid1(VALU_DEP_1)
	s_or_b32 exec_lo, exec_lo, s3
	v_mov_b32_e32 v99, 0
	ds_load_b64 v[100:101], v99 offset:24
	s_wait_dscnt 0x0
	v_pk_mul_f32 v[102:103], v[96:97], v[100:101] op_sel:[1,1] op_sel_hi:[0,1]
	v_pk_fma_f32 v[104:105], v[96:97], v[100:101], v[102:103] op_sel_hi:[1,0,1]
	v_pk_fma_f32 v[96:97], v[96:97], v[100:101], v[102:103] neg_lo:[0,0,1] neg_hi:[0,0,1]
	s_delay_alu instid0(VALU_DEP_2)
	v_mov_b32_e32 v97, v105
	scratch_store_b64 off, v[96:97], off offset:24
.LBB109_480:
	s_wait_xcnt 0x0
	s_or_b32 exec_lo, exec_lo, s2
	scratch_load_b64 v[96:97], off, off offset:32
	s_mov_b32 s0, exec_lo
	s_wait_loadcnt 0x0
	ds_store_b64 v1, v[96:97]
	s_wait_storecnt_dscnt 0x0
	s_barrier_signal -1
	s_barrier_wait -1
	s_wait_xcnt 0x0
	v_cmpx_gt_u32_e32 4, v0
	s_cbranch_execz .LBB109_490
; %bb.481:
	v_cmp_ne_u32_e32 vcc_lo, 1, v98
	s_cbranch_vccnz .LBB109_483
; %bb.482:
	scratch_load_b64 v[96:97], v59, off
	ds_load_b64 v[100:101], v1
	s_wait_loadcnt_dscnt 0x0
	v_pk_mul_f32 v[102:103], v[100:101], v[96:97] op_sel:[1,1] op_sel_hi:[0,1]
	s_delay_alu instid0(VALU_DEP_1) | instskip(SKIP_1) | instid1(VALU_DEP_2)
	v_pk_fma_f32 v[104:105], v[100:101], v[96:97], v[102:103] op_sel_hi:[1,0,1]
	v_pk_fma_f32 v[96:97], v[100:101], v[96:97], v[102:103] neg_lo:[0,0,1] neg_hi:[0,0,1]
	v_mov_b32_e32 v97, v105
	s_cbranch_execz .LBB109_484
	s_branch .LBB109_485
.LBB109_483:
                                        ; implicit-def: $vgpr96_vgpr97
.LBB109_484:
	ds_load_b64 v[96:97], v1
.LBB109_485:
	s_mov_b32 s2, exec_lo
	v_cmpx_ne_u32_e32 3, v0
	s_cbranch_execz .LBB109_489
; %bb.486:
	v_add_nc_u32_e32 v99, 0x178, v58
	v_add3_u32 v100, 0, v58, 8
	v_mov_b32_e32 v101, v0
	s_mov_b32 s3, 0
.LBB109_487:                            ; =>This Inner Loop Header: Depth=1
	scratch_load_b64 v[102:103], v100, off
	ds_load_b64 v[104:105], v99
	s_wait_xcnt 0x0
	v_dual_add_nc_u32 v99, 8, v99 :: v_dual_add_nc_u32 v100, 8, v100
	s_wait_loadcnt_dscnt 0x0
	v_pk_mul_f32 v[106:107], v[104:105], v[102:103] op_sel:[1,1] op_sel_hi:[0,1]
	s_delay_alu instid0(VALU_DEP_1) | instskip(SKIP_2) | instid1(VALU_DEP_3)
	v_pk_fma_f32 v[108:109], v[104:105], v[102:103], v[106:107] op_sel_hi:[1,0,1]
	v_add_nc_u32_e32 v101, 1, v101
	v_pk_fma_f32 v[102:103], v[104:105], v[102:103], v[106:107] neg_lo:[0,0,1] neg_hi:[0,0,1]
	v_mov_b32_e32 v103, v109
	s_delay_alu instid0(VALU_DEP_3) | instskip(NEXT) | instid1(VALU_DEP_2)
	v_cmp_lt_u32_e32 vcc_lo, 2, v101
	v_pk_add_f32 v[96:97], v[96:97], v[102:103]
	s_or_b32 s3, vcc_lo, s3
	s_delay_alu instid0(SALU_CYCLE_1)
	s_and_not1_b32 exec_lo, exec_lo, s3
	s_cbranch_execnz .LBB109_487
; %bb.488:
	s_or_b32 exec_lo, exec_lo, s3
.LBB109_489:
	s_delay_alu instid0(SALU_CYCLE_1) | instskip(SKIP_4) | instid1(VALU_DEP_1)
	s_or_b32 exec_lo, exec_lo, s2
	v_mov_b32_e32 v99, 0
	ds_load_b64 v[100:101], v99 offset:32
	s_wait_dscnt 0x0
	v_pk_mul_f32 v[102:103], v[96:97], v[100:101] op_sel:[1,1] op_sel_hi:[0,1]
	v_pk_fma_f32 v[104:105], v[96:97], v[100:101], v[102:103] op_sel_hi:[1,0,1]
	v_pk_fma_f32 v[96:97], v[96:97], v[100:101], v[102:103] neg_lo:[0,0,1] neg_hi:[0,0,1]
	s_delay_alu instid0(VALU_DEP_2)
	v_mov_b32_e32 v97, v105
	scratch_store_b64 off, v[96:97], off offset:32
.LBB109_490:
	s_wait_xcnt 0x0
	s_or_b32 exec_lo, exec_lo, s0
	scratch_load_b64 v[96:97], off, off offset:40
	s_mov_b32 s0, exec_lo
	s_wait_loadcnt 0x0
	ds_store_b64 v1, v[96:97]
	s_wait_storecnt_dscnt 0x0
	s_barrier_signal -1
	s_barrier_wait -1
	s_wait_xcnt 0x0
	v_cmpx_gt_u32_e32 5, v0
	s_cbranch_execz .LBB109_500
; %bb.491:
	v_cmp_ne_u32_e32 vcc_lo, 1, v98
	s_cbranch_vccnz .LBB109_493
; %bb.492:
	scratch_load_b64 v[96:97], v59, off
	ds_load_b64 v[100:101], v1
	s_wait_loadcnt_dscnt 0x0
	v_pk_mul_f32 v[102:103], v[100:101], v[96:97] op_sel:[1,1] op_sel_hi:[0,1]
	s_delay_alu instid0(VALU_DEP_1) | instskip(SKIP_1) | instid1(VALU_DEP_2)
	v_pk_fma_f32 v[104:105], v[100:101], v[96:97], v[102:103] op_sel_hi:[1,0,1]
	v_pk_fma_f32 v[96:97], v[100:101], v[96:97], v[102:103] neg_lo:[0,0,1] neg_hi:[0,0,1]
	v_mov_b32_e32 v97, v105
	s_cbranch_execz .LBB109_494
	s_branch .LBB109_495
.LBB109_493:
                                        ; implicit-def: $vgpr96_vgpr97
.LBB109_494:
	ds_load_b64 v[96:97], v1
.LBB109_495:
	s_mov_b32 s2, exec_lo
	v_cmpx_ne_u32_e32 4, v0
	s_cbranch_execz .LBB109_499
; %bb.496:
	v_add_nc_u32_e32 v99, 0x178, v58
	v_add3_u32 v100, 0, v58, 8
	v_mov_b32_e32 v101, v0
	s_mov_b32 s3, 0
.LBB109_497:                            ; =>This Inner Loop Header: Depth=1
	scratch_load_b64 v[102:103], v100, off
	ds_load_b64 v[104:105], v99
	s_wait_xcnt 0x0
	v_dual_add_nc_u32 v99, 8, v99 :: v_dual_add_nc_u32 v100, 8, v100
	s_wait_loadcnt_dscnt 0x0
	v_pk_mul_f32 v[106:107], v[104:105], v[102:103] op_sel:[1,1] op_sel_hi:[0,1]
	s_delay_alu instid0(VALU_DEP_1) | instskip(SKIP_2) | instid1(VALU_DEP_3)
	v_pk_fma_f32 v[108:109], v[104:105], v[102:103], v[106:107] op_sel_hi:[1,0,1]
	v_add_nc_u32_e32 v101, 1, v101
	v_pk_fma_f32 v[102:103], v[104:105], v[102:103], v[106:107] neg_lo:[0,0,1] neg_hi:[0,0,1]
	v_mov_b32_e32 v103, v109
	s_delay_alu instid0(VALU_DEP_3) | instskip(NEXT) | instid1(VALU_DEP_2)
	v_cmp_lt_u32_e32 vcc_lo, 3, v101
	v_pk_add_f32 v[96:97], v[96:97], v[102:103]
	s_or_b32 s3, vcc_lo, s3
	s_delay_alu instid0(SALU_CYCLE_1)
	s_and_not1_b32 exec_lo, exec_lo, s3
	s_cbranch_execnz .LBB109_497
; %bb.498:
	s_or_b32 exec_lo, exec_lo, s3
.LBB109_499:
	s_delay_alu instid0(SALU_CYCLE_1) | instskip(SKIP_4) | instid1(VALU_DEP_1)
	s_or_b32 exec_lo, exec_lo, s2
	v_mov_b32_e32 v99, 0
	ds_load_b64 v[100:101], v99 offset:40
	s_wait_dscnt 0x0
	v_pk_mul_f32 v[102:103], v[96:97], v[100:101] op_sel:[1,1] op_sel_hi:[0,1]
	v_pk_fma_f32 v[104:105], v[96:97], v[100:101], v[102:103] op_sel_hi:[1,0,1]
	v_pk_fma_f32 v[96:97], v[96:97], v[100:101], v[102:103] neg_lo:[0,0,1] neg_hi:[0,0,1]
	s_delay_alu instid0(VALU_DEP_2)
	v_mov_b32_e32 v97, v105
	scratch_store_b64 off, v[96:97], off offset:40
.LBB109_500:
	s_wait_xcnt 0x0
	s_or_b32 exec_lo, exec_lo, s0
	scratch_load_b64 v[96:97], off, off offset:48
	s_mov_b32 s0, exec_lo
	s_wait_loadcnt 0x0
	ds_store_b64 v1, v[96:97]
	s_wait_storecnt_dscnt 0x0
	s_barrier_signal -1
	s_barrier_wait -1
	s_wait_xcnt 0x0
	v_cmpx_gt_u32_e32 6, v0
	s_cbranch_execz .LBB109_510
; %bb.501:
	v_cmp_ne_u32_e32 vcc_lo, 1, v98
	s_cbranch_vccnz .LBB109_503
; %bb.502:
	scratch_load_b64 v[96:97], v59, off
	ds_load_b64 v[100:101], v1
	s_wait_loadcnt_dscnt 0x0
	v_pk_mul_f32 v[102:103], v[100:101], v[96:97] op_sel:[1,1] op_sel_hi:[0,1]
	s_delay_alu instid0(VALU_DEP_1) | instskip(SKIP_1) | instid1(VALU_DEP_2)
	v_pk_fma_f32 v[104:105], v[100:101], v[96:97], v[102:103] op_sel_hi:[1,0,1]
	v_pk_fma_f32 v[96:97], v[100:101], v[96:97], v[102:103] neg_lo:[0,0,1] neg_hi:[0,0,1]
	v_mov_b32_e32 v97, v105
	s_cbranch_execz .LBB109_504
	s_branch .LBB109_505
.LBB109_503:
                                        ; implicit-def: $vgpr96_vgpr97
.LBB109_504:
	ds_load_b64 v[96:97], v1
.LBB109_505:
	s_mov_b32 s2, exec_lo
	v_cmpx_ne_u32_e32 5, v0
	s_cbranch_execz .LBB109_509
; %bb.506:
	v_add_nc_u32_e32 v99, 0x178, v58
	v_add3_u32 v100, 0, v58, 8
	v_mov_b32_e32 v101, v0
	s_mov_b32 s3, 0
.LBB109_507:                            ; =>This Inner Loop Header: Depth=1
	scratch_load_b64 v[102:103], v100, off
	ds_load_b64 v[104:105], v99
	s_wait_xcnt 0x0
	v_dual_add_nc_u32 v99, 8, v99 :: v_dual_add_nc_u32 v100, 8, v100
	s_wait_loadcnt_dscnt 0x0
	v_pk_mul_f32 v[106:107], v[104:105], v[102:103] op_sel:[1,1] op_sel_hi:[0,1]
	s_delay_alu instid0(VALU_DEP_1) | instskip(SKIP_2) | instid1(VALU_DEP_3)
	v_pk_fma_f32 v[108:109], v[104:105], v[102:103], v[106:107] op_sel_hi:[1,0,1]
	v_add_nc_u32_e32 v101, 1, v101
	v_pk_fma_f32 v[102:103], v[104:105], v[102:103], v[106:107] neg_lo:[0,0,1] neg_hi:[0,0,1]
	v_mov_b32_e32 v103, v109
	s_delay_alu instid0(VALU_DEP_3) | instskip(NEXT) | instid1(VALU_DEP_2)
	v_cmp_lt_u32_e32 vcc_lo, 4, v101
	v_pk_add_f32 v[96:97], v[96:97], v[102:103]
	s_or_b32 s3, vcc_lo, s3
	s_delay_alu instid0(SALU_CYCLE_1)
	s_and_not1_b32 exec_lo, exec_lo, s3
	s_cbranch_execnz .LBB109_507
; %bb.508:
	s_or_b32 exec_lo, exec_lo, s3
.LBB109_509:
	s_delay_alu instid0(SALU_CYCLE_1) | instskip(SKIP_4) | instid1(VALU_DEP_1)
	s_or_b32 exec_lo, exec_lo, s2
	v_mov_b32_e32 v99, 0
	ds_load_b64 v[100:101], v99 offset:48
	s_wait_dscnt 0x0
	v_pk_mul_f32 v[102:103], v[96:97], v[100:101] op_sel:[1,1] op_sel_hi:[0,1]
	v_pk_fma_f32 v[104:105], v[96:97], v[100:101], v[102:103] op_sel_hi:[1,0,1]
	v_pk_fma_f32 v[96:97], v[96:97], v[100:101], v[102:103] neg_lo:[0,0,1] neg_hi:[0,0,1]
	s_delay_alu instid0(VALU_DEP_2)
	v_mov_b32_e32 v97, v105
	scratch_store_b64 off, v[96:97], off offset:48
.LBB109_510:
	s_wait_xcnt 0x0
	s_or_b32 exec_lo, exec_lo, s0
	scratch_load_b64 v[96:97], off, off offset:56
	s_mov_b32 s0, exec_lo
	s_wait_loadcnt 0x0
	ds_store_b64 v1, v[96:97]
	s_wait_storecnt_dscnt 0x0
	s_barrier_signal -1
	s_barrier_wait -1
	s_wait_xcnt 0x0
	v_cmpx_gt_u32_e32 7, v0
	s_cbranch_execz .LBB109_520
; %bb.511:
	v_cmp_ne_u32_e32 vcc_lo, 1, v98
	s_cbranch_vccnz .LBB109_513
; %bb.512:
	scratch_load_b64 v[96:97], v59, off
	ds_load_b64 v[100:101], v1
	s_wait_loadcnt_dscnt 0x0
	v_pk_mul_f32 v[102:103], v[100:101], v[96:97] op_sel:[1,1] op_sel_hi:[0,1]
	s_delay_alu instid0(VALU_DEP_1) | instskip(SKIP_1) | instid1(VALU_DEP_2)
	v_pk_fma_f32 v[104:105], v[100:101], v[96:97], v[102:103] op_sel_hi:[1,0,1]
	v_pk_fma_f32 v[96:97], v[100:101], v[96:97], v[102:103] neg_lo:[0,0,1] neg_hi:[0,0,1]
	v_mov_b32_e32 v97, v105
	s_cbranch_execz .LBB109_514
	s_branch .LBB109_515
.LBB109_513:
                                        ; implicit-def: $vgpr96_vgpr97
.LBB109_514:
	ds_load_b64 v[96:97], v1
.LBB109_515:
	s_mov_b32 s2, exec_lo
	v_cmpx_ne_u32_e32 6, v0
	s_cbranch_execz .LBB109_519
; %bb.516:
	v_add_nc_u32_e32 v99, 0x178, v58
	v_add3_u32 v100, 0, v58, 8
	v_mov_b32_e32 v101, v0
	s_mov_b32 s3, 0
.LBB109_517:                            ; =>This Inner Loop Header: Depth=1
	scratch_load_b64 v[102:103], v100, off
	ds_load_b64 v[104:105], v99
	s_wait_xcnt 0x0
	v_dual_add_nc_u32 v99, 8, v99 :: v_dual_add_nc_u32 v100, 8, v100
	s_wait_loadcnt_dscnt 0x0
	v_pk_mul_f32 v[106:107], v[104:105], v[102:103] op_sel:[1,1] op_sel_hi:[0,1]
	s_delay_alu instid0(VALU_DEP_1) | instskip(SKIP_2) | instid1(VALU_DEP_3)
	v_pk_fma_f32 v[108:109], v[104:105], v[102:103], v[106:107] op_sel_hi:[1,0,1]
	v_add_nc_u32_e32 v101, 1, v101
	v_pk_fma_f32 v[102:103], v[104:105], v[102:103], v[106:107] neg_lo:[0,0,1] neg_hi:[0,0,1]
	v_mov_b32_e32 v103, v109
	s_delay_alu instid0(VALU_DEP_3) | instskip(NEXT) | instid1(VALU_DEP_2)
	v_cmp_lt_u32_e32 vcc_lo, 5, v101
	v_pk_add_f32 v[96:97], v[96:97], v[102:103]
	s_or_b32 s3, vcc_lo, s3
	s_delay_alu instid0(SALU_CYCLE_1)
	s_and_not1_b32 exec_lo, exec_lo, s3
	s_cbranch_execnz .LBB109_517
; %bb.518:
	s_or_b32 exec_lo, exec_lo, s3
.LBB109_519:
	s_delay_alu instid0(SALU_CYCLE_1) | instskip(SKIP_4) | instid1(VALU_DEP_1)
	s_or_b32 exec_lo, exec_lo, s2
	v_mov_b32_e32 v99, 0
	ds_load_b64 v[100:101], v99 offset:56
	s_wait_dscnt 0x0
	v_pk_mul_f32 v[102:103], v[96:97], v[100:101] op_sel:[1,1] op_sel_hi:[0,1]
	v_pk_fma_f32 v[104:105], v[96:97], v[100:101], v[102:103] op_sel_hi:[1,0,1]
	v_pk_fma_f32 v[96:97], v[96:97], v[100:101], v[102:103] neg_lo:[0,0,1] neg_hi:[0,0,1]
	s_delay_alu instid0(VALU_DEP_2)
	v_mov_b32_e32 v97, v105
	scratch_store_b64 off, v[96:97], off offset:56
.LBB109_520:
	s_wait_xcnt 0x0
	s_or_b32 exec_lo, exec_lo, s0
	scratch_load_b64 v[96:97], off, off offset:64
	s_mov_b32 s0, exec_lo
	s_wait_loadcnt 0x0
	ds_store_b64 v1, v[96:97]
	s_wait_storecnt_dscnt 0x0
	s_barrier_signal -1
	s_barrier_wait -1
	s_wait_xcnt 0x0
	v_cmpx_gt_u32_e32 8, v0
	s_cbranch_execz .LBB109_530
; %bb.521:
	v_cmp_ne_u32_e32 vcc_lo, 1, v98
	s_cbranch_vccnz .LBB109_523
; %bb.522:
	scratch_load_b64 v[96:97], v59, off
	ds_load_b64 v[100:101], v1
	s_wait_loadcnt_dscnt 0x0
	v_pk_mul_f32 v[102:103], v[100:101], v[96:97] op_sel:[1,1] op_sel_hi:[0,1]
	s_delay_alu instid0(VALU_DEP_1) | instskip(SKIP_1) | instid1(VALU_DEP_2)
	v_pk_fma_f32 v[104:105], v[100:101], v[96:97], v[102:103] op_sel_hi:[1,0,1]
	v_pk_fma_f32 v[96:97], v[100:101], v[96:97], v[102:103] neg_lo:[0,0,1] neg_hi:[0,0,1]
	v_mov_b32_e32 v97, v105
	s_cbranch_execz .LBB109_524
	s_branch .LBB109_525
.LBB109_523:
                                        ; implicit-def: $vgpr96_vgpr97
.LBB109_524:
	ds_load_b64 v[96:97], v1
.LBB109_525:
	s_mov_b32 s2, exec_lo
	v_cmpx_ne_u32_e32 7, v0
	s_cbranch_execz .LBB109_529
; %bb.526:
	v_add_nc_u32_e32 v99, 0x178, v58
	v_add3_u32 v100, 0, v58, 8
	v_mov_b32_e32 v101, v0
	s_mov_b32 s3, 0
.LBB109_527:                            ; =>This Inner Loop Header: Depth=1
	scratch_load_b64 v[102:103], v100, off
	ds_load_b64 v[104:105], v99
	s_wait_xcnt 0x0
	v_dual_add_nc_u32 v99, 8, v99 :: v_dual_add_nc_u32 v100, 8, v100
	s_wait_loadcnt_dscnt 0x0
	v_pk_mul_f32 v[106:107], v[104:105], v[102:103] op_sel:[1,1] op_sel_hi:[0,1]
	s_delay_alu instid0(VALU_DEP_1) | instskip(SKIP_2) | instid1(VALU_DEP_3)
	v_pk_fma_f32 v[108:109], v[104:105], v[102:103], v[106:107] op_sel_hi:[1,0,1]
	v_add_nc_u32_e32 v101, 1, v101
	v_pk_fma_f32 v[102:103], v[104:105], v[102:103], v[106:107] neg_lo:[0,0,1] neg_hi:[0,0,1]
	v_mov_b32_e32 v103, v109
	s_delay_alu instid0(VALU_DEP_3) | instskip(NEXT) | instid1(VALU_DEP_2)
	v_cmp_lt_u32_e32 vcc_lo, 6, v101
	v_pk_add_f32 v[96:97], v[96:97], v[102:103]
	s_or_b32 s3, vcc_lo, s3
	s_delay_alu instid0(SALU_CYCLE_1)
	s_and_not1_b32 exec_lo, exec_lo, s3
	s_cbranch_execnz .LBB109_527
; %bb.528:
	s_or_b32 exec_lo, exec_lo, s3
.LBB109_529:
	s_delay_alu instid0(SALU_CYCLE_1) | instskip(SKIP_4) | instid1(VALU_DEP_1)
	s_or_b32 exec_lo, exec_lo, s2
	v_mov_b32_e32 v99, 0
	ds_load_b64 v[100:101], v99 offset:64
	s_wait_dscnt 0x0
	v_pk_mul_f32 v[102:103], v[96:97], v[100:101] op_sel:[1,1] op_sel_hi:[0,1]
	v_pk_fma_f32 v[104:105], v[96:97], v[100:101], v[102:103] op_sel_hi:[1,0,1]
	v_pk_fma_f32 v[96:97], v[96:97], v[100:101], v[102:103] neg_lo:[0,0,1] neg_hi:[0,0,1]
	s_delay_alu instid0(VALU_DEP_2)
	v_mov_b32_e32 v97, v105
	scratch_store_b64 off, v[96:97], off offset:64
.LBB109_530:
	s_wait_xcnt 0x0
	s_or_b32 exec_lo, exec_lo, s0
	scratch_load_b64 v[96:97], off, off offset:72
	s_mov_b32 s0, exec_lo
	s_wait_loadcnt 0x0
	ds_store_b64 v1, v[96:97]
	s_wait_storecnt_dscnt 0x0
	s_barrier_signal -1
	s_barrier_wait -1
	s_wait_xcnt 0x0
	v_cmpx_gt_u32_e32 9, v0
	s_cbranch_execz .LBB109_540
; %bb.531:
	v_cmp_ne_u32_e32 vcc_lo, 1, v98
	s_cbranch_vccnz .LBB109_533
; %bb.532:
	scratch_load_b64 v[96:97], v59, off
	ds_load_b64 v[100:101], v1
	s_wait_loadcnt_dscnt 0x0
	v_pk_mul_f32 v[102:103], v[100:101], v[96:97] op_sel:[1,1] op_sel_hi:[0,1]
	s_delay_alu instid0(VALU_DEP_1) | instskip(SKIP_1) | instid1(VALU_DEP_2)
	v_pk_fma_f32 v[104:105], v[100:101], v[96:97], v[102:103] op_sel_hi:[1,0,1]
	v_pk_fma_f32 v[96:97], v[100:101], v[96:97], v[102:103] neg_lo:[0,0,1] neg_hi:[0,0,1]
	v_mov_b32_e32 v97, v105
	s_cbranch_execz .LBB109_534
	s_branch .LBB109_535
.LBB109_533:
                                        ; implicit-def: $vgpr96_vgpr97
.LBB109_534:
	ds_load_b64 v[96:97], v1
.LBB109_535:
	s_mov_b32 s2, exec_lo
	v_cmpx_ne_u32_e32 8, v0
	s_cbranch_execz .LBB109_539
; %bb.536:
	v_add_nc_u32_e32 v99, 0x178, v58
	v_add3_u32 v100, 0, v58, 8
	v_mov_b32_e32 v101, v0
	s_mov_b32 s3, 0
.LBB109_537:                            ; =>This Inner Loop Header: Depth=1
	scratch_load_b64 v[102:103], v100, off
	ds_load_b64 v[104:105], v99
	s_wait_xcnt 0x0
	v_dual_add_nc_u32 v99, 8, v99 :: v_dual_add_nc_u32 v100, 8, v100
	s_wait_loadcnt_dscnt 0x0
	v_pk_mul_f32 v[106:107], v[104:105], v[102:103] op_sel:[1,1] op_sel_hi:[0,1]
	s_delay_alu instid0(VALU_DEP_1) | instskip(SKIP_2) | instid1(VALU_DEP_3)
	v_pk_fma_f32 v[108:109], v[104:105], v[102:103], v[106:107] op_sel_hi:[1,0,1]
	v_add_nc_u32_e32 v101, 1, v101
	v_pk_fma_f32 v[102:103], v[104:105], v[102:103], v[106:107] neg_lo:[0,0,1] neg_hi:[0,0,1]
	v_mov_b32_e32 v103, v109
	s_delay_alu instid0(VALU_DEP_3) | instskip(NEXT) | instid1(VALU_DEP_2)
	v_cmp_lt_u32_e32 vcc_lo, 7, v101
	v_pk_add_f32 v[96:97], v[96:97], v[102:103]
	s_or_b32 s3, vcc_lo, s3
	s_delay_alu instid0(SALU_CYCLE_1)
	s_and_not1_b32 exec_lo, exec_lo, s3
	s_cbranch_execnz .LBB109_537
; %bb.538:
	s_or_b32 exec_lo, exec_lo, s3
.LBB109_539:
	s_delay_alu instid0(SALU_CYCLE_1) | instskip(SKIP_4) | instid1(VALU_DEP_1)
	s_or_b32 exec_lo, exec_lo, s2
	v_mov_b32_e32 v99, 0
	ds_load_b64 v[100:101], v99 offset:72
	s_wait_dscnt 0x0
	v_pk_mul_f32 v[102:103], v[96:97], v[100:101] op_sel:[1,1] op_sel_hi:[0,1]
	v_pk_fma_f32 v[104:105], v[96:97], v[100:101], v[102:103] op_sel_hi:[1,0,1]
	v_pk_fma_f32 v[96:97], v[96:97], v[100:101], v[102:103] neg_lo:[0,0,1] neg_hi:[0,0,1]
	s_delay_alu instid0(VALU_DEP_2)
	v_mov_b32_e32 v97, v105
	scratch_store_b64 off, v[96:97], off offset:72
.LBB109_540:
	s_wait_xcnt 0x0
	s_or_b32 exec_lo, exec_lo, s0
	scratch_load_b64 v[96:97], off, off offset:80
	s_mov_b32 s0, exec_lo
	s_wait_loadcnt 0x0
	ds_store_b64 v1, v[96:97]
	s_wait_storecnt_dscnt 0x0
	s_barrier_signal -1
	s_barrier_wait -1
	s_wait_xcnt 0x0
	v_cmpx_gt_u32_e32 10, v0
	s_cbranch_execz .LBB109_550
; %bb.541:
	v_cmp_ne_u32_e32 vcc_lo, 1, v98
	s_cbranch_vccnz .LBB109_543
; %bb.542:
	scratch_load_b64 v[96:97], v59, off
	ds_load_b64 v[100:101], v1
	s_wait_loadcnt_dscnt 0x0
	v_pk_mul_f32 v[102:103], v[100:101], v[96:97] op_sel:[1,1] op_sel_hi:[0,1]
	s_delay_alu instid0(VALU_DEP_1) | instskip(SKIP_1) | instid1(VALU_DEP_2)
	v_pk_fma_f32 v[104:105], v[100:101], v[96:97], v[102:103] op_sel_hi:[1,0,1]
	v_pk_fma_f32 v[96:97], v[100:101], v[96:97], v[102:103] neg_lo:[0,0,1] neg_hi:[0,0,1]
	v_mov_b32_e32 v97, v105
	s_cbranch_execz .LBB109_544
	s_branch .LBB109_545
.LBB109_543:
                                        ; implicit-def: $vgpr96_vgpr97
.LBB109_544:
	ds_load_b64 v[96:97], v1
.LBB109_545:
	s_mov_b32 s2, exec_lo
	v_cmpx_ne_u32_e32 9, v0
	s_cbranch_execz .LBB109_549
; %bb.546:
	v_add_nc_u32_e32 v99, 0x178, v58
	v_add3_u32 v100, 0, v58, 8
	v_mov_b32_e32 v101, v0
	s_mov_b32 s3, 0
.LBB109_547:                            ; =>This Inner Loop Header: Depth=1
	scratch_load_b64 v[102:103], v100, off
	ds_load_b64 v[104:105], v99
	s_wait_xcnt 0x0
	v_dual_add_nc_u32 v99, 8, v99 :: v_dual_add_nc_u32 v100, 8, v100
	s_wait_loadcnt_dscnt 0x0
	v_pk_mul_f32 v[106:107], v[104:105], v[102:103] op_sel:[1,1] op_sel_hi:[0,1]
	s_delay_alu instid0(VALU_DEP_1) | instskip(SKIP_2) | instid1(VALU_DEP_3)
	v_pk_fma_f32 v[108:109], v[104:105], v[102:103], v[106:107] op_sel_hi:[1,0,1]
	v_add_nc_u32_e32 v101, 1, v101
	v_pk_fma_f32 v[102:103], v[104:105], v[102:103], v[106:107] neg_lo:[0,0,1] neg_hi:[0,0,1]
	v_mov_b32_e32 v103, v109
	s_delay_alu instid0(VALU_DEP_3) | instskip(NEXT) | instid1(VALU_DEP_2)
	v_cmp_lt_u32_e32 vcc_lo, 8, v101
	v_pk_add_f32 v[96:97], v[96:97], v[102:103]
	s_or_b32 s3, vcc_lo, s3
	s_delay_alu instid0(SALU_CYCLE_1)
	s_and_not1_b32 exec_lo, exec_lo, s3
	s_cbranch_execnz .LBB109_547
; %bb.548:
	s_or_b32 exec_lo, exec_lo, s3
.LBB109_549:
	s_delay_alu instid0(SALU_CYCLE_1) | instskip(SKIP_4) | instid1(VALU_DEP_1)
	s_or_b32 exec_lo, exec_lo, s2
	v_mov_b32_e32 v99, 0
	ds_load_b64 v[100:101], v99 offset:80
	s_wait_dscnt 0x0
	v_pk_mul_f32 v[102:103], v[96:97], v[100:101] op_sel:[1,1] op_sel_hi:[0,1]
	v_pk_fma_f32 v[104:105], v[96:97], v[100:101], v[102:103] op_sel_hi:[1,0,1]
	v_pk_fma_f32 v[96:97], v[96:97], v[100:101], v[102:103] neg_lo:[0,0,1] neg_hi:[0,0,1]
	s_delay_alu instid0(VALU_DEP_2)
	v_mov_b32_e32 v97, v105
	scratch_store_b64 off, v[96:97], off offset:80
.LBB109_550:
	s_wait_xcnt 0x0
	s_or_b32 exec_lo, exec_lo, s0
	scratch_load_b64 v[96:97], off, off offset:88
	s_mov_b32 s0, exec_lo
	s_wait_loadcnt 0x0
	ds_store_b64 v1, v[96:97]
	s_wait_storecnt_dscnt 0x0
	s_barrier_signal -1
	s_barrier_wait -1
	s_wait_xcnt 0x0
	v_cmpx_gt_u32_e32 11, v0
	s_cbranch_execz .LBB109_560
; %bb.551:
	v_cmp_ne_u32_e32 vcc_lo, 1, v98
	s_cbranch_vccnz .LBB109_553
; %bb.552:
	scratch_load_b64 v[96:97], v59, off
	ds_load_b64 v[100:101], v1
	s_wait_loadcnt_dscnt 0x0
	v_pk_mul_f32 v[102:103], v[100:101], v[96:97] op_sel:[1,1] op_sel_hi:[0,1]
	s_delay_alu instid0(VALU_DEP_1) | instskip(SKIP_1) | instid1(VALU_DEP_2)
	v_pk_fma_f32 v[104:105], v[100:101], v[96:97], v[102:103] op_sel_hi:[1,0,1]
	v_pk_fma_f32 v[96:97], v[100:101], v[96:97], v[102:103] neg_lo:[0,0,1] neg_hi:[0,0,1]
	v_mov_b32_e32 v97, v105
	s_cbranch_execz .LBB109_554
	s_branch .LBB109_555
.LBB109_553:
                                        ; implicit-def: $vgpr96_vgpr97
.LBB109_554:
	ds_load_b64 v[96:97], v1
.LBB109_555:
	s_mov_b32 s2, exec_lo
	v_cmpx_ne_u32_e32 10, v0
	s_cbranch_execz .LBB109_559
; %bb.556:
	v_add_nc_u32_e32 v99, 0x178, v58
	v_add3_u32 v100, 0, v58, 8
	v_mov_b32_e32 v101, v0
	s_mov_b32 s3, 0
.LBB109_557:                            ; =>This Inner Loop Header: Depth=1
	scratch_load_b64 v[102:103], v100, off
	ds_load_b64 v[104:105], v99
	s_wait_xcnt 0x0
	v_dual_add_nc_u32 v99, 8, v99 :: v_dual_add_nc_u32 v100, 8, v100
	s_wait_loadcnt_dscnt 0x0
	v_pk_mul_f32 v[106:107], v[104:105], v[102:103] op_sel:[1,1] op_sel_hi:[0,1]
	s_delay_alu instid0(VALU_DEP_1) | instskip(SKIP_2) | instid1(VALU_DEP_3)
	v_pk_fma_f32 v[108:109], v[104:105], v[102:103], v[106:107] op_sel_hi:[1,0,1]
	v_add_nc_u32_e32 v101, 1, v101
	v_pk_fma_f32 v[102:103], v[104:105], v[102:103], v[106:107] neg_lo:[0,0,1] neg_hi:[0,0,1]
	v_mov_b32_e32 v103, v109
	s_delay_alu instid0(VALU_DEP_3) | instskip(NEXT) | instid1(VALU_DEP_2)
	v_cmp_lt_u32_e32 vcc_lo, 9, v101
	v_pk_add_f32 v[96:97], v[96:97], v[102:103]
	s_or_b32 s3, vcc_lo, s3
	s_delay_alu instid0(SALU_CYCLE_1)
	s_and_not1_b32 exec_lo, exec_lo, s3
	s_cbranch_execnz .LBB109_557
; %bb.558:
	s_or_b32 exec_lo, exec_lo, s3
.LBB109_559:
	s_delay_alu instid0(SALU_CYCLE_1) | instskip(SKIP_4) | instid1(VALU_DEP_1)
	s_or_b32 exec_lo, exec_lo, s2
	v_mov_b32_e32 v99, 0
	ds_load_b64 v[100:101], v99 offset:88
	s_wait_dscnt 0x0
	v_pk_mul_f32 v[102:103], v[96:97], v[100:101] op_sel:[1,1] op_sel_hi:[0,1]
	v_pk_fma_f32 v[104:105], v[96:97], v[100:101], v[102:103] op_sel_hi:[1,0,1]
	v_pk_fma_f32 v[96:97], v[96:97], v[100:101], v[102:103] neg_lo:[0,0,1] neg_hi:[0,0,1]
	s_delay_alu instid0(VALU_DEP_2)
	v_mov_b32_e32 v97, v105
	scratch_store_b64 off, v[96:97], off offset:88
.LBB109_560:
	s_wait_xcnt 0x0
	s_or_b32 exec_lo, exec_lo, s0
	scratch_load_b64 v[96:97], off, off offset:96
	s_mov_b32 s0, exec_lo
	s_wait_loadcnt 0x0
	ds_store_b64 v1, v[96:97]
	s_wait_storecnt_dscnt 0x0
	s_barrier_signal -1
	s_barrier_wait -1
	s_wait_xcnt 0x0
	v_cmpx_gt_u32_e32 12, v0
	s_cbranch_execz .LBB109_570
; %bb.561:
	v_cmp_ne_u32_e32 vcc_lo, 1, v98
	s_cbranch_vccnz .LBB109_563
; %bb.562:
	scratch_load_b64 v[96:97], v59, off
	ds_load_b64 v[100:101], v1
	s_wait_loadcnt_dscnt 0x0
	v_pk_mul_f32 v[102:103], v[100:101], v[96:97] op_sel:[1,1] op_sel_hi:[0,1]
	s_delay_alu instid0(VALU_DEP_1) | instskip(SKIP_1) | instid1(VALU_DEP_2)
	v_pk_fma_f32 v[104:105], v[100:101], v[96:97], v[102:103] op_sel_hi:[1,0,1]
	v_pk_fma_f32 v[96:97], v[100:101], v[96:97], v[102:103] neg_lo:[0,0,1] neg_hi:[0,0,1]
	v_mov_b32_e32 v97, v105
	s_cbranch_execz .LBB109_564
	s_branch .LBB109_565
.LBB109_563:
                                        ; implicit-def: $vgpr96_vgpr97
.LBB109_564:
	ds_load_b64 v[96:97], v1
.LBB109_565:
	s_mov_b32 s2, exec_lo
	v_cmpx_ne_u32_e32 11, v0
	s_cbranch_execz .LBB109_569
; %bb.566:
	v_add_nc_u32_e32 v99, 0x178, v58
	v_add3_u32 v100, 0, v58, 8
	v_mov_b32_e32 v101, v0
	s_mov_b32 s3, 0
.LBB109_567:                            ; =>This Inner Loop Header: Depth=1
	scratch_load_b64 v[102:103], v100, off
	ds_load_b64 v[104:105], v99
	s_wait_xcnt 0x0
	v_dual_add_nc_u32 v99, 8, v99 :: v_dual_add_nc_u32 v100, 8, v100
	s_wait_loadcnt_dscnt 0x0
	v_pk_mul_f32 v[106:107], v[104:105], v[102:103] op_sel:[1,1] op_sel_hi:[0,1]
	s_delay_alu instid0(VALU_DEP_1) | instskip(SKIP_2) | instid1(VALU_DEP_3)
	v_pk_fma_f32 v[108:109], v[104:105], v[102:103], v[106:107] op_sel_hi:[1,0,1]
	v_add_nc_u32_e32 v101, 1, v101
	v_pk_fma_f32 v[102:103], v[104:105], v[102:103], v[106:107] neg_lo:[0,0,1] neg_hi:[0,0,1]
	v_mov_b32_e32 v103, v109
	s_delay_alu instid0(VALU_DEP_3) | instskip(NEXT) | instid1(VALU_DEP_2)
	v_cmp_lt_u32_e32 vcc_lo, 10, v101
	v_pk_add_f32 v[96:97], v[96:97], v[102:103]
	s_or_b32 s3, vcc_lo, s3
	s_delay_alu instid0(SALU_CYCLE_1)
	s_and_not1_b32 exec_lo, exec_lo, s3
	s_cbranch_execnz .LBB109_567
; %bb.568:
	s_or_b32 exec_lo, exec_lo, s3
.LBB109_569:
	s_delay_alu instid0(SALU_CYCLE_1) | instskip(SKIP_4) | instid1(VALU_DEP_1)
	s_or_b32 exec_lo, exec_lo, s2
	v_mov_b32_e32 v99, 0
	ds_load_b64 v[100:101], v99 offset:96
	s_wait_dscnt 0x0
	v_pk_mul_f32 v[102:103], v[96:97], v[100:101] op_sel:[1,1] op_sel_hi:[0,1]
	v_pk_fma_f32 v[104:105], v[96:97], v[100:101], v[102:103] op_sel_hi:[1,0,1]
	v_pk_fma_f32 v[96:97], v[96:97], v[100:101], v[102:103] neg_lo:[0,0,1] neg_hi:[0,0,1]
	s_delay_alu instid0(VALU_DEP_2)
	v_mov_b32_e32 v97, v105
	scratch_store_b64 off, v[96:97], off offset:96
.LBB109_570:
	s_wait_xcnt 0x0
	s_or_b32 exec_lo, exec_lo, s0
	scratch_load_b64 v[96:97], off, off offset:104
	s_mov_b32 s0, exec_lo
	s_wait_loadcnt 0x0
	ds_store_b64 v1, v[96:97]
	s_wait_storecnt_dscnt 0x0
	s_barrier_signal -1
	s_barrier_wait -1
	s_wait_xcnt 0x0
	v_cmpx_gt_u32_e32 13, v0
	s_cbranch_execz .LBB109_580
; %bb.571:
	v_cmp_ne_u32_e32 vcc_lo, 1, v98
	s_cbranch_vccnz .LBB109_573
; %bb.572:
	scratch_load_b64 v[96:97], v59, off
	ds_load_b64 v[100:101], v1
	s_wait_loadcnt_dscnt 0x0
	v_pk_mul_f32 v[102:103], v[100:101], v[96:97] op_sel:[1,1] op_sel_hi:[0,1]
	s_delay_alu instid0(VALU_DEP_1) | instskip(SKIP_1) | instid1(VALU_DEP_2)
	v_pk_fma_f32 v[104:105], v[100:101], v[96:97], v[102:103] op_sel_hi:[1,0,1]
	v_pk_fma_f32 v[96:97], v[100:101], v[96:97], v[102:103] neg_lo:[0,0,1] neg_hi:[0,0,1]
	v_mov_b32_e32 v97, v105
	s_cbranch_execz .LBB109_574
	s_branch .LBB109_575
.LBB109_573:
                                        ; implicit-def: $vgpr96_vgpr97
.LBB109_574:
	ds_load_b64 v[96:97], v1
.LBB109_575:
	s_mov_b32 s2, exec_lo
	v_cmpx_ne_u32_e32 12, v0
	s_cbranch_execz .LBB109_579
; %bb.576:
	v_add_nc_u32_e32 v99, 0x178, v58
	v_add3_u32 v100, 0, v58, 8
	v_mov_b32_e32 v101, v0
	s_mov_b32 s3, 0
.LBB109_577:                            ; =>This Inner Loop Header: Depth=1
	scratch_load_b64 v[102:103], v100, off
	ds_load_b64 v[104:105], v99
	s_wait_xcnt 0x0
	v_dual_add_nc_u32 v99, 8, v99 :: v_dual_add_nc_u32 v100, 8, v100
	s_wait_loadcnt_dscnt 0x0
	v_pk_mul_f32 v[106:107], v[104:105], v[102:103] op_sel:[1,1] op_sel_hi:[0,1]
	s_delay_alu instid0(VALU_DEP_1) | instskip(SKIP_2) | instid1(VALU_DEP_3)
	v_pk_fma_f32 v[108:109], v[104:105], v[102:103], v[106:107] op_sel_hi:[1,0,1]
	v_add_nc_u32_e32 v101, 1, v101
	v_pk_fma_f32 v[102:103], v[104:105], v[102:103], v[106:107] neg_lo:[0,0,1] neg_hi:[0,0,1]
	v_mov_b32_e32 v103, v109
	s_delay_alu instid0(VALU_DEP_3) | instskip(NEXT) | instid1(VALU_DEP_2)
	v_cmp_lt_u32_e32 vcc_lo, 11, v101
	v_pk_add_f32 v[96:97], v[96:97], v[102:103]
	s_or_b32 s3, vcc_lo, s3
	s_delay_alu instid0(SALU_CYCLE_1)
	s_and_not1_b32 exec_lo, exec_lo, s3
	s_cbranch_execnz .LBB109_577
; %bb.578:
	s_or_b32 exec_lo, exec_lo, s3
.LBB109_579:
	s_delay_alu instid0(SALU_CYCLE_1) | instskip(SKIP_4) | instid1(VALU_DEP_1)
	s_or_b32 exec_lo, exec_lo, s2
	v_mov_b32_e32 v99, 0
	ds_load_b64 v[100:101], v99 offset:104
	s_wait_dscnt 0x0
	v_pk_mul_f32 v[102:103], v[96:97], v[100:101] op_sel:[1,1] op_sel_hi:[0,1]
	v_pk_fma_f32 v[104:105], v[96:97], v[100:101], v[102:103] op_sel_hi:[1,0,1]
	v_pk_fma_f32 v[96:97], v[96:97], v[100:101], v[102:103] neg_lo:[0,0,1] neg_hi:[0,0,1]
	s_delay_alu instid0(VALU_DEP_2)
	v_mov_b32_e32 v97, v105
	scratch_store_b64 off, v[96:97], off offset:104
.LBB109_580:
	s_wait_xcnt 0x0
	s_or_b32 exec_lo, exec_lo, s0
	scratch_load_b64 v[96:97], off, off offset:112
	s_mov_b32 s0, exec_lo
	s_wait_loadcnt 0x0
	ds_store_b64 v1, v[96:97]
	s_wait_storecnt_dscnt 0x0
	s_barrier_signal -1
	s_barrier_wait -1
	s_wait_xcnt 0x0
	v_cmpx_gt_u32_e32 14, v0
	s_cbranch_execz .LBB109_590
; %bb.581:
	v_cmp_ne_u32_e32 vcc_lo, 1, v98
	s_cbranch_vccnz .LBB109_583
; %bb.582:
	scratch_load_b64 v[96:97], v59, off
	ds_load_b64 v[100:101], v1
	s_wait_loadcnt_dscnt 0x0
	v_pk_mul_f32 v[102:103], v[100:101], v[96:97] op_sel:[1,1] op_sel_hi:[0,1]
	s_delay_alu instid0(VALU_DEP_1) | instskip(SKIP_1) | instid1(VALU_DEP_2)
	v_pk_fma_f32 v[104:105], v[100:101], v[96:97], v[102:103] op_sel_hi:[1,0,1]
	v_pk_fma_f32 v[96:97], v[100:101], v[96:97], v[102:103] neg_lo:[0,0,1] neg_hi:[0,0,1]
	v_mov_b32_e32 v97, v105
	s_cbranch_execz .LBB109_584
	s_branch .LBB109_585
.LBB109_583:
                                        ; implicit-def: $vgpr96_vgpr97
.LBB109_584:
	ds_load_b64 v[96:97], v1
.LBB109_585:
	s_mov_b32 s2, exec_lo
	v_cmpx_ne_u32_e32 13, v0
	s_cbranch_execz .LBB109_589
; %bb.586:
	v_add_nc_u32_e32 v99, 0x178, v58
	v_add3_u32 v100, 0, v58, 8
	v_mov_b32_e32 v101, v0
	s_mov_b32 s3, 0
.LBB109_587:                            ; =>This Inner Loop Header: Depth=1
	scratch_load_b64 v[102:103], v100, off
	ds_load_b64 v[104:105], v99
	s_wait_xcnt 0x0
	v_dual_add_nc_u32 v99, 8, v99 :: v_dual_add_nc_u32 v100, 8, v100
	s_wait_loadcnt_dscnt 0x0
	v_pk_mul_f32 v[106:107], v[104:105], v[102:103] op_sel:[1,1] op_sel_hi:[0,1]
	s_delay_alu instid0(VALU_DEP_1) | instskip(SKIP_2) | instid1(VALU_DEP_3)
	v_pk_fma_f32 v[108:109], v[104:105], v[102:103], v[106:107] op_sel_hi:[1,0,1]
	v_add_nc_u32_e32 v101, 1, v101
	v_pk_fma_f32 v[102:103], v[104:105], v[102:103], v[106:107] neg_lo:[0,0,1] neg_hi:[0,0,1]
	v_mov_b32_e32 v103, v109
	s_delay_alu instid0(VALU_DEP_3) | instskip(NEXT) | instid1(VALU_DEP_2)
	v_cmp_lt_u32_e32 vcc_lo, 12, v101
	v_pk_add_f32 v[96:97], v[96:97], v[102:103]
	s_or_b32 s3, vcc_lo, s3
	s_delay_alu instid0(SALU_CYCLE_1)
	s_and_not1_b32 exec_lo, exec_lo, s3
	s_cbranch_execnz .LBB109_587
; %bb.588:
	s_or_b32 exec_lo, exec_lo, s3
.LBB109_589:
	s_delay_alu instid0(SALU_CYCLE_1) | instskip(SKIP_4) | instid1(VALU_DEP_1)
	s_or_b32 exec_lo, exec_lo, s2
	v_mov_b32_e32 v99, 0
	ds_load_b64 v[100:101], v99 offset:112
	s_wait_dscnt 0x0
	v_pk_mul_f32 v[102:103], v[96:97], v[100:101] op_sel:[1,1] op_sel_hi:[0,1]
	v_pk_fma_f32 v[104:105], v[96:97], v[100:101], v[102:103] op_sel_hi:[1,0,1]
	v_pk_fma_f32 v[96:97], v[96:97], v[100:101], v[102:103] neg_lo:[0,0,1] neg_hi:[0,0,1]
	s_delay_alu instid0(VALU_DEP_2)
	v_mov_b32_e32 v97, v105
	scratch_store_b64 off, v[96:97], off offset:112
.LBB109_590:
	s_wait_xcnt 0x0
	s_or_b32 exec_lo, exec_lo, s0
	scratch_load_b64 v[96:97], off, off offset:120
	s_mov_b32 s0, exec_lo
	s_wait_loadcnt 0x0
	ds_store_b64 v1, v[96:97]
	s_wait_storecnt_dscnt 0x0
	s_barrier_signal -1
	s_barrier_wait -1
	s_wait_xcnt 0x0
	v_cmpx_gt_u32_e32 15, v0
	s_cbranch_execz .LBB109_600
; %bb.591:
	v_cmp_ne_u32_e32 vcc_lo, 1, v98
	s_cbranch_vccnz .LBB109_593
; %bb.592:
	scratch_load_b64 v[96:97], v59, off
	ds_load_b64 v[100:101], v1
	s_wait_loadcnt_dscnt 0x0
	v_pk_mul_f32 v[102:103], v[100:101], v[96:97] op_sel:[1,1] op_sel_hi:[0,1]
	s_delay_alu instid0(VALU_DEP_1) | instskip(SKIP_1) | instid1(VALU_DEP_2)
	v_pk_fma_f32 v[104:105], v[100:101], v[96:97], v[102:103] op_sel_hi:[1,0,1]
	v_pk_fma_f32 v[96:97], v[100:101], v[96:97], v[102:103] neg_lo:[0,0,1] neg_hi:[0,0,1]
	v_mov_b32_e32 v97, v105
	s_cbranch_execz .LBB109_594
	s_branch .LBB109_595
.LBB109_593:
                                        ; implicit-def: $vgpr96_vgpr97
.LBB109_594:
	ds_load_b64 v[96:97], v1
.LBB109_595:
	s_mov_b32 s2, exec_lo
	v_cmpx_ne_u32_e32 14, v0
	s_cbranch_execz .LBB109_599
; %bb.596:
	v_add_nc_u32_e32 v99, 0x178, v58
	v_add3_u32 v100, 0, v58, 8
	v_mov_b32_e32 v101, v0
	s_mov_b32 s3, 0
.LBB109_597:                            ; =>This Inner Loop Header: Depth=1
	scratch_load_b64 v[102:103], v100, off
	ds_load_b64 v[104:105], v99
	s_wait_xcnt 0x0
	v_dual_add_nc_u32 v99, 8, v99 :: v_dual_add_nc_u32 v100, 8, v100
	s_wait_loadcnt_dscnt 0x0
	v_pk_mul_f32 v[106:107], v[104:105], v[102:103] op_sel:[1,1] op_sel_hi:[0,1]
	s_delay_alu instid0(VALU_DEP_1) | instskip(SKIP_2) | instid1(VALU_DEP_3)
	v_pk_fma_f32 v[108:109], v[104:105], v[102:103], v[106:107] op_sel_hi:[1,0,1]
	v_add_nc_u32_e32 v101, 1, v101
	v_pk_fma_f32 v[102:103], v[104:105], v[102:103], v[106:107] neg_lo:[0,0,1] neg_hi:[0,0,1]
	v_mov_b32_e32 v103, v109
	s_delay_alu instid0(VALU_DEP_3) | instskip(NEXT) | instid1(VALU_DEP_2)
	v_cmp_lt_u32_e32 vcc_lo, 13, v101
	v_pk_add_f32 v[96:97], v[96:97], v[102:103]
	s_or_b32 s3, vcc_lo, s3
	s_delay_alu instid0(SALU_CYCLE_1)
	s_and_not1_b32 exec_lo, exec_lo, s3
	s_cbranch_execnz .LBB109_597
; %bb.598:
	s_or_b32 exec_lo, exec_lo, s3
.LBB109_599:
	s_delay_alu instid0(SALU_CYCLE_1) | instskip(SKIP_4) | instid1(VALU_DEP_1)
	s_or_b32 exec_lo, exec_lo, s2
	v_mov_b32_e32 v99, 0
	ds_load_b64 v[100:101], v99 offset:120
	s_wait_dscnt 0x0
	v_pk_mul_f32 v[102:103], v[96:97], v[100:101] op_sel:[1,1] op_sel_hi:[0,1]
	v_pk_fma_f32 v[104:105], v[96:97], v[100:101], v[102:103] op_sel_hi:[1,0,1]
	v_pk_fma_f32 v[96:97], v[96:97], v[100:101], v[102:103] neg_lo:[0,0,1] neg_hi:[0,0,1]
	s_delay_alu instid0(VALU_DEP_2)
	v_mov_b32_e32 v97, v105
	scratch_store_b64 off, v[96:97], off offset:120
.LBB109_600:
	s_wait_xcnt 0x0
	s_or_b32 exec_lo, exec_lo, s0
	scratch_load_b64 v[96:97], off, off offset:128
	s_mov_b32 s0, exec_lo
	s_wait_loadcnt 0x0
	ds_store_b64 v1, v[96:97]
	s_wait_storecnt_dscnt 0x0
	s_barrier_signal -1
	s_barrier_wait -1
	s_wait_xcnt 0x0
	v_cmpx_gt_u32_e32 16, v0
	s_cbranch_execz .LBB109_610
; %bb.601:
	v_cmp_ne_u32_e32 vcc_lo, 1, v98
	s_cbranch_vccnz .LBB109_603
; %bb.602:
	scratch_load_b64 v[96:97], v59, off
	ds_load_b64 v[100:101], v1
	s_wait_loadcnt_dscnt 0x0
	v_pk_mul_f32 v[102:103], v[100:101], v[96:97] op_sel:[1,1] op_sel_hi:[0,1]
	s_delay_alu instid0(VALU_DEP_1) | instskip(SKIP_1) | instid1(VALU_DEP_2)
	v_pk_fma_f32 v[104:105], v[100:101], v[96:97], v[102:103] op_sel_hi:[1,0,1]
	v_pk_fma_f32 v[96:97], v[100:101], v[96:97], v[102:103] neg_lo:[0,0,1] neg_hi:[0,0,1]
	v_mov_b32_e32 v97, v105
	s_cbranch_execz .LBB109_604
	s_branch .LBB109_605
.LBB109_603:
                                        ; implicit-def: $vgpr96_vgpr97
.LBB109_604:
	ds_load_b64 v[96:97], v1
.LBB109_605:
	s_mov_b32 s2, exec_lo
	v_cmpx_ne_u32_e32 15, v0
	s_cbranch_execz .LBB109_609
; %bb.606:
	v_add_nc_u32_e32 v99, 0x178, v58
	v_add3_u32 v100, 0, v58, 8
	v_mov_b32_e32 v101, v0
	s_mov_b32 s3, 0
.LBB109_607:                            ; =>This Inner Loop Header: Depth=1
	scratch_load_b64 v[102:103], v100, off
	ds_load_b64 v[104:105], v99
	s_wait_xcnt 0x0
	v_dual_add_nc_u32 v99, 8, v99 :: v_dual_add_nc_u32 v100, 8, v100
	s_wait_loadcnt_dscnt 0x0
	v_pk_mul_f32 v[106:107], v[104:105], v[102:103] op_sel:[1,1] op_sel_hi:[0,1]
	s_delay_alu instid0(VALU_DEP_1) | instskip(SKIP_2) | instid1(VALU_DEP_3)
	v_pk_fma_f32 v[108:109], v[104:105], v[102:103], v[106:107] op_sel_hi:[1,0,1]
	v_add_nc_u32_e32 v101, 1, v101
	v_pk_fma_f32 v[102:103], v[104:105], v[102:103], v[106:107] neg_lo:[0,0,1] neg_hi:[0,0,1]
	v_mov_b32_e32 v103, v109
	s_delay_alu instid0(VALU_DEP_3) | instskip(NEXT) | instid1(VALU_DEP_2)
	v_cmp_lt_u32_e32 vcc_lo, 14, v101
	v_pk_add_f32 v[96:97], v[96:97], v[102:103]
	s_or_b32 s3, vcc_lo, s3
	s_delay_alu instid0(SALU_CYCLE_1)
	s_and_not1_b32 exec_lo, exec_lo, s3
	s_cbranch_execnz .LBB109_607
; %bb.608:
	s_or_b32 exec_lo, exec_lo, s3
.LBB109_609:
	s_delay_alu instid0(SALU_CYCLE_1) | instskip(SKIP_4) | instid1(VALU_DEP_1)
	s_or_b32 exec_lo, exec_lo, s2
	v_mov_b32_e32 v99, 0
	ds_load_b64 v[100:101], v99 offset:128
	s_wait_dscnt 0x0
	v_pk_mul_f32 v[102:103], v[96:97], v[100:101] op_sel:[1,1] op_sel_hi:[0,1]
	v_pk_fma_f32 v[104:105], v[96:97], v[100:101], v[102:103] op_sel_hi:[1,0,1]
	v_pk_fma_f32 v[96:97], v[96:97], v[100:101], v[102:103] neg_lo:[0,0,1] neg_hi:[0,0,1]
	s_delay_alu instid0(VALU_DEP_2)
	v_mov_b32_e32 v97, v105
	scratch_store_b64 off, v[96:97], off offset:128
.LBB109_610:
	s_wait_xcnt 0x0
	s_or_b32 exec_lo, exec_lo, s0
	scratch_load_b64 v[96:97], off, off offset:136
	s_mov_b32 s0, exec_lo
	s_wait_loadcnt 0x0
	ds_store_b64 v1, v[96:97]
	s_wait_storecnt_dscnt 0x0
	s_barrier_signal -1
	s_barrier_wait -1
	s_wait_xcnt 0x0
	v_cmpx_gt_u32_e32 17, v0
	s_cbranch_execz .LBB109_620
; %bb.611:
	v_cmp_ne_u32_e32 vcc_lo, 1, v98
	s_cbranch_vccnz .LBB109_613
; %bb.612:
	scratch_load_b64 v[96:97], v59, off
	ds_load_b64 v[100:101], v1
	s_wait_loadcnt_dscnt 0x0
	v_pk_mul_f32 v[102:103], v[100:101], v[96:97] op_sel:[1,1] op_sel_hi:[0,1]
	s_delay_alu instid0(VALU_DEP_1) | instskip(SKIP_1) | instid1(VALU_DEP_2)
	v_pk_fma_f32 v[104:105], v[100:101], v[96:97], v[102:103] op_sel_hi:[1,0,1]
	v_pk_fma_f32 v[96:97], v[100:101], v[96:97], v[102:103] neg_lo:[0,0,1] neg_hi:[0,0,1]
	v_mov_b32_e32 v97, v105
	s_cbranch_execz .LBB109_614
	s_branch .LBB109_615
.LBB109_613:
                                        ; implicit-def: $vgpr96_vgpr97
.LBB109_614:
	ds_load_b64 v[96:97], v1
.LBB109_615:
	s_mov_b32 s2, exec_lo
	v_cmpx_ne_u32_e32 16, v0
	s_cbranch_execz .LBB109_619
; %bb.616:
	v_add_nc_u32_e32 v99, 0x178, v58
	v_add3_u32 v100, 0, v58, 8
	v_mov_b32_e32 v101, v0
	s_mov_b32 s3, 0
.LBB109_617:                            ; =>This Inner Loop Header: Depth=1
	scratch_load_b64 v[102:103], v100, off
	ds_load_b64 v[104:105], v99
	s_wait_xcnt 0x0
	v_dual_add_nc_u32 v99, 8, v99 :: v_dual_add_nc_u32 v100, 8, v100
	s_wait_loadcnt_dscnt 0x0
	v_pk_mul_f32 v[106:107], v[104:105], v[102:103] op_sel:[1,1] op_sel_hi:[0,1]
	s_delay_alu instid0(VALU_DEP_1) | instskip(SKIP_2) | instid1(VALU_DEP_3)
	v_pk_fma_f32 v[108:109], v[104:105], v[102:103], v[106:107] op_sel_hi:[1,0,1]
	v_add_nc_u32_e32 v101, 1, v101
	v_pk_fma_f32 v[102:103], v[104:105], v[102:103], v[106:107] neg_lo:[0,0,1] neg_hi:[0,0,1]
	v_mov_b32_e32 v103, v109
	s_delay_alu instid0(VALU_DEP_3) | instskip(NEXT) | instid1(VALU_DEP_2)
	v_cmp_lt_u32_e32 vcc_lo, 15, v101
	v_pk_add_f32 v[96:97], v[96:97], v[102:103]
	s_or_b32 s3, vcc_lo, s3
	s_delay_alu instid0(SALU_CYCLE_1)
	s_and_not1_b32 exec_lo, exec_lo, s3
	s_cbranch_execnz .LBB109_617
; %bb.618:
	s_or_b32 exec_lo, exec_lo, s3
.LBB109_619:
	s_delay_alu instid0(SALU_CYCLE_1) | instskip(SKIP_4) | instid1(VALU_DEP_1)
	s_or_b32 exec_lo, exec_lo, s2
	v_mov_b32_e32 v99, 0
	ds_load_b64 v[100:101], v99 offset:136
	s_wait_dscnt 0x0
	v_pk_mul_f32 v[102:103], v[96:97], v[100:101] op_sel:[1,1] op_sel_hi:[0,1]
	v_pk_fma_f32 v[104:105], v[96:97], v[100:101], v[102:103] op_sel_hi:[1,0,1]
	v_pk_fma_f32 v[96:97], v[96:97], v[100:101], v[102:103] neg_lo:[0,0,1] neg_hi:[0,0,1]
	s_delay_alu instid0(VALU_DEP_2)
	v_mov_b32_e32 v97, v105
	scratch_store_b64 off, v[96:97], off offset:136
.LBB109_620:
	s_wait_xcnt 0x0
	s_or_b32 exec_lo, exec_lo, s0
	scratch_load_b64 v[96:97], off, off offset:144
	s_mov_b32 s0, exec_lo
	s_wait_loadcnt 0x0
	ds_store_b64 v1, v[96:97]
	s_wait_storecnt_dscnt 0x0
	s_barrier_signal -1
	s_barrier_wait -1
	s_wait_xcnt 0x0
	v_cmpx_gt_u32_e32 18, v0
	s_cbranch_execz .LBB109_630
; %bb.621:
	v_cmp_ne_u32_e32 vcc_lo, 1, v98
	s_cbranch_vccnz .LBB109_623
; %bb.622:
	scratch_load_b64 v[96:97], v59, off
	ds_load_b64 v[100:101], v1
	s_wait_loadcnt_dscnt 0x0
	v_pk_mul_f32 v[102:103], v[100:101], v[96:97] op_sel:[1,1] op_sel_hi:[0,1]
	s_delay_alu instid0(VALU_DEP_1) | instskip(SKIP_1) | instid1(VALU_DEP_2)
	v_pk_fma_f32 v[104:105], v[100:101], v[96:97], v[102:103] op_sel_hi:[1,0,1]
	v_pk_fma_f32 v[96:97], v[100:101], v[96:97], v[102:103] neg_lo:[0,0,1] neg_hi:[0,0,1]
	v_mov_b32_e32 v97, v105
	s_cbranch_execz .LBB109_624
	s_branch .LBB109_625
.LBB109_623:
                                        ; implicit-def: $vgpr96_vgpr97
.LBB109_624:
	ds_load_b64 v[96:97], v1
.LBB109_625:
	s_mov_b32 s2, exec_lo
	v_cmpx_ne_u32_e32 17, v0
	s_cbranch_execz .LBB109_629
; %bb.626:
	v_add_nc_u32_e32 v99, 0x178, v58
	v_add3_u32 v100, 0, v58, 8
	v_mov_b32_e32 v101, v0
	s_mov_b32 s3, 0
.LBB109_627:                            ; =>This Inner Loop Header: Depth=1
	scratch_load_b64 v[102:103], v100, off
	ds_load_b64 v[104:105], v99
	s_wait_xcnt 0x0
	v_dual_add_nc_u32 v99, 8, v99 :: v_dual_add_nc_u32 v100, 8, v100
	s_wait_loadcnt_dscnt 0x0
	v_pk_mul_f32 v[106:107], v[104:105], v[102:103] op_sel:[1,1] op_sel_hi:[0,1]
	s_delay_alu instid0(VALU_DEP_1) | instskip(SKIP_2) | instid1(VALU_DEP_3)
	v_pk_fma_f32 v[108:109], v[104:105], v[102:103], v[106:107] op_sel_hi:[1,0,1]
	v_add_nc_u32_e32 v101, 1, v101
	v_pk_fma_f32 v[102:103], v[104:105], v[102:103], v[106:107] neg_lo:[0,0,1] neg_hi:[0,0,1]
	v_mov_b32_e32 v103, v109
	s_delay_alu instid0(VALU_DEP_3) | instskip(NEXT) | instid1(VALU_DEP_2)
	v_cmp_lt_u32_e32 vcc_lo, 16, v101
	v_pk_add_f32 v[96:97], v[96:97], v[102:103]
	s_or_b32 s3, vcc_lo, s3
	s_delay_alu instid0(SALU_CYCLE_1)
	s_and_not1_b32 exec_lo, exec_lo, s3
	s_cbranch_execnz .LBB109_627
; %bb.628:
	s_or_b32 exec_lo, exec_lo, s3
.LBB109_629:
	s_delay_alu instid0(SALU_CYCLE_1) | instskip(SKIP_4) | instid1(VALU_DEP_1)
	s_or_b32 exec_lo, exec_lo, s2
	v_mov_b32_e32 v99, 0
	ds_load_b64 v[100:101], v99 offset:144
	s_wait_dscnt 0x0
	v_pk_mul_f32 v[102:103], v[96:97], v[100:101] op_sel:[1,1] op_sel_hi:[0,1]
	v_pk_fma_f32 v[104:105], v[96:97], v[100:101], v[102:103] op_sel_hi:[1,0,1]
	v_pk_fma_f32 v[96:97], v[96:97], v[100:101], v[102:103] neg_lo:[0,0,1] neg_hi:[0,0,1]
	s_delay_alu instid0(VALU_DEP_2)
	v_mov_b32_e32 v97, v105
	scratch_store_b64 off, v[96:97], off offset:144
.LBB109_630:
	s_wait_xcnt 0x0
	s_or_b32 exec_lo, exec_lo, s0
	scratch_load_b64 v[96:97], off, off offset:152
	s_mov_b32 s0, exec_lo
	s_wait_loadcnt 0x0
	ds_store_b64 v1, v[96:97]
	s_wait_storecnt_dscnt 0x0
	s_barrier_signal -1
	s_barrier_wait -1
	s_wait_xcnt 0x0
	v_cmpx_gt_u32_e32 19, v0
	s_cbranch_execz .LBB109_640
; %bb.631:
	v_cmp_ne_u32_e32 vcc_lo, 1, v98
	s_cbranch_vccnz .LBB109_633
; %bb.632:
	scratch_load_b64 v[96:97], v59, off
	ds_load_b64 v[100:101], v1
	s_wait_loadcnt_dscnt 0x0
	v_pk_mul_f32 v[102:103], v[100:101], v[96:97] op_sel:[1,1] op_sel_hi:[0,1]
	s_delay_alu instid0(VALU_DEP_1) | instskip(SKIP_1) | instid1(VALU_DEP_2)
	v_pk_fma_f32 v[104:105], v[100:101], v[96:97], v[102:103] op_sel_hi:[1,0,1]
	v_pk_fma_f32 v[96:97], v[100:101], v[96:97], v[102:103] neg_lo:[0,0,1] neg_hi:[0,0,1]
	v_mov_b32_e32 v97, v105
	s_cbranch_execz .LBB109_634
	s_branch .LBB109_635
.LBB109_633:
                                        ; implicit-def: $vgpr96_vgpr97
.LBB109_634:
	ds_load_b64 v[96:97], v1
.LBB109_635:
	s_mov_b32 s2, exec_lo
	v_cmpx_ne_u32_e32 18, v0
	s_cbranch_execz .LBB109_639
; %bb.636:
	v_add_nc_u32_e32 v99, 0x178, v58
	v_add3_u32 v100, 0, v58, 8
	v_mov_b32_e32 v101, v0
	s_mov_b32 s3, 0
.LBB109_637:                            ; =>This Inner Loop Header: Depth=1
	scratch_load_b64 v[102:103], v100, off
	ds_load_b64 v[104:105], v99
	s_wait_xcnt 0x0
	v_dual_add_nc_u32 v99, 8, v99 :: v_dual_add_nc_u32 v100, 8, v100
	s_wait_loadcnt_dscnt 0x0
	v_pk_mul_f32 v[106:107], v[104:105], v[102:103] op_sel:[1,1] op_sel_hi:[0,1]
	s_delay_alu instid0(VALU_DEP_1) | instskip(SKIP_2) | instid1(VALU_DEP_3)
	v_pk_fma_f32 v[108:109], v[104:105], v[102:103], v[106:107] op_sel_hi:[1,0,1]
	v_add_nc_u32_e32 v101, 1, v101
	v_pk_fma_f32 v[102:103], v[104:105], v[102:103], v[106:107] neg_lo:[0,0,1] neg_hi:[0,0,1]
	v_mov_b32_e32 v103, v109
	s_delay_alu instid0(VALU_DEP_3) | instskip(NEXT) | instid1(VALU_DEP_2)
	v_cmp_lt_u32_e32 vcc_lo, 17, v101
	v_pk_add_f32 v[96:97], v[96:97], v[102:103]
	s_or_b32 s3, vcc_lo, s3
	s_delay_alu instid0(SALU_CYCLE_1)
	s_and_not1_b32 exec_lo, exec_lo, s3
	s_cbranch_execnz .LBB109_637
; %bb.638:
	s_or_b32 exec_lo, exec_lo, s3
.LBB109_639:
	s_delay_alu instid0(SALU_CYCLE_1) | instskip(SKIP_4) | instid1(VALU_DEP_1)
	s_or_b32 exec_lo, exec_lo, s2
	v_mov_b32_e32 v99, 0
	ds_load_b64 v[100:101], v99 offset:152
	s_wait_dscnt 0x0
	v_pk_mul_f32 v[102:103], v[96:97], v[100:101] op_sel:[1,1] op_sel_hi:[0,1]
	v_pk_fma_f32 v[104:105], v[96:97], v[100:101], v[102:103] op_sel_hi:[1,0,1]
	v_pk_fma_f32 v[96:97], v[96:97], v[100:101], v[102:103] neg_lo:[0,0,1] neg_hi:[0,0,1]
	s_delay_alu instid0(VALU_DEP_2)
	v_mov_b32_e32 v97, v105
	scratch_store_b64 off, v[96:97], off offset:152
.LBB109_640:
	s_wait_xcnt 0x0
	s_or_b32 exec_lo, exec_lo, s0
	scratch_load_b64 v[96:97], off, off offset:160
	s_mov_b32 s0, exec_lo
	s_wait_loadcnt 0x0
	ds_store_b64 v1, v[96:97]
	s_wait_storecnt_dscnt 0x0
	s_barrier_signal -1
	s_barrier_wait -1
	s_wait_xcnt 0x0
	v_cmpx_gt_u32_e32 20, v0
	s_cbranch_execz .LBB109_650
; %bb.641:
	v_cmp_ne_u32_e32 vcc_lo, 1, v98
	s_cbranch_vccnz .LBB109_643
; %bb.642:
	scratch_load_b64 v[96:97], v59, off
	ds_load_b64 v[100:101], v1
	s_wait_loadcnt_dscnt 0x0
	v_pk_mul_f32 v[102:103], v[100:101], v[96:97] op_sel:[1,1] op_sel_hi:[0,1]
	s_delay_alu instid0(VALU_DEP_1) | instskip(SKIP_1) | instid1(VALU_DEP_2)
	v_pk_fma_f32 v[104:105], v[100:101], v[96:97], v[102:103] op_sel_hi:[1,0,1]
	v_pk_fma_f32 v[96:97], v[100:101], v[96:97], v[102:103] neg_lo:[0,0,1] neg_hi:[0,0,1]
	v_mov_b32_e32 v97, v105
	s_cbranch_execz .LBB109_644
	s_branch .LBB109_645
.LBB109_643:
                                        ; implicit-def: $vgpr96_vgpr97
.LBB109_644:
	ds_load_b64 v[96:97], v1
.LBB109_645:
	s_mov_b32 s2, exec_lo
	v_cmpx_ne_u32_e32 19, v0
	s_cbranch_execz .LBB109_649
; %bb.646:
	v_add_nc_u32_e32 v99, 0x178, v58
	v_add3_u32 v100, 0, v58, 8
	v_mov_b32_e32 v101, v0
	s_mov_b32 s3, 0
.LBB109_647:                            ; =>This Inner Loop Header: Depth=1
	scratch_load_b64 v[102:103], v100, off
	ds_load_b64 v[104:105], v99
	s_wait_xcnt 0x0
	v_dual_add_nc_u32 v99, 8, v99 :: v_dual_add_nc_u32 v100, 8, v100
	s_wait_loadcnt_dscnt 0x0
	v_pk_mul_f32 v[106:107], v[104:105], v[102:103] op_sel:[1,1] op_sel_hi:[0,1]
	s_delay_alu instid0(VALU_DEP_1) | instskip(SKIP_2) | instid1(VALU_DEP_3)
	v_pk_fma_f32 v[108:109], v[104:105], v[102:103], v[106:107] op_sel_hi:[1,0,1]
	v_add_nc_u32_e32 v101, 1, v101
	v_pk_fma_f32 v[102:103], v[104:105], v[102:103], v[106:107] neg_lo:[0,0,1] neg_hi:[0,0,1]
	v_mov_b32_e32 v103, v109
	s_delay_alu instid0(VALU_DEP_3) | instskip(NEXT) | instid1(VALU_DEP_2)
	v_cmp_lt_u32_e32 vcc_lo, 18, v101
	v_pk_add_f32 v[96:97], v[96:97], v[102:103]
	s_or_b32 s3, vcc_lo, s3
	s_delay_alu instid0(SALU_CYCLE_1)
	s_and_not1_b32 exec_lo, exec_lo, s3
	s_cbranch_execnz .LBB109_647
; %bb.648:
	s_or_b32 exec_lo, exec_lo, s3
.LBB109_649:
	s_delay_alu instid0(SALU_CYCLE_1) | instskip(SKIP_4) | instid1(VALU_DEP_1)
	s_or_b32 exec_lo, exec_lo, s2
	v_mov_b32_e32 v99, 0
	ds_load_b64 v[100:101], v99 offset:160
	s_wait_dscnt 0x0
	v_pk_mul_f32 v[102:103], v[96:97], v[100:101] op_sel:[1,1] op_sel_hi:[0,1]
	v_pk_fma_f32 v[104:105], v[96:97], v[100:101], v[102:103] op_sel_hi:[1,0,1]
	v_pk_fma_f32 v[96:97], v[96:97], v[100:101], v[102:103] neg_lo:[0,0,1] neg_hi:[0,0,1]
	s_delay_alu instid0(VALU_DEP_2)
	v_mov_b32_e32 v97, v105
	scratch_store_b64 off, v[96:97], off offset:160
.LBB109_650:
	s_wait_xcnt 0x0
	s_or_b32 exec_lo, exec_lo, s0
	scratch_load_b64 v[96:97], off, off offset:168
	s_mov_b32 s0, exec_lo
	s_wait_loadcnt 0x0
	ds_store_b64 v1, v[96:97]
	s_wait_storecnt_dscnt 0x0
	s_barrier_signal -1
	s_barrier_wait -1
	s_wait_xcnt 0x0
	v_cmpx_gt_u32_e32 21, v0
	s_cbranch_execz .LBB109_660
; %bb.651:
	v_cmp_ne_u32_e32 vcc_lo, 1, v98
	s_cbranch_vccnz .LBB109_653
; %bb.652:
	scratch_load_b64 v[96:97], v59, off
	ds_load_b64 v[100:101], v1
	s_wait_loadcnt_dscnt 0x0
	v_pk_mul_f32 v[102:103], v[100:101], v[96:97] op_sel:[1,1] op_sel_hi:[0,1]
	s_delay_alu instid0(VALU_DEP_1) | instskip(SKIP_1) | instid1(VALU_DEP_2)
	v_pk_fma_f32 v[104:105], v[100:101], v[96:97], v[102:103] op_sel_hi:[1,0,1]
	v_pk_fma_f32 v[96:97], v[100:101], v[96:97], v[102:103] neg_lo:[0,0,1] neg_hi:[0,0,1]
	v_mov_b32_e32 v97, v105
	s_cbranch_execz .LBB109_654
	s_branch .LBB109_655
.LBB109_653:
                                        ; implicit-def: $vgpr96_vgpr97
.LBB109_654:
	ds_load_b64 v[96:97], v1
.LBB109_655:
	s_mov_b32 s2, exec_lo
	v_cmpx_ne_u32_e32 20, v0
	s_cbranch_execz .LBB109_659
; %bb.656:
	v_add_nc_u32_e32 v99, 0x178, v58
	v_add3_u32 v100, 0, v58, 8
	v_mov_b32_e32 v101, v0
	s_mov_b32 s3, 0
.LBB109_657:                            ; =>This Inner Loop Header: Depth=1
	scratch_load_b64 v[102:103], v100, off
	ds_load_b64 v[104:105], v99
	s_wait_xcnt 0x0
	v_dual_add_nc_u32 v99, 8, v99 :: v_dual_add_nc_u32 v100, 8, v100
	s_wait_loadcnt_dscnt 0x0
	v_pk_mul_f32 v[106:107], v[104:105], v[102:103] op_sel:[1,1] op_sel_hi:[0,1]
	s_delay_alu instid0(VALU_DEP_1) | instskip(SKIP_2) | instid1(VALU_DEP_3)
	v_pk_fma_f32 v[108:109], v[104:105], v[102:103], v[106:107] op_sel_hi:[1,0,1]
	v_add_nc_u32_e32 v101, 1, v101
	v_pk_fma_f32 v[102:103], v[104:105], v[102:103], v[106:107] neg_lo:[0,0,1] neg_hi:[0,0,1]
	v_mov_b32_e32 v103, v109
	s_delay_alu instid0(VALU_DEP_3) | instskip(NEXT) | instid1(VALU_DEP_2)
	v_cmp_lt_u32_e32 vcc_lo, 19, v101
	v_pk_add_f32 v[96:97], v[96:97], v[102:103]
	s_or_b32 s3, vcc_lo, s3
	s_delay_alu instid0(SALU_CYCLE_1)
	s_and_not1_b32 exec_lo, exec_lo, s3
	s_cbranch_execnz .LBB109_657
; %bb.658:
	s_or_b32 exec_lo, exec_lo, s3
.LBB109_659:
	s_delay_alu instid0(SALU_CYCLE_1) | instskip(SKIP_4) | instid1(VALU_DEP_1)
	s_or_b32 exec_lo, exec_lo, s2
	v_mov_b32_e32 v99, 0
	ds_load_b64 v[100:101], v99 offset:168
	s_wait_dscnt 0x0
	v_pk_mul_f32 v[102:103], v[96:97], v[100:101] op_sel:[1,1] op_sel_hi:[0,1]
	v_pk_fma_f32 v[104:105], v[96:97], v[100:101], v[102:103] op_sel_hi:[1,0,1]
	v_pk_fma_f32 v[96:97], v[96:97], v[100:101], v[102:103] neg_lo:[0,0,1] neg_hi:[0,0,1]
	s_delay_alu instid0(VALU_DEP_2)
	v_mov_b32_e32 v97, v105
	scratch_store_b64 off, v[96:97], off offset:168
.LBB109_660:
	s_wait_xcnt 0x0
	s_or_b32 exec_lo, exec_lo, s0
	scratch_load_b64 v[96:97], off, off offset:176
	s_mov_b32 s0, exec_lo
	s_wait_loadcnt 0x0
	ds_store_b64 v1, v[96:97]
	s_wait_storecnt_dscnt 0x0
	s_barrier_signal -1
	s_barrier_wait -1
	s_wait_xcnt 0x0
	v_cmpx_gt_u32_e32 22, v0
	s_cbranch_execz .LBB109_670
; %bb.661:
	v_cmp_ne_u32_e32 vcc_lo, 1, v98
	s_cbranch_vccnz .LBB109_663
; %bb.662:
	scratch_load_b64 v[96:97], v59, off
	ds_load_b64 v[100:101], v1
	s_wait_loadcnt_dscnt 0x0
	v_pk_mul_f32 v[102:103], v[100:101], v[96:97] op_sel:[1,1] op_sel_hi:[0,1]
	s_delay_alu instid0(VALU_DEP_1) | instskip(SKIP_1) | instid1(VALU_DEP_2)
	v_pk_fma_f32 v[104:105], v[100:101], v[96:97], v[102:103] op_sel_hi:[1,0,1]
	v_pk_fma_f32 v[96:97], v[100:101], v[96:97], v[102:103] neg_lo:[0,0,1] neg_hi:[0,0,1]
	v_mov_b32_e32 v97, v105
	s_cbranch_execz .LBB109_664
	s_branch .LBB109_665
.LBB109_663:
                                        ; implicit-def: $vgpr96_vgpr97
.LBB109_664:
	ds_load_b64 v[96:97], v1
.LBB109_665:
	s_mov_b32 s2, exec_lo
	v_cmpx_ne_u32_e32 21, v0
	s_cbranch_execz .LBB109_669
; %bb.666:
	v_add_nc_u32_e32 v99, 0x178, v58
	v_add3_u32 v100, 0, v58, 8
	v_mov_b32_e32 v101, v0
	s_mov_b32 s3, 0
.LBB109_667:                            ; =>This Inner Loop Header: Depth=1
	scratch_load_b64 v[102:103], v100, off
	ds_load_b64 v[104:105], v99
	s_wait_xcnt 0x0
	v_dual_add_nc_u32 v99, 8, v99 :: v_dual_add_nc_u32 v100, 8, v100
	s_wait_loadcnt_dscnt 0x0
	v_pk_mul_f32 v[106:107], v[104:105], v[102:103] op_sel:[1,1] op_sel_hi:[0,1]
	s_delay_alu instid0(VALU_DEP_1) | instskip(SKIP_2) | instid1(VALU_DEP_3)
	v_pk_fma_f32 v[108:109], v[104:105], v[102:103], v[106:107] op_sel_hi:[1,0,1]
	v_add_nc_u32_e32 v101, 1, v101
	v_pk_fma_f32 v[102:103], v[104:105], v[102:103], v[106:107] neg_lo:[0,0,1] neg_hi:[0,0,1]
	v_mov_b32_e32 v103, v109
	s_delay_alu instid0(VALU_DEP_3) | instskip(NEXT) | instid1(VALU_DEP_2)
	v_cmp_lt_u32_e32 vcc_lo, 20, v101
	v_pk_add_f32 v[96:97], v[96:97], v[102:103]
	s_or_b32 s3, vcc_lo, s3
	s_delay_alu instid0(SALU_CYCLE_1)
	s_and_not1_b32 exec_lo, exec_lo, s3
	s_cbranch_execnz .LBB109_667
; %bb.668:
	s_or_b32 exec_lo, exec_lo, s3
.LBB109_669:
	s_delay_alu instid0(SALU_CYCLE_1) | instskip(SKIP_4) | instid1(VALU_DEP_1)
	s_or_b32 exec_lo, exec_lo, s2
	v_mov_b32_e32 v99, 0
	ds_load_b64 v[100:101], v99 offset:176
	s_wait_dscnt 0x0
	v_pk_mul_f32 v[102:103], v[96:97], v[100:101] op_sel:[1,1] op_sel_hi:[0,1]
	v_pk_fma_f32 v[104:105], v[96:97], v[100:101], v[102:103] op_sel_hi:[1,0,1]
	v_pk_fma_f32 v[96:97], v[96:97], v[100:101], v[102:103] neg_lo:[0,0,1] neg_hi:[0,0,1]
	s_delay_alu instid0(VALU_DEP_2)
	v_mov_b32_e32 v97, v105
	scratch_store_b64 off, v[96:97], off offset:176
.LBB109_670:
	s_wait_xcnt 0x0
	s_or_b32 exec_lo, exec_lo, s0
	scratch_load_b64 v[96:97], off, off offset:184
	s_mov_b32 s0, exec_lo
	s_wait_loadcnt 0x0
	ds_store_b64 v1, v[96:97]
	s_wait_storecnt_dscnt 0x0
	s_barrier_signal -1
	s_barrier_wait -1
	s_wait_xcnt 0x0
	v_cmpx_gt_u32_e32 23, v0
	s_cbranch_execz .LBB109_680
; %bb.671:
	v_cmp_ne_u32_e32 vcc_lo, 1, v98
	s_cbranch_vccnz .LBB109_673
; %bb.672:
	scratch_load_b64 v[96:97], v59, off
	ds_load_b64 v[100:101], v1
	s_wait_loadcnt_dscnt 0x0
	v_pk_mul_f32 v[102:103], v[100:101], v[96:97] op_sel:[1,1] op_sel_hi:[0,1]
	s_delay_alu instid0(VALU_DEP_1) | instskip(SKIP_1) | instid1(VALU_DEP_2)
	v_pk_fma_f32 v[104:105], v[100:101], v[96:97], v[102:103] op_sel_hi:[1,0,1]
	v_pk_fma_f32 v[96:97], v[100:101], v[96:97], v[102:103] neg_lo:[0,0,1] neg_hi:[0,0,1]
	v_mov_b32_e32 v97, v105
	s_cbranch_execz .LBB109_674
	s_branch .LBB109_675
.LBB109_673:
                                        ; implicit-def: $vgpr96_vgpr97
.LBB109_674:
	ds_load_b64 v[96:97], v1
.LBB109_675:
	s_mov_b32 s2, exec_lo
	v_cmpx_ne_u32_e32 22, v0
	s_cbranch_execz .LBB109_679
; %bb.676:
	v_add_nc_u32_e32 v99, 0x178, v58
	v_add3_u32 v100, 0, v58, 8
	v_mov_b32_e32 v101, v0
	s_mov_b32 s3, 0
.LBB109_677:                            ; =>This Inner Loop Header: Depth=1
	scratch_load_b64 v[102:103], v100, off
	ds_load_b64 v[104:105], v99
	s_wait_xcnt 0x0
	v_dual_add_nc_u32 v99, 8, v99 :: v_dual_add_nc_u32 v100, 8, v100
	s_wait_loadcnt_dscnt 0x0
	v_pk_mul_f32 v[106:107], v[104:105], v[102:103] op_sel:[1,1] op_sel_hi:[0,1]
	s_delay_alu instid0(VALU_DEP_1) | instskip(SKIP_2) | instid1(VALU_DEP_3)
	v_pk_fma_f32 v[108:109], v[104:105], v[102:103], v[106:107] op_sel_hi:[1,0,1]
	v_add_nc_u32_e32 v101, 1, v101
	v_pk_fma_f32 v[102:103], v[104:105], v[102:103], v[106:107] neg_lo:[0,0,1] neg_hi:[0,0,1]
	v_mov_b32_e32 v103, v109
	s_delay_alu instid0(VALU_DEP_3) | instskip(NEXT) | instid1(VALU_DEP_2)
	v_cmp_lt_u32_e32 vcc_lo, 21, v101
	v_pk_add_f32 v[96:97], v[96:97], v[102:103]
	s_or_b32 s3, vcc_lo, s3
	s_delay_alu instid0(SALU_CYCLE_1)
	s_and_not1_b32 exec_lo, exec_lo, s3
	s_cbranch_execnz .LBB109_677
; %bb.678:
	s_or_b32 exec_lo, exec_lo, s3
.LBB109_679:
	s_delay_alu instid0(SALU_CYCLE_1) | instskip(SKIP_4) | instid1(VALU_DEP_1)
	s_or_b32 exec_lo, exec_lo, s2
	v_mov_b32_e32 v99, 0
	ds_load_b64 v[100:101], v99 offset:184
	s_wait_dscnt 0x0
	v_pk_mul_f32 v[102:103], v[96:97], v[100:101] op_sel:[1,1] op_sel_hi:[0,1]
	v_pk_fma_f32 v[104:105], v[96:97], v[100:101], v[102:103] op_sel_hi:[1,0,1]
	v_pk_fma_f32 v[96:97], v[96:97], v[100:101], v[102:103] neg_lo:[0,0,1] neg_hi:[0,0,1]
	s_delay_alu instid0(VALU_DEP_2)
	v_mov_b32_e32 v97, v105
	scratch_store_b64 off, v[96:97], off offset:184
.LBB109_680:
	s_wait_xcnt 0x0
	s_or_b32 exec_lo, exec_lo, s0
	scratch_load_b64 v[96:97], off, off offset:192
	s_mov_b32 s0, exec_lo
	s_wait_loadcnt 0x0
	ds_store_b64 v1, v[96:97]
	s_wait_storecnt_dscnt 0x0
	s_barrier_signal -1
	s_barrier_wait -1
	s_wait_xcnt 0x0
	v_cmpx_gt_u32_e32 24, v0
	s_cbranch_execz .LBB109_690
; %bb.681:
	v_cmp_ne_u32_e32 vcc_lo, 1, v98
	s_cbranch_vccnz .LBB109_683
; %bb.682:
	scratch_load_b64 v[96:97], v59, off
	ds_load_b64 v[100:101], v1
	s_wait_loadcnt_dscnt 0x0
	v_pk_mul_f32 v[102:103], v[100:101], v[96:97] op_sel:[1,1] op_sel_hi:[0,1]
	s_delay_alu instid0(VALU_DEP_1) | instskip(SKIP_1) | instid1(VALU_DEP_2)
	v_pk_fma_f32 v[104:105], v[100:101], v[96:97], v[102:103] op_sel_hi:[1,0,1]
	v_pk_fma_f32 v[96:97], v[100:101], v[96:97], v[102:103] neg_lo:[0,0,1] neg_hi:[0,0,1]
	v_mov_b32_e32 v97, v105
	s_cbranch_execz .LBB109_684
	s_branch .LBB109_685
.LBB109_683:
                                        ; implicit-def: $vgpr96_vgpr97
.LBB109_684:
	ds_load_b64 v[96:97], v1
.LBB109_685:
	s_mov_b32 s2, exec_lo
	v_cmpx_ne_u32_e32 23, v0
	s_cbranch_execz .LBB109_689
; %bb.686:
	v_add_nc_u32_e32 v99, 0x178, v58
	v_add3_u32 v100, 0, v58, 8
	v_mov_b32_e32 v101, v0
	s_mov_b32 s3, 0
.LBB109_687:                            ; =>This Inner Loop Header: Depth=1
	scratch_load_b64 v[102:103], v100, off
	ds_load_b64 v[104:105], v99
	s_wait_xcnt 0x0
	v_dual_add_nc_u32 v99, 8, v99 :: v_dual_add_nc_u32 v100, 8, v100
	s_wait_loadcnt_dscnt 0x0
	v_pk_mul_f32 v[106:107], v[104:105], v[102:103] op_sel:[1,1] op_sel_hi:[0,1]
	s_delay_alu instid0(VALU_DEP_1) | instskip(SKIP_2) | instid1(VALU_DEP_3)
	v_pk_fma_f32 v[108:109], v[104:105], v[102:103], v[106:107] op_sel_hi:[1,0,1]
	v_add_nc_u32_e32 v101, 1, v101
	v_pk_fma_f32 v[102:103], v[104:105], v[102:103], v[106:107] neg_lo:[0,0,1] neg_hi:[0,0,1]
	v_mov_b32_e32 v103, v109
	s_delay_alu instid0(VALU_DEP_3) | instskip(NEXT) | instid1(VALU_DEP_2)
	v_cmp_lt_u32_e32 vcc_lo, 22, v101
	v_pk_add_f32 v[96:97], v[96:97], v[102:103]
	s_or_b32 s3, vcc_lo, s3
	s_delay_alu instid0(SALU_CYCLE_1)
	s_and_not1_b32 exec_lo, exec_lo, s3
	s_cbranch_execnz .LBB109_687
; %bb.688:
	s_or_b32 exec_lo, exec_lo, s3
.LBB109_689:
	s_delay_alu instid0(SALU_CYCLE_1) | instskip(SKIP_4) | instid1(VALU_DEP_1)
	s_or_b32 exec_lo, exec_lo, s2
	v_mov_b32_e32 v99, 0
	ds_load_b64 v[100:101], v99 offset:192
	s_wait_dscnt 0x0
	v_pk_mul_f32 v[102:103], v[96:97], v[100:101] op_sel:[1,1] op_sel_hi:[0,1]
	v_pk_fma_f32 v[104:105], v[96:97], v[100:101], v[102:103] op_sel_hi:[1,0,1]
	v_pk_fma_f32 v[96:97], v[96:97], v[100:101], v[102:103] neg_lo:[0,0,1] neg_hi:[0,0,1]
	s_delay_alu instid0(VALU_DEP_2)
	v_mov_b32_e32 v97, v105
	scratch_store_b64 off, v[96:97], off offset:192
.LBB109_690:
	s_wait_xcnt 0x0
	s_or_b32 exec_lo, exec_lo, s0
	scratch_load_b64 v[96:97], off, off offset:200
	s_mov_b32 s0, exec_lo
	s_wait_loadcnt 0x0
	ds_store_b64 v1, v[96:97]
	s_wait_storecnt_dscnt 0x0
	s_barrier_signal -1
	s_barrier_wait -1
	s_wait_xcnt 0x0
	v_cmpx_gt_u32_e32 25, v0
	s_cbranch_execz .LBB109_700
; %bb.691:
	v_cmp_ne_u32_e32 vcc_lo, 1, v98
	s_cbranch_vccnz .LBB109_693
; %bb.692:
	scratch_load_b64 v[96:97], v59, off
	ds_load_b64 v[100:101], v1
	s_wait_loadcnt_dscnt 0x0
	v_pk_mul_f32 v[102:103], v[100:101], v[96:97] op_sel:[1,1] op_sel_hi:[0,1]
	s_delay_alu instid0(VALU_DEP_1) | instskip(SKIP_1) | instid1(VALU_DEP_2)
	v_pk_fma_f32 v[104:105], v[100:101], v[96:97], v[102:103] op_sel_hi:[1,0,1]
	v_pk_fma_f32 v[96:97], v[100:101], v[96:97], v[102:103] neg_lo:[0,0,1] neg_hi:[0,0,1]
	v_mov_b32_e32 v97, v105
	s_cbranch_execz .LBB109_694
	s_branch .LBB109_695
.LBB109_693:
                                        ; implicit-def: $vgpr96_vgpr97
.LBB109_694:
	ds_load_b64 v[96:97], v1
.LBB109_695:
	s_mov_b32 s2, exec_lo
	v_cmpx_ne_u32_e32 24, v0
	s_cbranch_execz .LBB109_699
; %bb.696:
	v_add_nc_u32_e32 v99, 0x178, v58
	v_add3_u32 v100, 0, v58, 8
	v_mov_b32_e32 v101, v0
	s_mov_b32 s3, 0
.LBB109_697:                            ; =>This Inner Loop Header: Depth=1
	scratch_load_b64 v[102:103], v100, off
	ds_load_b64 v[104:105], v99
	s_wait_xcnt 0x0
	v_dual_add_nc_u32 v99, 8, v99 :: v_dual_add_nc_u32 v100, 8, v100
	s_wait_loadcnt_dscnt 0x0
	v_pk_mul_f32 v[106:107], v[104:105], v[102:103] op_sel:[1,1] op_sel_hi:[0,1]
	s_delay_alu instid0(VALU_DEP_1) | instskip(SKIP_2) | instid1(VALU_DEP_3)
	v_pk_fma_f32 v[108:109], v[104:105], v[102:103], v[106:107] op_sel_hi:[1,0,1]
	v_add_nc_u32_e32 v101, 1, v101
	v_pk_fma_f32 v[102:103], v[104:105], v[102:103], v[106:107] neg_lo:[0,0,1] neg_hi:[0,0,1]
	v_mov_b32_e32 v103, v109
	s_delay_alu instid0(VALU_DEP_3) | instskip(NEXT) | instid1(VALU_DEP_2)
	v_cmp_lt_u32_e32 vcc_lo, 23, v101
	v_pk_add_f32 v[96:97], v[96:97], v[102:103]
	s_or_b32 s3, vcc_lo, s3
	s_delay_alu instid0(SALU_CYCLE_1)
	s_and_not1_b32 exec_lo, exec_lo, s3
	s_cbranch_execnz .LBB109_697
; %bb.698:
	s_or_b32 exec_lo, exec_lo, s3
.LBB109_699:
	s_delay_alu instid0(SALU_CYCLE_1) | instskip(SKIP_4) | instid1(VALU_DEP_1)
	s_or_b32 exec_lo, exec_lo, s2
	v_mov_b32_e32 v99, 0
	ds_load_b64 v[100:101], v99 offset:200
	s_wait_dscnt 0x0
	v_pk_mul_f32 v[102:103], v[96:97], v[100:101] op_sel:[1,1] op_sel_hi:[0,1]
	v_pk_fma_f32 v[104:105], v[96:97], v[100:101], v[102:103] op_sel_hi:[1,0,1]
	v_pk_fma_f32 v[96:97], v[96:97], v[100:101], v[102:103] neg_lo:[0,0,1] neg_hi:[0,0,1]
	s_delay_alu instid0(VALU_DEP_2)
	v_mov_b32_e32 v97, v105
	scratch_store_b64 off, v[96:97], off offset:200
.LBB109_700:
	s_wait_xcnt 0x0
	s_or_b32 exec_lo, exec_lo, s0
	scratch_load_b64 v[96:97], off, off offset:208
	s_mov_b32 s0, exec_lo
	s_wait_loadcnt 0x0
	ds_store_b64 v1, v[96:97]
	s_wait_storecnt_dscnt 0x0
	s_barrier_signal -1
	s_barrier_wait -1
	s_wait_xcnt 0x0
	v_cmpx_gt_u32_e32 26, v0
	s_cbranch_execz .LBB109_710
; %bb.701:
	v_cmp_ne_u32_e32 vcc_lo, 1, v98
	s_cbranch_vccnz .LBB109_703
; %bb.702:
	scratch_load_b64 v[96:97], v59, off
	ds_load_b64 v[100:101], v1
	s_wait_loadcnt_dscnt 0x0
	v_pk_mul_f32 v[102:103], v[100:101], v[96:97] op_sel:[1,1] op_sel_hi:[0,1]
	s_delay_alu instid0(VALU_DEP_1) | instskip(SKIP_1) | instid1(VALU_DEP_2)
	v_pk_fma_f32 v[104:105], v[100:101], v[96:97], v[102:103] op_sel_hi:[1,0,1]
	v_pk_fma_f32 v[96:97], v[100:101], v[96:97], v[102:103] neg_lo:[0,0,1] neg_hi:[0,0,1]
	v_mov_b32_e32 v97, v105
	s_cbranch_execz .LBB109_704
	s_branch .LBB109_705
.LBB109_703:
                                        ; implicit-def: $vgpr96_vgpr97
.LBB109_704:
	ds_load_b64 v[96:97], v1
.LBB109_705:
	s_mov_b32 s2, exec_lo
	v_cmpx_ne_u32_e32 25, v0
	s_cbranch_execz .LBB109_709
; %bb.706:
	v_add_nc_u32_e32 v99, 0x178, v58
	v_add3_u32 v100, 0, v58, 8
	v_mov_b32_e32 v101, v0
	s_mov_b32 s3, 0
.LBB109_707:                            ; =>This Inner Loop Header: Depth=1
	scratch_load_b64 v[102:103], v100, off
	ds_load_b64 v[104:105], v99
	s_wait_xcnt 0x0
	v_dual_add_nc_u32 v99, 8, v99 :: v_dual_add_nc_u32 v100, 8, v100
	s_wait_loadcnt_dscnt 0x0
	v_pk_mul_f32 v[106:107], v[104:105], v[102:103] op_sel:[1,1] op_sel_hi:[0,1]
	s_delay_alu instid0(VALU_DEP_1) | instskip(SKIP_2) | instid1(VALU_DEP_3)
	v_pk_fma_f32 v[108:109], v[104:105], v[102:103], v[106:107] op_sel_hi:[1,0,1]
	v_add_nc_u32_e32 v101, 1, v101
	v_pk_fma_f32 v[102:103], v[104:105], v[102:103], v[106:107] neg_lo:[0,0,1] neg_hi:[0,0,1]
	v_mov_b32_e32 v103, v109
	s_delay_alu instid0(VALU_DEP_3) | instskip(NEXT) | instid1(VALU_DEP_2)
	v_cmp_lt_u32_e32 vcc_lo, 24, v101
	v_pk_add_f32 v[96:97], v[96:97], v[102:103]
	s_or_b32 s3, vcc_lo, s3
	s_delay_alu instid0(SALU_CYCLE_1)
	s_and_not1_b32 exec_lo, exec_lo, s3
	s_cbranch_execnz .LBB109_707
; %bb.708:
	s_or_b32 exec_lo, exec_lo, s3
.LBB109_709:
	s_delay_alu instid0(SALU_CYCLE_1) | instskip(SKIP_4) | instid1(VALU_DEP_1)
	s_or_b32 exec_lo, exec_lo, s2
	v_mov_b32_e32 v99, 0
	ds_load_b64 v[100:101], v99 offset:208
	s_wait_dscnt 0x0
	v_pk_mul_f32 v[102:103], v[96:97], v[100:101] op_sel:[1,1] op_sel_hi:[0,1]
	v_pk_fma_f32 v[104:105], v[96:97], v[100:101], v[102:103] op_sel_hi:[1,0,1]
	v_pk_fma_f32 v[96:97], v[96:97], v[100:101], v[102:103] neg_lo:[0,0,1] neg_hi:[0,0,1]
	s_delay_alu instid0(VALU_DEP_2)
	v_mov_b32_e32 v97, v105
	scratch_store_b64 off, v[96:97], off offset:208
.LBB109_710:
	s_wait_xcnt 0x0
	s_or_b32 exec_lo, exec_lo, s0
	scratch_load_b64 v[96:97], off, off offset:216
	s_mov_b32 s0, exec_lo
	s_wait_loadcnt 0x0
	ds_store_b64 v1, v[96:97]
	s_wait_storecnt_dscnt 0x0
	s_barrier_signal -1
	s_barrier_wait -1
	s_wait_xcnt 0x0
	v_cmpx_gt_u32_e32 27, v0
	s_cbranch_execz .LBB109_720
; %bb.711:
	v_cmp_ne_u32_e32 vcc_lo, 1, v98
	s_cbranch_vccnz .LBB109_713
; %bb.712:
	scratch_load_b64 v[96:97], v59, off
	ds_load_b64 v[100:101], v1
	s_wait_loadcnt_dscnt 0x0
	v_pk_mul_f32 v[102:103], v[100:101], v[96:97] op_sel:[1,1] op_sel_hi:[0,1]
	s_delay_alu instid0(VALU_DEP_1) | instskip(SKIP_1) | instid1(VALU_DEP_2)
	v_pk_fma_f32 v[104:105], v[100:101], v[96:97], v[102:103] op_sel_hi:[1,0,1]
	v_pk_fma_f32 v[96:97], v[100:101], v[96:97], v[102:103] neg_lo:[0,0,1] neg_hi:[0,0,1]
	v_mov_b32_e32 v97, v105
	s_cbranch_execz .LBB109_714
	s_branch .LBB109_715
.LBB109_713:
                                        ; implicit-def: $vgpr96_vgpr97
.LBB109_714:
	ds_load_b64 v[96:97], v1
.LBB109_715:
	s_mov_b32 s2, exec_lo
	v_cmpx_ne_u32_e32 26, v0
	s_cbranch_execz .LBB109_719
; %bb.716:
	v_add_nc_u32_e32 v99, 0x178, v58
	v_add3_u32 v100, 0, v58, 8
	v_mov_b32_e32 v101, v0
	s_mov_b32 s3, 0
.LBB109_717:                            ; =>This Inner Loop Header: Depth=1
	scratch_load_b64 v[102:103], v100, off
	ds_load_b64 v[104:105], v99
	s_wait_xcnt 0x0
	v_dual_add_nc_u32 v99, 8, v99 :: v_dual_add_nc_u32 v100, 8, v100
	s_wait_loadcnt_dscnt 0x0
	v_pk_mul_f32 v[106:107], v[104:105], v[102:103] op_sel:[1,1] op_sel_hi:[0,1]
	s_delay_alu instid0(VALU_DEP_1) | instskip(SKIP_2) | instid1(VALU_DEP_3)
	v_pk_fma_f32 v[108:109], v[104:105], v[102:103], v[106:107] op_sel_hi:[1,0,1]
	v_add_nc_u32_e32 v101, 1, v101
	v_pk_fma_f32 v[102:103], v[104:105], v[102:103], v[106:107] neg_lo:[0,0,1] neg_hi:[0,0,1]
	v_mov_b32_e32 v103, v109
	s_delay_alu instid0(VALU_DEP_3) | instskip(NEXT) | instid1(VALU_DEP_2)
	v_cmp_lt_u32_e32 vcc_lo, 25, v101
	v_pk_add_f32 v[96:97], v[96:97], v[102:103]
	s_or_b32 s3, vcc_lo, s3
	s_delay_alu instid0(SALU_CYCLE_1)
	s_and_not1_b32 exec_lo, exec_lo, s3
	s_cbranch_execnz .LBB109_717
; %bb.718:
	s_or_b32 exec_lo, exec_lo, s3
.LBB109_719:
	s_delay_alu instid0(SALU_CYCLE_1) | instskip(SKIP_4) | instid1(VALU_DEP_1)
	s_or_b32 exec_lo, exec_lo, s2
	v_mov_b32_e32 v99, 0
	ds_load_b64 v[100:101], v99 offset:216
	s_wait_dscnt 0x0
	v_pk_mul_f32 v[102:103], v[96:97], v[100:101] op_sel:[1,1] op_sel_hi:[0,1]
	v_pk_fma_f32 v[104:105], v[96:97], v[100:101], v[102:103] op_sel_hi:[1,0,1]
	v_pk_fma_f32 v[96:97], v[96:97], v[100:101], v[102:103] neg_lo:[0,0,1] neg_hi:[0,0,1]
	s_delay_alu instid0(VALU_DEP_2)
	v_mov_b32_e32 v97, v105
	scratch_store_b64 off, v[96:97], off offset:216
.LBB109_720:
	s_wait_xcnt 0x0
	s_or_b32 exec_lo, exec_lo, s0
	scratch_load_b64 v[96:97], off, off offset:224
	s_mov_b32 s0, exec_lo
	s_wait_loadcnt 0x0
	ds_store_b64 v1, v[96:97]
	s_wait_storecnt_dscnt 0x0
	s_barrier_signal -1
	s_barrier_wait -1
	s_wait_xcnt 0x0
	v_cmpx_gt_u32_e32 28, v0
	s_cbranch_execz .LBB109_730
; %bb.721:
	v_cmp_ne_u32_e32 vcc_lo, 1, v98
	s_cbranch_vccnz .LBB109_723
; %bb.722:
	scratch_load_b64 v[96:97], v59, off
	ds_load_b64 v[100:101], v1
	s_wait_loadcnt_dscnt 0x0
	v_pk_mul_f32 v[102:103], v[100:101], v[96:97] op_sel:[1,1] op_sel_hi:[0,1]
	s_delay_alu instid0(VALU_DEP_1) | instskip(SKIP_1) | instid1(VALU_DEP_2)
	v_pk_fma_f32 v[104:105], v[100:101], v[96:97], v[102:103] op_sel_hi:[1,0,1]
	v_pk_fma_f32 v[96:97], v[100:101], v[96:97], v[102:103] neg_lo:[0,0,1] neg_hi:[0,0,1]
	v_mov_b32_e32 v97, v105
	s_cbranch_execz .LBB109_724
	s_branch .LBB109_725
.LBB109_723:
                                        ; implicit-def: $vgpr96_vgpr97
.LBB109_724:
	ds_load_b64 v[96:97], v1
.LBB109_725:
	s_mov_b32 s2, exec_lo
	v_cmpx_ne_u32_e32 27, v0
	s_cbranch_execz .LBB109_729
; %bb.726:
	v_add_nc_u32_e32 v99, 0x178, v58
	v_add3_u32 v100, 0, v58, 8
	v_mov_b32_e32 v101, v0
	s_mov_b32 s3, 0
.LBB109_727:                            ; =>This Inner Loop Header: Depth=1
	scratch_load_b64 v[102:103], v100, off
	ds_load_b64 v[104:105], v99
	s_wait_xcnt 0x0
	v_dual_add_nc_u32 v99, 8, v99 :: v_dual_add_nc_u32 v100, 8, v100
	s_wait_loadcnt_dscnt 0x0
	v_pk_mul_f32 v[106:107], v[104:105], v[102:103] op_sel:[1,1] op_sel_hi:[0,1]
	s_delay_alu instid0(VALU_DEP_1) | instskip(SKIP_2) | instid1(VALU_DEP_3)
	v_pk_fma_f32 v[108:109], v[104:105], v[102:103], v[106:107] op_sel_hi:[1,0,1]
	v_add_nc_u32_e32 v101, 1, v101
	v_pk_fma_f32 v[102:103], v[104:105], v[102:103], v[106:107] neg_lo:[0,0,1] neg_hi:[0,0,1]
	v_mov_b32_e32 v103, v109
	s_delay_alu instid0(VALU_DEP_3) | instskip(NEXT) | instid1(VALU_DEP_2)
	v_cmp_lt_u32_e32 vcc_lo, 26, v101
	v_pk_add_f32 v[96:97], v[96:97], v[102:103]
	s_or_b32 s3, vcc_lo, s3
	s_delay_alu instid0(SALU_CYCLE_1)
	s_and_not1_b32 exec_lo, exec_lo, s3
	s_cbranch_execnz .LBB109_727
; %bb.728:
	s_or_b32 exec_lo, exec_lo, s3
.LBB109_729:
	s_delay_alu instid0(SALU_CYCLE_1) | instskip(SKIP_4) | instid1(VALU_DEP_1)
	s_or_b32 exec_lo, exec_lo, s2
	v_mov_b32_e32 v99, 0
	ds_load_b64 v[100:101], v99 offset:224
	s_wait_dscnt 0x0
	v_pk_mul_f32 v[102:103], v[96:97], v[100:101] op_sel:[1,1] op_sel_hi:[0,1]
	v_pk_fma_f32 v[104:105], v[96:97], v[100:101], v[102:103] op_sel_hi:[1,0,1]
	v_pk_fma_f32 v[96:97], v[96:97], v[100:101], v[102:103] neg_lo:[0,0,1] neg_hi:[0,0,1]
	s_delay_alu instid0(VALU_DEP_2)
	v_mov_b32_e32 v97, v105
	scratch_store_b64 off, v[96:97], off offset:224
.LBB109_730:
	s_wait_xcnt 0x0
	s_or_b32 exec_lo, exec_lo, s0
	scratch_load_b64 v[96:97], off, off offset:232
	s_mov_b32 s0, exec_lo
	s_wait_loadcnt 0x0
	ds_store_b64 v1, v[96:97]
	s_wait_storecnt_dscnt 0x0
	s_barrier_signal -1
	s_barrier_wait -1
	s_wait_xcnt 0x0
	v_cmpx_gt_u32_e32 29, v0
	s_cbranch_execz .LBB109_740
; %bb.731:
	v_cmp_ne_u32_e32 vcc_lo, 1, v98
	s_cbranch_vccnz .LBB109_733
; %bb.732:
	scratch_load_b64 v[96:97], v59, off
	ds_load_b64 v[100:101], v1
	s_wait_loadcnt_dscnt 0x0
	v_pk_mul_f32 v[102:103], v[100:101], v[96:97] op_sel:[1,1] op_sel_hi:[0,1]
	s_delay_alu instid0(VALU_DEP_1) | instskip(SKIP_1) | instid1(VALU_DEP_2)
	v_pk_fma_f32 v[104:105], v[100:101], v[96:97], v[102:103] op_sel_hi:[1,0,1]
	v_pk_fma_f32 v[96:97], v[100:101], v[96:97], v[102:103] neg_lo:[0,0,1] neg_hi:[0,0,1]
	v_mov_b32_e32 v97, v105
	s_cbranch_execz .LBB109_734
	s_branch .LBB109_735
.LBB109_733:
                                        ; implicit-def: $vgpr96_vgpr97
.LBB109_734:
	ds_load_b64 v[96:97], v1
.LBB109_735:
	s_mov_b32 s2, exec_lo
	v_cmpx_ne_u32_e32 28, v0
	s_cbranch_execz .LBB109_739
; %bb.736:
	v_add_nc_u32_e32 v99, 0x178, v58
	v_add3_u32 v100, 0, v58, 8
	v_mov_b32_e32 v101, v0
	s_mov_b32 s3, 0
.LBB109_737:                            ; =>This Inner Loop Header: Depth=1
	scratch_load_b64 v[102:103], v100, off
	ds_load_b64 v[104:105], v99
	s_wait_xcnt 0x0
	v_dual_add_nc_u32 v99, 8, v99 :: v_dual_add_nc_u32 v100, 8, v100
	s_wait_loadcnt_dscnt 0x0
	v_pk_mul_f32 v[106:107], v[104:105], v[102:103] op_sel:[1,1] op_sel_hi:[0,1]
	s_delay_alu instid0(VALU_DEP_1) | instskip(SKIP_2) | instid1(VALU_DEP_3)
	v_pk_fma_f32 v[108:109], v[104:105], v[102:103], v[106:107] op_sel_hi:[1,0,1]
	v_add_nc_u32_e32 v101, 1, v101
	v_pk_fma_f32 v[102:103], v[104:105], v[102:103], v[106:107] neg_lo:[0,0,1] neg_hi:[0,0,1]
	v_mov_b32_e32 v103, v109
	s_delay_alu instid0(VALU_DEP_3) | instskip(NEXT) | instid1(VALU_DEP_2)
	v_cmp_lt_u32_e32 vcc_lo, 27, v101
	v_pk_add_f32 v[96:97], v[96:97], v[102:103]
	s_or_b32 s3, vcc_lo, s3
	s_delay_alu instid0(SALU_CYCLE_1)
	s_and_not1_b32 exec_lo, exec_lo, s3
	s_cbranch_execnz .LBB109_737
; %bb.738:
	s_or_b32 exec_lo, exec_lo, s3
.LBB109_739:
	s_delay_alu instid0(SALU_CYCLE_1) | instskip(SKIP_4) | instid1(VALU_DEP_1)
	s_or_b32 exec_lo, exec_lo, s2
	v_mov_b32_e32 v99, 0
	ds_load_b64 v[100:101], v99 offset:232
	s_wait_dscnt 0x0
	v_pk_mul_f32 v[102:103], v[96:97], v[100:101] op_sel:[1,1] op_sel_hi:[0,1]
	v_pk_fma_f32 v[104:105], v[96:97], v[100:101], v[102:103] op_sel_hi:[1,0,1]
	v_pk_fma_f32 v[96:97], v[96:97], v[100:101], v[102:103] neg_lo:[0,0,1] neg_hi:[0,0,1]
	s_delay_alu instid0(VALU_DEP_2)
	v_mov_b32_e32 v97, v105
	scratch_store_b64 off, v[96:97], off offset:232
.LBB109_740:
	s_wait_xcnt 0x0
	s_or_b32 exec_lo, exec_lo, s0
	scratch_load_b64 v[96:97], off, off offset:240
	s_mov_b32 s0, exec_lo
	s_wait_loadcnt 0x0
	ds_store_b64 v1, v[96:97]
	s_wait_storecnt_dscnt 0x0
	s_barrier_signal -1
	s_barrier_wait -1
	s_wait_xcnt 0x0
	v_cmpx_gt_u32_e32 30, v0
	s_cbranch_execz .LBB109_750
; %bb.741:
	v_cmp_ne_u32_e32 vcc_lo, 1, v98
	s_cbranch_vccnz .LBB109_743
; %bb.742:
	scratch_load_b64 v[96:97], v59, off
	ds_load_b64 v[100:101], v1
	s_wait_loadcnt_dscnt 0x0
	v_pk_mul_f32 v[102:103], v[100:101], v[96:97] op_sel:[1,1] op_sel_hi:[0,1]
	s_delay_alu instid0(VALU_DEP_1) | instskip(SKIP_1) | instid1(VALU_DEP_2)
	v_pk_fma_f32 v[104:105], v[100:101], v[96:97], v[102:103] op_sel_hi:[1,0,1]
	v_pk_fma_f32 v[96:97], v[100:101], v[96:97], v[102:103] neg_lo:[0,0,1] neg_hi:[0,0,1]
	v_mov_b32_e32 v97, v105
	s_cbranch_execz .LBB109_744
	s_branch .LBB109_745
.LBB109_743:
                                        ; implicit-def: $vgpr96_vgpr97
.LBB109_744:
	ds_load_b64 v[96:97], v1
.LBB109_745:
	s_mov_b32 s2, exec_lo
	v_cmpx_ne_u32_e32 29, v0
	s_cbranch_execz .LBB109_749
; %bb.746:
	v_add_nc_u32_e32 v99, 0x178, v58
	v_add3_u32 v100, 0, v58, 8
	v_mov_b32_e32 v101, v0
	s_mov_b32 s3, 0
.LBB109_747:                            ; =>This Inner Loop Header: Depth=1
	scratch_load_b64 v[102:103], v100, off
	ds_load_b64 v[104:105], v99
	s_wait_xcnt 0x0
	v_dual_add_nc_u32 v99, 8, v99 :: v_dual_add_nc_u32 v100, 8, v100
	s_wait_loadcnt_dscnt 0x0
	v_pk_mul_f32 v[106:107], v[104:105], v[102:103] op_sel:[1,1] op_sel_hi:[0,1]
	s_delay_alu instid0(VALU_DEP_1) | instskip(SKIP_2) | instid1(VALU_DEP_3)
	v_pk_fma_f32 v[108:109], v[104:105], v[102:103], v[106:107] op_sel_hi:[1,0,1]
	v_add_nc_u32_e32 v101, 1, v101
	v_pk_fma_f32 v[102:103], v[104:105], v[102:103], v[106:107] neg_lo:[0,0,1] neg_hi:[0,0,1]
	v_mov_b32_e32 v103, v109
	s_delay_alu instid0(VALU_DEP_3) | instskip(NEXT) | instid1(VALU_DEP_2)
	v_cmp_lt_u32_e32 vcc_lo, 28, v101
	v_pk_add_f32 v[96:97], v[96:97], v[102:103]
	s_or_b32 s3, vcc_lo, s3
	s_delay_alu instid0(SALU_CYCLE_1)
	s_and_not1_b32 exec_lo, exec_lo, s3
	s_cbranch_execnz .LBB109_747
; %bb.748:
	s_or_b32 exec_lo, exec_lo, s3
.LBB109_749:
	s_delay_alu instid0(SALU_CYCLE_1) | instskip(SKIP_4) | instid1(VALU_DEP_1)
	s_or_b32 exec_lo, exec_lo, s2
	v_mov_b32_e32 v99, 0
	ds_load_b64 v[100:101], v99 offset:240
	s_wait_dscnt 0x0
	v_pk_mul_f32 v[102:103], v[96:97], v[100:101] op_sel:[1,1] op_sel_hi:[0,1]
	v_pk_fma_f32 v[104:105], v[96:97], v[100:101], v[102:103] op_sel_hi:[1,0,1]
	v_pk_fma_f32 v[96:97], v[96:97], v[100:101], v[102:103] neg_lo:[0,0,1] neg_hi:[0,0,1]
	s_delay_alu instid0(VALU_DEP_2)
	v_mov_b32_e32 v97, v105
	scratch_store_b64 off, v[96:97], off offset:240
.LBB109_750:
	s_wait_xcnt 0x0
	s_or_b32 exec_lo, exec_lo, s0
	scratch_load_b64 v[96:97], off, off offset:248
	s_mov_b32 s0, exec_lo
	s_wait_loadcnt 0x0
	ds_store_b64 v1, v[96:97]
	s_wait_storecnt_dscnt 0x0
	s_barrier_signal -1
	s_barrier_wait -1
	s_wait_xcnt 0x0
	v_cmpx_gt_u32_e32 31, v0
	s_cbranch_execz .LBB109_760
; %bb.751:
	v_cmp_ne_u32_e32 vcc_lo, 1, v98
	s_cbranch_vccnz .LBB109_753
; %bb.752:
	scratch_load_b64 v[96:97], v59, off
	ds_load_b64 v[100:101], v1
	s_wait_loadcnt_dscnt 0x0
	v_pk_mul_f32 v[102:103], v[100:101], v[96:97] op_sel:[1,1] op_sel_hi:[0,1]
	s_delay_alu instid0(VALU_DEP_1) | instskip(SKIP_1) | instid1(VALU_DEP_2)
	v_pk_fma_f32 v[104:105], v[100:101], v[96:97], v[102:103] op_sel_hi:[1,0,1]
	v_pk_fma_f32 v[96:97], v[100:101], v[96:97], v[102:103] neg_lo:[0,0,1] neg_hi:[0,0,1]
	v_mov_b32_e32 v97, v105
	s_cbranch_execz .LBB109_754
	s_branch .LBB109_755
.LBB109_753:
                                        ; implicit-def: $vgpr96_vgpr97
.LBB109_754:
	ds_load_b64 v[96:97], v1
.LBB109_755:
	s_mov_b32 s2, exec_lo
	v_cmpx_ne_u32_e32 30, v0
	s_cbranch_execz .LBB109_759
; %bb.756:
	v_add_nc_u32_e32 v99, 0x178, v58
	v_add3_u32 v100, 0, v58, 8
	v_mov_b32_e32 v101, v0
	s_mov_b32 s3, 0
.LBB109_757:                            ; =>This Inner Loop Header: Depth=1
	scratch_load_b64 v[102:103], v100, off
	ds_load_b64 v[104:105], v99
	s_wait_xcnt 0x0
	v_dual_add_nc_u32 v99, 8, v99 :: v_dual_add_nc_u32 v100, 8, v100
	s_wait_loadcnt_dscnt 0x0
	v_pk_mul_f32 v[106:107], v[104:105], v[102:103] op_sel:[1,1] op_sel_hi:[0,1]
	s_delay_alu instid0(VALU_DEP_1) | instskip(SKIP_2) | instid1(VALU_DEP_3)
	v_pk_fma_f32 v[108:109], v[104:105], v[102:103], v[106:107] op_sel_hi:[1,0,1]
	v_add_nc_u32_e32 v101, 1, v101
	v_pk_fma_f32 v[102:103], v[104:105], v[102:103], v[106:107] neg_lo:[0,0,1] neg_hi:[0,0,1]
	v_mov_b32_e32 v103, v109
	s_delay_alu instid0(VALU_DEP_3) | instskip(NEXT) | instid1(VALU_DEP_2)
	v_cmp_lt_u32_e32 vcc_lo, 29, v101
	v_pk_add_f32 v[96:97], v[96:97], v[102:103]
	s_or_b32 s3, vcc_lo, s3
	s_delay_alu instid0(SALU_CYCLE_1)
	s_and_not1_b32 exec_lo, exec_lo, s3
	s_cbranch_execnz .LBB109_757
; %bb.758:
	s_or_b32 exec_lo, exec_lo, s3
.LBB109_759:
	s_delay_alu instid0(SALU_CYCLE_1) | instskip(SKIP_4) | instid1(VALU_DEP_1)
	s_or_b32 exec_lo, exec_lo, s2
	v_mov_b32_e32 v99, 0
	ds_load_b64 v[100:101], v99 offset:248
	s_wait_dscnt 0x0
	v_pk_mul_f32 v[102:103], v[96:97], v[100:101] op_sel:[1,1] op_sel_hi:[0,1]
	v_pk_fma_f32 v[104:105], v[96:97], v[100:101], v[102:103] op_sel_hi:[1,0,1]
	v_pk_fma_f32 v[96:97], v[96:97], v[100:101], v[102:103] neg_lo:[0,0,1] neg_hi:[0,0,1]
	s_delay_alu instid0(VALU_DEP_2)
	v_mov_b32_e32 v97, v105
	scratch_store_b64 off, v[96:97], off offset:248
.LBB109_760:
	s_wait_xcnt 0x0
	s_or_b32 exec_lo, exec_lo, s0
	scratch_load_b64 v[96:97], off, off offset:256
	s_mov_b32 s0, exec_lo
	s_wait_loadcnt 0x0
	ds_store_b64 v1, v[96:97]
	s_wait_storecnt_dscnt 0x0
	s_barrier_signal -1
	s_barrier_wait -1
	s_wait_xcnt 0x0
	v_cmpx_gt_u32_e32 32, v0
	s_cbranch_execz .LBB109_770
; %bb.761:
	v_cmp_ne_u32_e32 vcc_lo, 1, v98
	s_cbranch_vccnz .LBB109_763
; %bb.762:
	scratch_load_b64 v[96:97], v59, off
	ds_load_b64 v[100:101], v1
	s_wait_loadcnt_dscnt 0x0
	v_pk_mul_f32 v[102:103], v[100:101], v[96:97] op_sel:[1,1] op_sel_hi:[0,1]
	s_delay_alu instid0(VALU_DEP_1) | instskip(SKIP_1) | instid1(VALU_DEP_2)
	v_pk_fma_f32 v[104:105], v[100:101], v[96:97], v[102:103] op_sel_hi:[1,0,1]
	v_pk_fma_f32 v[96:97], v[100:101], v[96:97], v[102:103] neg_lo:[0,0,1] neg_hi:[0,0,1]
	v_mov_b32_e32 v97, v105
	s_cbranch_execz .LBB109_764
	s_branch .LBB109_765
.LBB109_763:
                                        ; implicit-def: $vgpr96_vgpr97
.LBB109_764:
	ds_load_b64 v[96:97], v1
.LBB109_765:
	s_mov_b32 s2, exec_lo
	v_cmpx_ne_u32_e32 31, v0
	s_cbranch_execz .LBB109_769
; %bb.766:
	v_add_nc_u32_e32 v99, 0x178, v58
	v_add3_u32 v100, 0, v58, 8
	v_mov_b32_e32 v101, v0
	s_mov_b32 s3, 0
.LBB109_767:                            ; =>This Inner Loop Header: Depth=1
	scratch_load_b64 v[102:103], v100, off
	ds_load_b64 v[104:105], v99
	s_wait_xcnt 0x0
	v_dual_add_nc_u32 v99, 8, v99 :: v_dual_add_nc_u32 v100, 8, v100
	s_wait_loadcnt_dscnt 0x0
	v_pk_mul_f32 v[106:107], v[104:105], v[102:103] op_sel:[1,1] op_sel_hi:[0,1]
	s_delay_alu instid0(VALU_DEP_1) | instskip(SKIP_2) | instid1(VALU_DEP_3)
	v_pk_fma_f32 v[108:109], v[104:105], v[102:103], v[106:107] op_sel_hi:[1,0,1]
	v_add_nc_u32_e32 v101, 1, v101
	v_pk_fma_f32 v[102:103], v[104:105], v[102:103], v[106:107] neg_lo:[0,0,1] neg_hi:[0,0,1]
	v_mov_b32_e32 v103, v109
	s_delay_alu instid0(VALU_DEP_3) | instskip(NEXT) | instid1(VALU_DEP_2)
	v_cmp_lt_u32_e32 vcc_lo, 30, v101
	v_pk_add_f32 v[96:97], v[96:97], v[102:103]
	s_or_b32 s3, vcc_lo, s3
	s_delay_alu instid0(SALU_CYCLE_1)
	s_and_not1_b32 exec_lo, exec_lo, s3
	s_cbranch_execnz .LBB109_767
; %bb.768:
	s_or_b32 exec_lo, exec_lo, s3
.LBB109_769:
	s_delay_alu instid0(SALU_CYCLE_1) | instskip(SKIP_4) | instid1(VALU_DEP_1)
	s_or_b32 exec_lo, exec_lo, s2
	v_mov_b32_e32 v99, 0
	ds_load_b64 v[100:101], v99 offset:256
	s_wait_dscnt 0x0
	v_pk_mul_f32 v[102:103], v[96:97], v[100:101] op_sel:[1,1] op_sel_hi:[0,1]
	v_pk_fma_f32 v[104:105], v[96:97], v[100:101], v[102:103] op_sel_hi:[1,0,1]
	v_pk_fma_f32 v[96:97], v[96:97], v[100:101], v[102:103] neg_lo:[0,0,1] neg_hi:[0,0,1]
	s_delay_alu instid0(VALU_DEP_2)
	v_mov_b32_e32 v97, v105
	scratch_store_b64 off, v[96:97], off offset:256
.LBB109_770:
	s_wait_xcnt 0x0
	s_or_b32 exec_lo, exec_lo, s0
	scratch_load_b64 v[96:97], off, off offset:264
	s_mov_b32 s0, exec_lo
	s_wait_loadcnt 0x0
	ds_store_b64 v1, v[96:97]
	s_wait_storecnt_dscnt 0x0
	s_barrier_signal -1
	s_barrier_wait -1
	s_wait_xcnt 0x0
	v_cmpx_gt_u32_e32 33, v0
	s_cbranch_execz .LBB109_780
; %bb.771:
	v_cmp_ne_u32_e32 vcc_lo, 1, v98
	s_cbranch_vccnz .LBB109_773
; %bb.772:
	scratch_load_b64 v[96:97], v59, off
	ds_load_b64 v[100:101], v1
	s_wait_loadcnt_dscnt 0x0
	v_pk_mul_f32 v[102:103], v[100:101], v[96:97] op_sel:[1,1] op_sel_hi:[0,1]
	s_delay_alu instid0(VALU_DEP_1) | instskip(SKIP_1) | instid1(VALU_DEP_2)
	v_pk_fma_f32 v[104:105], v[100:101], v[96:97], v[102:103] op_sel_hi:[1,0,1]
	v_pk_fma_f32 v[96:97], v[100:101], v[96:97], v[102:103] neg_lo:[0,0,1] neg_hi:[0,0,1]
	v_mov_b32_e32 v97, v105
	s_cbranch_execz .LBB109_774
	s_branch .LBB109_775
.LBB109_773:
                                        ; implicit-def: $vgpr96_vgpr97
.LBB109_774:
	ds_load_b64 v[96:97], v1
.LBB109_775:
	s_mov_b32 s2, exec_lo
	v_cmpx_ne_u32_e32 32, v0
	s_cbranch_execz .LBB109_779
; %bb.776:
	v_add_nc_u32_e32 v99, 0x178, v58
	v_add3_u32 v100, 0, v58, 8
	v_mov_b32_e32 v101, v0
	s_mov_b32 s3, 0
.LBB109_777:                            ; =>This Inner Loop Header: Depth=1
	scratch_load_b64 v[102:103], v100, off
	ds_load_b64 v[104:105], v99
	s_wait_xcnt 0x0
	v_dual_add_nc_u32 v99, 8, v99 :: v_dual_add_nc_u32 v100, 8, v100
	s_wait_loadcnt_dscnt 0x0
	v_pk_mul_f32 v[106:107], v[104:105], v[102:103] op_sel:[1,1] op_sel_hi:[0,1]
	s_delay_alu instid0(VALU_DEP_1) | instskip(SKIP_2) | instid1(VALU_DEP_3)
	v_pk_fma_f32 v[108:109], v[104:105], v[102:103], v[106:107] op_sel_hi:[1,0,1]
	v_add_nc_u32_e32 v101, 1, v101
	v_pk_fma_f32 v[102:103], v[104:105], v[102:103], v[106:107] neg_lo:[0,0,1] neg_hi:[0,0,1]
	v_mov_b32_e32 v103, v109
	s_delay_alu instid0(VALU_DEP_3) | instskip(NEXT) | instid1(VALU_DEP_2)
	v_cmp_lt_u32_e32 vcc_lo, 31, v101
	v_pk_add_f32 v[96:97], v[96:97], v[102:103]
	s_or_b32 s3, vcc_lo, s3
	s_delay_alu instid0(SALU_CYCLE_1)
	s_and_not1_b32 exec_lo, exec_lo, s3
	s_cbranch_execnz .LBB109_777
; %bb.778:
	s_or_b32 exec_lo, exec_lo, s3
.LBB109_779:
	s_delay_alu instid0(SALU_CYCLE_1) | instskip(SKIP_4) | instid1(VALU_DEP_1)
	s_or_b32 exec_lo, exec_lo, s2
	v_mov_b32_e32 v99, 0
	ds_load_b64 v[100:101], v99 offset:264
	s_wait_dscnt 0x0
	v_pk_mul_f32 v[102:103], v[96:97], v[100:101] op_sel:[1,1] op_sel_hi:[0,1]
	v_pk_fma_f32 v[104:105], v[96:97], v[100:101], v[102:103] op_sel_hi:[1,0,1]
	v_pk_fma_f32 v[96:97], v[96:97], v[100:101], v[102:103] neg_lo:[0,0,1] neg_hi:[0,0,1]
	s_delay_alu instid0(VALU_DEP_2)
	v_mov_b32_e32 v97, v105
	scratch_store_b64 off, v[96:97], off offset:264
.LBB109_780:
	s_wait_xcnt 0x0
	s_or_b32 exec_lo, exec_lo, s0
	scratch_load_b64 v[96:97], off, off offset:272
	s_mov_b32 s0, exec_lo
	s_wait_loadcnt 0x0
	ds_store_b64 v1, v[96:97]
	s_wait_storecnt_dscnt 0x0
	s_barrier_signal -1
	s_barrier_wait -1
	s_wait_xcnt 0x0
	v_cmpx_gt_u32_e32 34, v0
	s_cbranch_execz .LBB109_790
; %bb.781:
	v_cmp_ne_u32_e32 vcc_lo, 1, v98
	s_cbranch_vccnz .LBB109_783
; %bb.782:
	scratch_load_b64 v[96:97], v59, off
	ds_load_b64 v[100:101], v1
	s_wait_loadcnt_dscnt 0x0
	v_pk_mul_f32 v[102:103], v[100:101], v[96:97] op_sel:[1,1] op_sel_hi:[0,1]
	s_delay_alu instid0(VALU_DEP_1) | instskip(SKIP_1) | instid1(VALU_DEP_2)
	v_pk_fma_f32 v[104:105], v[100:101], v[96:97], v[102:103] op_sel_hi:[1,0,1]
	v_pk_fma_f32 v[96:97], v[100:101], v[96:97], v[102:103] neg_lo:[0,0,1] neg_hi:[0,0,1]
	v_mov_b32_e32 v97, v105
	s_cbranch_execz .LBB109_784
	s_branch .LBB109_785
.LBB109_783:
                                        ; implicit-def: $vgpr96_vgpr97
.LBB109_784:
	ds_load_b64 v[96:97], v1
.LBB109_785:
	s_mov_b32 s2, exec_lo
	v_cmpx_ne_u32_e32 33, v0
	s_cbranch_execz .LBB109_789
; %bb.786:
	v_add_nc_u32_e32 v99, 0x178, v58
	v_add3_u32 v100, 0, v58, 8
	v_mov_b32_e32 v101, v0
	s_mov_b32 s3, 0
.LBB109_787:                            ; =>This Inner Loop Header: Depth=1
	scratch_load_b64 v[102:103], v100, off
	ds_load_b64 v[104:105], v99
	s_wait_xcnt 0x0
	v_dual_add_nc_u32 v99, 8, v99 :: v_dual_add_nc_u32 v100, 8, v100
	s_wait_loadcnt_dscnt 0x0
	v_pk_mul_f32 v[106:107], v[104:105], v[102:103] op_sel:[1,1] op_sel_hi:[0,1]
	s_delay_alu instid0(VALU_DEP_1) | instskip(SKIP_2) | instid1(VALU_DEP_3)
	v_pk_fma_f32 v[108:109], v[104:105], v[102:103], v[106:107] op_sel_hi:[1,0,1]
	v_add_nc_u32_e32 v101, 1, v101
	v_pk_fma_f32 v[102:103], v[104:105], v[102:103], v[106:107] neg_lo:[0,0,1] neg_hi:[0,0,1]
	v_mov_b32_e32 v103, v109
	s_delay_alu instid0(VALU_DEP_3) | instskip(NEXT) | instid1(VALU_DEP_2)
	v_cmp_lt_u32_e32 vcc_lo, 32, v101
	v_pk_add_f32 v[96:97], v[96:97], v[102:103]
	s_or_b32 s3, vcc_lo, s3
	s_delay_alu instid0(SALU_CYCLE_1)
	s_and_not1_b32 exec_lo, exec_lo, s3
	s_cbranch_execnz .LBB109_787
; %bb.788:
	s_or_b32 exec_lo, exec_lo, s3
.LBB109_789:
	s_delay_alu instid0(SALU_CYCLE_1) | instskip(SKIP_4) | instid1(VALU_DEP_1)
	s_or_b32 exec_lo, exec_lo, s2
	v_mov_b32_e32 v99, 0
	ds_load_b64 v[100:101], v99 offset:272
	s_wait_dscnt 0x0
	v_pk_mul_f32 v[102:103], v[96:97], v[100:101] op_sel:[1,1] op_sel_hi:[0,1]
	v_pk_fma_f32 v[104:105], v[96:97], v[100:101], v[102:103] op_sel_hi:[1,0,1]
	v_pk_fma_f32 v[96:97], v[96:97], v[100:101], v[102:103] neg_lo:[0,0,1] neg_hi:[0,0,1]
	s_delay_alu instid0(VALU_DEP_2)
	v_mov_b32_e32 v97, v105
	scratch_store_b64 off, v[96:97], off offset:272
.LBB109_790:
	s_wait_xcnt 0x0
	s_or_b32 exec_lo, exec_lo, s0
	scratch_load_b64 v[96:97], off, off offset:280
	s_mov_b32 s0, exec_lo
	s_wait_loadcnt 0x0
	ds_store_b64 v1, v[96:97]
	s_wait_storecnt_dscnt 0x0
	s_barrier_signal -1
	s_barrier_wait -1
	s_wait_xcnt 0x0
	v_cmpx_gt_u32_e32 35, v0
	s_cbranch_execz .LBB109_800
; %bb.791:
	v_cmp_ne_u32_e32 vcc_lo, 1, v98
	s_cbranch_vccnz .LBB109_793
; %bb.792:
	scratch_load_b64 v[96:97], v59, off
	ds_load_b64 v[100:101], v1
	s_wait_loadcnt_dscnt 0x0
	v_pk_mul_f32 v[102:103], v[100:101], v[96:97] op_sel:[1,1] op_sel_hi:[0,1]
	s_delay_alu instid0(VALU_DEP_1) | instskip(SKIP_1) | instid1(VALU_DEP_2)
	v_pk_fma_f32 v[104:105], v[100:101], v[96:97], v[102:103] op_sel_hi:[1,0,1]
	v_pk_fma_f32 v[96:97], v[100:101], v[96:97], v[102:103] neg_lo:[0,0,1] neg_hi:[0,0,1]
	v_mov_b32_e32 v97, v105
	s_cbranch_execz .LBB109_794
	s_branch .LBB109_795
.LBB109_793:
                                        ; implicit-def: $vgpr96_vgpr97
.LBB109_794:
	ds_load_b64 v[96:97], v1
.LBB109_795:
	s_mov_b32 s2, exec_lo
	v_cmpx_ne_u32_e32 34, v0
	s_cbranch_execz .LBB109_799
; %bb.796:
	v_add_nc_u32_e32 v99, 0x178, v58
	v_add3_u32 v100, 0, v58, 8
	v_mov_b32_e32 v101, v0
	s_mov_b32 s3, 0
.LBB109_797:                            ; =>This Inner Loop Header: Depth=1
	scratch_load_b64 v[102:103], v100, off
	ds_load_b64 v[104:105], v99
	s_wait_xcnt 0x0
	v_dual_add_nc_u32 v99, 8, v99 :: v_dual_add_nc_u32 v100, 8, v100
	s_wait_loadcnt_dscnt 0x0
	v_pk_mul_f32 v[106:107], v[104:105], v[102:103] op_sel:[1,1] op_sel_hi:[0,1]
	s_delay_alu instid0(VALU_DEP_1) | instskip(SKIP_2) | instid1(VALU_DEP_3)
	v_pk_fma_f32 v[108:109], v[104:105], v[102:103], v[106:107] op_sel_hi:[1,0,1]
	v_add_nc_u32_e32 v101, 1, v101
	v_pk_fma_f32 v[102:103], v[104:105], v[102:103], v[106:107] neg_lo:[0,0,1] neg_hi:[0,0,1]
	v_mov_b32_e32 v103, v109
	s_delay_alu instid0(VALU_DEP_3) | instskip(NEXT) | instid1(VALU_DEP_2)
	v_cmp_lt_u32_e32 vcc_lo, 33, v101
	v_pk_add_f32 v[96:97], v[96:97], v[102:103]
	s_or_b32 s3, vcc_lo, s3
	s_delay_alu instid0(SALU_CYCLE_1)
	s_and_not1_b32 exec_lo, exec_lo, s3
	s_cbranch_execnz .LBB109_797
; %bb.798:
	s_or_b32 exec_lo, exec_lo, s3
.LBB109_799:
	s_delay_alu instid0(SALU_CYCLE_1) | instskip(SKIP_4) | instid1(VALU_DEP_1)
	s_or_b32 exec_lo, exec_lo, s2
	v_mov_b32_e32 v99, 0
	ds_load_b64 v[100:101], v99 offset:280
	s_wait_dscnt 0x0
	v_pk_mul_f32 v[102:103], v[96:97], v[100:101] op_sel:[1,1] op_sel_hi:[0,1]
	v_pk_fma_f32 v[104:105], v[96:97], v[100:101], v[102:103] op_sel_hi:[1,0,1]
	v_pk_fma_f32 v[96:97], v[96:97], v[100:101], v[102:103] neg_lo:[0,0,1] neg_hi:[0,0,1]
	s_delay_alu instid0(VALU_DEP_2)
	v_mov_b32_e32 v97, v105
	scratch_store_b64 off, v[96:97], off offset:280
.LBB109_800:
	s_wait_xcnt 0x0
	s_or_b32 exec_lo, exec_lo, s0
	scratch_load_b64 v[96:97], off, off offset:288
	s_mov_b32 s0, exec_lo
	s_wait_loadcnt 0x0
	ds_store_b64 v1, v[96:97]
	s_wait_storecnt_dscnt 0x0
	s_barrier_signal -1
	s_barrier_wait -1
	s_wait_xcnt 0x0
	v_cmpx_gt_u32_e32 36, v0
	s_cbranch_execz .LBB109_810
; %bb.801:
	v_cmp_ne_u32_e32 vcc_lo, 1, v98
	s_cbranch_vccnz .LBB109_803
; %bb.802:
	scratch_load_b64 v[96:97], v59, off
	ds_load_b64 v[100:101], v1
	s_wait_loadcnt_dscnt 0x0
	v_pk_mul_f32 v[102:103], v[100:101], v[96:97] op_sel:[1,1] op_sel_hi:[0,1]
	s_delay_alu instid0(VALU_DEP_1) | instskip(SKIP_1) | instid1(VALU_DEP_2)
	v_pk_fma_f32 v[104:105], v[100:101], v[96:97], v[102:103] op_sel_hi:[1,0,1]
	v_pk_fma_f32 v[96:97], v[100:101], v[96:97], v[102:103] neg_lo:[0,0,1] neg_hi:[0,0,1]
	v_mov_b32_e32 v97, v105
	s_cbranch_execz .LBB109_804
	s_branch .LBB109_805
.LBB109_803:
                                        ; implicit-def: $vgpr96_vgpr97
.LBB109_804:
	ds_load_b64 v[96:97], v1
.LBB109_805:
	s_mov_b32 s2, exec_lo
	v_cmpx_ne_u32_e32 35, v0
	s_cbranch_execz .LBB109_809
; %bb.806:
	v_add_nc_u32_e32 v99, 0x178, v58
	v_add3_u32 v100, 0, v58, 8
	v_mov_b32_e32 v101, v0
	s_mov_b32 s3, 0
.LBB109_807:                            ; =>This Inner Loop Header: Depth=1
	scratch_load_b64 v[102:103], v100, off
	ds_load_b64 v[104:105], v99
	s_wait_xcnt 0x0
	v_dual_add_nc_u32 v99, 8, v99 :: v_dual_add_nc_u32 v100, 8, v100
	s_wait_loadcnt_dscnt 0x0
	v_pk_mul_f32 v[106:107], v[104:105], v[102:103] op_sel:[1,1] op_sel_hi:[0,1]
	s_delay_alu instid0(VALU_DEP_1) | instskip(SKIP_2) | instid1(VALU_DEP_3)
	v_pk_fma_f32 v[108:109], v[104:105], v[102:103], v[106:107] op_sel_hi:[1,0,1]
	v_add_nc_u32_e32 v101, 1, v101
	v_pk_fma_f32 v[102:103], v[104:105], v[102:103], v[106:107] neg_lo:[0,0,1] neg_hi:[0,0,1]
	v_mov_b32_e32 v103, v109
	s_delay_alu instid0(VALU_DEP_3) | instskip(NEXT) | instid1(VALU_DEP_2)
	v_cmp_lt_u32_e32 vcc_lo, 34, v101
	v_pk_add_f32 v[96:97], v[96:97], v[102:103]
	s_or_b32 s3, vcc_lo, s3
	s_delay_alu instid0(SALU_CYCLE_1)
	s_and_not1_b32 exec_lo, exec_lo, s3
	s_cbranch_execnz .LBB109_807
; %bb.808:
	s_or_b32 exec_lo, exec_lo, s3
.LBB109_809:
	s_delay_alu instid0(SALU_CYCLE_1) | instskip(SKIP_4) | instid1(VALU_DEP_1)
	s_or_b32 exec_lo, exec_lo, s2
	v_mov_b32_e32 v99, 0
	ds_load_b64 v[100:101], v99 offset:288
	s_wait_dscnt 0x0
	v_pk_mul_f32 v[102:103], v[96:97], v[100:101] op_sel:[1,1] op_sel_hi:[0,1]
	v_pk_fma_f32 v[104:105], v[96:97], v[100:101], v[102:103] op_sel_hi:[1,0,1]
	v_pk_fma_f32 v[96:97], v[96:97], v[100:101], v[102:103] neg_lo:[0,0,1] neg_hi:[0,0,1]
	s_delay_alu instid0(VALU_DEP_2)
	v_mov_b32_e32 v97, v105
	scratch_store_b64 off, v[96:97], off offset:288
.LBB109_810:
	s_wait_xcnt 0x0
	s_or_b32 exec_lo, exec_lo, s0
	scratch_load_b64 v[96:97], off, off offset:296
	s_mov_b32 s0, exec_lo
	s_wait_loadcnt 0x0
	ds_store_b64 v1, v[96:97]
	s_wait_storecnt_dscnt 0x0
	s_barrier_signal -1
	s_barrier_wait -1
	s_wait_xcnt 0x0
	v_cmpx_gt_u32_e32 37, v0
	s_cbranch_execz .LBB109_820
; %bb.811:
	v_cmp_ne_u32_e32 vcc_lo, 1, v98
	s_cbranch_vccnz .LBB109_813
; %bb.812:
	scratch_load_b64 v[96:97], v59, off
	ds_load_b64 v[100:101], v1
	s_wait_loadcnt_dscnt 0x0
	v_pk_mul_f32 v[102:103], v[100:101], v[96:97] op_sel:[1,1] op_sel_hi:[0,1]
	s_delay_alu instid0(VALU_DEP_1) | instskip(SKIP_1) | instid1(VALU_DEP_2)
	v_pk_fma_f32 v[104:105], v[100:101], v[96:97], v[102:103] op_sel_hi:[1,0,1]
	v_pk_fma_f32 v[96:97], v[100:101], v[96:97], v[102:103] neg_lo:[0,0,1] neg_hi:[0,0,1]
	v_mov_b32_e32 v97, v105
	s_cbranch_execz .LBB109_814
	s_branch .LBB109_815
.LBB109_813:
                                        ; implicit-def: $vgpr96_vgpr97
.LBB109_814:
	ds_load_b64 v[96:97], v1
.LBB109_815:
	s_mov_b32 s2, exec_lo
	v_cmpx_ne_u32_e32 36, v0
	s_cbranch_execz .LBB109_819
; %bb.816:
	v_add_nc_u32_e32 v99, 0x178, v58
	v_add3_u32 v100, 0, v58, 8
	v_mov_b32_e32 v101, v0
	s_mov_b32 s3, 0
.LBB109_817:                            ; =>This Inner Loop Header: Depth=1
	scratch_load_b64 v[102:103], v100, off
	ds_load_b64 v[104:105], v99
	s_wait_xcnt 0x0
	v_dual_add_nc_u32 v99, 8, v99 :: v_dual_add_nc_u32 v100, 8, v100
	s_wait_loadcnt_dscnt 0x0
	v_pk_mul_f32 v[106:107], v[104:105], v[102:103] op_sel:[1,1] op_sel_hi:[0,1]
	s_delay_alu instid0(VALU_DEP_1) | instskip(SKIP_2) | instid1(VALU_DEP_3)
	v_pk_fma_f32 v[108:109], v[104:105], v[102:103], v[106:107] op_sel_hi:[1,0,1]
	v_add_nc_u32_e32 v101, 1, v101
	v_pk_fma_f32 v[102:103], v[104:105], v[102:103], v[106:107] neg_lo:[0,0,1] neg_hi:[0,0,1]
	v_mov_b32_e32 v103, v109
	s_delay_alu instid0(VALU_DEP_3) | instskip(NEXT) | instid1(VALU_DEP_2)
	v_cmp_lt_u32_e32 vcc_lo, 35, v101
	v_pk_add_f32 v[96:97], v[96:97], v[102:103]
	s_or_b32 s3, vcc_lo, s3
	s_delay_alu instid0(SALU_CYCLE_1)
	s_and_not1_b32 exec_lo, exec_lo, s3
	s_cbranch_execnz .LBB109_817
; %bb.818:
	s_or_b32 exec_lo, exec_lo, s3
.LBB109_819:
	s_delay_alu instid0(SALU_CYCLE_1) | instskip(SKIP_4) | instid1(VALU_DEP_1)
	s_or_b32 exec_lo, exec_lo, s2
	v_mov_b32_e32 v99, 0
	ds_load_b64 v[100:101], v99 offset:296
	s_wait_dscnt 0x0
	v_pk_mul_f32 v[102:103], v[96:97], v[100:101] op_sel:[1,1] op_sel_hi:[0,1]
	v_pk_fma_f32 v[104:105], v[96:97], v[100:101], v[102:103] op_sel_hi:[1,0,1]
	v_pk_fma_f32 v[96:97], v[96:97], v[100:101], v[102:103] neg_lo:[0,0,1] neg_hi:[0,0,1]
	s_delay_alu instid0(VALU_DEP_2)
	v_mov_b32_e32 v97, v105
	scratch_store_b64 off, v[96:97], off offset:296
.LBB109_820:
	s_wait_xcnt 0x0
	s_or_b32 exec_lo, exec_lo, s0
	scratch_load_b64 v[96:97], off, off offset:304
	s_mov_b32 s0, exec_lo
	s_wait_loadcnt 0x0
	ds_store_b64 v1, v[96:97]
	s_wait_storecnt_dscnt 0x0
	s_barrier_signal -1
	s_barrier_wait -1
	s_wait_xcnt 0x0
	v_cmpx_gt_u32_e32 38, v0
	s_cbranch_execz .LBB109_830
; %bb.821:
	v_cmp_ne_u32_e32 vcc_lo, 1, v98
	s_cbranch_vccnz .LBB109_823
; %bb.822:
	scratch_load_b64 v[96:97], v59, off
	ds_load_b64 v[100:101], v1
	s_wait_loadcnt_dscnt 0x0
	v_pk_mul_f32 v[102:103], v[100:101], v[96:97] op_sel:[1,1] op_sel_hi:[0,1]
	s_delay_alu instid0(VALU_DEP_1) | instskip(SKIP_1) | instid1(VALU_DEP_2)
	v_pk_fma_f32 v[104:105], v[100:101], v[96:97], v[102:103] op_sel_hi:[1,0,1]
	v_pk_fma_f32 v[96:97], v[100:101], v[96:97], v[102:103] neg_lo:[0,0,1] neg_hi:[0,0,1]
	v_mov_b32_e32 v97, v105
	s_cbranch_execz .LBB109_824
	s_branch .LBB109_825
.LBB109_823:
                                        ; implicit-def: $vgpr96_vgpr97
.LBB109_824:
	ds_load_b64 v[96:97], v1
.LBB109_825:
	s_mov_b32 s2, exec_lo
	v_cmpx_ne_u32_e32 37, v0
	s_cbranch_execz .LBB109_829
; %bb.826:
	v_add_nc_u32_e32 v99, 0x178, v58
	v_add3_u32 v100, 0, v58, 8
	v_mov_b32_e32 v101, v0
	s_mov_b32 s3, 0
.LBB109_827:                            ; =>This Inner Loop Header: Depth=1
	scratch_load_b64 v[102:103], v100, off
	ds_load_b64 v[104:105], v99
	s_wait_xcnt 0x0
	v_dual_add_nc_u32 v99, 8, v99 :: v_dual_add_nc_u32 v100, 8, v100
	s_wait_loadcnt_dscnt 0x0
	v_pk_mul_f32 v[106:107], v[104:105], v[102:103] op_sel:[1,1] op_sel_hi:[0,1]
	s_delay_alu instid0(VALU_DEP_1) | instskip(SKIP_2) | instid1(VALU_DEP_3)
	v_pk_fma_f32 v[108:109], v[104:105], v[102:103], v[106:107] op_sel_hi:[1,0,1]
	v_add_nc_u32_e32 v101, 1, v101
	v_pk_fma_f32 v[102:103], v[104:105], v[102:103], v[106:107] neg_lo:[0,0,1] neg_hi:[0,0,1]
	v_mov_b32_e32 v103, v109
	s_delay_alu instid0(VALU_DEP_3) | instskip(NEXT) | instid1(VALU_DEP_2)
	v_cmp_lt_u32_e32 vcc_lo, 36, v101
	v_pk_add_f32 v[96:97], v[96:97], v[102:103]
	s_or_b32 s3, vcc_lo, s3
	s_delay_alu instid0(SALU_CYCLE_1)
	s_and_not1_b32 exec_lo, exec_lo, s3
	s_cbranch_execnz .LBB109_827
; %bb.828:
	s_or_b32 exec_lo, exec_lo, s3
.LBB109_829:
	s_delay_alu instid0(SALU_CYCLE_1) | instskip(SKIP_4) | instid1(VALU_DEP_1)
	s_or_b32 exec_lo, exec_lo, s2
	v_mov_b32_e32 v99, 0
	ds_load_b64 v[100:101], v99 offset:304
	s_wait_dscnt 0x0
	v_pk_mul_f32 v[102:103], v[96:97], v[100:101] op_sel:[1,1] op_sel_hi:[0,1]
	v_pk_fma_f32 v[104:105], v[96:97], v[100:101], v[102:103] op_sel_hi:[1,0,1]
	v_pk_fma_f32 v[96:97], v[96:97], v[100:101], v[102:103] neg_lo:[0,0,1] neg_hi:[0,0,1]
	s_delay_alu instid0(VALU_DEP_2)
	v_mov_b32_e32 v97, v105
	scratch_store_b64 off, v[96:97], off offset:304
.LBB109_830:
	s_wait_xcnt 0x0
	s_or_b32 exec_lo, exec_lo, s0
	scratch_load_b64 v[96:97], off, off offset:312
	s_mov_b32 s0, exec_lo
	s_wait_loadcnt 0x0
	ds_store_b64 v1, v[96:97]
	s_wait_storecnt_dscnt 0x0
	s_barrier_signal -1
	s_barrier_wait -1
	s_wait_xcnt 0x0
	v_cmpx_gt_u32_e32 39, v0
	s_cbranch_execz .LBB109_840
; %bb.831:
	v_cmp_ne_u32_e32 vcc_lo, 1, v98
	s_cbranch_vccnz .LBB109_833
; %bb.832:
	scratch_load_b64 v[96:97], v59, off
	ds_load_b64 v[100:101], v1
	s_wait_loadcnt_dscnt 0x0
	v_pk_mul_f32 v[102:103], v[100:101], v[96:97] op_sel:[1,1] op_sel_hi:[0,1]
	s_delay_alu instid0(VALU_DEP_1) | instskip(SKIP_1) | instid1(VALU_DEP_2)
	v_pk_fma_f32 v[104:105], v[100:101], v[96:97], v[102:103] op_sel_hi:[1,0,1]
	v_pk_fma_f32 v[96:97], v[100:101], v[96:97], v[102:103] neg_lo:[0,0,1] neg_hi:[0,0,1]
	v_mov_b32_e32 v97, v105
	s_cbranch_execz .LBB109_834
	s_branch .LBB109_835
.LBB109_833:
                                        ; implicit-def: $vgpr96_vgpr97
.LBB109_834:
	ds_load_b64 v[96:97], v1
.LBB109_835:
	s_mov_b32 s2, exec_lo
	v_cmpx_ne_u32_e32 38, v0
	s_cbranch_execz .LBB109_839
; %bb.836:
	v_add_nc_u32_e32 v99, 0x178, v58
	v_add3_u32 v100, 0, v58, 8
	v_mov_b32_e32 v101, v0
	s_mov_b32 s3, 0
.LBB109_837:                            ; =>This Inner Loop Header: Depth=1
	scratch_load_b64 v[102:103], v100, off
	ds_load_b64 v[104:105], v99
	s_wait_xcnt 0x0
	v_dual_add_nc_u32 v99, 8, v99 :: v_dual_add_nc_u32 v100, 8, v100
	s_wait_loadcnt_dscnt 0x0
	v_pk_mul_f32 v[106:107], v[104:105], v[102:103] op_sel:[1,1] op_sel_hi:[0,1]
	s_delay_alu instid0(VALU_DEP_1) | instskip(SKIP_2) | instid1(VALU_DEP_3)
	v_pk_fma_f32 v[108:109], v[104:105], v[102:103], v[106:107] op_sel_hi:[1,0,1]
	v_add_nc_u32_e32 v101, 1, v101
	v_pk_fma_f32 v[102:103], v[104:105], v[102:103], v[106:107] neg_lo:[0,0,1] neg_hi:[0,0,1]
	v_mov_b32_e32 v103, v109
	s_delay_alu instid0(VALU_DEP_3) | instskip(NEXT) | instid1(VALU_DEP_2)
	v_cmp_lt_u32_e32 vcc_lo, 37, v101
	v_pk_add_f32 v[96:97], v[96:97], v[102:103]
	s_or_b32 s3, vcc_lo, s3
	s_delay_alu instid0(SALU_CYCLE_1)
	s_and_not1_b32 exec_lo, exec_lo, s3
	s_cbranch_execnz .LBB109_837
; %bb.838:
	s_or_b32 exec_lo, exec_lo, s3
.LBB109_839:
	s_delay_alu instid0(SALU_CYCLE_1) | instskip(SKIP_4) | instid1(VALU_DEP_1)
	s_or_b32 exec_lo, exec_lo, s2
	v_mov_b32_e32 v99, 0
	ds_load_b64 v[100:101], v99 offset:312
	s_wait_dscnt 0x0
	v_pk_mul_f32 v[102:103], v[96:97], v[100:101] op_sel:[1,1] op_sel_hi:[0,1]
	v_pk_fma_f32 v[104:105], v[96:97], v[100:101], v[102:103] op_sel_hi:[1,0,1]
	v_pk_fma_f32 v[96:97], v[96:97], v[100:101], v[102:103] neg_lo:[0,0,1] neg_hi:[0,0,1]
	s_delay_alu instid0(VALU_DEP_2)
	v_mov_b32_e32 v97, v105
	scratch_store_b64 off, v[96:97], off offset:312
.LBB109_840:
	s_wait_xcnt 0x0
	s_or_b32 exec_lo, exec_lo, s0
	scratch_load_b64 v[96:97], off, off offset:320
	s_mov_b32 s0, exec_lo
	s_wait_loadcnt 0x0
	ds_store_b64 v1, v[96:97]
	s_wait_storecnt_dscnt 0x0
	s_barrier_signal -1
	s_barrier_wait -1
	s_wait_xcnt 0x0
	v_cmpx_gt_u32_e32 40, v0
	s_cbranch_execz .LBB109_850
; %bb.841:
	v_cmp_ne_u32_e32 vcc_lo, 1, v98
	s_cbranch_vccnz .LBB109_843
; %bb.842:
	scratch_load_b64 v[96:97], v59, off
	ds_load_b64 v[100:101], v1
	s_wait_loadcnt_dscnt 0x0
	v_pk_mul_f32 v[102:103], v[100:101], v[96:97] op_sel:[1,1] op_sel_hi:[0,1]
	s_delay_alu instid0(VALU_DEP_1) | instskip(SKIP_1) | instid1(VALU_DEP_2)
	v_pk_fma_f32 v[104:105], v[100:101], v[96:97], v[102:103] op_sel_hi:[1,0,1]
	v_pk_fma_f32 v[96:97], v[100:101], v[96:97], v[102:103] neg_lo:[0,0,1] neg_hi:[0,0,1]
	v_mov_b32_e32 v97, v105
	s_cbranch_execz .LBB109_844
	s_branch .LBB109_845
.LBB109_843:
                                        ; implicit-def: $vgpr96_vgpr97
.LBB109_844:
	ds_load_b64 v[96:97], v1
.LBB109_845:
	s_mov_b32 s2, exec_lo
	v_cmpx_ne_u32_e32 39, v0
	s_cbranch_execz .LBB109_849
; %bb.846:
	v_add_nc_u32_e32 v99, 0x178, v58
	v_add3_u32 v100, 0, v58, 8
	v_mov_b32_e32 v101, v0
	s_mov_b32 s3, 0
.LBB109_847:                            ; =>This Inner Loop Header: Depth=1
	scratch_load_b64 v[102:103], v100, off
	ds_load_b64 v[104:105], v99
	s_wait_xcnt 0x0
	v_dual_add_nc_u32 v99, 8, v99 :: v_dual_add_nc_u32 v100, 8, v100
	s_wait_loadcnt_dscnt 0x0
	v_pk_mul_f32 v[106:107], v[104:105], v[102:103] op_sel:[1,1] op_sel_hi:[0,1]
	s_delay_alu instid0(VALU_DEP_1) | instskip(SKIP_2) | instid1(VALU_DEP_3)
	v_pk_fma_f32 v[108:109], v[104:105], v[102:103], v[106:107] op_sel_hi:[1,0,1]
	v_add_nc_u32_e32 v101, 1, v101
	v_pk_fma_f32 v[102:103], v[104:105], v[102:103], v[106:107] neg_lo:[0,0,1] neg_hi:[0,0,1]
	v_mov_b32_e32 v103, v109
	s_delay_alu instid0(VALU_DEP_3) | instskip(NEXT) | instid1(VALU_DEP_2)
	v_cmp_lt_u32_e32 vcc_lo, 38, v101
	v_pk_add_f32 v[96:97], v[96:97], v[102:103]
	s_or_b32 s3, vcc_lo, s3
	s_delay_alu instid0(SALU_CYCLE_1)
	s_and_not1_b32 exec_lo, exec_lo, s3
	s_cbranch_execnz .LBB109_847
; %bb.848:
	s_or_b32 exec_lo, exec_lo, s3
.LBB109_849:
	s_delay_alu instid0(SALU_CYCLE_1) | instskip(SKIP_4) | instid1(VALU_DEP_1)
	s_or_b32 exec_lo, exec_lo, s2
	v_mov_b32_e32 v99, 0
	ds_load_b64 v[100:101], v99 offset:320
	s_wait_dscnt 0x0
	v_pk_mul_f32 v[102:103], v[96:97], v[100:101] op_sel:[1,1] op_sel_hi:[0,1]
	v_pk_fma_f32 v[104:105], v[96:97], v[100:101], v[102:103] op_sel_hi:[1,0,1]
	v_pk_fma_f32 v[96:97], v[96:97], v[100:101], v[102:103] neg_lo:[0,0,1] neg_hi:[0,0,1]
	s_delay_alu instid0(VALU_DEP_2)
	v_mov_b32_e32 v97, v105
	scratch_store_b64 off, v[96:97], off offset:320
.LBB109_850:
	s_wait_xcnt 0x0
	s_or_b32 exec_lo, exec_lo, s0
	scratch_load_b64 v[96:97], off, off offset:328
	s_mov_b32 s0, exec_lo
	s_wait_loadcnt 0x0
	ds_store_b64 v1, v[96:97]
	s_wait_storecnt_dscnt 0x0
	s_barrier_signal -1
	s_barrier_wait -1
	s_wait_xcnt 0x0
	v_cmpx_gt_u32_e32 41, v0
	s_cbranch_execz .LBB109_860
; %bb.851:
	v_cmp_ne_u32_e32 vcc_lo, 1, v98
	s_cbranch_vccnz .LBB109_853
; %bb.852:
	scratch_load_b64 v[96:97], v59, off
	ds_load_b64 v[100:101], v1
	s_wait_loadcnt_dscnt 0x0
	v_pk_mul_f32 v[102:103], v[100:101], v[96:97] op_sel:[1,1] op_sel_hi:[0,1]
	s_delay_alu instid0(VALU_DEP_1) | instskip(SKIP_1) | instid1(VALU_DEP_2)
	v_pk_fma_f32 v[104:105], v[100:101], v[96:97], v[102:103] op_sel_hi:[1,0,1]
	v_pk_fma_f32 v[96:97], v[100:101], v[96:97], v[102:103] neg_lo:[0,0,1] neg_hi:[0,0,1]
	v_mov_b32_e32 v97, v105
	s_cbranch_execz .LBB109_854
	s_branch .LBB109_855
.LBB109_853:
                                        ; implicit-def: $vgpr96_vgpr97
.LBB109_854:
	ds_load_b64 v[96:97], v1
.LBB109_855:
	s_mov_b32 s2, exec_lo
	v_cmpx_ne_u32_e32 40, v0
	s_cbranch_execz .LBB109_859
; %bb.856:
	v_add_nc_u32_e32 v99, 0x178, v58
	v_add3_u32 v100, 0, v58, 8
	v_mov_b32_e32 v101, v0
	s_mov_b32 s3, 0
.LBB109_857:                            ; =>This Inner Loop Header: Depth=1
	scratch_load_b64 v[102:103], v100, off
	ds_load_b64 v[104:105], v99
	s_wait_xcnt 0x0
	v_dual_add_nc_u32 v99, 8, v99 :: v_dual_add_nc_u32 v100, 8, v100
	s_wait_loadcnt_dscnt 0x0
	v_pk_mul_f32 v[106:107], v[104:105], v[102:103] op_sel:[1,1] op_sel_hi:[0,1]
	s_delay_alu instid0(VALU_DEP_1) | instskip(SKIP_2) | instid1(VALU_DEP_3)
	v_pk_fma_f32 v[108:109], v[104:105], v[102:103], v[106:107] op_sel_hi:[1,0,1]
	v_add_nc_u32_e32 v101, 1, v101
	v_pk_fma_f32 v[102:103], v[104:105], v[102:103], v[106:107] neg_lo:[0,0,1] neg_hi:[0,0,1]
	v_mov_b32_e32 v103, v109
	s_delay_alu instid0(VALU_DEP_3) | instskip(NEXT) | instid1(VALU_DEP_2)
	v_cmp_lt_u32_e32 vcc_lo, 39, v101
	v_pk_add_f32 v[96:97], v[96:97], v[102:103]
	s_or_b32 s3, vcc_lo, s3
	s_delay_alu instid0(SALU_CYCLE_1)
	s_and_not1_b32 exec_lo, exec_lo, s3
	s_cbranch_execnz .LBB109_857
; %bb.858:
	s_or_b32 exec_lo, exec_lo, s3
.LBB109_859:
	s_delay_alu instid0(SALU_CYCLE_1) | instskip(SKIP_4) | instid1(VALU_DEP_1)
	s_or_b32 exec_lo, exec_lo, s2
	v_mov_b32_e32 v99, 0
	ds_load_b64 v[100:101], v99 offset:328
	s_wait_dscnt 0x0
	v_pk_mul_f32 v[102:103], v[96:97], v[100:101] op_sel:[1,1] op_sel_hi:[0,1]
	v_pk_fma_f32 v[104:105], v[96:97], v[100:101], v[102:103] op_sel_hi:[1,0,1]
	v_pk_fma_f32 v[96:97], v[96:97], v[100:101], v[102:103] neg_lo:[0,0,1] neg_hi:[0,0,1]
	s_delay_alu instid0(VALU_DEP_2)
	v_mov_b32_e32 v97, v105
	scratch_store_b64 off, v[96:97], off offset:328
.LBB109_860:
	s_wait_xcnt 0x0
	s_or_b32 exec_lo, exec_lo, s0
	scratch_load_b64 v[96:97], off, off offset:336
	s_mov_b32 s0, exec_lo
	s_wait_loadcnt 0x0
	ds_store_b64 v1, v[96:97]
	s_wait_storecnt_dscnt 0x0
	s_barrier_signal -1
	s_barrier_wait -1
	s_wait_xcnt 0x0
	v_cmpx_gt_u32_e32 42, v0
	s_cbranch_execz .LBB109_870
; %bb.861:
	v_cmp_ne_u32_e32 vcc_lo, 1, v98
	s_cbranch_vccnz .LBB109_863
; %bb.862:
	scratch_load_b64 v[96:97], v59, off
	ds_load_b64 v[100:101], v1
	s_wait_loadcnt_dscnt 0x0
	v_pk_mul_f32 v[102:103], v[100:101], v[96:97] op_sel:[1,1] op_sel_hi:[0,1]
	s_delay_alu instid0(VALU_DEP_1) | instskip(SKIP_1) | instid1(VALU_DEP_2)
	v_pk_fma_f32 v[104:105], v[100:101], v[96:97], v[102:103] op_sel_hi:[1,0,1]
	v_pk_fma_f32 v[96:97], v[100:101], v[96:97], v[102:103] neg_lo:[0,0,1] neg_hi:[0,0,1]
	v_mov_b32_e32 v97, v105
	s_cbranch_execz .LBB109_864
	s_branch .LBB109_865
.LBB109_863:
                                        ; implicit-def: $vgpr96_vgpr97
.LBB109_864:
	ds_load_b64 v[96:97], v1
.LBB109_865:
	s_mov_b32 s2, exec_lo
	v_cmpx_ne_u32_e32 41, v0
	s_cbranch_execz .LBB109_869
; %bb.866:
	v_add_nc_u32_e32 v99, 0x178, v58
	v_add3_u32 v100, 0, v58, 8
	v_mov_b32_e32 v101, v0
	s_mov_b32 s3, 0
.LBB109_867:                            ; =>This Inner Loop Header: Depth=1
	scratch_load_b64 v[102:103], v100, off
	ds_load_b64 v[104:105], v99
	s_wait_xcnt 0x0
	v_dual_add_nc_u32 v99, 8, v99 :: v_dual_add_nc_u32 v100, 8, v100
	s_wait_loadcnt_dscnt 0x0
	v_pk_mul_f32 v[106:107], v[104:105], v[102:103] op_sel:[1,1] op_sel_hi:[0,1]
	s_delay_alu instid0(VALU_DEP_1) | instskip(SKIP_2) | instid1(VALU_DEP_3)
	v_pk_fma_f32 v[108:109], v[104:105], v[102:103], v[106:107] op_sel_hi:[1,0,1]
	v_add_nc_u32_e32 v101, 1, v101
	v_pk_fma_f32 v[102:103], v[104:105], v[102:103], v[106:107] neg_lo:[0,0,1] neg_hi:[0,0,1]
	v_mov_b32_e32 v103, v109
	s_delay_alu instid0(VALU_DEP_3) | instskip(NEXT) | instid1(VALU_DEP_2)
	v_cmp_lt_u32_e32 vcc_lo, 40, v101
	v_pk_add_f32 v[96:97], v[96:97], v[102:103]
	s_or_b32 s3, vcc_lo, s3
	s_delay_alu instid0(SALU_CYCLE_1)
	s_and_not1_b32 exec_lo, exec_lo, s3
	s_cbranch_execnz .LBB109_867
; %bb.868:
	s_or_b32 exec_lo, exec_lo, s3
.LBB109_869:
	s_delay_alu instid0(SALU_CYCLE_1) | instskip(SKIP_4) | instid1(VALU_DEP_1)
	s_or_b32 exec_lo, exec_lo, s2
	v_mov_b32_e32 v99, 0
	ds_load_b64 v[100:101], v99 offset:336
	s_wait_dscnt 0x0
	v_pk_mul_f32 v[102:103], v[96:97], v[100:101] op_sel:[1,1] op_sel_hi:[0,1]
	v_pk_fma_f32 v[104:105], v[96:97], v[100:101], v[102:103] op_sel_hi:[1,0,1]
	v_pk_fma_f32 v[96:97], v[96:97], v[100:101], v[102:103] neg_lo:[0,0,1] neg_hi:[0,0,1]
	s_delay_alu instid0(VALU_DEP_2)
	v_mov_b32_e32 v97, v105
	scratch_store_b64 off, v[96:97], off offset:336
.LBB109_870:
	s_wait_xcnt 0x0
	s_or_b32 exec_lo, exec_lo, s0
	scratch_load_b64 v[96:97], off, off offset:344
	s_mov_b32 s0, exec_lo
	s_wait_loadcnt 0x0
	ds_store_b64 v1, v[96:97]
	s_wait_storecnt_dscnt 0x0
	s_barrier_signal -1
	s_barrier_wait -1
	s_wait_xcnt 0x0
	v_cmpx_gt_u32_e32 43, v0
	s_cbranch_execz .LBB109_880
; %bb.871:
	v_cmp_ne_u32_e32 vcc_lo, 1, v98
	s_cbranch_vccnz .LBB109_873
; %bb.872:
	scratch_load_b64 v[96:97], v59, off
	ds_load_b64 v[100:101], v1
	s_wait_loadcnt_dscnt 0x0
	v_pk_mul_f32 v[102:103], v[100:101], v[96:97] op_sel:[1,1] op_sel_hi:[0,1]
	s_delay_alu instid0(VALU_DEP_1) | instskip(SKIP_1) | instid1(VALU_DEP_2)
	v_pk_fma_f32 v[104:105], v[100:101], v[96:97], v[102:103] op_sel_hi:[1,0,1]
	v_pk_fma_f32 v[96:97], v[100:101], v[96:97], v[102:103] neg_lo:[0,0,1] neg_hi:[0,0,1]
	v_mov_b32_e32 v97, v105
	s_cbranch_execz .LBB109_874
	s_branch .LBB109_875
.LBB109_873:
                                        ; implicit-def: $vgpr96_vgpr97
.LBB109_874:
	ds_load_b64 v[96:97], v1
.LBB109_875:
	s_mov_b32 s2, exec_lo
	v_cmpx_ne_u32_e32 42, v0
	s_cbranch_execz .LBB109_879
; %bb.876:
	v_add_nc_u32_e32 v99, 0x178, v58
	v_add3_u32 v100, 0, v58, 8
	v_mov_b32_e32 v101, v0
	s_mov_b32 s3, 0
.LBB109_877:                            ; =>This Inner Loop Header: Depth=1
	scratch_load_b64 v[102:103], v100, off
	ds_load_b64 v[104:105], v99
	s_wait_xcnt 0x0
	v_dual_add_nc_u32 v99, 8, v99 :: v_dual_add_nc_u32 v100, 8, v100
	s_wait_loadcnt_dscnt 0x0
	v_pk_mul_f32 v[106:107], v[104:105], v[102:103] op_sel:[1,1] op_sel_hi:[0,1]
	s_delay_alu instid0(VALU_DEP_1) | instskip(SKIP_2) | instid1(VALU_DEP_3)
	v_pk_fma_f32 v[108:109], v[104:105], v[102:103], v[106:107] op_sel_hi:[1,0,1]
	v_add_nc_u32_e32 v101, 1, v101
	v_pk_fma_f32 v[102:103], v[104:105], v[102:103], v[106:107] neg_lo:[0,0,1] neg_hi:[0,0,1]
	v_mov_b32_e32 v103, v109
	s_delay_alu instid0(VALU_DEP_3) | instskip(NEXT) | instid1(VALU_DEP_2)
	v_cmp_lt_u32_e32 vcc_lo, 41, v101
	v_pk_add_f32 v[96:97], v[96:97], v[102:103]
	s_or_b32 s3, vcc_lo, s3
	s_delay_alu instid0(SALU_CYCLE_1)
	s_and_not1_b32 exec_lo, exec_lo, s3
	s_cbranch_execnz .LBB109_877
; %bb.878:
	s_or_b32 exec_lo, exec_lo, s3
.LBB109_879:
	s_delay_alu instid0(SALU_CYCLE_1) | instskip(SKIP_4) | instid1(VALU_DEP_1)
	s_or_b32 exec_lo, exec_lo, s2
	v_mov_b32_e32 v99, 0
	ds_load_b64 v[100:101], v99 offset:344
	s_wait_dscnt 0x0
	v_pk_mul_f32 v[102:103], v[96:97], v[100:101] op_sel:[1,1] op_sel_hi:[0,1]
	v_pk_fma_f32 v[104:105], v[96:97], v[100:101], v[102:103] op_sel_hi:[1,0,1]
	v_pk_fma_f32 v[96:97], v[96:97], v[100:101], v[102:103] neg_lo:[0,0,1] neg_hi:[0,0,1]
	s_delay_alu instid0(VALU_DEP_2)
	v_mov_b32_e32 v97, v105
	scratch_store_b64 off, v[96:97], off offset:344
.LBB109_880:
	s_wait_xcnt 0x0
	s_or_b32 exec_lo, exec_lo, s0
	scratch_load_b64 v[96:97], off, off offset:352
	v_cmp_gt_u32_e64 s0, 44, v0
	s_wait_loadcnt 0x0
	ds_store_b64 v1, v[96:97]
	s_wait_storecnt_dscnt 0x0
	s_barrier_signal -1
	s_barrier_wait -1
	s_wait_xcnt 0x0
	s_and_saveexec_b32 s2, s0
	s_cbranch_execz .LBB109_890
; %bb.881:
	v_cmp_ne_u32_e32 vcc_lo, 1, v98
	s_cbranch_vccnz .LBB109_883
; %bb.882:
	scratch_load_b64 v[96:97], v59, off
	ds_load_b64 v[100:101], v1
	s_wait_loadcnt_dscnt 0x0
	v_pk_mul_f32 v[102:103], v[100:101], v[96:97] op_sel:[1,1] op_sel_hi:[0,1]
	s_delay_alu instid0(VALU_DEP_1) | instskip(SKIP_1) | instid1(VALU_DEP_2)
	v_pk_fma_f32 v[104:105], v[100:101], v[96:97], v[102:103] op_sel_hi:[1,0,1]
	v_pk_fma_f32 v[96:97], v[100:101], v[96:97], v[102:103] neg_lo:[0,0,1] neg_hi:[0,0,1]
	v_mov_b32_e32 v97, v105
	s_cbranch_execz .LBB109_884
	s_branch .LBB109_885
.LBB109_883:
                                        ; implicit-def: $vgpr96_vgpr97
.LBB109_884:
	ds_load_b64 v[96:97], v1
.LBB109_885:
	s_mov_b32 s3, exec_lo
	v_cmpx_ne_u32_e32 43, v0
	s_cbranch_execz .LBB109_889
; %bb.886:
	v_add_nc_u32_e32 v99, 0x178, v58
	v_add3_u32 v100, 0, v58, 8
	v_mov_b32_e32 v101, v0
	s_mov_b32 s4, 0
.LBB109_887:                            ; =>This Inner Loop Header: Depth=1
	scratch_load_b64 v[102:103], v100, off
	ds_load_b64 v[104:105], v99
	s_wait_xcnt 0x0
	v_dual_add_nc_u32 v99, 8, v99 :: v_dual_add_nc_u32 v100, 8, v100
	s_wait_loadcnt_dscnt 0x0
	v_pk_mul_f32 v[106:107], v[104:105], v[102:103] op_sel:[1,1] op_sel_hi:[0,1]
	s_delay_alu instid0(VALU_DEP_1) | instskip(SKIP_2) | instid1(VALU_DEP_3)
	v_pk_fma_f32 v[108:109], v[104:105], v[102:103], v[106:107] op_sel_hi:[1,0,1]
	v_add_nc_u32_e32 v101, 1, v101
	v_pk_fma_f32 v[102:103], v[104:105], v[102:103], v[106:107] neg_lo:[0,0,1] neg_hi:[0,0,1]
	v_mov_b32_e32 v103, v109
	s_delay_alu instid0(VALU_DEP_3) | instskip(NEXT) | instid1(VALU_DEP_2)
	v_cmp_lt_u32_e32 vcc_lo, 42, v101
	v_pk_add_f32 v[96:97], v[96:97], v[102:103]
	s_or_b32 s4, vcc_lo, s4
	s_delay_alu instid0(SALU_CYCLE_1)
	s_and_not1_b32 exec_lo, exec_lo, s4
	s_cbranch_execnz .LBB109_887
; %bb.888:
	s_or_b32 exec_lo, exec_lo, s4
.LBB109_889:
	s_delay_alu instid0(SALU_CYCLE_1) | instskip(SKIP_4) | instid1(VALU_DEP_1)
	s_or_b32 exec_lo, exec_lo, s3
	v_mov_b32_e32 v99, 0
	ds_load_b64 v[100:101], v99 offset:352
	s_wait_dscnt 0x0
	v_pk_mul_f32 v[102:103], v[96:97], v[100:101] op_sel:[1,1] op_sel_hi:[0,1]
	v_pk_fma_f32 v[104:105], v[96:97], v[100:101], v[102:103] op_sel_hi:[1,0,1]
	v_pk_fma_f32 v[96:97], v[96:97], v[100:101], v[102:103] neg_lo:[0,0,1] neg_hi:[0,0,1]
	s_delay_alu instid0(VALU_DEP_2)
	v_mov_b32_e32 v97, v105
	scratch_store_b64 off, v[96:97], off offset:352
.LBB109_890:
	s_wait_xcnt 0x0
	s_or_b32 exec_lo, exec_lo, s2
	scratch_load_b64 v[96:97], off, off offset:360
	s_mov_b32 s2, exec_lo
                                        ; implicit-def: $vgpr136
                                        ; implicit-def: $sgpr5
	s_wait_loadcnt 0x0
	ds_store_b64 v1, v[96:97]
	s_wait_storecnt_dscnt 0x0
	s_barrier_signal -1
	s_barrier_wait -1
	s_wait_xcnt 0x0
	v_cmpx_ne_u32_e32 45, v0
	s_cbranch_execz .LBB109_900
; %bb.891:
	v_cmp_ne_u32_e32 vcc_lo, 1, v98
	s_cbranch_vccnz .LBB109_893
; %bb.892:
	scratch_load_b64 v[98:99], v59, off
	ds_load_b64 v[100:101], v1
	s_wait_loadcnt_dscnt 0x0
	v_dual_mul_f32 v59, v101, v99 :: v_dual_mul_f32 v97, v100, v99
	s_delay_alu instid0(VALU_DEP_1)
	v_dual_fma_f32 v96, v100, v98, -v59 :: v_dual_fmac_f32 v97, v101, v98
	s_cbranch_execz .LBB109_894
	s_branch .LBB109_895
.LBB109_893:
                                        ; implicit-def: $vgpr97
.LBB109_894:
	ds_load_b64 v[96:97], v1
.LBB109_895:
	s_and_saveexec_b32 s3, s0
	s_cbranch_execz .LBB109_899
; %bb.896:
	v_add_nc_u32_e32 v1, 0x178, v58
	v_add3_u32 v58, 0, v58, 8
	s_mov_b32 s0, 0
.LBB109_897:                            ; =>This Inner Loop Header: Depth=1
	scratch_load_b64 v[98:99], v58, off
	ds_load_b64 v[100:101], v1
	s_wait_loadcnt_dscnt 0x0
	v_dual_add_nc_u32 v1, 8, v1 :: v_dual_mul_f32 v59, v101, v99
	v_dual_mul_f32 v99, v100, v99 :: v_dual_add_nc_u32 v0, 1, v0
	s_delay_alu instid0(VALU_DEP_2) | instskip(NEXT) | instid1(VALU_DEP_2)
	v_fma_f32 v59, v100, v98, -v59
	v_fmac_f32_e32 v99, v101, v98
	s_delay_alu instid0(VALU_DEP_3) | instskip(NEXT) | instid1(VALU_DEP_3)
	v_cmp_lt_u32_e32 vcc_lo, 43, v0
	v_dual_add_nc_u32 v58, 8, v58 :: v_dual_add_f32 v96, v96, v59
	s_delay_alu instid0(VALU_DEP_3) | instskip(SKIP_1) | instid1(SALU_CYCLE_1)
	v_add_f32_e32 v97, v97, v99
	s_or_b32 s0, vcc_lo, s0
	s_and_not1_b32 exec_lo, exec_lo, s0
	s_cbranch_execnz .LBB109_897
; %bb.898:
	s_or_b32 exec_lo, exec_lo, s0
.LBB109_899:
	s_delay_alu instid0(SALU_CYCLE_1)
	s_or_b32 exec_lo, exec_lo, s3
	v_mov_b32_e32 v0, 0
	s_movk_i32 s5, 0x16c
	s_or_b32 s1, s1, exec_lo
	ds_load_b64 v[0:1], v0 offset:360
	s_wait_dscnt 0x0
	v_dual_mul_f32 v58, v97, v1 :: v_dual_mul_f32 v136, v96, v1
	s_delay_alu instid0(VALU_DEP_1)
	v_dual_fma_f32 v1, v96, v0, -v58 :: v_dual_fmac_f32 v136, v97, v0
	scratch_store_b32 off, v1, off offset:360
.LBB109_900:
	s_wait_xcnt 0x0
	s_or_b32 exec_lo, exec_lo, s2
.LBB109_901:
	v_lshl_add_u64 v[134:135], v[6:7], 3, s[6:7]
	v_lshl_add_u64 v[132:133], v[8:9], 3, s[6:7]
	;; [unrolled: 1-line block ×44, first 2 shown]
	s_and_saveexec_b32 s0, s1
	s_cbranch_execz .LBB109_903
; %bb.902:
	scratch_store_b32 off, v136, s5
.LBB109_903:
	s_wait_xcnt 0x0
	s_or_b32 exec_lo, exec_lo, s0
	scratch_load_b64 v[50:51], off, off
	s_wait_loadcnt 0x0
	flat_store_b64 v[2:3], v[50:51]
	scratch_load_b64 v[2:3], off, off offset:8
	s_wait_loadcnt 0x0
	flat_store_b64 v[4:5], v[2:3]
	scratch_load_b64 v[2:3], off, off offset:16
	s_wait_loadcnt 0x0
	flat_store_b64 v[134:135], v[2:3]
	scratch_load_b64 v[2:3], off, off offset:24
	s_wait_loadcnt 0x0
	flat_store_b64 v[132:133], v[2:3]
	scratch_load_b64 v[2:3], off, off offset:32
	s_wait_loadcnt 0x0
	flat_store_b64 v[130:131], v[2:3]
	scratch_load_b64 v[2:3], off, off offset:40
	s_wait_loadcnt 0x0
	flat_store_b64 v[128:129], v[2:3]
	scratch_load_b64 v[2:3], off, off offset:48
	s_wait_loadcnt 0x0
	flat_store_b64 v[126:127], v[2:3]
	scratch_load_b64 v[2:3], off, off offset:56
	s_wait_loadcnt 0x0
	flat_store_b64 v[124:125], v[2:3]
	scratch_load_b64 v[2:3], off, off offset:64
	s_wait_loadcnt 0x0
	flat_store_b64 v[122:123], v[2:3]
	scratch_load_b64 v[2:3], off, off offset:72
	s_wait_loadcnt 0x0
	flat_store_b64 v[120:121], v[2:3]
	scratch_load_b64 v[2:3], off, off offset:80
	s_wait_loadcnt 0x0
	flat_store_b64 v[118:119], v[2:3]
	scratch_load_b64 v[2:3], off, off offset:88
	s_wait_loadcnt 0x0
	flat_store_b64 v[116:117], v[2:3]
	scratch_load_b64 v[2:3], off, off offset:96
	s_wait_loadcnt 0x0
	flat_store_b64 v[114:115], v[2:3]
	scratch_load_b64 v[2:3], off, off offset:104
	s_wait_loadcnt 0x0
	flat_store_b64 v[112:113], v[2:3]
	scratch_load_b64 v[2:3], off, off offset:112
	s_wait_loadcnt 0x0
	flat_store_b64 v[110:111], v[2:3]
	scratch_load_b64 v[2:3], off, off offset:120
	s_wait_loadcnt 0x0
	flat_store_b64 v[108:109], v[2:3]
	scratch_load_b64 v[2:3], off, off offset:128
	s_wait_loadcnt 0x0
	flat_store_b64 v[106:107], v[2:3]
	scratch_load_b64 v[2:3], off, off offset:136
	s_wait_loadcnt 0x0
	flat_store_b64 v[104:105], v[2:3]
	scratch_load_b64 v[2:3], off, off offset:144
	s_wait_loadcnt 0x0
	flat_store_b64 v[102:103], v[2:3]
	scratch_load_b64 v[2:3], off, off offset:152
	s_wait_loadcnt 0x0
	flat_store_b64 v[100:101], v[2:3]
	scratch_load_b64 v[2:3], off, off offset:160
	s_wait_loadcnt 0x0
	flat_store_b64 v[98:99], v[2:3]
	scratch_load_b64 v[2:3], off, off offset:168
	s_wait_loadcnt 0x0
	flat_store_b64 v[96:97], v[2:3]
	scratch_load_b64 v[2:3], off, off offset:176
	s_wait_loadcnt 0x0
	flat_store_b64 v[58:59], v[2:3]
	scratch_load_b64 v[2:3], off, off offset:184
	s_wait_loadcnt 0x0
	flat_store_b64 v[48:49], v[2:3]
	scratch_load_b64 v[2:3], off, off offset:192
	s_wait_loadcnt 0x0
	flat_store_b64 v[46:47], v[2:3]
	scratch_load_b64 v[2:3], off, off offset:200
	s_wait_loadcnt 0x0
	flat_store_b64 v[44:45], v[2:3]
	scratch_load_b64 v[2:3], off, off offset:208
	s_wait_loadcnt 0x0
	flat_store_b64 v[42:43], v[2:3]
	scratch_load_b64 v[2:3], off, off offset:216
	s_wait_loadcnt 0x0
	flat_store_b64 v[40:41], v[2:3]
	scratch_load_b64 v[2:3], off, off offset:224
	s_wait_loadcnt 0x0
	flat_store_b64 v[38:39], v[2:3]
	scratch_load_b64 v[2:3], off, off offset:232
	s_wait_loadcnt 0x0
	flat_store_b64 v[36:37], v[2:3]
	scratch_load_b64 v[2:3], off, off offset:240
	s_wait_loadcnt 0x0
	flat_store_b64 v[34:35], v[2:3]
	scratch_load_b64 v[2:3], off, off offset:248
	s_wait_loadcnt 0x0
	flat_store_b64 v[32:33], v[2:3]
	scratch_load_b64 v[2:3], off, off offset:256
	s_wait_loadcnt 0x0
	flat_store_b64 v[30:31], v[2:3]
	scratch_load_b64 v[2:3], off, off offset:264
	s_wait_loadcnt 0x0
	flat_store_b64 v[28:29], v[2:3]
	scratch_load_b64 v[2:3], off, off offset:272
	s_wait_loadcnt 0x0
	flat_store_b64 v[26:27], v[2:3]
	scratch_load_b64 v[2:3], off, off offset:280
	s_wait_loadcnt 0x0
	flat_store_b64 v[24:25], v[2:3]
	scratch_load_b64 v[2:3], off, off offset:288
	s_wait_loadcnt 0x0
	flat_store_b64 v[22:23], v[2:3]
	scratch_load_b64 v[2:3], off, off offset:296
	s_wait_loadcnt 0x0
	flat_store_b64 v[20:21], v[2:3]
	scratch_load_b64 v[2:3], off, off offset:304
	s_wait_loadcnt 0x0
	flat_store_b64 v[18:19], v[2:3]
	scratch_load_b64 v[2:3], off, off offset:312
	s_wait_loadcnt 0x0
	flat_store_b64 v[16:17], v[2:3]
	scratch_load_b64 v[2:3], off, off offset:320
	s_wait_loadcnt 0x0
	flat_store_b64 v[14:15], v[2:3]
	scratch_load_b64 v[2:3], off, off offset:328
	s_wait_loadcnt 0x0
	flat_store_b64 v[12:13], v[2:3]
	scratch_load_b64 v[2:3], off, off offset:336
	s_wait_loadcnt 0x0
	flat_store_b64 v[10:11], v[2:3]
	scratch_load_b64 v[2:3], off, off offset:344
	s_wait_loadcnt 0x0
	flat_store_b64 v[8:9], v[2:3]
	scratch_load_b64 v[2:3], off, off offset:352
	s_wait_loadcnt 0x0
	flat_store_b64 v[6:7], v[2:3]
	scratch_load_b64 v[2:3], off, off offset:360
	s_wait_loadcnt 0x0
	flat_store_b64 v[0:1], v[2:3]
.LBB109_904:
	s_sendmsg sendmsg(MSG_DEALLOC_VGPRS)
	s_endpgm
	.section	.rodata,"a",@progbits
	.p2align	6, 0x0
	.amdhsa_kernel _ZN9rocsolver6v33100L18trti2_kernel_smallILi46E19rocblas_complex_numIfEPKPS3_EEv13rocblas_fill_17rocblas_diagonal_T1_iil
		.amdhsa_group_segment_fixed_size 736
		.amdhsa_private_segment_fixed_size 384
		.amdhsa_kernarg_size 32
		.amdhsa_user_sgpr_count 2
		.amdhsa_user_sgpr_dispatch_ptr 0
		.amdhsa_user_sgpr_queue_ptr 0
		.amdhsa_user_sgpr_kernarg_segment_ptr 1
		.amdhsa_user_sgpr_dispatch_id 0
		.amdhsa_user_sgpr_kernarg_preload_length 0
		.amdhsa_user_sgpr_kernarg_preload_offset 0
		.amdhsa_user_sgpr_private_segment_size 0
		.amdhsa_wavefront_size32 1
		.amdhsa_uses_dynamic_stack 0
		.amdhsa_enable_private_segment 1
		.amdhsa_system_sgpr_workgroup_id_x 1
		.amdhsa_system_sgpr_workgroup_id_y 0
		.amdhsa_system_sgpr_workgroup_id_z 0
		.amdhsa_system_sgpr_workgroup_info 0
		.amdhsa_system_vgpr_workitem_id 0
		.amdhsa_next_free_vgpr 137
		.amdhsa_next_free_sgpr 52
		.amdhsa_named_barrier_count 0
		.amdhsa_reserve_vcc 1
		.amdhsa_float_round_mode_32 0
		.amdhsa_float_round_mode_16_64 0
		.amdhsa_float_denorm_mode_32 3
		.amdhsa_float_denorm_mode_16_64 3
		.amdhsa_fp16_overflow 0
		.amdhsa_memory_ordered 1
		.amdhsa_forward_progress 1
		.amdhsa_inst_pref_size 255
		.amdhsa_round_robin_scheduling 0
		.amdhsa_exception_fp_ieee_invalid_op 0
		.amdhsa_exception_fp_denorm_src 0
		.amdhsa_exception_fp_ieee_div_zero 0
		.amdhsa_exception_fp_ieee_overflow 0
		.amdhsa_exception_fp_ieee_underflow 0
		.amdhsa_exception_fp_ieee_inexact 0
		.amdhsa_exception_int_div_zero 0
	.end_amdhsa_kernel
	.section	.text._ZN9rocsolver6v33100L18trti2_kernel_smallILi46E19rocblas_complex_numIfEPKPS3_EEv13rocblas_fill_17rocblas_diagonal_T1_iil,"axG",@progbits,_ZN9rocsolver6v33100L18trti2_kernel_smallILi46E19rocblas_complex_numIfEPKPS3_EEv13rocblas_fill_17rocblas_diagonal_T1_iil,comdat
.Lfunc_end109:
	.size	_ZN9rocsolver6v33100L18trti2_kernel_smallILi46E19rocblas_complex_numIfEPKPS3_EEv13rocblas_fill_17rocblas_diagonal_T1_iil, .Lfunc_end109-_ZN9rocsolver6v33100L18trti2_kernel_smallILi46E19rocblas_complex_numIfEPKPS3_EEv13rocblas_fill_17rocblas_diagonal_T1_iil
                                        ; -- End function
	.set _ZN9rocsolver6v33100L18trti2_kernel_smallILi46E19rocblas_complex_numIfEPKPS3_EEv13rocblas_fill_17rocblas_diagonal_T1_iil.num_vgpr, 137
	.set _ZN9rocsolver6v33100L18trti2_kernel_smallILi46E19rocblas_complex_numIfEPKPS3_EEv13rocblas_fill_17rocblas_diagonal_T1_iil.num_agpr, 0
	.set _ZN9rocsolver6v33100L18trti2_kernel_smallILi46E19rocblas_complex_numIfEPKPS3_EEv13rocblas_fill_17rocblas_diagonal_T1_iil.numbered_sgpr, 52
	.set _ZN9rocsolver6v33100L18trti2_kernel_smallILi46E19rocblas_complex_numIfEPKPS3_EEv13rocblas_fill_17rocblas_diagonal_T1_iil.num_named_barrier, 0
	.set _ZN9rocsolver6v33100L18trti2_kernel_smallILi46E19rocblas_complex_numIfEPKPS3_EEv13rocblas_fill_17rocblas_diagonal_T1_iil.private_seg_size, 384
	.set _ZN9rocsolver6v33100L18trti2_kernel_smallILi46E19rocblas_complex_numIfEPKPS3_EEv13rocblas_fill_17rocblas_diagonal_T1_iil.uses_vcc, 1
	.set _ZN9rocsolver6v33100L18trti2_kernel_smallILi46E19rocblas_complex_numIfEPKPS3_EEv13rocblas_fill_17rocblas_diagonal_T1_iil.uses_flat_scratch, 0
	.set _ZN9rocsolver6v33100L18trti2_kernel_smallILi46E19rocblas_complex_numIfEPKPS3_EEv13rocblas_fill_17rocblas_diagonal_T1_iil.has_dyn_sized_stack, 0
	.set _ZN9rocsolver6v33100L18trti2_kernel_smallILi46E19rocblas_complex_numIfEPKPS3_EEv13rocblas_fill_17rocblas_diagonal_T1_iil.has_recursion, 0
	.set _ZN9rocsolver6v33100L18trti2_kernel_smallILi46E19rocblas_complex_numIfEPKPS3_EEv13rocblas_fill_17rocblas_diagonal_T1_iil.has_indirect_call, 0
	.section	.AMDGPU.csdata,"",@progbits
; Kernel info:
; codeLenInByte = 35504
; TotalNumSgprs: 54
; NumVgprs: 137
; ScratchSize: 384
; MemoryBound: 0
; FloatMode: 240
; IeeeMode: 1
; LDSByteSize: 736 bytes/workgroup (compile time only)
; SGPRBlocks: 0
; VGPRBlocks: 8
; NumSGPRsForWavesPerEU: 54
; NumVGPRsForWavesPerEU: 137
; NamedBarCnt: 0
; Occupancy: 7
; WaveLimiterHint : 1
; COMPUTE_PGM_RSRC2:SCRATCH_EN: 1
; COMPUTE_PGM_RSRC2:USER_SGPR: 2
; COMPUTE_PGM_RSRC2:TRAP_HANDLER: 0
; COMPUTE_PGM_RSRC2:TGID_X_EN: 1
; COMPUTE_PGM_RSRC2:TGID_Y_EN: 0
; COMPUTE_PGM_RSRC2:TGID_Z_EN: 0
; COMPUTE_PGM_RSRC2:TIDIG_COMP_CNT: 0
	.section	.text._ZN9rocsolver6v33100L18trti2_kernel_smallILi47E19rocblas_complex_numIfEPKPS3_EEv13rocblas_fill_17rocblas_diagonal_T1_iil,"axG",@progbits,_ZN9rocsolver6v33100L18trti2_kernel_smallILi47E19rocblas_complex_numIfEPKPS3_EEv13rocblas_fill_17rocblas_diagonal_T1_iil,comdat
	.globl	_ZN9rocsolver6v33100L18trti2_kernel_smallILi47E19rocblas_complex_numIfEPKPS3_EEv13rocblas_fill_17rocblas_diagonal_T1_iil ; -- Begin function _ZN9rocsolver6v33100L18trti2_kernel_smallILi47E19rocblas_complex_numIfEPKPS3_EEv13rocblas_fill_17rocblas_diagonal_T1_iil
	.p2align	8
	.type	_ZN9rocsolver6v33100L18trti2_kernel_smallILi47E19rocblas_complex_numIfEPKPS3_EEv13rocblas_fill_17rocblas_diagonal_T1_iil,@function
_ZN9rocsolver6v33100L18trti2_kernel_smallILi47E19rocblas_complex_numIfEPKPS3_EEv13rocblas_fill_17rocblas_diagonal_T1_iil: ; @_ZN9rocsolver6v33100L18trti2_kernel_smallILi47E19rocblas_complex_numIfEPKPS3_EEv13rocblas_fill_17rocblas_diagonal_T1_iil
; %bb.0:
	s_mov_b32 s2, exec_lo
	v_cmpx_gt_u32_e32 47, v0
	s_cbranch_execz .LBB110_924
; %bb.1:
	s_clause 0x1
	s_load_b64 s[8:9], s[0:1], 0x10
	s_load_b128 s[4:7], s[0:1], 0x0
	s_wait_xcnt 0x0
	s_bfe_u32 s0, ttmp6, 0x4000c
	s_and_b32 s1, ttmp6, 15
	s_add_co_i32 s0, s0, 1
	s_getreg_b32 s2, hwreg(HW_REG_IB_STS2, 6, 4)
	s_mul_i32 s0, ttmp9, s0
	v_dual_mov_b32 v59, 0 :: v_dual_lshlrev_b32 v58, 3, v0
	s_add_co_i32 s0, s1, s0
	s_wait_kmcnt 0x0
	s_ashr_i32 s1, s8, 31
	s_cmp_eq_u32 s2, 0
	s_cselect_b32 s2, ttmp9, s0
	s_mov_b32 s0, s8
	s_ashr_i32 s3, s2, 31
	s_lshl_b64 s[0:1], s[0:1], 3
	s_lshl_b64 s[2:3], s[2:3], 3
	s_delay_alu instid0(SALU_CYCLE_1)
	s_add_nc_u64 s[2:3], s[6:7], s[2:3]
	s_load_b64 s[2:3], s[2:3], 0x0
	s_wait_kmcnt 0x0
	s_add_nc_u64 s[2:3], s[2:3], s[0:1]
	s_mov_b32 s0, s9
	flat_load_b64 v[6:7], v0, s[2:3] scale_offset
	v_add_nc_u64_e32 v[2:3], s[2:3], v[58:59]
	s_ashr_i32 s1, s9, 31
	s_cmp_lg_u32 s5, 0x84
	s_cselect_b32 s5, -1, 0
	s_delay_alu instid0(SALU_CYCLE_1) | instskip(NEXT) | instid1(VALU_DEP_1)
	s_and_b32 vcc_lo, exec_lo, s5
	v_lshl_add_u64 v[4:5], s[0:1], 3, v[2:3]
	s_mov_b32 s0, -1
	s_wait_loadcnt_dscnt 0x0
	scratch_store_b64 off, v[6:7], off
	flat_load_b64 v[8:9], v[4:5]
	s_wait_xcnt 0x1
	v_add3_u32 v6, s9, s9, v0
	s_wait_loadcnt_dscnt 0x0
	scratch_store_b64 off, v[8:9], off offset:8
	flat_load_b64 v[10:11], v6, s[2:3] scale_offset
	s_wait_xcnt 0x1
	v_add_nc_u32_e32 v8, s9, v6
	s_wait_loadcnt_dscnt 0x0
	scratch_store_b64 off, v[10:11], off offset:16
	flat_load_b64 v[12:13], v8, s[2:3] scale_offset
	s_wait_xcnt 0x1
	v_add_nc_u32_e32 v10, s9, v8
	;; [unrolled: 5-line block ×44, first 2 shown]
	s_wait_loadcnt_dscnt 0x0
	scratch_store_b64 off, v[98:99], off offset:360
	flat_load_b64 v[98:99], v96, s[2:3] scale_offset
	s_wait_loadcnt_dscnt 0x0
	scratch_store_b64 off, v[98:99], off offset:368
	s_cbranch_vccz .LBB110_7
; %bb.2:
	scratch_load_b64 v[98:99], v0, off scale_offset
                                        ; implicit-def: $vgpr103
                                        ; implicit-def: $vgpr100
	s_wait_loadcnt 0x0
	v_cmp_ngt_f32_e64 s0, |v98|, |v99|
	s_wait_xcnt 0x0
	s_and_saveexec_b32 s1, s0
	s_delay_alu instid0(SALU_CYCLE_1)
	s_xor_b32 s0, exec_lo, s1
	s_cbranch_execz .LBB110_4
; %bb.3:
	v_div_scale_f32 v1, null, v99, v99, v98
	v_div_scale_f32 v11, vcc_lo, v98, v99, v98
	s_delay_alu instid0(VALU_DEP_2) | instskip(SKIP_1) | instid1(TRANS32_DEP_1)
	v_rcp_f32_e32 v7, v1
	v_nop
	v_fma_f32 v9, -v1, v7, 1.0
	s_delay_alu instid0(VALU_DEP_1) | instskip(NEXT) | instid1(VALU_DEP_1)
	v_fmac_f32_e32 v7, v9, v7
	v_mul_f32_e32 v9, v11, v7
	s_delay_alu instid0(VALU_DEP_1) | instskip(NEXT) | instid1(VALU_DEP_1)
	v_fma_f32 v13, -v1, v9, v11
	v_fmac_f32_e32 v9, v13, v7
	s_delay_alu instid0(VALU_DEP_1) | instskip(NEXT) | instid1(VALU_DEP_1)
	v_fma_f32 v1, -v1, v9, v11
	v_div_fmas_f32 v1, v1, v7, v9
	s_delay_alu instid0(VALU_DEP_1) | instskip(NEXT) | instid1(VALU_DEP_1)
	v_div_fixup_f32 v1, v1, v99, v98
	v_fmac_f32_e32 v99, v98, v1
	s_delay_alu instid0(VALU_DEP_1) | instskip(NEXT) | instid1(VALU_DEP_1)
	v_div_scale_f32 v7, null, v99, v99, -1.0
	v_rcp_f32_e32 v9, v7
	v_nop
	s_delay_alu instid0(TRANS32_DEP_1) | instskip(NEXT) | instid1(VALU_DEP_1)
	v_fma_f32 v11, -v7, v9, 1.0
	v_fmac_f32_e32 v9, v11, v9
	v_div_scale_f32 v11, vcc_lo, -1.0, v99, -1.0
	s_delay_alu instid0(VALU_DEP_1) | instskip(NEXT) | instid1(VALU_DEP_1)
	v_mul_f32_e32 v13, v11, v9
	v_fma_f32 v15, -v7, v13, v11
	s_delay_alu instid0(VALU_DEP_1) | instskip(NEXT) | instid1(VALU_DEP_1)
	v_fmac_f32_e32 v13, v15, v9
	v_fma_f32 v7, -v7, v13, v11
	s_delay_alu instid0(VALU_DEP_1) | instskip(NEXT) | instid1(VALU_DEP_1)
	v_div_fmas_f32 v7, v7, v9, v13
	v_div_fixup_f32 v103, v7, v99, -1.0
                                        ; implicit-def: $vgpr98_vgpr99
	s_delay_alu instid0(VALU_DEP_1) | instskip(NEXT) | instid1(VALU_DEP_1)
	v_mul_f32_e32 v100, v1, v103
	v_xor_b32_e32 v102, 0x80000000, v100
.LBB110_4:
	s_or_saveexec_b32 s0, s0
	v_lshl_add_u32 v1, v0, 3, 0
	s_xor_b32 exec_lo, exec_lo, s0
	s_cbranch_execz .LBB110_6
; %bb.5:
	v_div_scale_f32 v7, null, v98, v98, v99
	v_div_scale_f32 v13, vcc_lo, v99, v98, v99
	s_delay_alu instid0(VALU_DEP_2) | instskip(SKIP_1) | instid1(TRANS32_DEP_1)
	v_rcp_f32_e32 v9, v7
	v_nop
	v_fma_f32 v11, -v7, v9, 1.0
	s_delay_alu instid0(VALU_DEP_1) | instskip(NEXT) | instid1(VALU_DEP_1)
	v_fmac_f32_e32 v9, v11, v9
	v_mul_f32_e32 v11, v13, v9
	s_delay_alu instid0(VALU_DEP_1) | instskip(NEXT) | instid1(VALU_DEP_1)
	v_fma_f32 v15, -v7, v11, v13
	v_fmac_f32_e32 v11, v15, v9
	s_delay_alu instid0(VALU_DEP_1) | instskip(NEXT) | instid1(VALU_DEP_1)
	v_fma_f32 v7, -v7, v11, v13
	v_div_fmas_f32 v7, v7, v9, v11
	s_delay_alu instid0(VALU_DEP_1) | instskip(NEXT) | instid1(VALU_DEP_1)
	v_div_fixup_f32 v7, v7, v98, v99
	v_fmac_f32_e32 v98, v99, v7
	s_delay_alu instid0(VALU_DEP_1) | instskip(SKIP_1) | instid1(VALU_DEP_2)
	v_div_scale_f32 v9, null, v98, v98, 1.0
	v_div_scale_f32 v15, vcc_lo, 1.0, v98, 1.0
	v_rcp_f32_e32 v11, v9
	v_nop
	s_delay_alu instid0(TRANS32_DEP_1) | instskip(NEXT) | instid1(VALU_DEP_1)
	v_fma_f32 v13, -v9, v11, 1.0
	v_fmac_f32_e32 v11, v13, v11
	s_delay_alu instid0(VALU_DEP_1) | instskip(NEXT) | instid1(VALU_DEP_1)
	v_mul_f32_e32 v13, v15, v11
	v_fma_f32 v17, -v9, v13, v15
	s_delay_alu instid0(VALU_DEP_1) | instskip(NEXT) | instid1(VALU_DEP_1)
	v_fmac_f32_e32 v13, v17, v11
	v_fma_f32 v9, -v9, v13, v15
	s_delay_alu instid0(VALU_DEP_1) | instskip(NEXT) | instid1(VALU_DEP_1)
	v_div_fmas_f32 v9, v9, v11, v13
	v_div_fixup_f32 v102, v9, v98, 1.0
	s_delay_alu instid0(VALU_DEP_1)
	v_xor_b32_e32 v100, 0x80000000, v102
	v_mul_f32_e64 v103, v7, -v102
.LBB110_6:
	s_or_b32 exec_lo, exec_lo, s0
	s_delay_alu instid0(VALU_DEP_1)
	v_xor_b32_e32 v101, 0x80000000, v103
	s_mov_b32 s0, 0
	scratch_store_b64 v1, v[102:103], off
	ds_store_b64 v58, v[100:101]
.LBB110_7:
	s_and_b32 vcc_lo, exec_lo, s0
	s_cbranch_vccz .LBB110_9
; %bb.8:
	s_mov_b64 s[0:1], 0xbf800000
	s_wait_xcnt 0x0
	v_mov_b64_e32 v[98:99], s[0:1]
	ds_store_b64 v58, v[98:99]
.LBB110_9:
	v_dual_ashrrev_i32 v7, 31, v6 :: v_dual_ashrrev_i32 v9, 31, v8
	v_dual_ashrrev_i32 v11, 31, v10 :: v_dual_ashrrev_i32 v13, 31, v12
	;; [unrolled: 1-line block ×22, first 2 shown]
	v_dual_ashrrev_i32 v97, 31, v96 :: v_dual_mov_b32 v59, v58
	s_wait_xcnt 0x0
	v_add_nc_u32_e32 v1, 0x180, v58
	s_cmp_eq_u32 s4, 0x79
	s_cbranch_scc1 .LBB110_13
; %bb.10:
	scratch_load_b64 v[98:99], off, off offset:360
	v_cmp_eq_u32_e64 s0, 46, v0
	s_movk_i32 s1, 0x48
	s_movk_i32 s14, 0x50
	;; [unrolled: 1-line block ×36, first 2 shown]
	s_wait_loadcnt 0x0
	ds_store_b64 v1, v[98:99]
	s_wait_storecnt_dscnt 0x0
	s_barrier_signal -1
	s_barrier_wait -1
	s_wait_xcnt 0x0
	s_and_saveexec_b32 s4, s0
	s_cbranch_execz .LBB110_17
; %bb.11:
	s_and_b32 vcc_lo, exec_lo, s5
	s_cbranch_vccz .LBB110_14
; %bb.12:
	scratch_load_b64 v[98:99], v59, off
	ds_load_b64 v[100:101], v1
	s_wait_loadcnt_dscnt 0x0
	v_pk_mul_f32 v[102:103], v[100:101], v[98:99] op_sel:[1,1] op_sel_hi:[0,1]
	v_pk_mul_f32 v[104:105], v[100:101], v[98:99] op_sel_hi:[1,0]
	s_delay_alu instid0(VALU_DEP_2) | instskip(NEXT) | instid1(VALU_DEP_2)
	v_pk_fma_f32 v[98:99], v[100:101], v[98:99], v[102:103] op_sel_hi:[1,0,1]
	v_sub_f32_e32 v98, v104, v102
	s_cbranch_execz .LBB110_15
	s_branch .LBB110_16
.LBB110_13:
	s_mov_b32 s1, 0
                                        ; implicit-def: $vgpr140
                                        ; implicit-def: $sgpr7
	s_cbranch_execnz .LBB110_466
	s_branch .LBB110_921
.LBB110_14:
                                        ; implicit-def: $vgpr99
.LBB110_15:
	ds_load_b64 v[98:99], v1
.LBB110_16:
	s_wait_dscnt 0x0
	v_dual_mov_b32 v100, 0 :: v_dual_mov_b32 v102, v99
	v_mov_b32_e32 v103, v98
	ds_load_b64 v[100:101], v100 offset:360
	s_wait_dscnt 0x0
	v_pk_mul_f32 v[102:103], v[102:103], v[100:101] op_sel:[0,1]
	s_delay_alu instid0(VALU_DEP_1) | instskip(SKIP_1) | instid1(VALU_DEP_2)
	v_pk_fma_f32 v[104:105], v[98:99], v[100:101], v[102:103] op_sel_hi:[1,0,1]
	v_pk_fma_f32 v[98:99], v[98:99], v[100:101], v[102:103] neg_lo:[0,0,1] neg_hi:[0,0,1]
	v_mov_b32_e32 v99, v105
	scratch_store_b64 off, v[98:99], off offset:360
.LBB110_17:
	s_wait_xcnt 0x0
	s_or_b32 exec_lo, exec_lo, s4
	scratch_load_b64 v[98:99], off, off offset:352
	s_mov_b32 s13, s1
	v_cmp_lt_u32_e64 s1, 44, v0
	s_or_b32 s4, 0, 8
	s_mov_b32 s6, 16
	s_mov_b32 s7, 24
	;; [unrolled: 1-line block ×7, first 2 shown]
	s_wait_loadcnt 0x0
	ds_store_b64 v1, v[98:99]
	s_wait_storecnt_dscnt 0x0
	s_barrier_signal -1
	s_barrier_wait -1
	s_wait_xcnt 0x0
	s_and_saveexec_b32 s50, s1
	s_cbranch_execz .LBB110_25
; %bb.18:
	s_and_not1_b32 vcc_lo, exec_lo, s5
	s_cbranch_vccnz .LBB110_20
; %bb.19:
	scratch_load_b64 v[98:99], v59, off
	ds_load_b64 v[100:101], v1
	s_wait_loadcnt_dscnt 0x0
	v_pk_mul_f32 v[102:103], v[100:101], v[98:99] op_sel:[1,1] op_sel_hi:[0,1]
	s_delay_alu instid0(VALU_DEP_1) | instskip(SKIP_1) | instid1(VALU_DEP_2)
	v_pk_fma_f32 v[104:105], v[100:101], v[98:99], v[102:103] op_sel_hi:[1,0,1]
	v_pk_fma_f32 v[98:99], v[100:101], v[98:99], v[102:103] neg_lo:[0,0,1] neg_hi:[0,0,1]
	v_mov_b32_e32 v99, v105
	s_cbranch_execz .LBB110_21
	s_branch .LBB110_22
.LBB110_20:
                                        ; implicit-def: $vgpr98_vgpr99
.LBB110_21:
	ds_load_b64 v[98:99], v1
.LBB110_22:
	s_and_saveexec_b32 s51, s0
	s_cbranch_execz .LBB110_24
; %bb.23:
	scratch_load_b64 v[100:101], off, off offset:360
	v_mov_b32_e32 v102, 0
	ds_load_b64 v[102:103], v102 offset:744
	s_wait_loadcnt_dscnt 0x0
	v_pk_mul_f32 v[104:105], v[102:103], v[100:101] op_sel:[1,1] op_sel_hi:[0,1]
	s_delay_alu instid0(VALU_DEP_1) | instskip(SKIP_1) | instid1(VALU_DEP_2)
	v_pk_fma_f32 v[106:107], v[102:103], v[100:101], v[104:105] op_sel_hi:[1,0,1]
	v_pk_fma_f32 v[100:101], v[102:103], v[100:101], v[104:105] neg_lo:[0,0,1] neg_hi:[0,0,1]
	v_mov_b32_e32 v101, v107
	s_delay_alu instid0(VALU_DEP_1)
	v_pk_add_f32 v[98:99], v[98:99], v[100:101]
.LBB110_24:
	s_or_b32 exec_lo, exec_lo, s51
	v_mov_b32_e32 v100, 0
	ds_load_b64 v[100:101], v100 offset:352
	s_wait_dscnt 0x0
	v_pk_mul_f32 v[102:103], v[98:99], v[100:101] op_sel:[1,1] op_sel_hi:[0,1]
	s_delay_alu instid0(VALU_DEP_1) | instskip(SKIP_1) | instid1(VALU_DEP_2)
	v_pk_fma_f32 v[104:105], v[98:99], v[100:101], v[102:103] op_sel_hi:[1,0,1]
	v_pk_fma_f32 v[98:99], v[98:99], v[100:101], v[102:103] neg_lo:[0,0,1] neg_hi:[0,0,1]
	v_mov_b32_e32 v99, v105
	scratch_store_b64 off, v[98:99], off offset:352
.LBB110_25:
	s_wait_xcnt 0x0
	s_or_b32 exec_lo, exec_lo, s50
	scratch_load_b64 v[98:99], off, off offset:344
	v_cmp_lt_u32_e64 s0, 43, v0
	s_wait_loadcnt 0x0
	ds_store_b64 v1, v[98:99]
	s_wait_storecnt_dscnt 0x0
	s_barrier_signal -1
	s_barrier_wait -1
	s_wait_xcnt 0x0
	s_and_saveexec_b32 s50, s0
	s_cbranch_execz .LBB110_35
; %bb.26:
	s_and_not1_b32 vcc_lo, exec_lo, s5
	s_cbranch_vccnz .LBB110_28
; %bb.27:
	scratch_load_b64 v[98:99], v59, off
	ds_load_b64 v[100:101], v1
	s_wait_loadcnt_dscnt 0x0
	v_pk_mul_f32 v[102:103], v[100:101], v[98:99] op_sel:[1,1] op_sel_hi:[0,1]
	s_delay_alu instid0(VALU_DEP_1) | instskip(SKIP_1) | instid1(VALU_DEP_2)
	v_pk_fma_f32 v[104:105], v[100:101], v[98:99], v[102:103] op_sel_hi:[1,0,1]
	v_pk_fma_f32 v[98:99], v[100:101], v[98:99], v[102:103] neg_lo:[0,0,1] neg_hi:[0,0,1]
	v_mov_b32_e32 v99, v105
	s_cbranch_execz .LBB110_29
	s_branch .LBB110_30
.LBB110_28:
                                        ; implicit-def: $vgpr98_vgpr99
.LBB110_29:
	ds_load_b64 v[98:99], v1
.LBB110_30:
	s_and_saveexec_b32 s51, s1
	s_cbranch_execz .LBB110_34
; %bb.31:
	v_subrev_nc_u32_e32 v100, 44, v0
	s_movk_i32 s52, 0x2e0
	s_mov_b32 s1, 0
.LBB110_32:                             ; =>This Inner Loop Header: Depth=1
	scratch_load_b64 v[102:103], off, s49
	v_dual_mov_b32 v101, s52 :: v_dual_add_nc_u32 v100, -1, v100
	s_add_co_i32 s52, s52, 8
	s_wait_xcnt 0x0
	s_add_co_i32 s49, s49, 8
	ds_load_b64 v[104:105], v101
	v_cmp_eq_u32_e32 vcc_lo, 0, v100
	s_or_b32 s1, vcc_lo, s1
	s_wait_loadcnt_dscnt 0x0
	v_pk_mul_f32 v[106:107], v[104:105], v[102:103] op_sel:[1,1] op_sel_hi:[0,1]
	s_delay_alu instid0(VALU_DEP_1) | instskip(SKIP_1) | instid1(VALU_DEP_2)
	v_pk_fma_f32 v[108:109], v[104:105], v[102:103], v[106:107] op_sel_hi:[1,0,1]
	v_pk_fma_f32 v[102:103], v[104:105], v[102:103], v[106:107] neg_lo:[0,0,1] neg_hi:[0,0,1]
	v_mov_b32_e32 v103, v109
	s_delay_alu instid0(VALU_DEP_1)
	v_pk_add_f32 v[98:99], v[98:99], v[102:103]
	s_and_not1_b32 exec_lo, exec_lo, s1
	s_cbranch_execnz .LBB110_32
; %bb.33:
	s_or_b32 exec_lo, exec_lo, s1
.LBB110_34:
	s_delay_alu instid0(SALU_CYCLE_1) | instskip(SKIP_4) | instid1(VALU_DEP_1)
	s_or_b32 exec_lo, exec_lo, s51
	v_mov_b32_e32 v100, 0
	ds_load_b64 v[100:101], v100 offset:344
	s_wait_dscnt 0x0
	v_pk_mul_f32 v[102:103], v[98:99], v[100:101] op_sel:[1,1] op_sel_hi:[0,1]
	v_pk_fma_f32 v[104:105], v[98:99], v[100:101], v[102:103] op_sel_hi:[1,0,1]
	v_pk_fma_f32 v[98:99], v[98:99], v[100:101], v[102:103] neg_lo:[0,0,1] neg_hi:[0,0,1]
	s_delay_alu instid0(VALU_DEP_2)
	v_mov_b32_e32 v99, v105
	scratch_store_b64 off, v[98:99], off offset:344
.LBB110_35:
	s_wait_xcnt 0x0
	s_or_b32 exec_lo, exec_lo, s50
	scratch_load_b64 v[98:99], off, off offset:336
	v_cmp_lt_u32_e64 s1, 42, v0
	s_wait_loadcnt 0x0
	ds_store_b64 v1, v[98:99]
	s_wait_storecnt_dscnt 0x0
	s_barrier_signal -1
	s_barrier_wait -1
	s_wait_xcnt 0x0
	s_and_saveexec_b32 s49, s1
	s_cbranch_execz .LBB110_45
; %bb.36:
	s_and_not1_b32 vcc_lo, exec_lo, s5
	s_cbranch_vccnz .LBB110_38
; %bb.37:
	scratch_load_b64 v[98:99], v59, off
	ds_load_b64 v[100:101], v1
	s_wait_loadcnt_dscnt 0x0
	v_pk_mul_f32 v[102:103], v[100:101], v[98:99] op_sel:[1,1] op_sel_hi:[0,1]
	s_delay_alu instid0(VALU_DEP_1) | instskip(SKIP_1) | instid1(VALU_DEP_2)
	v_pk_fma_f32 v[104:105], v[100:101], v[98:99], v[102:103] op_sel_hi:[1,0,1]
	v_pk_fma_f32 v[98:99], v[100:101], v[98:99], v[102:103] neg_lo:[0,0,1] neg_hi:[0,0,1]
	v_mov_b32_e32 v99, v105
	s_cbranch_execz .LBB110_39
	s_branch .LBB110_40
.LBB110_38:
                                        ; implicit-def: $vgpr98_vgpr99
.LBB110_39:
	ds_load_b64 v[98:99], v1
.LBB110_40:
	s_and_saveexec_b32 s50, s0
	s_cbranch_execz .LBB110_44
; %bb.41:
	v_subrev_nc_u32_e32 v100, 43, v0
	s_movk_i32 s51, 0x2d8
	s_mov_b32 s0, 0
.LBB110_42:                             ; =>This Inner Loop Header: Depth=1
	scratch_load_b64 v[102:103], off, s48
	v_dual_mov_b32 v101, s51 :: v_dual_add_nc_u32 v100, -1, v100
	s_add_co_i32 s51, s51, 8
	s_wait_xcnt 0x0
	s_add_co_i32 s48, s48, 8
	ds_load_b64 v[104:105], v101
	v_cmp_eq_u32_e32 vcc_lo, 0, v100
	s_or_b32 s0, vcc_lo, s0
	s_wait_loadcnt_dscnt 0x0
	v_pk_mul_f32 v[106:107], v[104:105], v[102:103] op_sel:[1,1] op_sel_hi:[0,1]
	s_delay_alu instid0(VALU_DEP_1) | instskip(SKIP_1) | instid1(VALU_DEP_2)
	v_pk_fma_f32 v[108:109], v[104:105], v[102:103], v[106:107] op_sel_hi:[1,0,1]
	v_pk_fma_f32 v[102:103], v[104:105], v[102:103], v[106:107] neg_lo:[0,0,1] neg_hi:[0,0,1]
	v_mov_b32_e32 v103, v109
	s_delay_alu instid0(VALU_DEP_1)
	v_pk_add_f32 v[98:99], v[98:99], v[102:103]
	s_and_not1_b32 exec_lo, exec_lo, s0
	s_cbranch_execnz .LBB110_42
; %bb.43:
	s_or_b32 exec_lo, exec_lo, s0
.LBB110_44:
	s_delay_alu instid0(SALU_CYCLE_1) | instskip(SKIP_4) | instid1(VALU_DEP_1)
	s_or_b32 exec_lo, exec_lo, s50
	v_mov_b32_e32 v100, 0
	ds_load_b64 v[100:101], v100 offset:336
	s_wait_dscnt 0x0
	v_pk_mul_f32 v[102:103], v[98:99], v[100:101] op_sel:[1,1] op_sel_hi:[0,1]
	v_pk_fma_f32 v[104:105], v[98:99], v[100:101], v[102:103] op_sel_hi:[1,0,1]
	v_pk_fma_f32 v[98:99], v[98:99], v[100:101], v[102:103] neg_lo:[0,0,1] neg_hi:[0,0,1]
	s_delay_alu instid0(VALU_DEP_2)
	v_mov_b32_e32 v99, v105
	scratch_store_b64 off, v[98:99], off offset:336
.LBB110_45:
	s_wait_xcnt 0x0
	s_or_b32 exec_lo, exec_lo, s49
	scratch_load_b64 v[98:99], off, off offset:328
	v_cmp_lt_u32_e64 s0, 41, v0
	s_wait_loadcnt 0x0
	ds_store_b64 v1, v[98:99]
	s_wait_storecnt_dscnt 0x0
	s_barrier_signal -1
	s_barrier_wait -1
	s_wait_xcnt 0x0
	s_and_saveexec_b32 s48, s0
	s_cbranch_execz .LBB110_55
; %bb.46:
	s_and_not1_b32 vcc_lo, exec_lo, s5
	s_cbranch_vccnz .LBB110_48
; %bb.47:
	scratch_load_b64 v[98:99], v59, off
	ds_load_b64 v[100:101], v1
	s_wait_loadcnt_dscnt 0x0
	v_pk_mul_f32 v[102:103], v[100:101], v[98:99] op_sel:[1,1] op_sel_hi:[0,1]
	s_delay_alu instid0(VALU_DEP_1) | instskip(SKIP_1) | instid1(VALU_DEP_2)
	v_pk_fma_f32 v[104:105], v[100:101], v[98:99], v[102:103] op_sel_hi:[1,0,1]
	v_pk_fma_f32 v[98:99], v[100:101], v[98:99], v[102:103] neg_lo:[0,0,1] neg_hi:[0,0,1]
	v_mov_b32_e32 v99, v105
	s_cbranch_execz .LBB110_49
	s_branch .LBB110_50
.LBB110_48:
                                        ; implicit-def: $vgpr98_vgpr99
.LBB110_49:
	ds_load_b64 v[98:99], v1
.LBB110_50:
	s_and_saveexec_b32 s49, s1
	s_cbranch_execz .LBB110_54
; %bb.51:
	v_subrev_nc_u32_e32 v100, 42, v0
	s_movk_i32 s50, 0x2d0
	s_mov_b32 s1, 0
.LBB110_52:                             ; =>This Inner Loop Header: Depth=1
	scratch_load_b64 v[102:103], off, s47
	v_dual_mov_b32 v101, s50 :: v_dual_add_nc_u32 v100, -1, v100
	s_add_co_i32 s50, s50, 8
	s_wait_xcnt 0x0
	s_add_co_i32 s47, s47, 8
	ds_load_b64 v[104:105], v101
	v_cmp_eq_u32_e32 vcc_lo, 0, v100
	s_or_b32 s1, vcc_lo, s1
	s_wait_loadcnt_dscnt 0x0
	v_pk_mul_f32 v[106:107], v[104:105], v[102:103] op_sel:[1,1] op_sel_hi:[0,1]
	s_delay_alu instid0(VALU_DEP_1) | instskip(SKIP_1) | instid1(VALU_DEP_2)
	v_pk_fma_f32 v[108:109], v[104:105], v[102:103], v[106:107] op_sel_hi:[1,0,1]
	v_pk_fma_f32 v[102:103], v[104:105], v[102:103], v[106:107] neg_lo:[0,0,1] neg_hi:[0,0,1]
	v_mov_b32_e32 v103, v109
	s_delay_alu instid0(VALU_DEP_1)
	v_pk_add_f32 v[98:99], v[98:99], v[102:103]
	s_and_not1_b32 exec_lo, exec_lo, s1
	s_cbranch_execnz .LBB110_52
; %bb.53:
	s_or_b32 exec_lo, exec_lo, s1
.LBB110_54:
	s_delay_alu instid0(SALU_CYCLE_1) | instskip(SKIP_4) | instid1(VALU_DEP_1)
	s_or_b32 exec_lo, exec_lo, s49
	v_mov_b32_e32 v100, 0
	ds_load_b64 v[100:101], v100 offset:328
	s_wait_dscnt 0x0
	v_pk_mul_f32 v[102:103], v[98:99], v[100:101] op_sel:[1,1] op_sel_hi:[0,1]
	v_pk_fma_f32 v[104:105], v[98:99], v[100:101], v[102:103] op_sel_hi:[1,0,1]
	v_pk_fma_f32 v[98:99], v[98:99], v[100:101], v[102:103] neg_lo:[0,0,1] neg_hi:[0,0,1]
	s_delay_alu instid0(VALU_DEP_2)
	v_mov_b32_e32 v99, v105
	scratch_store_b64 off, v[98:99], off offset:328
.LBB110_55:
	s_wait_xcnt 0x0
	s_or_b32 exec_lo, exec_lo, s48
	scratch_load_b64 v[98:99], off, off offset:320
	v_cmp_lt_u32_e64 s1, 40, v0
	s_wait_loadcnt 0x0
	ds_store_b64 v1, v[98:99]
	s_wait_storecnt_dscnt 0x0
	s_barrier_signal -1
	s_barrier_wait -1
	s_wait_xcnt 0x0
	s_and_saveexec_b32 s47, s1
	s_cbranch_execz .LBB110_65
; %bb.56:
	s_and_not1_b32 vcc_lo, exec_lo, s5
	s_cbranch_vccnz .LBB110_58
; %bb.57:
	scratch_load_b64 v[98:99], v59, off
	ds_load_b64 v[100:101], v1
	s_wait_loadcnt_dscnt 0x0
	v_pk_mul_f32 v[102:103], v[100:101], v[98:99] op_sel:[1,1] op_sel_hi:[0,1]
	s_delay_alu instid0(VALU_DEP_1) | instskip(SKIP_1) | instid1(VALU_DEP_2)
	v_pk_fma_f32 v[104:105], v[100:101], v[98:99], v[102:103] op_sel_hi:[1,0,1]
	v_pk_fma_f32 v[98:99], v[100:101], v[98:99], v[102:103] neg_lo:[0,0,1] neg_hi:[0,0,1]
	v_mov_b32_e32 v99, v105
	s_cbranch_execz .LBB110_59
	s_branch .LBB110_60
.LBB110_58:
                                        ; implicit-def: $vgpr98_vgpr99
.LBB110_59:
	ds_load_b64 v[98:99], v1
.LBB110_60:
	s_and_saveexec_b32 s48, s0
	s_cbranch_execz .LBB110_64
; %bb.61:
	v_subrev_nc_u32_e32 v100, 41, v0
	s_movk_i32 s49, 0x2c8
	s_mov_b32 s0, 0
.LBB110_62:                             ; =>This Inner Loop Header: Depth=1
	scratch_load_b64 v[102:103], off, s46
	v_dual_mov_b32 v101, s49 :: v_dual_add_nc_u32 v100, -1, v100
	s_add_co_i32 s49, s49, 8
	s_wait_xcnt 0x0
	s_add_co_i32 s46, s46, 8
	ds_load_b64 v[104:105], v101
	v_cmp_eq_u32_e32 vcc_lo, 0, v100
	s_or_b32 s0, vcc_lo, s0
	s_wait_loadcnt_dscnt 0x0
	v_pk_mul_f32 v[106:107], v[104:105], v[102:103] op_sel:[1,1] op_sel_hi:[0,1]
	s_delay_alu instid0(VALU_DEP_1) | instskip(SKIP_1) | instid1(VALU_DEP_2)
	v_pk_fma_f32 v[108:109], v[104:105], v[102:103], v[106:107] op_sel_hi:[1,0,1]
	v_pk_fma_f32 v[102:103], v[104:105], v[102:103], v[106:107] neg_lo:[0,0,1] neg_hi:[0,0,1]
	v_mov_b32_e32 v103, v109
	s_delay_alu instid0(VALU_DEP_1)
	v_pk_add_f32 v[98:99], v[98:99], v[102:103]
	s_and_not1_b32 exec_lo, exec_lo, s0
	s_cbranch_execnz .LBB110_62
; %bb.63:
	s_or_b32 exec_lo, exec_lo, s0
.LBB110_64:
	s_delay_alu instid0(SALU_CYCLE_1) | instskip(SKIP_4) | instid1(VALU_DEP_1)
	s_or_b32 exec_lo, exec_lo, s48
	v_mov_b32_e32 v100, 0
	ds_load_b64 v[100:101], v100 offset:320
	s_wait_dscnt 0x0
	v_pk_mul_f32 v[102:103], v[98:99], v[100:101] op_sel:[1,1] op_sel_hi:[0,1]
	v_pk_fma_f32 v[104:105], v[98:99], v[100:101], v[102:103] op_sel_hi:[1,0,1]
	v_pk_fma_f32 v[98:99], v[98:99], v[100:101], v[102:103] neg_lo:[0,0,1] neg_hi:[0,0,1]
	s_delay_alu instid0(VALU_DEP_2)
	v_mov_b32_e32 v99, v105
	scratch_store_b64 off, v[98:99], off offset:320
.LBB110_65:
	s_wait_xcnt 0x0
	s_or_b32 exec_lo, exec_lo, s47
	scratch_load_b64 v[98:99], off, off offset:312
	v_cmp_lt_u32_e64 s0, 39, v0
	s_wait_loadcnt 0x0
	ds_store_b64 v1, v[98:99]
	s_wait_storecnt_dscnt 0x0
	s_barrier_signal -1
	s_barrier_wait -1
	s_wait_xcnt 0x0
	s_and_saveexec_b32 s46, s0
	s_cbranch_execz .LBB110_75
; %bb.66:
	s_and_not1_b32 vcc_lo, exec_lo, s5
	s_cbranch_vccnz .LBB110_68
; %bb.67:
	scratch_load_b64 v[98:99], v59, off
	ds_load_b64 v[100:101], v1
	s_wait_loadcnt_dscnt 0x0
	v_pk_mul_f32 v[102:103], v[100:101], v[98:99] op_sel:[1,1] op_sel_hi:[0,1]
	s_delay_alu instid0(VALU_DEP_1) | instskip(SKIP_1) | instid1(VALU_DEP_2)
	v_pk_fma_f32 v[104:105], v[100:101], v[98:99], v[102:103] op_sel_hi:[1,0,1]
	v_pk_fma_f32 v[98:99], v[100:101], v[98:99], v[102:103] neg_lo:[0,0,1] neg_hi:[0,0,1]
	v_mov_b32_e32 v99, v105
	s_cbranch_execz .LBB110_69
	s_branch .LBB110_70
.LBB110_68:
                                        ; implicit-def: $vgpr98_vgpr99
.LBB110_69:
	ds_load_b64 v[98:99], v1
.LBB110_70:
	s_and_saveexec_b32 s47, s1
	s_cbranch_execz .LBB110_74
; %bb.71:
	v_subrev_nc_u32_e32 v100, 40, v0
	s_movk_i32 s48, 0x2c0
	s_mov_b32 s1, 0
.LBB110_72:                             ; =>This Inner Loop Header: Depth=1
	scratch_load_b64 v[102:103], off, s45
	v_dual_mov_b32 v101, s48 :: v_dual_add_nc_u32 v100, -1, v100
	s_add_co_i32 s48, s48, 8
	s_wait_xcnt 0x0
	s_add_co_i32 s45, s45, 8
	ds_load_b64 v[104:105], v101
	v_cmp_eq_u32_e32 vcc_lo, 0, v100
	s_or_b32 s1, vcc_lo, s1
	s_wait_loadcnt_dscnt 0x0
	v_pk_mul_f32 v[106:107], v[104:105], v[102:103] op_sel:[1,1] op_sel_hi:[0,1]
	s_delay_alu instid0(VALU_DEP_1) | instskip(SKIP_1) | instid1(VALU_DEP_2)
	v_pk_fma_f32 v[108:109], v[104:105], v[102:103], v[106:107] op_sel_hi:[1,0,1]
	v_pk_fma_f32 v[102:103], v[104:105], v[102:103], v[106:107] neg_lo:[0,0,1] neg_hi:[0,0,1]
	v_mov_b32_e32 v103, v109
	s_delay_alu instid0(VALU_DEP_1)
	v_pk_add_f32 v[98:99], v[98:99], v[102:103]
	s_and_not1_b32 exec_lo, exec_lo, s1
	s_cbranch_execnz .LBB110_72
; %bb.73:
	s_or_b32 exec_lo, exec_lo, s1
.LBB110_74:
	s_delay_alu instid0(SALU_CYCLE_1) | instskip(SKIP_4) | instid1(VALU_DEP_1)
	s_or_b32 exec_lo, exec_lo, s47
	v_mov_b32_e32 v100, 0
	ds_load_b64 v[100:101], v100 offset:312
	s_wait_dscnt 0x0
	v_pk_mul_f32 v[102:103], v[98:99], v[100:101] op_sel:[1,1] op_sel_hi:[0,1]
	v_pk_fma_f32 v[104:105], v[98:99], v[100:101], v[102:103] op_sel_hi:[1,0,1]
	v_pk_fma_f32 v[98:99], v[98:99], v[100:101], v[102:103] neg_lo:[0,0,1] neg_hi:[0,0,1]
	s_delay_alu instid0(VALU_DEP_2)
	v_mov_b32_e32 v99, v105
	scratch_store_b64 off, v[98:99], off offset:312
.LBB110_75:
	s_wait_xcnt 0x0
	s_or_b32 exec_lo, exec_lo, s46
	scratch_load_b64 v[98:99], off, off offset:304
	v_cmp_lt_u32_e64 s1, 38, v0
	s_wait_loadcnt 0x0
	ds_store_b64 v1, v[98:99]
	s_wait_storecnt_dscnt 0x0
	s_barrier_signal -1
	s_barrier_wait -1
	s_wait_xcnt 0x0
	s_and_saveexec_b32 s45, s1
	s_cbranch_execz .LBB110_85
; %bb.76:
	s_and_not1_b32 vcc_lo, exec_lo, s5
	s_cbranch_vccnz .LBB110_78
; %bb.77:
	scratch_load_b64 v[98:99], v59, off
	ds_load_b64 v[100:101], v1
	s_wait_loadcnt_dscnt 0x0
	v_pk_mul_f32 v[102:103], v[100:101], v[98:99] op_sel:[1,1] op_sel_hi:[0,1]
	s_delay_alu instid0(VALU_DEP_1) | instskip(SKIP_1) | instid1(VALU_DEP_2)
	v_pk_fma_f32 v[104:105], v[100:101], v[98:99], v[102:103] op_sel_hi:[1,0,1]
	v_pk_fma_f32 v[98:99], v[100:101], v[98:99], v[102:103] neg_lo:[0,0,1] neg_hi:[0,0,1]
	v_mov_b32_e32 v99, v105
	s_cbranch_execz .LBB110_79
	s_branch .LBB110_80
.LBB110_78:
                                        ; implicit-def: $vgpr98_vgpr99
.LBB110_79:
	ds_load_b64 v[98:99], v1
.LBB110_80:
	s_and_saveexec_b32 s46, s0
	s_cbranch_execz .LBB110_84
; %bb.81:
	v_subrev_nc_u32_e32 v100, 39, v0
	s_movk_i32 s47, 0x2b8
	s_mov_b32 s0, 0
.LBB110_82:                             ; =>This Inner Loop Header: Depth=1
	scratch_load_b64 v[102:103], off, s44
	v_dual_mov_b32 v101, s47 :: v_dual_add_nc_u32 v100, -1, v100
	s_add_co_i32 s47, s47, 8
	s_wait_xcnt 0x0
	s_add_co_i32 s44, s44, 8
	ds_load_b64 v[104:105], v101
	v_cmp_eq_u32_e32 vcc_lo, 0, v100
	s_or_b32 s0, vcc_lo, s0
	s_wait_loadcnt_dscnt 0x0
	v_pk_mul_f32 v[106:107], v[104:105], v[102:103] op_sel:[1,1] op_sel_hi:[0,1]
	s_delay_alu instid0(VALU_DEP_1) | instskip(SKIP_1) | instid1(VALU_DEP_2)
	v_pk_fma_f32 v[108:109], v[104:105], v[102:103], v[106:107] op_sel_hi:[1,0,1]
	v_pk_fma_f32 v[102:103], v[104:105], v[102:103], v[106:107] neg_lo:[0,0,1] neg_hi:[0,0,1]
	v_mov_b32_e32 v103, v109
	s_delay_alu instid0(VALU_DEP_1)
	v_pk_add_f32 v[98:99], v[98:99], v[102:103]
	s_and_not1_b32 exec_lo, exec_lo, s0
	s_cbranch_execnz .LBB110_82
; %bb.83:
	s_or_b32 exec_lo, exec_lo, s0
.LBB110_84:
	s_delay_alu instid0(SALU_CYCLE_1) | instskip(SKIP_4) | instid1(VALU_DEP_1)
	s_or_b32 exec_lo, exec_lo, s46
	v_mov_b32_e32 v100, 0
	ds_load_b64 v[100:101], v100 offset:304
	s_wait_dscnt 0x0
	v_pk_mul_f32 v[102:103], v[98:99], v[100:101] op_sel:[1,1] op_sel_hi:[0,1]
	v_pk_fma_f32 v[104:105], v[98:99], v[100:101], v[102:103] op_sel_hi:[1,0,1]
	v_pk_fma_f32 v[98:99], v[98:99], v[100:101], v[102:103] neg_lo:[0,0,1] neg_hi:[0,0,1]
	s_delay_alu instid0(VALU_DEP_2)
	v_mov_b32_e32 v99, v105
	scratch_store_b64 off, v[98:99], off offset:304
.LBB110_85:
	s_wait_xcnt 0x0
	s_or_b32 exec_lo, exec_lo, s45
	scratch_load_b64 v[98:99], off, off offset:296
	v_cmp_lt_u32_e64 s0, 37, v0
	s_wait_loadcnt 0x0
	ds_store_b64 v1, v[98:99]
	s_wait_storecnt_dscnt 0x0
	s_barrier_signal -1
	s_barrier_wait -1
	s_wait_xcnt 0x0
	s_and_saveexec_b32 s44, s0
	s_cbranch_execz .LBB110_95
; %bb.86:
	s_and_not1_b32 vcc_lo, exec_lo, s5
	s_cbranch_vccnz .LBB110_88
; %bb.87:
	scratch_load_b64 v[98:99], v59, off
	ds_load_b64 v[100:101], v1
	s_wait_loadcnt_dscnt 0x0
	v_pk_mul_f32 v[102:103], v[100:101], v[98:99] op_sel:[1,1] op_sel_hi:[0,1]
	s_delay_alu instid0(VALU_DEP_1) | instskip(SKIP_1) | instid1(VALU_DEP_2)
	v_pk_fma_f32 v[104:105], v[100:101], v[98:99], v[102:103] op_sel_hi:[1,0,1]
	v_pk_fma_f32 v[98:99], v[100:101], v[98:99], v[102:103] neg_lo:[0,0,1] neg_hi:[0,0,1]
	v_mov_b32_e32 v99, v105
	s_cbranch_execz .LBB110_89
	s_branch .LBB110_90
.LBB110_88:
                                        ; implicit-def: $vgpr98_vgpr99
.LBB110_89:
	ds_load_b64 v[98:99], v1
.LBB110_90:
	s_and_saveexec_b32 s45, s1
	s_cbranch_execz .LBB110_94
; %bb.91:
	v_subrev_nc_u32_e32 v100, 38, v0
	s_movk_i32 s46, 0x2b0
	s_mov_b32 s1, 0
.LBB110_92:                             ; =>This Inner Loop Header: Depth=1
	scratch_load_b64 v[102:103], off, s43
	v_dual_mov_b32 v101, s46 :: v_dual_add_nc_u32 v100, -1, v100
	s_add_co_i32 s46, s46, 8
	s_wait_xcnt 0x0
	s_add_co_i32 s43, s43, 8
	ds_load_b64 v[104:105], v101
	v_cmp_eq_u32_e32 vcc_lo, 0, v100
	s_or_b32 s1, vcc_lo, s1
	s_wait_loadcnt_dscnt 0x0
	v_pk_mul_f32 v[106:107], v[104:105], v[102:103] op_sel:[1,1] op_sel_hi:[0,1]
	s_delay_alu instid0(VALU_DEP_1) | instskip(SKIP_1) | instid1(VALU_DEP_2)
	v_pk_fma_f32 v[108:109], v[104:105], v[102:103], v[106:107] op_sel_hi:[1,0,1]
	v_pk_fma_f32 v[102:103], v[104:105], v[102:103], v[106:107] neg_lo:[0,0,1] neg_hi:[0,0,1]
	v_mov_b32_e32 v103, v109
	s_delay_alu instid0(VALU_DEP_1)
	v_pk_add_f32 v[98:99], v[98:99], v[102:103]
	s_and_not1_b32 exec_lo, exec_lo, s1
	s_cbranch_execnz .LBB110_92
; %bb.93:
	s_or_b32 exec_lo, exec_lo, s1
.LBB110_94:
	s_delay_alu instid0(SALU_CYCLE_1) | instskip(SKIP_4) | instid1(VALU_DEP_1)
	s_or_b32 exec_lo, exec_lo, s45
	v_mov_b32_e32 v100, 0
	ds_load_b64 v[100:101], v100 offset:296
	s_wait_dscnt 0x0
	v_pk_mul_f32 v[102:103], v[98:99], v[100:101] op_sel:[1,1] op_sel_hi:[0,1]
	v_pk_fma_f32 v[104:105], v[98:99], v[100:101], v[102:103] op_sel_hi:[1,0,1]
	v_pk_fma_f32 v[98:99], v[98:99], v[100:101], v[102:103] neg_lo:[0,0,1] neg_hi:[0,0,1]
	s_delay_alu instid0(VALU_DEP_2)
	v_mov_b32_e32 v99, v105
	scratch_store_b64 off, v[98:99], off offset:296
.LBB110_95:
	s_wait_xcnt 0x0
	s_or_b32 exec_lo, exec_lo, s44
	scratch_load_b64 v[98:99], off, off offset:288
	v_cmp_lt_u32_e64 s1, 36, v0
	s_wait_loadcnt 0x0
	ds_store_b64 v1, v[98:99]
	s_wait_storecnt_dscnt 0x0
	s_barrier_signal -1
	s_barrier_wait -1
	s_wait_xcnt 0x0
	s_and_saveexec_b32 s43, s1
	s_cbranch_execz .LBB110_105
; %bb.96:
	s_and_not1_b32 vcc_lo, exec_lo, s5
	s_cbranch_vccnz .LBB110_98
; %bb.97:
	scratch_load_b64 v[98:99], v59, off
	ds_load_b64 v[100:101], v1
	s_wait_loadcnt_dscnt 0x0
	v_pk_mul_f32 v[102:103], v[100:101], v[98:99] op_sel:[1,1] op_sel_hi:[0,1]
	s_delay_alu instid0(VALU_DEP_1) | instskip(SKIP_1) | instid1(VALU_DEP_2)
	v_pk_fma_f32 v[104:105], v[100:101], v[98:99], v[102:103] op_sel_hi:[1,0,1]
	v_pk_fma_f32 v[98:99], v[100:101], v[98:99], v[102:103] neg_lo:[0,0,1] neg_hi:[0,0,1]
	v_mov_b32_e32 v99, v105
	s_cbranch_execz .LBB110_99
	s_branch .LBB110_100
.LBB110_98:
                                        ; implicit-def: $vgpr98_vgpr99
.LBB110_99:
	ds_load_b64 v[98:99], v1
.LBB110_100:
	s_and_saveexec_b32 s44, s0
	s_cbranch_execz .LBB110_104
; %bb.101:
	v_subrev_nc_u32_e32 v100, 37, v0
	s_movk_i32 s45, 0x2a8
	s_mov_b32 s0, 0
.LBB110_102:                            ; =>This Inner Loop Header: Depth=1
	scratch_load_b64 v[102:103], off, s42
	v_dual_mov_b32 v101, s45 :: v_dual_add_nc_u32 v100, -1, v100
	s_add_co_i32 s45, s45, 8
	s_wait_xcnt 0x0
	s_add_co_i32 s42, s42, 8
	ds_load_b64 v[104:105], v101
	v_cmp_eq_u32_e32 vcc_lo, 0, v100
	s_or_b32 s0, vcc_lo, s0
	s_wait_loadcnt_dscnt 0x0
	v_pk_mul_f32 v[106:107], v[104:105], v[102:103] op_sel:[1,1] op_sel_hi:[0,1]
	s_delay_alu instid0(VALU_DEP_1) | instskip(SKIP_1) | instid1(VALU_DEP_2)
	v_pk_fma_f32 v[108:109], v[104:105], v[102:103], v[106:107] op_sel_hi:[1,0,1]
	v_pk_fma_f32 v[102:103], v[104:105], v[102:103], v[106:107] neg_lo:[0,0,1] neg_hi:[0,0,1]
	v_mov_b32_e32 v103, v109
	s_delay_alu instid0(VALU_DEP_1)
	v_pk_add_f32 v[98:99], v[98:99], v[102:103]
	s_and_not1_b32 exec_lo, exec_lo, s0
	s_cbranch_execnz .LBB110_102
; %bb.103:
	s_or_b32 exec_lo, exec_lo, s0
.LBB110_104:
	s_delay_alu instid0(SALU_CYCLE_1) | instskip(SKIP_4) | instid1(VALU_DEP_1)
	s_or_b32 exec_lo, exec_lo, s44
	v_mov_b32_e32 v100, 0
	ds_load_b64 v[100:101], v100 offset:288
	s_wait_dscnt 0x0
	v_pk_mul_f32 v[102:103], v[98:99], v[100:101] op_sel:[1,1] op_sel_hi:[0,1]
	v_pk_fma_f32 v[104:105], v[98:99], v[100:101], v[102:103] op_sel_hi:[1,0,1]
	v_pk_fma_f32 v[98:99], v[98:99], v[100:101], v[102:103] neg_lo:[0,0,1] neg_hi:[0,0,1]
	s_delay_alu instid0(VALU_DEP_2)
	v_mov_b32_e32 v99, v105
	scratch_store_b64 off, v[98:99], off offset:288
.LBB110_105:
	s_wait_xcnt 0x0
	s_or_b32 exec_lo, exec_lo, s43
	scratch_load_b64 v[98:99], off, off offset:280
	v_cmp_lt_u32_e64 s0, 35, v0
	s_wait_loadcnt 0x0
	ds_store_b64 v1, v[98:99]
	s_wait_storecnt_dscnt 0x0
	s_barrier_signal -1
	s_barrier_wait -1
	s_wait_xcnt 0x0
	s_and_saveexec_b32 s42, s0
	s_cbranch_execz .LBB110_115
; %bb.106:
	s_and_not1_b32 vcc_lo, exec_lo, s5
	s_cbranch_vccnz .LBB110_108
; %bb.107:
	scratch_load_b64 v[98:99], v59, off
	ds_load_b64 v[100:101], v1
	s_wait_loadcnt_dscnt 0x0
	v_pk_mul_f32 v[102:103], v[100:101], v[98:99] op_sel:[1,1] op_sel_hi:[0,1]
	s_delay_alu instid0(VALU_DEP_1) | instskip(SKIP_1) | instid1(VALU_DEP_2)
	v_pk_fma_f32 v[104:105], v[100:101], v[98:99], v[102:103] op_sel_hi:[1,0,1]
	v_pk_fma_f32 v[98:99], v[100:101], v[98:99], v[102:103] neg_lo:[0,0,1] neg_hi:[0,0,1]
	v_mov_b32_e32 v99, v105
	s_cbranch_execz .LBB110_109
	s_branch .LBB110_110
.LBB110_108:
                                        ; implicit-def: $vgpr98_vgpr99
.LBB110_109:
	ds_load_b64 v[98:99], v1
.LBB110_110:
	s_and_saveexec_b32 s43, s1
	s_cbranch_execz .LBB110_114
; %bb.111:
	v_subrev_nc_u32_e32 v100, 36, v0
	s_movk_i32 s44, 0x2a0
	s_mov_b32 s1, 0
.LBB110_112:                            ; =>This Inner Loop Header: Depth=1
	scratch_load_b64 v[102:103], off, s41
	v_dual_mov_b32 v101, s44 :: v_dual_add_nc_u32 v100, -1, v100
	s_add_co_i32 s44, s44, 8
	s_wait_xcnt 0x0
	s_add_co_i32 s41, s41, 8
	ds_load_b64 v[104:105], v101
	v_cmp_eq_u32_e32 vcc_lo, 0, v100
	s_or_b32 s1, vcc_lo, s1
	s_wait_loadcnt_dscnt 0x0
	v_pk_mul_f32 v[106:107], v[104:105], v[102:103] op_sel:[1,1] op_sel_hi:[0,1]
	s_delay_alu instid0(VALU_DEP_1) | instskip(SKIP_1) | instid1(VALU_DEP_2)
	v_pk_fma_f32 v[108:109], v[104:105], v[102:103], v[106:107] op_sel_hi:[1,0,1]
	v_pk_fma_f32 v[102:103], v[104:105], v[102:103], v[106:107] neg_lo:[0,0,1] neg_hi:[0,0,1]
	v_mov_b32_e32 v103, v109
	s_delay_alu instid0(VALU_DEP_1)
	v_pk_add_f32 v[98:99], v[98:99], v[102:103]
	s_and_not1_b32 exec_lo, exec_lo, s1
	s_cbranch_execnz .LBB110_112
; %bb.113:
	s_or_b32 exec_lo, exec_lo, s1
.LBB110_114:
	s_delay_alu instid0(SALU_CYCLE_1) | instskip(SKIP_4) | instid1(VALU_DEP_1)
	s_or_b32 exec_lo, exec_lo, s43
	v_mov_b32_e32 v100, 0
	ds_load_b64 v[100:101], v100 offset:280
	s_wait_dscnt 0x0
	v_pk_mul_f32 v[102:103], v[98:99], v[100:101] op_sel:[1,1] op_sel_hi:[0,1]
	v_pk_fma_f32 v[104:105], v[98:99], v[100:101], v[102:103] op_sel_hi:[1,0,1]
	v_pk_fma_f32 v[98:99], v[98:99], v[100:101], v[102:103] neg_lo:[0,0,1] neg_hi:[0,0,1]
	s_delay_alu instid0(VALU_DEP_2)
	v_mov_b32_e32 v99, v105
	scratch_store_b64 off, v[98:99], off offset:280
.LBB110_115:
	s_wait_xcnt 0x0
	s_or_b32 exec_lo, exec_lo, s42
	scratch_load_b64 v[98:99], off, off offset:272
	v_cmp_lt_u32_e64 s1, 34, v0
	s_wait_loadcnt 0x0
	ds_store_b64 v1, v[98:99]
	s_wait_storecnt_dscnt 0x0
	s_barrier_signal -1
	s_barrier_wait -1
	s_wait_xcnt 0x0
	s_and_saveexec_b32 s41, s1
	s_cbranch_execz .LBB110_125
; %bb.116:
	s_and_not1_b32 vcc_lo, exec_lo, s5
	s_cbranch_vccnz .LBB110_118
; %bb.117:
	scratch_load_b64 v[98:99], v59, off
	ds_load_b64 v[100:101], v1
	s_wait_loadcnt_dscnt 0x0
	v_pk_mul_f32 v[102:103], v[100:101], v[98:99] op_sel:[1,1] op_sel_hi:[0,1]
	s_delay_alu instid0(VALU_DEP_1) | instskip(SKIP_1) | instid1(VALU_DEP_2)
	v_pk_fma_f32 v[104:105], v[100:101], v[98:99], v[102:103] op_sel_hi:[1,0,1]
	v_pk_fma_f32 v[98:99], v[100:101], v[98:99], v[102:103] neg_lo:[0,0,1] neg_hi:[0,0,1]
	v_mov_b32_e32 v99, v105
	s_cbranch_execz .LBB110_119
	s_branch .LBB110_120
.LBB110_118:
                                        ; implicit-def: $vgpr98_vgpr99
.LBB110_119:
	ds_load_b64 v[98:99], v1
.LBB110_120:
	s_and_saveexec_b32 s42, s0
	s_cbranch_execz .LBB110_124
; %bb.121:
	v_subrev_nc_u32_e32 v100, 35, v0
	s_movk_i32 s43, 0x298
	s_mov_b32 s0, 0
.LBB110_122:                            ; =>This Inner Loop Header: Depth=1
	scratch_load_b64 v[102:103], off, s40
	v_dual_mov_b32 v101, s43 :: v_dual_add_nc_u32 v100, -1, v100
	s_add_co_i32 s43, s43, 8
	s_wait_xcnt 0x0
	s_add_co_i32 s40, s40, 8
	ds_load_b64 v[104:105], v101
	v_cmp_eq_u32_e32 vcc_lo, 0, v100
	s_or_b32 s0, vcc_lo, s0
	s_wait_loadcnt_dscnt 0x0
	v_pk_mul_f32 v[106:107], v[104:105], v[102:103] op_sel:[1,1] op_sel_hi:[0,1]
	s_delay_alu instid0(VALU_DEP_1) | instskip(SKIP_1) | instid1(VALU_DEP_2)
	v_pk_fma_f32 v[108:109], v[104:105], v[102:103], v[106:107] op_sel_hi:[1,0,1]
	v_pk_fma_f32 v[102:103], v[104:105], v[102:103], v[106:107] neg_lo:[0,0,1] neg_hi:[0,0,1]
	v_mov_b32_e32 v103, v109
	s_delay_alu instid0(VALU_DEP_1)
	v_pk_add_f32 v[98:99], v[98:99], v[102:103]
	s_and_not1_b32 exec_lo, exec_lo, s0
	s_cbranch_execnz .LBB110_122
; %bb.123:
	s_or_b32 exec_lo, exec_lo, s0
.LBB110_124:
	s_delay_alu instid0(SALU_CYCLE_1) | instskip(SKIP_4) | instid1(VALU_DEP_1)
	s_or_b32 exec_lo, exec_lo, s42
	v_mov_b32_e32 v100, 0
	ds_load_b64 v[100:101], v100 offset:272
	s_wait_dscnt 0x0
	v_pk_mul_f32 v[102:103], v[98:99], v[100:101] op_sel:[1,1] op_sel_hi:[0,1]
	v_pk_fma_f32 v[104:105], v[98:99], v[100:101], v[102:103] op_sel_hi:[1,0,1]
	v_pk_fma_f32 v[98:99], v[98:99], v[100:101], v[102:103] neg_lo:[0,0,1] neg_hi:[0,0,1]
	s_delay_alu instid0(VALU_DEP_2)
	v_mov_b32_e32 v99, v105
	scratch_store_b64 off, v[98:99], off offset:272
.LBB110_125:
	s_wait_xcnt 0x0
	s_or_b32 exec_lo, exec_lo, s41
	scratch_load_b64 v[98:99], off, off offset:264
	v_cmp_lt_u32_e64 s0, 33, v0
	s_wait_loadcnt 0x0
	ds_store_b64 v1, v[98:99]
	s_wait_storecnt_dscnt 0x0
	s_barrier_signal -1
	s_barrier_wait -1
	s_wait_xcnt 0x0
	s_and_saveexec_b32 s40, s0
	s_cbranch_execz .LBB110_135
; %bb.126:
	s_and_not1_b32 vcc_lo, exec_lo, s5
	s_cbranch_vccnz .LBB110_128
; %bb.127:
	scratch_load_b64 v[98:99], v59, off
	ds_load_b64 v[100:101], v1
	s_wait_loadcnt_dscnt 0x0
	v_pk_mul_f32 v[102:103], v[100:101], v[98:99] op_sel:[1,1] op_sel_hi:[0,1]
	s_delay_alu instid0(VALU_DEP_1) | instskip(SKIP_1) | instid1(VALU_DEP_2)
	v_pk_fma_f32 v[104:105], v[100:101], v[98:99], v[102:103] op_sel_hi:[1,0,1]
	v_pk_fma_f32 v[98:99], v[100:101], v[98:99], v[102:103] neg_lo:[0,0,1] neg_hi:[0,0,1]
	v_mov_b32_e32 v99, v105
	s_cbranch_execz .LBB110_129
	s_branch .LBB110_130
.LBB110_128:
                                        ; implicit-def: $vgpr98_vgpr99
.LBB110_129:
	ds_load_b64 v[98:99], v1
.LBB110_130:
	s_and_saveexec_b32 s41, s1
	s_cbranch_execz .LBB110_134
; %bb.131:
	v_subrev_nc_u32_e32 v100, 34, v0
	s_movk_i32 s42, 0x290
	s_mov_b32 s1, 0
.LBB110_132:                            ; =>This Inner Loop Header: Depth=1
	scratch_load_b64 v[102:103], off, s39
	v_dual_mov_b32 v101, s42 :: v_dual_add_nc_u32 v100, -1, v100
	s_add_co_i32 s42, s42, 8
	s_wait_xcnt 0x0
	s_add_co_i32 s39, s39, 8
	ds_load_b64 v[104:105], v101
	v_cmp_eq_u32_e32 vcc_lo, 0, v100
	s_or_b32 s1, vcc_lo, s1
	s_wait_loadcnt_dscnt 0x0
	v_pk_mul_f32 v[106:107], v[104:105], v[102:103] op_sel:[1,1] op_sel_hi:[0,1]
	s_delay_alu instid0(VALU_DEP_1) | instskip(SKIP_1) | instid1(VALU_DEP_2)
	v_pk_fma_f32 v[108:109], v[104:105], v[102:103], v[106:107] op_sel_hi:[1,0,1]
	v_pk_fma_f32 v[102:103], v[104:105], v[102:103], v[106:107] neg_lo:[0,0,1] neg_hi:[0,0,1]
	v_mov_b32_e32 v103, v109
	s_delay_alu instid0(VALU_DEP_1)
	v_pk_add_f32 v[98:99], v[98:99], v[102:103]
	s_and_not1_b32 exec_lo, exec_lo, s1
	s_cbranch_execnz .LBB110_132
; %bb.133:
	s_or_b32 exec_lo, exec_lo, s1
.LBB110_134:
	s_delay_alu instid0(SALU_CYCLE_1) | instskip(SKIP_4) | instid1(VALU_DEP_1)
	s_or_b32 exec_lo, exec_lo, s41
	v_mov_b32_e32 v100, 0
	ds_load_b64 v[100:101], v100 offset:264
	s_wait_dscnt 0x0
	v_pk_mul_f32 v[102:103], v[98:99], v[100:101] op_sel:[1,1] op_sel_hi:[0,1]
	v_pk_fma_f32 v[104:105], v[98:99], v[100:101], v[102:103] op_sel_hi:[1,0,1]
	v_pk_fma_f32 v[98:99], v[98:99], v[100:101], v[102:103] neg_lo:[0,0,1] neg_hi:[0,0,1]
	s_delay_alu instid0(VALU_DEP_2)
	v_mov_b32_e32 v99, v105
	scratch_store_b64 off, v[98:99], off offset:264
.LBB110_135:
	s_wait_xcnt 0x0
	s_or_b32 exec_lo, exec_lo, s40
	scratch_load_b64 v[98:99], off, off offset:256
	v_cmp_lt_u32_e64 s1, 32, v0
	s_wait_loadcnt 0x0
	ds_store_b64 v1, v[98:99]
	s_wait_storecnt_dscnt 0x0
	s_barrier_signal -1
	s_barrier_wait -1
	s_wait_xcnt 0x0
	s_and_saveexec_b32 s39, s1
	s_cbranch_execz .LBB110_145
; %bb.136:
	s_and_not1_b32 vcc_lo, exec_lo, s5
	s_cbranch_vccnz .LBB110_138
; %bb.137:
	scratch_load_b64 v[98:99], v59, off
	ds_load_b64 v[100:101], v1
	s_wait_loadcnt_dscnt 0x0
	v_pk_mul_f32 v[102:103], v[100:101], v[98:99] op_sel:[1,1] op_sel_hi:[0,1]
	s_delay_alu instid0(VALU_DEP_1) | instskip(SKIP_1) | instid1(VALU_DEP_2)
	v_pk_fma_f32 v[104:105], v[100:101], v[98:99], v[102:103] op_sel_hi:[1,0,1]
	v_pk_fma_f32 v[98:99], v[100:101], v[98:99], v[102:103] neg_lo:[0,0,1] neg_hi:[0,0,1]
	v_mov_b32_e32 v99, v105
	s_cbranch_execz .LBB110_139
	s_branch .LBB110_140
.LBB110_138:
                                        ; implicit-def: $vgpr98_vgpr99
.LBB110_139:
	ds_load_b64 v[98:99], v1
.LBB110_140:
	s_and_saveexec_b32 s40, s0
	s_cbranch_execz .LBB110_144
; %bb.141:
	v_subrev_nc_u32_e32 v100, 33, v0
	s_movk_i32 s41, 0x288
	s_mov_b32 s0, 0
.LBB110_142:                            ; =>This Inner Loop Header: Depth=1
	scratch_load_b64 v[102:103], off, s38
	v_dual_mov_b32 v101, s41 :: v_dual_add_nc_u32 v100, -1, v100
	s_add_co_i32 s41, s41, 8
	s_wait_xcnt 0x0
	s_add_co_i32 s38, s38, 8
	ds_load_b64 v[104:105], v101
	v_cmp_eq_u32_e32 vcc_lo, 0, v100
	s_or_b32 s0, vcc_lo, s0
	s_wait_loadcnt_dscnt 0x0
	v_pk_mul_f32 v[106:107], v[104:105], v[102:103] op_sel:[1,1] op_sel_hi:[0,1]
	s_delay_alu instid0(VALU_DEP_1) | instskip(SKIP_1) | instid1(VALU_DEP_2)
	v_pk_fma_f32 v[108:109], v[104:105], v[102:103], v[106:107] op_sel_hi:[1,0,1]
	v_pk_fma_f32 v[102:103], v[104:105], v[102:103], v[106:107] neg_lo:[0,0,1] neg_hi:[0,0,1]
	v_mov_b32_e32 v103, v109
	s_delay_alu instid0(VALU_DEP_1)
	v_pk_add_f32 v[98:99], v[98:99], v[102:103]
	s_and_not1_b32 exec_lo, exec_lo, s0
	s_cbranch_execnz .LBB110_142
; %bb.143:
	s_or_b32 exec_lo, exec_lo, s0
.LBB110_144:
	s_delay_alu instid0(SALU_CYCLE_1) | instskip(SKIP_4) | instid1(VALU_DEP_1)
	s_or_b32 exec_lo, exec_lo, s40
	v_mov_b32_e32 v100, 0
	ds_load_b64 v[100:101], v100 offset:256
	s_wait_dscnt 0x0
	v_pk_mul_f32 v[102:103], v[98:99], v[100:101] op_sel:[1,1] op_sel_hi:[0,1]
	v_pk_fma_f32 v[104:105], v[98:99], v[100:101], v[102:103] op_sel_hi:[1,0,1]
	v_pk_fma_f32 v[98:99], v[98:99], v[100:101], v[102:103] neg_lo:[0,0,1] neg_hi:[0,0,1]
	s_delay_alu instid0(VALU_DEP_2)
	v_mov_b32_e32 v99, v105
	scratch_store_b64 off, v[98:99], off offset:256
.LBB110_145:
	s_wait_xcnt 0x0
	s_or_b32 exec_lo, exec_lo, s39
	scratch_load_b64 v[98:99], off, off offset:248
	v_cmp_lt_u32_e64 s0, 31, v0
	s_wait_loadcnt 0x0
	ds_store_b64 v1, v[98:99]
	s_wait_storecnt_dscnt 0x0
	s_barrier_signal -1
	s_barrier_wait -1
	s_wait_xcnt 0x0
	s_and_saveexec_b32 s38, s0
	s_cbranch_execz .LBB110_155
; %bb.146:
	s_and_not1_b32 vcc_lo, exec_lo, s5
	s_cbranch_vccnz .LBB110_148
; %bb.147:
	scratch_load_b64 v[98:99], v59, off
	ds_load_b64 v[100:101], v1
	s_wait_loadcnt_dscnt 0x0
	v_pk_mul_f32 v[102:103], v[100:101], v[98:99] op_sel:[1,1] op_sel_hi:[0,1]
	s_delay_alu instid0(VALU_DEP_1) | instskip(SKIP_1) | instid1(VALU_DEP_2)
	v_pk_fma_f32 v[104:105], v[100:101], v[98:99], v[102:103] op_sel_hi:[1,0,1]
	v_pk_fma_f32 v[98:99], v[100:101], v[98:99], v[102:103] neg_lo:[0,0,1] neg_hi:[0,0,1]
	v_mov_b32_e32 v99, v105
	s_cbranch_execz .LBB110_149
	s_branch .LBB110_150
.LBB110_148:
                                        ; implicit-def: $vgpr98_vgpr99
.LBB110_149:
	ds_load_b64 v[98:99], v1
.LBB110_150:
	s_and_saveexec_b32 s39, s1
	s_cbranch_execz .LBB110_154
; %bb.151:
	v_subrev_nc_u32_e32 v100, 32, v0
	s_movk_i32 s40, 0x280
	s_mov_b32 s1, 0
.LBB110_152:                            ; =>This Inner Loop Header: Depth=1
	scratch_load_b64 v[102:103], off, s37
	v_dual_mov_b32 v101, s40 :: v_dual_add_nc_u32 v100, -1, v100
	s_add_co_i32 s40, s40, 8
	s_wait_xcnt 0x0
	s_add_co_i32 s37, s37, 8
	ds_load_b64 v[104:105], v101
	v_cmp_eq_u32_e32 vcc_lo, 0, v100
	s_or_b32 s1, vcc_lo, s1
	s_wait_loadcnt_dscnt 0x0
	v_pk_mul_f32 v[106:107], v[104:105], v[102:103] op_sel:[1,1] op_sel_hi:[0,1]
	s_delay_alu instid0(VALU_DEP_1) | instskip(SKIP_1) | instid1(VALU_DEP_2)
	v_pk_fma_f32 v[108:109], v[104:105], v[102:103], v[106:107] op_sel_hi:[1,0,1]
	v_pk_fma_f32 v[102:103], v[104:105], v[102:103], v[106:107] neg_lo:[0,0,1] neg_hi:[0,0,1]
	v_mov_b32_e32 v103, v109
	s_delay_alu instid0(VALU_DEP_1)
	v_pk_add_f32 v[98:99], v[98:99], v[102:103]
	s_and_not1_b32 exec_lo, exec_lo, s1
	s_cbranch_execnz .LBB110_152
; %bb.153:
	s_or_b32 exec_lo, exec_lo, s1
.LBB110_154:
	s_delay_alu instid0(SALU_CYCLE_1) | instskip(SKIP_4) | instid1(VALU_DEP_1)
	s_or_b32 exec_lo, exec_lo, s39
	v_mov_b32_e32 v100, 0
	ds_load_b64 v[100:101], v100 offset:248
	s_wait_dscnt 0x0
	v_pk_mul_f32 v[102:103], v[98:99], v[100:101] op_sel:[1,1] op_sel_hi:[0,1]
	v_pk_fma_f32 v[104:105], v[98:99], v[100:101], v[102:103] op_sel_hi:[1,0,1]
	v_pk_fma_f32 v[98:99], v[98:99], v[100:101], v[102:103] neg_lo:[0,0,1] neg_hi:[0,0,1]
	s_delay_alu instid0(VALU_DEP_2)
	v_mov_b32_e32 v99, v105
	scratch_store_b64 off, v[98:99], off offset:248
.LBB110_155:
	s_wait_xcnt 0x0
	s_or_b32 exec_lo, exec_lo, s38
	scratch_load_b64 v[98:99], off, off offset:240
	v_cmp_lt_u32_e64 s1, 30, v0
	s_wait_loadcnt 0x0
	ds_store_b64 v1, v[98:99]
	s_wait_storecnt_dscnt 0x0
	s_barrier_signal -1
	s_barrier_wait -1
	s_wait_xcnt 0x0
	s_and_saveexec_b32 s37, s1
	s_cbranch_execz .LBB110_165
; %bb.156:
	s_and_not1_b32 vcc_lo, exec_lo, s5
	s_cbranch_vccnz .LBB110_158
; %bb.157:
	scratch_load_b64 v[98:99], v59, off
	ds_load_b64 v[100:101], v1
	s_wait_loadcnt_dscnt 0x0
	v_pk_mul_f32 v[102:103], v[100:101], v[98:99] op_sel:[1,1] op_sel_hi:[0,1]
	s_delay_alu instid0(VALU_DEP_1) | instskip(SKIP_1) | instid1(VALU_DEP_2)
	v_pk_fma_f32 v[104:105], v[100:101], v[98:99], v[102:103] op_sel_hi:[1,0,1]
	v_pk_fma_f32 v[98:99], v[100:101], v[98:99], v[102:103] neg_lo:[0,0,1] neg_hi:[0,0,1]
	v_mov_b32_e32 v99, v105
	s_cbranch_execz .LBB110_159
	s_branch .LBB110_160
.LBB110_158:
                                        ; implicit-def: $vgpr98_vgpr99
.LBB110_159:
	ds_load_b64 v[98:99], v1
.LBB110_160:
	s_and_saveexec_b32 s38, s0
	s_cbranch_execz .LBB110_164
; %bb.161:
	v_subrev_nc_u32_e32 v100, 31, v0
	s_movk_i32 s39, 0x278
	s_mov_b32 s0, 0
.LBB110_162:                            ; =>This Inner Loop Header: Depth=1
	scratch_load_b64 v[102:103], off, s36
	v_dual_mov_b32 v101, s39 :: v_dual_add_nc_u32 v100, -1, v100
	s_add_co_i32 s39, s39, 8
	s_wait_xcnt 0x0
	s_add_co_i32 s36, s36, 8
	ds_load_b64 v[104:105], v101
	v_cmp_eq_u32_e32 vcc_lo, 0, v100
	s_or_b32 s0, vcc_lo, s0
	s_wait_loadcnt_dscnt 0x0
	v_pk_mul_f32 v[106:107], v[104:105], v[102:103] op_sel:[1,1] op_sel_hi:[0,1]
	s_delay_alu instid0(VALU_DEP_1) | instskip(SKIP_1) | instid1(VALU_DEP_2)
	v_pk_fma_f32 v[108:109], v[104:105], v[102:103], v[106:107] op_sel_hi:[1,0,1]
	v_pk_fma_f32 v[102:103], v[104:105], v[102:103], v[106:107] neg_lo:[0,0,1] neg_hi:[0,0,1]
	v_mov_b32_e32 v103, v109
	s_delay_alu instid0(VALU_DEP_1)
	v_pk_add_f32 v[98:99], v[98:99], v[102:103]
	s_and_not1_b32 exec_lo, exec_lo, s0
	s_cbranch_execnz .LBB110_162
; %bb.163:
	s_or_b32 exec_lo, exec_lo, s0
.LBB110_164:
	s_delay_alu instid0(SALU_CYCLE_1) | instskip(SKIP_4) | instid1(VALU_DEP_1)
	s_or_b32 exec_lo, exec_lo, s38
	v_mov_b32_e32 v100, 0
	ds_load_b64 v[100:101], v100 offset:240
	s_wait_dscnt 0x0
	v_pk_mul_f32 v[102:103], v[98:99], v[100:101] op_sel:[1,1] op_sel_hi:[0,1]
	v_pk_fma_f32 v[104:105], v[98:99], v[100:101], v[102:103] op_sel_hi:[1,0,1]
	v_pk_fma_f32 v[98:99], v[98:99], v[100:101], v[102:103] neg_lo:[0,0,1] neg_hi:[0,0,1]
	s_delay_alu instid0(VALU_DEP_2)
	v_mov_b32_e32 v99, v105
	scratch_store_b64 off, v[98:99], off offset:240
.LBB110_165:
	s_wait_xcnt 0x0
	s_or_b32 exec_lo, exec_lo, s37
	scratch_load_b64 v[98:99], off, off offset:232
	v_cmp_lt_u32_e64 s0, 29, v0
	s_wait_loadcnt 0x0
	ds_store_b64 v1, v[98:99]
	s_wait_storecnt_dscnt 0x0
	s_barrier_signal -1
	s_barrier_wait -1
	s_wait_xcnt 0x0
	s_and_saveexec_b32 s36, s0
	s_cbranch_execz .LBB110_175
; %bb.166:
	s_and_not1_b32 vcc_lo, exec_lo, s5
	s_cbranch_vccnz .LBB110_168
; %bb.167:
	scratch_load_b64 v[98:99], v59, off
	ds_load_b64 v[100:101], v1
	s_wait_loadcnt_dscnt 0x0
	v_pk_mul_f32 v[102:103], v[100:101], v[98:99] op_sel:[1,1] op_sel_hi:[0,1]
	s_delay_alu instid0(VALU_DEP_1) | instskip(SKIP_1) | instid1(VALU_DEP_2)
	v_pk_fma_f32 v[104:105], v[100:101], v[98:99], v[102:103] op_sel_hi:[1,0,1]
	v_pk_fma_f32 v[98:99], v[100:101], v[98:99], v[102:103] neg_lo:[0,0,1] neg_hi:[0,0,1]
	v_mov_b32_e32 v99, v105
	s_cbranch_execz .LBB110_169
	s_branch .LBB110_170
.LBB110_168:
                                        ; implicit-def: $vgpr98_vgpr99
.LBB110_169:
	ds_load_b64 v[98:99], v1
.LBB110_170:
	s_and_saveexec_b32 s37, s1
	s_cbranch_execz .LBB110_174
; %bb.171:
	v_subrev_nc_u32_e32 v100, 30, v0
	s_movk_i32 s38, 0x270
	s_mov_b32 s1, 0
.LBB110_172:                            ; =>This Inner Loop Header: Depth=1
	scratch_load_b64 v[102:103], off, s35
	v_dual_mov_b32 v101, s38 :: v_dual_add_nc_u32 v100, -1, v100
	s_add_co_i32 s38, s38, 8
	s_wait_xcnt 0x0
	s_add_co_i32 s35, s35, 8
	ds_load_b64 v[104:105], v101
	v_cmp_eq_u32_e32 vcc_lo, 0, v100
	s_or_b32 s1, vcc_lo, s1
	s_wait_loadcnt_dscnt 0x0
	v_pk_mul_f32 v[106:107], v[104:105], v[102:103] op_sel:[1,1] op_sel_hi:[0,1]
	s_delay_alu instid0(VALU_DEP_1) | instskip(SKIP_1) | instid1(VALU_DEP_2)
	v_pk_fma_f32 v[108:109], v[104:105], v[102:103], v[106:107] op_sel_hi:[1,0,1]
	v_pk_fma_f32 v[102:103], v[104:105], v[102:103], v[106:107] neg_lo:[0,0,1] neg_hi:[0,0,1]
	v_mov_b32_e32 v103, v109
	s_delay_alu instid0(VALU_DEP_1)
	v_pk_add_f32 v[98:99], v[98:99], v[102:103]
	s_and_not1_b32 exec_lo, exec_lo, s1
	s_cbranch_execnz .LBB110_172
; %bb.173:
	s_or_b32 exec_lo, exec_lo, s1
.LBB110_174:
	s_delay_alu instid0(SALU_CYCLE_1) | instskip(SKIP_4) | instid1(VALU_DEP_1)
	s_or_b32 exec_lo, exec_lo, s37
	v_mov_b32_e32 v100, 0
	ds_load_b64 v[100:101], v100 offset:232
	s_wait_dscnt 0x0
	v_pk_mul_f32 v[102:103], v[98:99], v[100:101] op_sel:[1,1] op_sel_hi:[0,1]
	v_pk_fma_f32 v[104:105], v[98:99], v[100:101], v[102:103] op_sel_hi:[1,0,1]
	v_pk_fma_f32 v[98:99], v[98:99], v[100:101], v[102:103] neg_lo:[0,0,1] neg_hi:[0,0,1]
	s_delay_alu instid0(VALU_DEP_2)
	v_mov_b32_e32 v99, v105
	scratch_store_b64 off, v[98:99], off offset:232
.LBB110_175:
	s_wait_xcnt 0x0
	s_or_b32 exec_lo, exec_lo, s36
	scratch_load_b64 v[98:99], off, off offset:224
	v_cmp_lt_u32_e64 s1, 28, v0
	s_wait_loadcnt 0x0
	ds_store_b64 v1, v[98:99]
	s_wait_storecnt_dscnt 0x0
	s_barrier_signal -1
	s_barrier_wait -1
	s_wait_xcnt 0x0
	s_and_saveexec_b32 s35, s1
	s_cbranch_execz .LBB110_185
; %bb.176:
	s_and_not1_b32 vcc_lo, exec_lo, s5
	s_cbranch_vccnz .LBB110_178
; %bb.177:
	scratch_load_b64 v[98:99], v59, off
	ds_load_b64 v[100:101], v1
	s_wait_loadcnt_dscnt 0x0
	v_pk_mul_f32 v[102:103], v[100:101], v[98:99] op_sel:[1,1] op_sel_hi:[0,1]
	s_delay_alu instid0(VALU_DEP_1) | instskip(SKIP_1) | instid1(VALU_DEP_2)
	v_pk_fma_f32 v[104:105], v[100:101], v[98:99], v[102:103] op_sel_hi:[1,0,1]
	v_pk_fma_f32 v[98:99], v[100:101], v[98:99], v[102:103] neg_lo:[0,0,1] neg_hi:[0,0,1]
	v_mov_b32_e32 v99, v105
	s_cbranch_execz .LBB110_179
	s_branch .LBB110_180
.LBB110_178:
                                        ; implicit-def: $vgpr98_vgpr99
.LBB110_179:
	ds_load_b64 v[98:99], v1
.LBB110_180:
	s_and_saveexec_b32 s36, s0
	s_cbranch_execz .LBB110_184
; %bb.181:
	v_subrev_nc_u32_e32 v100, 29, v0
	s_movk_i32 s37, 0x268
	s_mov_b32 s0, 0
.LBB110_182:                            ; =>This Inner Loop Header: Depth=1
	scratch_load_b64 v[102:103], off, s34
	v_dual_mov_b32 v101, s37 :: v_dual_add_nc_u32 v100, -1, v100
	s_add_co_i32 s37, s37, 8
	s_wait_xcnt 0x0
	s_add_co_i32 s34, s34, 8
	ds_load_b64 v[104:105], v101
	v_cmp_eq_u32_e32 vcc_lo, 0, v100
	s_or_b32 s0, vcc_lo, s0
	s_wait_loadcnt_dscnt 0x0
	v_pk_mul_f32 v[106:107], v[104:105], v[102:103] op_sel:[1,1] op_sel_hi:[0,1]
	s_delay_alu instid0(VALU_DEP_1) | instskip(SKIP_1) | instid1(VALU_DEP_2)
	v_pk_fma_f32 v[108:109], v[104:105], v[102:103], v[106:107] op_sel_hi:[1,0,1]
	v_pk_fma_f32 v[102:103], v[104:105], v[102:103], v[106:107] neg_lo:[0,0,1] neg_hi:[0,0,1]
	v_mov_b32_e32 v103, v109
	s_delay_alu instid0(VALU_DEP_1)
	v_pk_add_f32 v[98:99], v[98:99], v[102:103]
	s_and_not1_b32 exec_lo, exec_lo, s0
	s_cbranch_execnz .LBB110_182
; %bb.183:
	s_or_b32 exec_lo, exec_lo, s0
.LBB110_184:
	s_delay_alu instid0(SALU_CYCLE_1) | instskip(SKIP_4) | instid1(VALU_DEP_1)
	s_or_b32 exec_lo, exec_lo, s36
	v_mov_b32_e32 v100, 0
	ds_load_b64 v[100:101], v100 offset:224
	s_wait_dscnt 0x0
	v_pk_mul_f32 v[102:103], v[98:99], v[100:101] op_sel:[1,1] op_sel_hi:[0,1]
	v_pk_fma_f32 v[104:105], v[98:99], v[100:101], v[102:103] op_sel_hi:[1,0,1]
	v_pk_fma_f32 v[98:99], v[98:99], v[100:101], v[102:103] neg_lo:[0,0,1] neg_hi:[0,0,1]
	s_delay_alu instid0(VALU_DEP_2)
	v_mov_b32_e32 v99, v105
	scratch_store_b64 off, v[98:99], off offset:224
.LBB110_185:
	s_wait_xcnt 0x0
	s_or_b32 exec_lo, exec_lo, s35
	scratch_load_b64 v[98:99], off, off offset:216
	v_cmp_lt_u32_e64 s0, 27, v0
	s_wait_loadcnt 0x0
	ds_store_b64 v1, v[98:99]
	s_wait_storecnt_dscnt 0x0
	s_barrier_signal -1
	s_barrier_wait -1
	s_wait_xcnt 0x0
	s_and_saveexec_b32 s34, s0
	s_cbranch_execz .LBB110_195
; %bb.186:
	s_and_not1_b32 vcc_lo, exec_lo, s5
	s_cbranch_vccnz .LBB110_188
; %bb.187:
	scratch_load_b64 v[98:99], v59, off
	ds_load_b64 v[100:101], v1
	s_wait_loadcnt_dscnt 0x0
	v_pk_mul_f32 v[102:103], v[100:101], v[98:99] op_sel:[1,1] op_sel_hi:[0,1]
	s_delay_alu instid0(VALU_DEP_1) | instskip(SKIP_1) | instid1(VALU_DEP_2)
	v_pk_fma_f32 v[104:105], v[100:101], v[98:99], v[102:103] op_sel_hi:[1,0,1]
	v_pk_fma_f32 v[98:99], v[100:101], v[98:99], v[102:103] neg_lo:[0,0,1] neg_hi:[0,0,1]
	v_mov_b32_e32 v99, v105
	s_cbranch_execz .LBB110_189
	s_branch .LBB110_190
.LBB110_188:
                                        ; implicit-def: $vgpr98_vgpr99
.LBB110_189:
	ds_load_b64 v[98:99], v1
.LBB110_190:
	s_and_saveexec_b32 s35, s1
	s_cbranch_execz .LBB110_194
; %bb.191:
	v_subrev_nc_u32_e32 v100, 28, v0
	s_movk_i32 s36, 0x260
	s_mov_b32 s1, 0
.LBB110_192:                            ; =>This Inner Loop Header: Depth=1
	scratch_load_b64 v[102:103], off, s33
	v_dual_mov_b32 v101, s36 :: v_dual_add_nc_u32 v100, -1, v100
	s_add_co_i32 s36, s36, 8
	s_wait_xcnt 0x0
	s_add_co_i32 s33, s33, 8
	ds_load_b64 v[104:105], v101
	v_cmp_eq_u32_e32 vcc_lo, 0, v100
	s_or_b32 s1, vcc_lo, s1
	s_wait_loadcnt_dscnt 0x0
	v_pk_mul_f32 v[106:107], v[104:105], v[102:103] op_sel:[1,1] op_sel_hi:[0,1]
	s_delay_alu instid0(VALU_DEP_1) | instskip(SKIP_1) | instid1(VALU_DEP_2)
	v_pk_fma_f32 v[108:109], v[104:105], v[102:103], v[106:107] op_sel_hi:[1,0,1]
	v_pk_fma_f32 v[102:103], v[104:105], v[102:103], v[106:107] neg_lo:[0,0,1] neg_hi:[0,0,1]
	v_mov_b32_e32 v103, v109
	s_delay_alu instid0(VALU_DEP_1)
	v_pk_add_f32 v[98:99], v[98:99], v[102:103]
	s_and_not1_b32 exec_lo, exec_lo, s1
	s_cbranch_execnz .LBB110_192
; %bb.193:
	s_or_b32 exec_lo, exec_lo, s1
.LBB110_194:
	s_delay_alu instid0(SALU_CYCLE_1) | instskip(SKIP_4) | instid1(VALU_DEP_1)
	s_or_b32 exec_lo, exec_lo, s35
	v_mov_b32_e32 v100, 0
	ds_load_b64 v[100:101], v100 offset:216
	s_wait_dscnt 0x0
	v_pk_mul_f32 v[102:103], v[98:99], v[100:101] op_sel:[1,1] op_sel_hi:[0,1]
	v_pk_fma_f32 v[104:105], v[98:99], v[100:101], v[102:103] op_sel_hi:[1,0,1]
	v_pk_fma_f32 v[98:99], v[98:99], v[100:101], v[102:103] neg_lo:[0,0,1] neg_hi:[0,0,1]
	s_delay_alu instid0(VALU_DEP_2)
	v_mov_b32_e32 v99, v105
	scratch_store_b64 off, v[98:99], off offset:216
.LBB110_195:
	s_wait_xcnt 0x0
	s_or_b32 exec_lo, exec_lo, s34
	scratch_load_b64 v[98:99], off, off offset:208
	v_cmp_lt_u32_e64 s1, 26, v0
	s_wait_loadcnt 0x0
	ds_store_b64 v1, v[98:99]
	s_wait_storecnt_dscnt 0x0
	s_barrier_signal -1
	s_barrier_wait -1
	s_wait_xcnt 0x0
	s_and_saveexec_b32 s33, s1
	s_cbranch_execz .LBB110_205
; %bb.196:
	s_and_not1_b32 vcc_lo, exec_lo, s5
	s_cbranch_vccnz .LBB110_198
; %bb.197:
	scratch_load_b64 v[98:99], v59, off
	ds_load_b64 v[100:101], v1
	s_wait_loadcnt_dscnt 0x0
	v_pk_mul_f32 v[102:103], v[100:101], v[98:99] op_sel:[1,1] op_sel_hi:[0,1]
	s_delay_alu instid0(VALU_DEP_1) | instskip(SKIP_1) | instid1(VALU_DEP_2)
	v_pk_fma_f32 v[104:105], v[100:101], v[98:99], v[102:103] op_sel_hi:[1,0,1]
	v_pk_fma_f32 v[98:99], v[100:101], v[98:99], v[102:103] neg_lo:[0,0,1] neg_hi:[0,0,1]
	v_mov_b32_e32 v99, v105
	s_cbranch_execz .LBB110_199
	s_branch .LBB110_200
.LBB110_198:
                                        ; implicit-def: $vgpr98_vgpr99
.LBB110_199:
	ds_load_b64 v[98:99], v1
.LBB110_200:
	s_and_saveexec_b32 s34, s0
	s_cbranch_execz .LBB110_204
; %bb.201:
	v_subrev_nc_u32_e32 v100, 27, v0
	s_movk_i32 s35, 0x258
	s_mov_b32 s0, 0
.LBB110_202:                            ; =>This Inner Loop Header: Depth=1
	scratch_load_b64 v[102:103], off, s31
	v_dual_mov_b32 v101, s35 :: v_dual_add_nc_u32 v100, -1, v100
	s_add_co_i32 s35, s35, 8
	s_wait_xcnt 0x0
	s_add_co_i32 s31, s31, 8
	ds_load_b64 v[104:105], v101
	v_cmp_eq_u32_e32 vcc_lo, 0, v100
	s_or_b32 s0, vcc_lo, s0
	s_wait_loadcnt_dscnt 0x0
	v_pk_mul_f32 v[106:107], v[104:105], v[102:103] op_sel:[1,1] op_sel_hi:[0,1]
	s_delay_alu instid0(VALU_DEP_1) | instskip(SKIP_1) | instid1(VALU_DEP_2)
	v_pk_fma_f32 v[108:109], v[104:105], v[102:103], v[106:107] op_sel_hi:[1,0,1]
	v_pk_fma_f32 v[102:103], v[104:105], v[102:103], v[106:107] neg_lo:[0,0,1] neg_hi:[0,0,1]
	v_mov_b32_e32 v103, v109
	s_delay_alu instid0(VALU_DEP_1)
	v_pk_add_f32 v[98:99], v[98:99], v[102:103]
	s_and_not1_b32 exec_lo, exec_lo, s0
	s_cbranch_execnz .LBB110_202
; %bb.203:
	s_or_b32 exec_lo, exec_lo, s0
.LBB110_204:
	s_delay_alu instid0(SALU_CYCLE_1) | instskip(SKIP_4) | instid1(VALU_DEP_1)
	s_or_b32 exec_lo, exec_lo, s34
	v_mov_b32_e32 v100, 0
	ds_load_b64 v[100:101], v100 offset:208
	s_wait_dscnt 0x0
	v_pk_mul_f32 v[102:103], v[98:99], v[100:101] op_sel:[1,1] op_sel_hi:[0,1]
	v_pk_fma_f32 v[104:105], v[98:99], v[100:101], v[102:103] op_sel_hi:[1,0,1]
	v_pk_fma_f32 v[98:99], v[98:99], v[100:101], v[102:103] neg_lo:[0,0,1] neg_hi:[0,0,1]
	s_delay_alu instid0(VALU_DEP_2)
	v_mov_b32_e32 v99, v105
	scratch_store_b64 off, v[98:99], off offset:208
.LBB110_205:
	s_wait_xcnt 0x0
	s_or_b32 exec_lo, exec_lo, s33
	scratch_load_b64 v[98:99], off, off offset:200
	v_cmp_lt_u32_e64 s0, 25, v0
	s_wait_loadcnt 0x0
	ds_store_b64 v1, v[98:99]
	s_wait_storecnt_dscnt 0x0
	s_barrier_signal -1
	s_barrier_wait -1
	s_wait_xcnt 0x0
	s_and_saveexec_b32 s31, s0
	s_cbranch_execz .LBB110_215
; %bb.206:
	s_and_not1_b32 vcc_lo, exec_lo, s5
	s_cbranch_vccnz .LBB110_208
; %bb.207:
	scratch_load_b64 v[98:99], v59, off
	ds_load_b64 v[100:101], v1
	s_wait_loadcnt_dscnt 0x0
	v_pk_mul_f32 v[102:103], v[100:101], v[98:99] op_sel:[1,1] op_sel_hi:[0,1]
	s_delay_alu instid0(VALU_DEP_1) | instskip(SKIP_1) | instid1(VALU_DEP_2)
	v_pk_fma_f32 v[104:105], v[100:101], v[98:99], v[102:103] op_sel_hi:[1,0,1]
	v_pk_fma_f32 v[98:99], v[100:101], v[98:99], v[102:103] neg_lo:[0,0,1] neg_hi:[0,0,1]
	v_mov_b32_e32 v99, v105
	s_cbranch_execz .LBB110_209
	s_branch .LBB110_210
.LBB110_208:
                                        ; implicit-def: $vgpr98_vgpr99
.LBB110_209:
	ds_load_b64 v[98:99], v1
.LBB110_210:
	s_and_saveexec_b32 s33, s1
	s_cbranch_execz .LBB110_214
; %bb.211:
	v_subrev_nc_u32_e32 v100, 26, v0
	s_movk_i32 s34, 0x250
	s_mov_b32 s1, 0
.LBB110_212:                            ; =>This Inner Loop Header: Depth=1
	scratch_load_b64 v[102:103], off, s30
	v_dual_mov_b32 v101, s34 :: v_dual_add_nc_u32 v100, -1, v100
	s_add_co_i32 s34, s34, 8
	s_wait_xcnt 0x0
	s_add_co_i32 s30, s30, 8
	ds_load_b64 v[104:105], v101
	v_cmp_eq_u32_e32 vcc_lo, 0, v100
	s_or_b32 s1, vcc_lo, s1
	s_wait_loadcnt_dscnt 0x0
	v_pk_mul_f32 v[106:107], v[104:105], v[102:103] op_sel:[1,1] op_sel_hi:[0,1]
	s_delay_alu instid0(VALU_DEP_1) | instskip(SKIP_1) | instid1(VALU_DEP_2)
	v_pk_fma_f32 v[108:109], v[104:105], v[102:103], v[106:107] op_sel_hi:[1,0,1]
	v_pk_fma_f32 v[102:103], v[104:105], v[102:103], v[106:107] neg_lo:[0,0,1] neg_hi:[0,0,1]
	v_mov_b32_e32 v103, v109
	s_delay_alu instid0(VALU_DEP_1)
	v_pk_add_f32 v[98:99], v[98:99], v[102:103]
	s_and_not1_b32 exec_lo, exec_lo, s1
	s_cbranch_execnz .LBB110_212
; %bb.213:
	s_or_b32 exec_lo, exec_lo, s1
.LBB110_214:
	s_delay_alu instid0(SALU_CYCLE_1) | instskip(SKIP_4) | instid1(VALU_DEP_1)
	s_or_b32 exec_lo, exec_lo, s33
	v_mov_b32_e32 v100, 0
	ds_load_b64 v[100:101], v100 offset:200
	s_wait_dscnt 0x0
	v_pk_mul_f32 v[102:103], v[98:99], v[100:101] op_sel:[1,1] op_sel_hi:[0,1]
	v_pk_fma_f32 v[104:105], v[98:99], v[100:101], v[102:103] op_sel_hi:[1,0,1]
	v_pk_fma_f32 v[98:99], v[98:99], v[100:101], v[102:103] neg_lo:[0,0,1] neg_hi:[0,0,1]
	s_delay_alu instid0(VALU_DEP_2)
	v_mov_b32_e32 v99, v105
	scratch_store_b64 off, v[98:99], off offset:200
.LBB110_215:
	s_wait_xcnt 0x0
	s_or_b32 exec_lo, exec_lo, s31
	scratch_load_b64 v[98:99], off, off offset:192
	v_cmp_lt_u32_e64 s1, 24, v0
	s_wait_loadcnt 0x0
	ds_store_b64 v1, v[98:99]
	s_wait_storecnt_dscnt 0x0
	s_barrier_signal -1
	s_barrier_wait -1
	s_wait_xcnt 0x0
	s_and_saveexec_b32 s30, s1
	s_cbranch_execz .LBB110_225
; %bb.216:
	s_and_not1_b32 vcc_lo, exec_lo, s5
	s_cbranch_vccnz .LBB110_218
; %bb.217:
	scratch_load_b64 v[98:99], v59, off
	ds_load_b64 v[100:101], v1
	s_wait_loadcnt_dscnt 0x0
	v_pk_mul_f32 v[102:103], v[100:101], v[98:99] op_sel:[1,1] op_sel_hi:[0,1]
	s_delay_alu instid0(VALU_DEP_1) | instskip(SKIP_1) | instid1(VALU_DEP_2)
	v_pk_fma_f32 v[104:105], v[100:101], v[98:99], v[102:103] op_sel_hi:[1,0,1]
	v_pk_fma_f32 v[98:99], v[100:101], v[98:99], v[102:103] neg_lo:[0,0,1] neg_hi:[0,0,1]
	v_mov_b32_e32 v99, v105
	s_cbranch_execz .LBB110_219
	s_branch .LBB110_220
.LBB110_218:
                                        ; implicit-def: $vgpr98_vgpr99
.LBB110_219:
	ds_load_b64 v[98:99], v1
.LBB110_220:
	s_and_saveexec_b32 s31, s0
	s_cbranch_execz .LBB110_224
; %bb.221:
	v_subrev_nc_u32_e32 v100, 25, v0
	s_movk_i32 s33, 0x248
	s_mov_b32 s0, 0
.LBB110_222:                            ; =>This Inner Loop Header: Depth=1
	scratch_load_b64 v[102:103], off, s29
	v_dual_mov_b32 v101, s33 :: v_dual_add_nc_u32 v100, -1, v100
	s_add_co_i32 s33, s33, 8
	s_wait_xcnt 0x0
	s_add_co_i32 s29, s29, 8
	ds_load_b64 v[104:105], v101
	v_cmp_eq_u32_e32 vcc_lo, 0, v100
	s_or_b32 s0, vcc_lo, s0
	s_wait_loadcnt_dscnt 0x0
	v_pk_mul_f32 v[106:107], v[104:105], v[102:103] op_sel:[1,1] op_sel_hi:[0,1]
	s_delay_alu instid0(VALU_DEP_1) | instskip(SKIP_1) | instid1(VALU_DEP_2)
	v_pk_fma_f32 v[108:109], v[104:105], v[102:103], v[106:107] op_sel_hi:[1,0,1]
	v_pk_fma_f32 v[102:103], v[104:105], v[102:103], v[106:107] neg_lo:[0,0,1] neg_hi:[0,0,1]
	v_mov_b32_e32 v103, v109
	s_delay_alu instid0(VALU_DEP_1)
	v_pk_add_f32 v[98:99], v[98:99], v[102:103]
	s_and_not1_b32 exec_lo, exec_lo, s0
	s_cbranch_execnz .LBB110_222
; %bb.223:
	s_or_b32 exec_lo, exec_lo, s0
.LBB110_224:
	s_delay_alu instid0(SALU_CYCLE_1) | instskip(SKIP_4) | instid1(VALU_DEP_1)
	s_or_b32 exec_lo, exec_lo, s31
	v_mov_b32_e32 v100, 0
	ds_load_b64 v[100:101], v100 offset:192
	s_wait_dscnt 0x0
	v_pk_mul_f32 v[102:103], v[98:99], v[100:101] op_sel:[1,1] op_sel_hi:[0,1]
	v_pk_fma_f32 v[104:105], v[98:99], v[100:101], v[102:103] op_sel_hi:[1,0,1]
	v_pk_fma_f32 v[98:99], v[98:99], v[100:101], v[102:103] neg_lo:[0,0,1] neg_hi:[0,0,1]
	s_delay_alu instid0(VALU_DEP_2)
	v_mov_b32_e32 v99, v105
	scratch_store_b64 off, v[98:99], off offset:192
.LBB110_225:
	s_wait_xcnt 0x0
	s_or_b32 exec_lo, exec_lo, s30
	scratch_load_b64 v[98:99], off, off offset:184
	v_cmp_lt_u32_e64 s0, 23, v0
	s_wait_loadcnt 0x0
	ds_store_b64 v1, v[98:99]
	s_wait_storecnt_dscnt 0x0
	s_barrier_signal -1
	s_barrier_wait -1
	s_wait_xcnt 0x0
	s_and_saveexec_b32 s29, s0
	s_cbranch_execz .LBB110_235
; %bb.226:
	s_and_not1_b32 vcc_lo, exec_lo, s5
	s_cbranch_vccnz .LBB110_228
; %bb.227:
	scratch_load_b64 v[98:99], v59, off
	ds_load_b64 v[100:101], v1
	s_wait_loadcnt_dscnt 0x0
	v_pk_mul_f32 v[102:103], v[100:101], v[98:99] op_sel:[1,1] op_sel_hi:[0,1]
	s_delay_alu instid0(VALU_DEP_1) | instskip(SKIP_1) | instid1(VALU_DEP_2)
	v_pk_fma_f32 v[104:105], v[100:101], v[98:99], v[102:103] op_sel_hi:[1,0,1]
	v_pk_fma_f32 v[98:99], v[100:101], v[98:99], v[102:103] neg_lo:[0,0,1] neg_hi:[0,0,1]
	v_mov_b32_e32 v99, v105
	s_cbranch_execz .LBB110_229
	s_branch .LBB110_230
.LBB110_228:
                                        ; implicit-def: $vgpr98_vgpr99
.LBB110_229:
	ds_load_b64 v[98:99], v1
.LBB110_230:
	s_and_saveexec_b32 s30, s1
	s_cbranch_execz .LBB110_234
; %bb.231:
	v_subrev_nc_u32_e32 v100, 24, v0
	s_movk_i32 s31, 0x240
	s_mov_b32 s1, 0
.LBB110_232:                            ; =>This Inner Loop Header: Depth=1
	scratch_load_b64 v[102:103], off, s28
	v_dual_mov_b32 v101, s31 :: v_dual_add_nc_u32 v100, -1, v100
	s_add_co_i32 s31, s31, 8
	s_wait_xcnt 0x0
	s_add_co_i32 s28, s28, 8
	ds_load_b64 v[104:105], v101
	v_cmp_eq_u32_e32 vcc_lo, 0, v100
	s_or_b32 s1, vcc_lo, s1
	s_wait_loadcnt_dscnt 0x0
	v_pk_mul_f32 v[106:107], v[104:105], v[102:103] op_sel:[1,1] op_sel_hi:[0,1]
	s_delay_alu instid0(VALU_DEP_1) | instskip(SKIP_1) | instid1(VALU_DEP_2)
	v_pk_fma_f32 v[108:109], v[104:105], v[102:103], v[106:107] op_sel_hi:[1,0,1]
	v_pk_fma_f32 v[102:103], v[104:105], v[102:103], v[106:107] neg_lo:[0,0,1] neg_hi:[0,0,1]
	v_mov_b32_e32 v103, v109
	s_delay_alu instid0(VALU_DEP_1)
	v_pk_add_f32 v[98:99], v[98:99], v[102:103]
	s_and_not1_b32 exec_lo, exec_lo, s1
	s_cbranch_execnz .LBB110_232
; %bb.233:
	s_or_b32 exec_lo, exec_lo, s1
.LBB110_234:
	s_delay_alu instid0(SALU_CYCLE_1) | instskip(SKIP_4) | instid1(VALU_DEP_1)
	s_or_b32 exec_lo, exec_lo, s30
	v_mov_b32_e32 v100, 0
	ds_load_b64 v[100:101], v100 offset:184
	s_wait_dscnt 0x0
	v_pk_mul_f32 v[102:103], v[98:99], v[100:101] op_sel:[1,1] op_sel_hi:[0,1]
	v_pk_fma_f32 v[104:105], v[98:99], v[100:101], v[102:103] op_sel_hi:[1,0,1]
	v_pk_fma_f32 v[98:99], v[98:99], v[100:101], v[102:103] neg_lo:[0,0,1] neg_hi:[0,0,1]
	s_delay_alu instid0(VALU_DEP_2)
	v_mov_b32_e32 v99, v105
	scratch_store_b64 off, v[98:99], off offset:184
.LBB110_235:
	s_wait_xcnt 0x0
	s_or_b32 exec_lo, exec_lo, s29
	scratch_load_b64 v[98:99], off, off offset:176
	v_cmp_lt_u32_e64 s1, 22, v0
	s_wait_loadcnt 0x0
	ds_store_b64 v1, v[98:99]
	s_wait_storecnt_dscnt 0x0
	s_barrier_signal -1
	s_barrier_wait -1
	s_wait_xcnt 0x0
	s_and_saveexec_b32 s28, s1
	s_cbranch_execz .LBB110_245
; %bb.236:
	s_and_not1_b32 vcc_lo, exec_lo, s5
	s_cbranch_vccnz .LBB110_238
; %bb.237:
	scratch_load_b64 v[98:99], v59, off
	ds_load_b64 v[100:101], v1
	s_wait_loadcnt_dscnt 0x0
	v_pk_mul_f32 v[102:103], v[100:101], v[98:99] op_sel:[1,1] op_sel_hi:[0,1]
	s_delay_alu instid0(VALU_DEP_1) | instskip(SKIP_1) | instid1(VALU_DEP_2)
	v_pk_fma_f32 v[104:105], v[100:101], v[98:99], v[102:103] op_sel_hi:[1,0,1]
	v_pk_fma_f32 v[98:99], v[100:101], v[98:99], v[102:103] neg_lo:[0,0,1] neg_hi:[0,0,1]
	v_mov_b32_e32 v99, v105
	s_cbranch_execz .LBB110_239
	s_branch .LBB110_240
.LBB110_238:
                                        ; implicit-def: $vgpr98_vgpr99
.LBB110_239:
	ds_load_b64 v[98:99], v1
.LBB110_240:
	s_and_saveexec_b32 s29, s0
	s_cbranch_execz .LBB110_244
; %bb.241:
	v_subrev_nc_u32_e32 v100, 23, v0
	s_movk_i32 s30, 0x238
	s_mov_b32 s0, 0
.LBB110_242:                            ; =>This Inner Loop Header: Depth=1
	scratch_load_b64 v[102:103], off, s27
	v_dual_mov_b32 v101, s30 :: v_dual_add_nc_u32 v100, -1, v100
	s_add_co_i32 s30, s30, 8
	s_wait_xcnt 0x0
	s_add_co_i32 s27, s27, 8
	ds_load_b64 v[104:105], v101
	v_cmp_eq_u32_e32 vcc_lo, 0, v100
	s_or_b32 s0, vcc_lo, s0
	s_wait_loadcnt_dscnt 0x0
	v_pk_mul_f32 v[106:107], v[104:105], v[102:103] op_sel:[1,1] op_sel_hi:[0,1]
	s_delay_alu instid0(VALU_DEP_1) | instskip(SKIP_1) | instid1(VALU_DEP_2)
	v_pk_fma_f32 v[108:109], v[104:105], v[102:103], v[106:107] op_sel_hi:[1,0,1]
	v_pk_fma_f32 v[102:103], v[104:105], v[102:103], v[106:107] neg_lo:[0,0,1] neg_hi:[0,0,1]
	v_mov_b32_e32 v103, v109
	s_delay_alu instid0(VALU_DEP_1)
	v_pk_add_f32 v[98:99], v[98:99], v[102:103]
	s_and_not1_b32 exec_lo, exec_lo, s0
	s_cbranch_execnz .LBB110_242
; %bb.243:
	s_or_b32 exec_lo, exec_lo, s0
.LBB110_244:
	s_delay_alu instid0(SALU_CYCLE_1) | instskip(SKIP_4) | instid1(VALU_DEP_1)
	s_or_b32 exec_lo, exec_lo, s29
	v_mov_b32_e32 v100, 0
	ds_load_b64 v[100:101], v100 offset:176
	s_wait_dscnt 0x0
	v_pk_mul_f32 v[102:103], v[98:99], v[100:101] op_sel:[1,1] op_sel_hi:[0,1]
	v_pk_fma_f32 v[104:105], v[98:99], v[100:101], v[102:103] op_sel_hi:[1,0,1]
	v_pk_fma_f32 v[98:99], v[98:99], v[100:101], v[102:103] neg_lo:[0,0,1] neg_hi:[0,0,1]
	s_delay_alu instid0(VALU_DEP_2)
	v_mov_b32_e32 v99, v105
	scratch_store_b64 off, v[98:99], off offset:176
.LBB110_245:
	s_wait_xcnt 0x0
	s_or_b32 exec_lo, exec_lo, s28
	scratch_load_b64 v[98:99], off, off offset:168
	v_cmp_lt_u32_e64 s0, 21, v0
	s_wait_loadcnt 0x0
	ds_store_b64 v1, v[98:99]
	s_wait_storecnt_dscnt 0x0
	s_barrier_signal -1
	s_barrier_wait -1
	s_wait_xcnt 0x0
	s_and_saveexec_b32 s27, s0
	s_cbranch_execz .LBB110_255
; %bb.246:
	s_and_not1_b32 vcc_lo, exec_lo, s5
	s_cbranch_vccnz .LBB110_248
; %bb.247:
	scratch_load_b64 v[98:99], v59, off
	ds_load_b64 v[100:101], v1
	s_wait_loadcnt_dscnt 0x0
	v_pk_mul_f32 v[102:103], v[100:101], v[98:99] op_sel:[1,1] op_sel_hi:[0,1]
	s_delay_alu instid0(VALU_DEP_1) | instskip(SKIP_1) | instid1(VALU_DEP_2)
	v_pk_fma_f32 v[104:105], v[100:101], v[98:99], v[102:103] op_sel_hi:[1,0,1]
	v_pk_fma_f32 v[98:99], v[100:101], v[98:99], v[102:103] neg_lo:[0,0,1] neg_hi:[0,0,1]
	v_mov_b32_e32 v99, v105
	s_cbranch_execz .LBB110_249
	s_branch .LBB110_250
.LBB110_248:
                                        ; implicit-def: $vgpr98_vgpr99
.LBB110_249:
	ds_load_b64 v[98:99], v1
.LBB110_250:
	s_and_saveexec_b32 s28, s1
	s_cbranch_execz .LBB110_254
; %bb.251:
	v_subrev_nc_u32_e32 v100, 22, v0
	s_movk_i32 s29, 0x230
	s_mov_b32 s1, 0
.LBB110_252:                            ; =>This Inner Loop Header: Depth=1
	scratch_load_b64 v[102:103], off, s26
	v_dual_mov_b32 v101, s29 :: v_dual_add_nc_u32 v100, -1, v100
	s_add_co_i32 s29, s29, 8
	s_wait_xcnt 0x0
	s_add_co_i32 s26, s26, 8
	ds_load_b64 v[104:105], v101
	v_cmp_eq_u32_e32 vcc_lo, 0, v100
	s_or_b32 s1, vcc_lo, s1
	s_wait_loadcnt_dscnt 0x0
	v_pk_mul_f32 v[106:107], v[104:105], v[102:103] op_sel:[1,1] op_sel_hi:[0,1]
	s_delay_alu instid0(VALU_DEP_1) | instskip(SKIP_1) | instid1(VALU_DEP_2)
	v_pk_fma_f32 v[108:109], v[104:105], v[102:103], v[106:107] op_sel_hi:[1,0,1]
	v_pk_fma_f32 v[102:103], v[104:105], v[102:103], v[106:107] neg_lo:[0,0,1] neg_hi:[0,0,1]
	v_mov_b32_e32 v103, v109
	s_delay_alu instid0(VALU_DEP_1)
	v_pk_add_f32 v[98:99], v[98:99], v[102:103]
	s_and_not1_b32 exec_lo, exec_lo, s1
	s_cbranch_execnz .LBB110_252
; %bb.253:
	s_or_b32 exec_lo, exec_lo, s1
.LBB110_254:
	s_delay_alu instid0(SALU_CYCLE_1) | instskip(SKIP_4) | instid1(VALU_DEP_1)
	s_or_b32 exec_lo, exec_lo, s28
	v_mov_b32_e32 v100, 0
	ds_load_b64 v[100:101], v100 offset:168
	s_wait_dscnt 0x0
	v_pk_mul_f32 v[102:103], v[98:99], v[100:101] op_sel:[1,1] op_sel_hi:[0,1]
	v_pk_fma_f32 v[104:105], v[98:99], v[100:101], v[102:103] op_sel_hi:[1,0,1]
	v_pk_fma_f32 v[98:99], v[98:99], v[100:101], v[102:103] neg_lo:[0,0,1] neg_hi:[0,0,1]
	s_delay_alu instid0(VALU_DEP_2)
	v_mov_b32_e32 v99, v105
	scratch_store_b64 off, v[98:99], off offset:168
.LBB110_255:
	s_wait_xcnt 0x0
	s_or_b32 exec_lo, exec_lo, s27
	scratch_load_b64 v[98:99], off, off offset:160
	v_cmp_lt_u32_e64 s1, 20, v0
	s_wait_loadcnt 0x0
	ds_store_b64 v1, v[98:99]
	s_wait_storecnt_dscnt 0x0
	s_barrier_signal -1
	s_barrier_wait -1
	s_wait_xcnt 0x0
	s_and_saveexec_b32 s26, s1
	s_cbranch_execz .LBB110_265
; %bb.256:
	s_and_not1_b32 vcc_lo, exec_lo, s5
	s_cbranch_vccnz .LBB110_258
; %bb.257:
	scratch_load_b64 v[98:99], v59, off
	ds_load_b64 v[100:101], v1
	s_wait_loadcnt_dscnt 0x0
	v_pk_mul_f32 v[102:103], v[100:101], v[98:99] op_sel:[1,1] op_sel_hi:[0,1]
	s_delay_alu instid0(VALU_DEP_1) | instskip(SKIP_1) | instid1(VALU_DEP_2)
	v_pk_fma_f32 v[104:105], v[100:101], v[98:99], v[102:103] op_sel_hi:[1,0,1]
	v_pk_fma_f32 v[98:99], v[100:101], v[98:99], v[102:103] neg_lo:[0,0,1] neg_hi:[0,0,1]
	v_mov_b32_e32 v99, v105
	s_cbranch_execz .LBB110_259
	s_branch .LBB110_260
.LBB110_258:
                                        ; implicit-def: $vgpr98_vgpr99
.LBB110_259:
	ds_load_b64 v[98:99], v1
.LBB110_260:
	s_and_saveexec_b32 s27, s0
	s_cbranch_execz .LBB110_264
; %bb.261:
	v_subrev_nc_u32_e32 v100, 21, v0
	s_movk_i32 s28, 0x228
	s_mov_b32 s0, 0
.LBB110_262:                            ; =>This Inner Loop Header: Depth=1
	scratch_load_b64 v[102:103], off, s25
	v_dual_mov_b32 v101, s28 :: v_dual_add_nc_u32 v100, -1, v100
	s_add_co_i32 s28, s28, 8
	s_wait_xcnt 0x0
	s_add_co_i32 s25, s25, 8
	ds_load_b64 v[104:105], v101
	v_cmp_eq_u32_e32 vcc_lo, 0, v100
	s_or_b32 s0, vcc_lo, s0
	s_wait_loadcnt_dscnt 0x0
	v_pk_mul_f32 v[106:107], v[104:105], v[102:103] op_sel:[1,1] op_sel_hi:[0,1]
	s_delay_alu instid0(VALU_DEP_1) | instskip(SKIP_1) | instid1(VALU_DEP_2)
	v_pk_fma_f32 v[108:109], v[104:105], v[102:103], v[106:107] op_sel_hi:[1,0,1]
	v_pk_fma_f32 v[102:103], v[104:105], v[102:103], v[106:107] neg_lo:[0,0,1] neg_hi:[0,0,1]
	v_mov_b32_e32 v103, v109
	s_delay_alu instid0(VALU_DEP_1)
	v_pk_add_f32 v[98:99], v[98:99], v[102:103]
	s_and_not1_b32 exec_lo, exec_lo, s0
	s_cbranch_execnz .LBB110_262
; %bb.263:
	s_or_b32 exec_lo, exec_lo, s0
.LBB110_264:
	s_delay_alu instid0(SALU_CYCLE_1) | instskip(SKIP_4) | instid1(VALU_DEP_1)
	s_or_b32 exec_lo, exec_lo, s27
	v_mov_b32_e32 v100, 0
	ds_load_b64 v[100:101], v100 offset:160
	s_wait_dscnt 0x0
	v_pk_mul_f32 v[102:103], v[98:99], v[100:101] op_sel:[1,1] op_sel_hi:[0,1]
	v_pk_fma_f32 v[104:105], v[98:99], v[100:101], v[102:103] op_sel_hi:[1,0,1]
	v_pk_fma_f32 v[98:99], v[98:99], v[100:101], v[102:103] neg_lo:[0,0,1] neg_hi:[0,0,1]
	s_delay_alu instid0(VALU_DEP_2)
	v_mov_b32_e32 v99, v105
	scratch_store_b64 off, v[98:99], off offset:160
.LBB110_265:
	s_wait_xcnt 0x0
	s_or_b32 exec_lo, exec_lo, s26
	scratch_load_b64 v[98:99], off, off offset:152
	v_cmp_lt_u32_e64 s0, 19, v0
	s_wait_loadcnt 0x0
	ds_store_b64 v1, v[98:99]
	s_wait_storecnt_dscnt 0x0
	s_barrier_signal -1
	s_barrier_wait -1
	s_wait_xcnt 0x0
	s_and_saveexec_b32 s25, s0
	s_cbranch_execz .LBB110_275
; %bb.266:
	s_and_not1_b32 vcc_lo, exec_lo, s5
	s_cbranch_vccnz .LBB110_268
; %bb.267:
	scratch_load_b64 v[98:99], v59, off
	ds_load_b64 v[100:101], v1
	s_wait_loadcnt_dscnt 0x0
	v_pk_mul_f32 v[102:103], v[100:101], v[98:99] op_sel:[1,1] op_sel_hi:[0,1]
	s_delay_alu instid0(VALU_DEP_1) | instskip(SKIP_1) | instid1(VALU_DEP_2)
	v_pk_fma_f32 v[104:105], v[100:101], v[98:99], v[102:103] op_sel_hi:[1,0,1]
	v_pk_fma_f32 v[98:99], v[100:101], v[98:99], v[102:103] neg_lo:[0,0,1] neg_hi:[0,0,1]
	v_mov_b32_e32 v99, v105
	s_cbranch_execz .LBB110_269
	s_branch .LBB110_270
.LBB110_268:
                                        ; implicit-def: $vgpr98_vgpr99
.LBB110_269:
	ds_load_b64 v[98:99], v1
.LBB110_270:
	s_and_saveexec_b32 s26, s1
	s_cbranch_execz .LBB110_274
; %bb.271:
	v_subrev_nc_u32_e32 v100, 20, v0
	s_movk_i32 s27, 0x220
	s_mov_b32 s1, 0
.LBB110_272:                            ; =>This Inner Loop Header: Depth=1
	scratch_load_b64 v[102:103], off, s24
	v_dual_mov_b32 v101, s27 :: v_dual_add_nc_u32 v100, -1, v100
	s_add_co_i32 s27, s27, 8
	s_wait_xcnt 0x0
	s_add_co_i32 s24, s24, 8
	ds_load_b64 v[104:105], v101
	v_cmp_eq_u32_e32 vcc_lo, 0, v100
	s_or_b32 s1, vcc_lo, s1
	s_wait_loadcnt_dscnt 0x0
	v_pk_mul_f32 v[106:107], v[104:105], v[102:103] op_sel:[1,1] op_sel_hi:[0,1]
	s_delay_alu instid0(VALU_DEP_1) | instskip(SKIP_1) | instid1(VALU_DEP_2)
	v_pk_fma_f32 v[108:109], v[104:105], v[102:103], v[106:107] op_sel_hi:[1,0,1]
	v_pk_fma_f32 v[102:103], v[104:105], v[102:103], v[106:107] neg_lo:[0,0,1] neg_hi:[0,0,1]
	v_mov_b32_e32 v103, v109
	s_delay_alu instid0(VALU_DEP_1)
	v_pk_add_f32 v[98:99], v[98:99], v[102:103]
	s_and_not1_b32 exec_lo, exec_lo, s1
	s_cbranch_execnz .LBB110_272
; %bb.273:
	s_or_b32 exec_lo, exec_lo, s1
.LBB110_274:
	s_delay_alu instid0(SALU_CYCLE_1) | instskip(SKIP_4) | instid1(VALU_DEP_1)
	s_or_b32 exec_lo, exec_lo, s26
	v_mov_b32_e32 v100, 0
	ds_load_b64 v[100:101], v100 offset:152
	s_wait_dscnt 0x0
	v_pk_mul_f32 v[102:103], v[98:99], v[100:101] op_sel:[1,1] op_sel_hi:[0,1]
	v_pk_fma_f32 v[104:105], v[98:99], v[100:101], v[102:103] op_sel_hi:[1,0,1]
	v_pk_fma_f32 v[98:99], v[98:99], v[100:101], v[102:103] neg_lo:[0,0,1] neg_hi:[0,0,1]
	s_delay_alu instid0(VALU_DEP_2)
	v_mov_b32_e32 v99, v105
	scratch_store_b64 off, v[98:99], off offset:152
.LBB110_275:
	s_wait_xcnt 0x0
	s_or_b32 exec_lo, exec_lo, s25
	scratch_load_b64 v[98:99], off, off offset:144
	v_cmp_lt_u32_e64 s1, 18, v0
	s_wait_loadcnt 0x0
	ds_store_b64 v1, v[98:99]
	s_wait_storecnt_dscnt 0x0
	s_barrier_signal -1
	s_barrier_wait -1
	s_wait_xcnt 0x0
	s_and_saveexec_b32 s24, s1
	s_cbranch_execz .LBB110_285
; %bb.276:
	s_and_not1_b32 vcc_lo, exec_lo, s5
	s_cbranch_vccnz .LBB110_278
; %bb.277:
	scratch_load_b64 v[98:99], v59, off
	ds_load_b64 v[100:101], v1
	s_wait_loadcnt_dscnt 0x0
	v_pk_mul_f32 v[102:103], v[100:101], v[98:99] op_sel:[1,1] op_sel_hi:[0,1]
	s_delay_alu instid0(VALU_DEP_1) | instskip(SKIP_1) | instid1(VALU_DEP_2)
	v_pk_fma_f32 v[104:105], v[100:101], v[98:99], v[102:103] op_sel_hi:[1,0,1]
	v_pk_fma_f32 v[98:99], v[100:101], v[98:99], v[102:103] neg_lo:[0,0,1] neg_hi:[0,0,1]
	v_mov_b32_e32 v99, v105
	s_cbranch_execz .LBB110_279
	s_branch .LBB110_280
.LBB110_278:
                                        ; implicit-def: $vgpr98_vgpr99
.LBB110_279:
	ds_load_b64 v[98:99], v1
.LBB110_280:
	s_and_saveexec_b32 s25, s0
	s_cbranch_execz .LBB110_284
; %bb.281:
	v_subrev_nc_u32_e32 v100, 19, v0
	s_movk_i32 s26, 0x218
	s_mov_b32 s0, 0
.LBB110_282:                            ; =>This Inner Loop Header: Depth=1
	scratch_load_b64 v[102:103], off, s23
	v_dual_mov_b32 v101, s26 :: v_dual_add_nc_u32 v100, -1, v100
	s_add_co_i32 s26, s26, 8
	s_wait_xcnt 0x0
	s_add_co_i32 s23, s23, 8
	ds_load_b64 v[104:105], v101
	v_cmp_eq_u32_e32 vcc_lo, 0, v100
	s_or_b32 s0, vcc_lo, s0
	s_wait_loadcnt_dscnt 0x0
	v_pk_mul_f32 v[106:107], v[104:105], v[102:103] op_sel:[1,1] op_sel_hi:[0,1]
	s_delay_alu instid0(VALU_DEP_1) | instskip(SKIP_1) | instid1(VALU_DEP_2)
	v_pk_fma_f32 v[108:109], v[104:105], v[102:103], v[106:107] op_sel_hi:[1,0,1]
	v_pk_fma_f32 v[102:103], v[104:105], v[102:103], v[106:107] neg_lo:[0,0,1] neg_hi:[0,0,1]
	v_mov_b32_e32 v103, v109
	s_delay_alu instid0(VALU_DEP_1)
	v_pk_add_f32 v[98:99], v[98:99], v[102:103]
	s_and_not1_b32 exec_lo, exec_lo, s0
	s_cbranch_execnz .LBB110_282
; %bb.283:
	s_or_b32 exec_lo, exec_lo, s0
.LBB110_284:
	s_delay_alu instid0(SALU_CYCLE_1) | instskip(SKIP_4) | instid1(VALU_DEP_1)
	s_or_b32 exec_lo, exec_lo, s25
	v_mov_b32_e32 v100, 0
	ds_load_b64 v[100:101], v100 offset:144
	s_wait_dscnt 0x0
	v_pk_mul_f32 v[102:103], v[98:99], v[100:101] op_sel:[1,1] op_sel_hi:[0,1]
	v_pk_fma_f32 v[104:105], v[98:99], v[100:101], v[102:103] op_sel_hi:[1,0,1]
	v_pk_fma_f32 v[98:99], v[98:99], v[100:101], v[102:103] neg_lo:[0,0,1] neg_hi:[0,0,1]
	s_delay_alu instid0(VALU_DEP_2)
	v_mov_b32_e32 v99, v105
	scratch_store_b64 off, v[98:99], off offset:144
.LBB110_285:
	s_wait_xcnt 0x0
	s_or_b32 exec_lo, exec_lo, s24
	scratch_load_b64 v[98:99], off, off offset:136
	v_cmp_lt_u32_e64 s0, 17, v0
	s_wait_loadcnt 0x0
	ds_store_b64 v1, v[98:99]
	s_wait_storecnt_dscnt 0x0
	s_barrier_signal -1
	s_barrier_wait -1
	s_wait_xcnt 0x0
	s_and_saveexec_b32 s23, s0
	s_cbranch_execz .LBB110_295
; %bb.286:
	s_and_not1_b32 vcc_lo, exec_lo, s5
	s_cbranch_vccnz .LBB110_288
; %bb.287:
	scratch_load_b64 v[98:99], v59, off
	ds_load_b64 v[100:101], v1
	s_wait_loadcnt_dscnt 0x0
	v_pk_mul_f32 v[102:103], v[100:101], v[98:99] op_sel:[1,1] op_sel_hi:[0,1]
	s_delay_alu instid0(VALU_DEP_1) | instskip(SKIP_1) | instid1(VALU_DEP_2)
	v_pk_fma_f32 v[104:105], v[100:101], v[98:99], v[102:103] op_sel_hi:[1,0,1]
	v_pk_fma_f32 v[98:99], v[100:101], v[98:99], v[102:103] neg_lo:[0,0,1] neg_hi:[0,0,1]
	v_mov_b32_e32 v99, v105
	s_cbranch_execz .LBB110_289
	s_branch .LBB110_290
.LBB110_288:
                                        ; implicit-def: $vgpr98_vgpr99
.LBB110_289:
	ds_load_b64 v[98:99], v1
.LBB110_290:
	s_and_saveexec_b32 s24, s1
	s_cbranch_execz .LBB110_294
; %bb.291:
	v_subrev_nc_u32_e32 v100, 18, v0
	s_movk_i32 s25, 0x210
	s_mov_b32 s1, 0
.LBB110_292:                            ; =>This Inner Loop Header: Depth=1
	scratch_load_b64 v[102:103], off, s22
	v_dual_mov_b32 v101, s25 :: v_dual_add_nc_u32 v100, -1, v100
	s_add_co_i32 s25, s25, 8
	s_wait_xcnt 0x0
	s_add_co_i32 s22, s22, 8
	ds_load_b64 v[104:105], v101
	v_cmp_eq_u32_e32 vcc_lo, 0, v100
	s_or_b32 s1, vcc_lo, s1
	s_wait_loadcnt_dscnt 0x0
	v_pk_mul_f32 v[106:107], v[104:105], v[102:103] op_sel:[1,1] op_sel_hi:[0,1]
	s_delay_alu instid0(VALU_DEP_1) | instskip(SKIP_1) | instid1(VALU_DEP_2)
	v_pk_fma_f32 v[108:109], v[104:105], v[102:103], v[106:107] op_sel_hi:[1,0,1]
	v_pk_fma_f32 v[102:103], v[104:105], v[102:103], v[106:107] neg_lo:[0,0,1] neg_hi:[0,0,1]
	v_mov_b32_e32 v103, v109
	s_delay_alu instid0(VALU_DEP_1)
	v_pk_add_f32 v[98:99], v[98:99], v[102:103]
	s_and_not1_b32 exec_lo, exec_lo, s1
	s_cbranch_execnz .LBB110_292
; %bb.293:
	s_or_b32 exec_lo, exec_lo, s1
.LBB110_294:
	s_delay_alu instid0(SALU_CYCLE_1) | instskip(SKIP_4) | instid1(VALU_DEP_1)
	s_or_b32 exec_lo, exec_lo, s24
	v_mov_b32_e32 v100, 0
	ds_load_b64 v[100:101], v100 offset:136
	s_wait_dscnt 0x0
	v_pk_mul_f32 v[102:103], v[98:99], v[100:101] op_sel:[1,1] op_sel_hi:[0,1]
	v_pk_fma_f32 v[104:105], v[98:99], v[100:101], v[102:103] op_sel_hi:[1,0,1]
	v_pk_fma_f32 v[98:99], v[98:99], v[100:101], v[102:103] neg_lo:[0,0,1] neg_hi:[0,0,1]
	s_delay_alu instid0(VALU_DEP_2)
	v_mov_b32_e32 v99, v105
	scratch_store_b64 off, v[98:99], off offset:136
.LBB110_295:
	s_wait_xcnt 0x0
	s_or_b32 exec_lo, exec_lo, s23
	scratch_load_b64 v[98:99], off, off offset:128
	v_cmp_lt_u32_e64 s1, 16, v0
	s_wait_loadcnt 0x0
	ds_store_b64 v1, v[98:99]
	s_wait_storecnt_dscnt 0x0
	s_barrier_signal -1
	s_barrier_wait -1
	s_wait_xcnt 0x0
	s_and_saveexec_b32 s22, s1
	s_cbranch_execz .LBB110_305
; %bb.296:
	s_and_not1_b32 vcc_lo, exec_lo, s5
	s_cbranch_vccnz .LBB110_298
; %bb.297:
	scratch_load_b64 v[98:99], v59, off
	ds_load_b64 v[100:101], v1
	s_wait_loadcnt_dscnt 0x0
	v_pk_mul_f32 v[102:103], v[100:101], v[98:99] op_sel:[1,1] op_sel_hi:[0,1]
	s_delay_alu instid0(VALU_DEP_1) | instskip(SKIP_1) | instid1(VALU_DEP_2)
	v_pk_fma_f32 v[104:105], v[100:101], v[98:99], v[102:103] op_sel_hi:[1,0,1]
	v_pk_fma_f32 v[98:99], v[100:101], v[98:99], v[102:103] neg_lo:[0,0,1] neg_hi:[0,0,1]
	v_mov_b32_e32 v99, v105
	s_cbranch_execz .LBB110_299
	s_branch .LBB110_300
.LBB110_298:
                                        ; implicit-def: $vgpr98_vgpr99
.LBB110_299:
	ds_load_b64 v[98:99], v1
.LBB110_300:
	s_and_saveexec_b32 s23, s0
	s_cbranch_execz .LBB110_304
; %bb.301:
	v_subrev_nc_u32_e32 v100, 17, v0
	s_movk_i32 s24, 0x208
	s_mov_b32 s0, 0
.LBB110_302:                            ; =>This Inner Loop Header: Depth=1
	scratch_load_b64 v[102:103], off, s21
	v_dual_mov_b32 v101, s24 :: v_dual_add_nc_u32 v100, -1, v100
	s_add_co_i32 s24, s24, 8
	s_wait_xcnt 0x0
	s_add_co_i32 s21, s21, 8
	ds_load_b64 v[104:105], v101
	v_cmp_eq_u32_e32 vcc_lo, 0, v100
	s_or_b32 s0, vcc_lo, s0
	s_wait_loadcnt_dscnt 0x0
	v_pk_mul_f32 v[106:107], v[104:105], v[102:103] op_sel:[1,1] op_sel_hi:[0,1]
	s_delay_alu instid0(VALU_DEP_1) | instskip(SKIP_1) | instid1(VALU_DEP_2)
	v_pk_fma_f32 v[108:109], v[104:105], v[102:103], v[106:107] op_sel_hi:[1,0,1]
	v_pk_fma_f32 v[102:103], v[104:105], v[102:103], v[106:107] neg_lo:[0,0,1] neg_hi:[0,0,1]
	v_mov_b32_e32 v103, v109
	s_delay_alu instid0(VALU_DEP_1)
	v_pk_add_f32 v[98:99], v[98:99], v[102:103]
	s_and_not1_b32 exec_lo, exec_lo, s0
	s_cbranch_execnz .LBB110_302
; %bb.303:
	s_or_b32 exec_lo, exec_lo, s0
.LBB110_304:
	s_delay_alu instid0(SALU_CYCLE_1) | instskip(SKIP_4) | instid1(VALU_DEP_1)
	s_or_b32 exec_lo, exec_lo, s23
	v_mov_b32_e32 v100, 0
	ds_load_b64 v[100:101], v100 offset:128
	s_wait_dscnt 0x0
	v_pk_mul_f32 v[102:103], v[98:99], v[100:101] op_sel:[1,1] op_sel_hi:[0,1]
	v_pk_fma_f32 v[104:105], v[98:99], v[100:101], v[102:103] op_sel_hi:[1,0,1]
	v_pk_fma_f32 v[98:99], v[98:99], v[100:101], v[102:103] neg_lo:[0,0,1] neg_hi:[0,0,1]
	s_delay_alu instid0(VALU_DEP_2)
	v_mov_b32_e32 v99, v105
	scratch_store_b64 off, v[98:99], off offset:128
.LBB110_305:
	s_wait_xcnt 0x0
	s_or_b32 exec_lo, exec_lo, s22
	scratch_load_b64 v[98:99], off, off offset:120
	v_cmp_lt_u32_e64 s0, 15, v0
	s_wait_loadcnt 0x0
	ds_store_b64 v1, v[98:99]
	s_wait_storecnt_dscnt 0x0
	s_barrier_signal -1
	s_barrier_wait -1
	s_wait_xcnt 0x0
	s_and_saveexec_b32 s21, s0
	s_cbranch_execz .LBB110_315
; %bb.306:
	s_and_not1_b32 vcc_lo, exec_lo, s5
	s_cbranch_vccnz .LBB110_308
; %bb.307:
	scratch_load_b64 v[98:99], v59, off
	ds_load_b64 v[100:101], v1
	s_wait_loadcnt_dscnt 0x0
	v_pk_mul_f32 v[102:103], v[100:101], v[98:99] op_sel:[1,1] op_sel_hi:[0,1]
	s_delay_alu instid0(VALU_DEP_1) | instskip(SKIP_1) | instid1(VALU_DEP_2)
	v_pk_fma_f32 v[104:105], v[100:101], v[98:99], v[102:103] op_sel_hi:[1,0,1]
	v_pk_fma_f32 v[98:99], v[100:101], v[98:99], v[102:103] neg_lo:[0,0,1] neg_hi:[0,0,1]
	v_mov_b32_e32 v99, v105
	s_cbranch_execz .LBB110_309
	s_branch .LBB110_310
.LBB110_308:
                                        ; implicit-def: $vgpr98_vgpr99
.LBB110_309:
	ds_load_b64 v[98:99], v1
.LBB110_310:
	s_and_saveexec_b32 s22, s1
	s_cbranch_execz .LBB110_314
; %bb.311:
	v_add_nc_u32_e32 v100, -16, v0
	s_movk_i32 s23, 0x200
	s_mov_b32 s1, 0
.LBB110_312:                            ; =>This Inner Loop Header: Depth=1
	scratch_load_b64 v[102:103], off, s20
	v_dual_mov_b32 v101, s23 :: v_dual_add_nc_u32 v100, -1, v100
	s_add_co_i32 s23, s23, 8
	s_wait_xcnt 0x0
	s_add_co_i32 s20, s20, 8
	ds_load_b64 v[104:105], v101
	v_cmp_eq_u32_e32 vcc_lo, 0, v100
	s_or_b32 s1, vcc_lo, s1
	s_wait_loadcnt_dscnt 0x0
	v_pk_mul_f32 v[106:107], v[104:105], v[102:103] op_sel:[1,1] op_sel_hi:[0,1]
	s_delay_alu instid0(VALU_DEP_1) | instskip(SKIP_1) | instid1(VALU_DEP_2)
	v_pk_fma_f32 v[108:109], v[104:105], v[102:103], v[106:107] op_sel_hi:[1,0,1]
	v_pk_fma_f32 v[102:103], v[104:105], v[102:103], v[106:107] neg_lo:[0,0,1] neg_hi:[0,0,1]
	v_mov_b32_e32 v103, v109
	s_delay_alu instid0(VALU_DEP_1)
	v_pk_add_f32 v[98:99], v[98:99], v[102:103]
	s_and_not1_b32 exec_lo, exec_lo, s1
	s_cbranch_execnz .LBB110_312
; %bb.313:
	s_or_b32 exec_lo, exec_lo, s1
.LBB110_314:
	s_delay_alu instid0(SALU_CYCLE_1) | instskip(SKIP_4) | instid1(VALU_DEP_1)
	s_or_b32 exec_lo, exec_lo, s22
	v_mov_b32_e32 v100, 0
	ds_load_b64 v[100:101], v100 offset:120
	s_wait_dscnt 0x0
	v_pk_mul_f32 v[102:103], v[98:99], v[100:101] op_sel:[1,1] op_sel_hi:[0,1]
	v_pk_fma_f32 v[104:105], v[98:99], v[100:101], v[102:103] op_sel_hi:[1,0,1]
	v_pk_fma_f32 v[98:99], v[98:99], v[100:101], v[102:103] neg_lo:[0,0,1] neg_hi:[0,0,1]
	s_delay_alu instid0(VALU_DEP_2)
	v_mov_b32_e32 v99, v105
	scratch_store_b64 off, v[98:99], off offset:120
.LBB110_315:
	s_wait_xcnt 0x0
	s_or_b32 exec_lo, exec_lo, s21
	scratch_load_b64 v[98:99], off, off offset:112
	v_cmp_lt_u32_e64 s1, 14, v0
	s_wait_loadcnt 0x0
	ds_store_b64 v1, v[98:99]
	s_wait_storecnt_dscnt 0x0
	s_barrier_signal -1
	s_barrier_wait -1
	s_wait_xcnt 0x0
	s_and_saveexec_b32 s20, s1
	s_cbranch_execz .LBB110_325
; %bb.316:
	s_and_not1_b32 vcc_lo, exec_lo, s5
	s_cbranch_vccnz .LBB110_318
; %bb.317:
	scratch_load_b64 v[98:99], v59, off
	ds_load_b64 v[100:101], v1
	s_wait_loadcnt_dscnt 0x0
	v_pk_mul_f32 v[102:103], v[100:101], v[98:99] op_sel:[1,1] op_sel_hi:[0,1]
	s_delay_alu instid0(VALU_DEP_1) | instskip(SKIP_1) | instid1(VALU_DEP_2)
	v_pk_fma_f32 v[104:105], v[100:101], v[98:99], v[102:103] op_sel_hi:[1,0,1]
	v_pk_fma_f32 v[98:99], v[100:101], v[98:99], v[102:103] neg_lo:[0,0,1] neg_hi:[0,0,1]
	v_mov_b32_e32 v99, v105
	s_cbranch_execz .LBB110_319
	s_branch .LBB110_320
.LBB110_318:
                                        ; implicit-def: $vgpr98_vgpr99
.LBB110_319:
	ds_load_b64 v[98:99], v1
.LBB110_320:
	s_and_saveexec_b32 s21, s0
	s_cbranch_execz .LBB110_324
; %bb.321:
	v_add_nc_u32_e32 v100, -15, v0
	s_movk_i32 s22, 0x1f8
	s_mov_b32 s0, 0
.LBB110_322:                            ; =>This Inner Loop Header: Depth=1
	scratch_load_b64 v[102:103], off, s19
	v_dual_mov_b32 v101, s22 :: v_dual_add_nc_u32 v100, -1, v100
	s_add_co_i32 s22, s22, 8
	s_wait_xcnt 0x0
	s_add_co_i32 s19, s19, 8
	ds_load_b64 v[104:105], v101
	v_cmp_eq_u32_e32 vcc_lo, 0, v100
	s_or_b32 s0, vcc_lo, s0
	s_wait_loadcnt_dscnt 0x0
	v_pk_mul_f32 v[106:107], v[104:105], v[102:103] op_sel:[1,1] op_sel_hi:[0,1]
	s_delay_alu instid0(VALU_DEP_1) | instskip(SKIP_1) | instid1(VALU_DEP_2)
	v_pk_fma_f32 v[108:109], v[104:105], v[102:103], v[106:107] op_sel_hi:[1,0,1]
	v_pk_fma_f32 v[102:103], v[104:105], v[102:103], v[106:107] neg_lo:[0,0,1] neg_hi:[0,0,1]
	v_mov_b32_e32 v103, v109
	s_delay_alu instid0(VALU_DEP_1)
	v_pk_add_f32 v[98:99], v[98:99], v[102:103]
	s_and_not1_b32 exec_lo, exec_lo, s0
	s_cbranch_execnz .LBB110_322
; %bb.323:
	s_or_b32 exec_lo, exec_lo, s0
.LBB110_324:
	s_delay_alu instid0(SALU_CYCLE_1) | instskip(SKIP_4) | instid1(VALU_DEP_1)
	s_or_b32 exec_lo, exec_lo, s21
	v_mov_b32_e32 v100, 0
	ds_load_b64 v[100:101], v100 offset:112
	s_wait_dscnt 0x0
	v_pk_mul_f32 v[102:103], v[98:99], v[100:101] op_sel:[1,1] op_sel_hi:[0,1]
	v_pk_fma_f32 v[104:105], v[98:99], v[100:101], v[102:103] op_sel_hi:[1,0,1]
	v_pk_fma_f32 v[98:99], v[98:99], v[100:101], v[102:103] neg_lo:[0,0,1] neg_hi:[0,0,1]
	s_delay_alu instid0(VALU_DEP_2)
	v_mov_b32_e32 v99, v105
	scratch_store_b64 off, v[98:99], off offset:112
.LBB110_325:
	s_wait_xcnt 0x0
	s_or_b32 exec_lo, exec_lo, s20
	scratch_load_b64 v[98:99], off, off offset:104
	v_cmp_lt_u32_e64 s0, 13, v0
	s_wait_loadcnt 0x0
	ds_store_b64 v1, v[98:99]
	s_wait_storecnt_dscnt 0x0
	s_barrier_signal -1
	s_barrier_wait -1
	s_wait_xcnt 0x0
	s_and_saveexec_b32 s19, s0
	s_cbranch_execz .LBB110_335
; %bb.326:
	s_and_not1_b32 vcc_lo, exec_lo, s5
	s_cbranch_vccnz .LBB110_328
; %bb.327:
	scratch_load_b64 v[98:99], v59, off
	ds_load_b64 v[100:101], v1
	s_wait_loadcnt_dscnt 0x0
	v_pk_mul_f32 v[102:103], v[100:101], v[98:99] op_sel:[1,1] op_sel_hi:[0,1]
	s_delay_alu instid0(VALU_DEP_1) | instskip(SKIP_1) | instid1(VALU_DEP_2)
	v_pk_fma_f32 v[104:105], v[100:101], v[98:99], v[102:103] op_sel_hi:[1,0,1]
	v_pk_fma_f32 v[98:99], v[100:101], v[98:99], v[102:103] neg_lo:[0,0,1] neg_hi:[0,0,1]
	v_mov_b32_e32 v99, v105
	s_cbranch_execz .LBB110_329
	s_branch .LBB110_330
.LBB110_328:
                                        ; implicit-def: $vgpr98_vgpr99
.LBB110_329:
	ds_load_b64 v[98:99], v1
.LBB110_330:
	s_and_saveexec_b32 s20, s1
	s_cbranch_execz .LBB110_334
; %bb.331:
	v_add_nc_u32_e32 v100, -14, v0
	s_movk_i32 s21, 0x1f0
	s_mov_b32 s1, 0
.LBB110_332:                            ; =>This Inner Loop Header: Depth=1
	scratch_load_b64 v[102:103], off, s18
	v_dual_mov_b32 v101, s21 :: v_dual_add_nc_u32 v100, -1, v100
	s_add_co_i32 s21, s21, 8
	s_wait_xcnt 0x0
	s_add_co_i32 s18, s18, 8
	ds_load_b64 v[104:105], v101
	v_cmp_eq_u32_e32 vcc_lo, 0, v100
	s_or_b32 s1, vcc_lo, s1
	s_wait_loadcnt_dscnt 0x0
	v_pk_mul_f32 v[106:107], v[104:105], v[102:103] op_sel:[1,1] op_sel_hi:[0,1]
	s_delay_alu instid0(VALU_DEP_1) | instskip(SKIP_1) | instid1(VALU_DEP_2)
	v_pk_fma_f32 v[108:109], v[104:105], v[102:103], v[106:107] op_sel_hi:[1,0,1]
	v_pk_fma_f32 v[102:103], v[104:105], v[102:103], v[106:107] neg_lo:[0,0,1] neg_hi:[0,0,1]
	v_mov_b32_e32 v103, v109
	s_delay_alu instid0(VALU_DEP_1)
	v_pk_add_f32 v[98:99], v[98:99], v[102:103]
	s_and_not1_b32 exec_lo, exec_lo, s1
	s_cbranch_execnz .LBB110_332
; %bb.333:
	s_or_b32 exec_lo, exec_lo, s1
.LBB110_334:
	s_delay_alu instid0(SALU_CYCLE_1) | instskip(SKIP_4) | instid1(VALU_DEP_1)
	s_or_b32 exec_lo, exec_lo, s20
	v_mov_b32_e32 v100, 0
	ds_load_b64 v[100:101], v100 offset:104
	s_wait_dscnt 0x0
	v_pk_mul_f32 v[102:103], v[98:99], v[100:101] op_sel:[1,1] op_sel_hi:[0,1]
	v_pk_fma_f32 v[104:105], v[98:99], v[100:101], v[102:103] op_sel_hi:[1,0,1]
	v_pk_fma_f32 v[98:99], v[98:99], v[100:101], v[102:103] neg_lo:[0,0,1] neg_hi:[0,0,1]
	s_delay_alu instid0(VALU_DEP_2)
	v_mov_b32_e32 v99, v105
	scratch_store_b64 off, v[98:99], off offset:104
.LBB110_335:
	s_wait_xcnt 0x0
	s_or_b32 exec_lo, exec_lo, s19
	scratch_load_b64 v[98:99], off, off offset:96
	v_cmp_lt_u32_e64 s1, 12, v0
	s_wait_loadcnt 0x0
	ds_store_b64 v1, v[98:99]
	s_wait_storecnt_dscnt 0x0
	s_barrier_signal -1
	s_barrier_wait -1
	s_wait_xcnt 0x0
	s_and_saveexec_b32 s18, s1
	s_cbranch_execz .LBB110_345
; %bb.336:
	s_and_not1_b32 vcc_lo, exec_lo, s5
	s_cbranch_vccnz .LBB110_338
; %bb.337:
	scratch_load_b64 v[98:99], v59, off
	ds_load_b64 v[100:101], v1
	s_wait_loadcnt_dscnt 0x0
	v_pk_mul_f32 v[102:103], v[100:101], v[98:99] op_sel:[1,1] op_sel_hi:[0,1]
	s_delay_alu instid0(VALU_DEP_1) | instskip(SKIP_1) | instid1(VALU_DEP_2)
	v_pk_fma_f32 v[104:105], v[100:101], v[98:99], v[102:103] op_sel_hi:[1,0,1]
	v_pk_fma_f32 v[98:99], v[100:101], v[98:99], v[102:103] neg_lo:[0,0,1] neg_hi:[0,0,1]
	v_mov_b32_e32 v99, v105
	s_cbranch_execz .LBB110_339
	s_branch .LBB110_340
.LBB110_338:
                                        ; implicit-def: $vgpr98_vgpr99
.LBB110_339:
	ds_load_b64 v[98:99], v1
.LBB110_340:
	s_and_saveexec_b32 s19, s0
	s_cbranch_execz .LBB110_344
; %bb.341:
	v_add_nc_u32_e32 v100, -13, v0
	s_movk_i32 s20, 0x1e8
	s_mov_b32 s0, 0
.LBB110_342:                            ; =>This Inner Loop Header: Depth=1
	scratch_load_b64 v[102:103], off, s17
	v_dual_mov_b32 v101, s20 :: v_dual_add_nc_u32 v100, -1, v100
	s_add_co_i32 s20, s20, 8
	s_wait_xcnt 0x0
	s_add_co_i32 s17, s17, 8
	ds_load_b64 v[104:105], v101
	v_cmp_eq_u32_e32 vcc_lo, 0, v100
	s_or_b32 s0, vcc_lo, s0
	s_wait_loadcnt_dscnt 0x0
	v_pk_mul_f32 v[106:107], v[104:105], v[102:103] op_sel:[1,1] op_sel_hi:[0,1]
	s_delay_alu instid0(VALU_DEP_1) | instskip(SKIP_1) | instid1(VALU_DEP_2)
	v_pk_fma_f32 v[108:109], v[104:105], v[102:103], v[106:107] op_sel_hi:[1,0,1]
	v_pk_fma_f32 v[102:103], v[104:105], v[102:103], v[106:107] neg_lo:[0,0,1] neg_hi:[0,0,1]
	v_mov_b32_e32 v103, v109
	s_delay_alu instid0(VALU_DEP_1)
	v_pk_add_f32 v[98:99], v[98:99], v[102:103]
	s_and_not1_b32 exec_lo, exec_lo, s0
	s_cbranch_execnz .LBB110_342
; %bb.343:
	s_or_b32 exec_lo, exec_lo, s0
.LBB110_344:
	s_delay_alu instid0(SALU_CYCLE_1) | instskip(SKIP_4) | instid1(VALU_DEP_1)
	s_or_b32 exec_lo, exec_lo, s19
	v_mov_b32_e32 v100, 0
	ds_load_b64 v[100:101], v100 offset:96
	s_wait_dscnt 0x0
	v_pk_mul_f32 v[102:103], v[98:99], v[100:101] op_sel:[1,1] op_sel_hi:[0,1]
	v_pk_fma_f32 v[104:105], v[98:99], v[100:101], v[102:103] op_sel_hi:[1,0,1]
	v_pk_fma_f32 v[98:99], v[98:99], v[100:101], v[102:103] neg_lo:[0,0,1] neg_hi:[0,0,1]
	s_delay_alu instid0(VALU_DEP_2)
	v_mov_b32_e32 v99, v105
	scratch_store_b64 off, v[98:99], off offset:96
.LBB110_345:
	s_wait_xcnt 0x0
	s_or_b32 exec_lo, exec_lo, s18
	scratch_load_b64 v[98:99], off, off offset:88
	v_cmp_lt_u32_e64 s0, 11, v0
	s_wait_loadcnt 0x0
	ds_store_b64 v1, v[98:99]
	s_wait_storecnt_dscnt 0x0
	s_barrier_signal -1
	s_barrier_wait -1
	s_wait_xcnt 0x0
	s_and_saveexec_b32 s17, s0
	s_cbranch_execz .LBB110_355
; %bb.346:
	s_and_not1_b32 vcc_lo, exec_lo, s5
	s_cbranch_vccnz .LBB110_348
; %bb.347:
	scratch_load_b64 v[98:99], v59, off
	ds_load_b64 v[100:101], v1
	s_wait_loadcnt_dscnt 0x0
	v_pk_mul_f32 v[102:103], v[100:101], v[98:99] op_sel:[1,1] op_sel_hi:[0,1]
	s_delay_alu instid0(VALU_DEP_1) | instskip(SKIP_1) | instid1(VALU_DEP_2)
	v_pk_fma_f32 v[104:105], v[100:101], v[98:99], v[102:103] op_sel_hi:[1,0,1]
	v_pk_fma_f32 v[98:99], v[100:101], v[98:99], v[102:103] neg_lo:[0,0,1] neg_hi:[0,0,1]
	v_mov_b32_e32 v99, v105
	s_cbranch_execz .LBB110_349
	s_branch .LBB110_350
.LBB110_348:
                                        ; implicit-def: $vgpr98_vgpr99
.LBB110_349:
	ds_load_b64 v[98:99], v1
.LBB110_350:
	s_and_saveexec_b32 s18, s1
	s_cbranch_execz .LBB110_354
; %bb.351:
	v_add_nc_u32_e32 v100, -12, v0
	s_movk_i32 s19, 0x1e0
	s_mov_b32 s1, 0
.LBB110_352:                            ; =>This Inner Loop Header: Depth=1
	scratch_load_b64 v[102:103], off, s16
	v_dual_mov_b32 v101, s19 :: v_dual_add_nc_u32 v100, -1, v100
	s_add_co_i32 s19, s19, 8
	s_wait_xcnt 0x0
	s_add_co_i32 s16, s16, 8
	ds_load_b64 v[104:105], v101
	v_cmp_eq_u32_e32 vcc_lo, 0, v100
	s_or_b32 s1, vcc_lo, s1
	s_wait_loadcnt_dscnt 0x0
	v_pk_mul_f32 v[106:107], v[104:105], v[102:103] op_sel:[1,1] op_sel_hi:[0,1]
	s_delay_alu instid0(VALU_DEP_1) | instskip(SKIP_1) | instid1(VALU_DEP_2)
	v_pk_fma_f32 v[108:109], v[104:105], v[102:103], v[106:107] op_sel_hi:[1,0,1]
	v_pk_fma_f32 v[102:103], v[104:105], v[102:103], v[106:107] neg_lo:[0,0,1] neg_hi:[0,0,1]
	v_mov_b32_e32 v103, v109
	s_delay_alu instid0(VALU_DEP_1)
	v_pk_add_f32 v[98:99], v[98:99], v[102:103]
	s_and_not1_b32 exec_lo, exec_lo, s1
	s_cbranch_execnz .LBB110_352
; %bb.353:
	s_or_b32 exec_lo, exec_lo, s1
.LBB110_354:
	s_delay_alu instid0(SALU_CYCLE_1) | instskip(SKIP_4) | instid1(VALU_DEP_1)
	s_or_b32 exec_lo, exec_lo, s18
	v_mov_b32_e32 v100, 0
	ds_load_b64 v[100:101], v100 offset:88
	s_wait_dscnt 0x0
	v_pk_mul_f32 v[102:103], v[98:99], v[100:101] op_sel:[1,1] op_sel_hi:[0,1]
	v_pk_fma_f32 v[104:105], v[98:99], v[100:101], v[102:103] op_sel_hi:[1,0,1]
	v_pk_fma_f32 v[98:99], v[98:99], v[100:101], v[102:103] neg_lo:[0,0,1] neg_hi:[0,0,1]
	s_delay_alu instid0(VALU_DEP_2)
	v_mov_b32_e32 v99, v105
	scratch_store_b64 off, v[98:99], off offset:88
.LBB110_355:
	s_wait_xcnt 0x0
	s_or_b32 exec_lo, exec_lo, s17
	scratch_load_b64 v[98:99], off, off offset:80
	v_cmp_lt_u32_e64 s1, 10, v0
	s_wait_loadcnt 0x0
	ds_store_b64 v1, v[98:99]
	s_wait_storecnt_dscnt 0x0
	s_barrier_signal -1
	s_barrier_wait -1
	s_wait_xcnt 0x0
	s_and_saveexec_b32 s16, s1
	s_cbranch_execz .LBB110_365
; %bb.356:
	s_and_not1_b32 vcc_lo, exec_lo, s5
	s_cbranch_vccnz .LBB110_358
; %bb.357:
	scratch_load_b64 v[98:99], v59, off
	ds_load_b64 v[100:101], v1
	s_wait_loadcnt_dscnt 0x0
	v_pk_mul_f32 v[102:103], v[100:101], v[98:99] op_sel:[1,1] op_sel_hi:[0,1]
	s_delay_alu instid0(VALU_DEP_1) | instskip(SKIP_1) | instid1(VALU_DEP_2)
	v_pk_fma_f32 v[104:105], v[100:101], v[98:99], v[102:103] op_sel_hi:[1,0,1]
	v_pk_fma_f32 v[98:99], v[100:101], v[98:99], v[102:103] neg_lo:[0,0,1] neg_hi:[0,0,1]
	v_mov_b32_e32 v99, v105
	s_cbranch_execz .LBB110_359
	s_branch .LBB110_360
.LBB110_358:
                                        ; implicit-def: $vgpr98_vgpr99
.LBB110_359:
	ds_load_b64 v[98:99], v1
.LBB110_360:
	s_and_saveexec_b32 s17, s0
	s_cbranch_execz .LBB110_364
; %bb.361:
	v_add_nc_u32_e32 v100, -11, v0
	s_movk_i32 s18, 0x1d8
	s_mov_b32 s0, 0
.LBB110_362:                            ; =>This Inner Loop Header: Depth=1
	scratch_load_b64 v[102:103], off, s15
	v_dual_mov_b32 v101, s18 :: v_dual_add_nc_u32 v100, -1, v100
	s_add_co_i32 s18, s18, 8
	s_wait_xcnt 0x0
	s_add_co_i32 s15, s15, 8
	ds_load_b64 v[104:105], v101
	v_cmp_eq_u32_e32 vcc_lo, 0, v100
	s_or_b32 s0, vcc_lo, s0
	s_wait_loadcnt_dscnt 0x0
	v_pk_mul_f32 v[106:107], v[104:105], v[102:103] op_sel:[1,1] op_sel_hi:[0,1]
	s_delay_alu instid0(VALU_DEP_1) | instskip(SKIP_1) | instid1(VALU_DEP_2)
	v_pk_fma_f32 v[108:109], v[104:105], v[102:103], v[106:107] op_sel_hi:[1,0,1]
	v_pk_fma_f32 v[102:103], v[104:105], v[102:103], v[106:107] neg_lo:[0,0,1] neg_hi:[0,0,1]
	v_mov_b32_e32 v103, v109
	s_delay_alu instid0(VALU_DEP_1)
	v_pk_add_f32 v[98:99], v[98:99], v[102:103]
	s_and_not1_b32 exec_lo, exec_lo, s0
	s_cbranch_execnz .LBB110_362
; %bb.363:
	s_or_b32 exec_lo, exec_lo, s0
.LBB110_364:
	s_delay_alu instid0(SALU_CYCLE_1) | instskip(SKIP_4) | instid1(VALU_DEP_1)
	s_or_b32 exec_lo, exec_lo, s17
	v_mov_b32_e32 v100, 0
	ds_load_b64 v[100:101], v100 offset:80
	s_wait_dscnt 0x0
	v_pk_mul_f32 v[102:103], v[98:99], v[100:101] op_sel:[1,1] op_sel_hi:[0,1]
	v_pk_fma_f32 v[104:105], v[98:99], v[100:101], v[102:103] op_sel_hi:[1,0,1]
	v_pk_fma_f32 v[98:99], v[98:99], v[100:101], v[102:103] neg_lo:[0,0,1] neg_hi:[0,0,1]
	s_delay_alu instid0(VALU_DEP_2)
	v_mov_b32_e32 v99, v105
	scratch_store_b64 off, v[98:99], off offset:80
.LBB110_365:
	s_wait_xcnt 0x0
	s_or_b32 exec_lo, exec_lo, s16
	scratch_load_b64 v[98:99], off, off offset:72
	v_cmp_lt_u32_e64 s0, 9, v0
	s_wait_loadcnt 0x0
	ds_store_b64 v1, v[98:99]
	s_wait_storecnt_dscnt 0x0
	s_barrier_signal -1
	s_barrier_wait -1
	s_wait_xcnt 0x0
	s_and_saveexec_b32 s15, s0
	s_cbranch_execz .LBB110_375
; %bb.366:
	s_and_not1_b32 vcc_lo, exec_lo, s5
	s_cbranch_vccnz .LBB110_368
; %bb.367:
	scratch_load_b64 v[98:99], v59, off
	ds_load_b64 v[100:101], v1
	s_wait_loadcnt_dscnt 0x0
	v_pk_mul_f32 v[102:103], v[100:101], v[98:99] op_sel:[1,1] op_sel_hi:[0,1]
	s_delay_alu instid0(VALU_DEP_1) | instskip(SKIP_1) | instid1(VALU_DEP_2)
	v_pk_fma_f32 v[104:105], v[100:101], v[98:99], v[102:103] op_sel_hi:[1,0,1]
	v_pk_fma_f32 v[98:99], v[100:101], v[98:99], v[102:103] neg_lo:[0,0,1] neg_hi:[0,0,1]
	v_mov_b32_e32 v99, v105
	s_cbranch_execz .LBB110_369
	s_branch .LBB110_370
.LBB110_368:
                                        ; implicit-def: $vgpr98_vgpr99
.LBB110_369:
	ds_load_b64 v[98:99], v1
.LBB110_370:
	s_and_saveexec_b32 s16, s1
	s_cbranch_execz .LBB110_374
; %bb.371:
	v_add_nc_u32_e32 v100, -10, v0
	s_movk_i32 s17, 0x1d0
	s_mov_b32 s1, 0
.LBB110_372:                            ; =>This Inner Loop Header: Depth=1
	scratch_load_b64 v[102:103], off, s14
	v_dual_mov_b32 v101, s17 :: v_dual_add_nc_u32 v100, -1, v100
	s_add_co_i32 s17, s17, 8
	s_wait_xcnt 0x0
	s_add_co_i32 s14, s14, 8
	ds_load_b64 v[104:105], v101
	v_cmp_eq_u32_e32 vcc_lo, 0, v100
	s_or_b32 s1, vcc_lo, s1
	s_wait_loadcnt_dscnt 0x0
	v_pk_mul_f32 v[106:107], v[104:105], v[102:103] op_sel:[1,1] op_sel_hi:[0,1]
	s_delay_alu instid0(VALU_DEP_1) | instskip(SKIP_1) | instid1(VALU_DEP_2)
	v_pk_fma_f32 v[108:109], v[104:105], v[102:103], v[106:107] op_sel_hi:[1,0,1]
	v_pk_fma_f32 v[102:103], v[104:105], v[102:103], v[106:107] neg_lo:[0,0,1] neg_hi:[0,0,1]
	v_mov_b32_e32 v103, v109
	s_delay_alu instid0(VALU_DEP_1)
	v_pk_add_f32 v[98:99], v[98:99], v[102:103]
	s_and_not1_b32 exec_lo, exec_lo, s1
	s_cbranch_execnz .LBB110_372
; %bb.373:
	s_or_b32 exec_lo, exec_lo, s1
.LBB110_374:
	s_delay_alu instid0(SALU_CYCLE_1) | instskip(SKIP_4) | instid1(VALU_DEP_1)
	s_or_b32 exec_lo, exec_lo, s16
	v_mov_b32_e32 v100, 0
	ds_load_b64 v[100:101], v100 offset:72
	s_wait_dscnt 0x0
	v_pk_mul_f32 v[102:103], v[98:99], v[100:101] op_sel:[1,1] op_sel_hi:[0,1]
	v_pk_fma_f32 v[104:105], v[98:99], v[100:101], v[102:103] op_sel_hi:[1,0,1]
	v_pk_fma_f32 v[98:99], v[98:99], v[100:101], v[102:103] neg_lo:[0,0,1] neg_hi:[0,0,1]
	s_delay_alu instid0(VALU_DEP_2)
	v_mov_b32_e32 v99, v105
	scratch_store_b64 off, v[98:99], off offset:72
.LBB110_375:
	s_wait_xcnt 0x0
	s_or_b32 exec_lo, exec_lo, s15
	scratch_load_b64 v[98:99], off, off offset:64
	v_cmp_lt_u32_e64 s1, 8, v0
	s_wait_loadcnt 0x0
	ds_store_b64 v1, v[98:99]
	s_wait_storecnt_dscnt 0x0
	s_barrier_signal -1
	s_barrier_wait -1
	s_wait_xcnt 0x0
	s_and_saveexec_b32 s14, s1
	s_cbranch_execz .LBB110_385
; %bb.376:
	s_and_not1_b32 vcc_lo, exec_lo, s5
	s_cbranch_vccnz .LBB110_378
; %bb.377:
	scratch_load_b64 v[98:99], v59, off
	ds_load_b64 v[100:101], v1
	s_wait_loadcnt_dscnt 0x0
	v_pk_mul_f32 v[102:103], v[100:101], v[98:99] op_sel:[1,1] op_sel_hi:[0,1]
	s_delay_alu instid0(VALU_DEP_1) | instskip(SKIP_1) | instid1(VALU_DEP_2)
	v_pk_fma_f32 v[104:105], v[100:101], v[98:99], v[102:103] op_sel_hi:[1,0,1]
	v_pk_fma_f32 v[98:99], v[100:101], v[98:99], v[102:103] neg_lo:[0,0,1] neg_hi:[0,0,1]
	v_mov_b32_e32 v99, v105
	s_cbranch_execz .LBB110_379
	s_branch .LBB110_380
.LBB110_378:
                                        ; implicit-def: $vgpr98_vgpr99
.LBB110_379:
	ds_load_b64 v[98:99], v1
.LBB110_380:
	s_and_saveexec_b32 s15, s0
	s_cbranch_execz .LBB110_384
; %bb.381:
	v_add_nc_u32_e32 v100, -9, v0
	s_movk_i32 s16, 0x1c8
	s_mov_b32 s0, 0
.LBB110_382:                            ; =>This Inner Loop Header: Depth=1
	scratch_load_b64 v[102:103], off, s13
	v_dual_mov_b32 v101, s16 :: v_dual_add_nc_u32 v100, -1, v100
	s_add_co_i32 s16, s16, 8
	s_wait_xcnt 0x0
	s_add_co_i32 s13, s13, 8
	ds_load_b64 v[104:105], v101
	v_cmp_eq_u32_e32 vcc_lo, 0, v100
	s_or_b32 s0, vcc_lo, s0
	s_wait_loadcnt_dscnt 0x0
	v_pk_mul_f32 v[106:107], v[104:105], v[102:103] op_sel:[1,1] op_sel_hi:[0,1]
	s_delay_alu instid0(VALU_DEP_1) | instskip(SKIP_1) | instid1(VALU_DEP_2)
	v_pk_fma_f32 v[108:109], v[104:105], v[102:103], v[106:107] op_sel_hi:[1,0,1]
	v_pk_fma_f32 v[102:103], v[104:105], v[102:103], v[106:107] neg_lo:[0,0,1] neg_hi:[0,0,1]
	v_mov_b32_e32 v103, v109
	s_delay_alu instid0(VALU_DEP_1)
	v_pk_add_f32 v[98:99], v[98:99], v[102:103]
	s_and_not1_b32 exec_lo, exec_lo, s0
	s_cbranch_execnz .LBB110_382
; %bb.383:
	s_or_b32 exec_lo, exec_lo, s0
.LBB110_384:
	s_delay_alu instid0(SALU_CYCLE_1) | instskip(SKIP_4) | instid1(VALU_DEP_1)
	s_or_b32 exec_lo, exec_lo, s15
	v_mov_b32_e32 v100, 0
	ds_load_b64 v[100:101], v100 offset:64
	s_wait_dscnt 0x0
	v_pk_mul_f32 v[102:103], v[98:99], v[100:101] op_sel:[1,1] op_sel_hi:[0,1]
	v_pk_fma_f32 v[104:105], v[98:99], v[100:101], v[102:103] op_sel_hi:[1,0,1]
	v_pk_fma_f32 v[98:99], v[98:99], v[100:101], v[102:103] neg_lo:[0,0,1] neg_hi:[0,0,1]
	s_delay_alu instid0(VALU_DEP_2)
	v_mov_b32_e32 v99, v105
	scratch_store_b64 off, v[98:99], off offset:64
.LBB110_385:
	s_wait_xcnt 0x0
	s_or_b32 exec_lo, exec_lo, s14
	scratch_load_b64 v[98:99], off, off offset:56
	v_cmp_lt_u32_e64 s0, 7, v0
	s_wait_loadcnt 0x0
	ds_store_b64 v1, v[98:99]
	s_wait_storecnt_dscnt 0x0
	s_barrier_signal -1
	s_barrier_wait -1
	s_wait_xcnt 0x0
	s_and_saveexec_b32 s13, s0
	s_cbranch_execz .LBB110_395
; %bb.386:
	s_and_not1_b32 vcc_lo, exec_lo, s5
	s_cbranch_vccnz .LBB110_388
; %bb.387:
	scratch_load_b64 v[98:99], v59, off
	ds_load_b64 v[100:101], v1
	s_wait_loadcnt_dscnt 0x0
	v_pk_mul_f32 v[102:103], v[100:101], v[98:99] op_sel:[1,1] op_sel_hi:[0,1]
	s_delay_alu instid0(VALU_DEP_1) | instskip(SKIP_1) | instid1(VALU_DEP_2)
	v_pk_fma_f32 v[104:105], v[100:101], v[98:99], v[102:103] op_sel_hi:[1,0,1]
	v_pk_fma_f32 v[98:99], v[100:101], v[98:99], v[102:103] neg_lo:[0,0,1] neg_hi:[0,0,1]
	v_mov_b32_e32 v99, v105
	s_cbranch_execz .LBB110_389
	s_branch .LBB110_390
.LBB110_388:
                                        ; implicit-def: $vgpr98_vgpr99
.LBB110_389:
	ds_load_b64 v[98:99], v1
.LBB110_390:
	s_and_saveexec_b32 s14, s1
	s_cbranch_execz .LBB110_394
; %bb.391:
	v_add_nc_u32_e32 v100, -8, v0
	s_movk_i32 s15, 0x1c0
	s_mov_b32 s1, 0
.LBB110_392:                            ; =>This Inner Loop Header: Depth=1
	scratch_load_b64 v[102:103], off, s12
	v_dual_mov_b32 v101, s15 :: v_dual_add_nc_u32 v100, -1, v100
	s_add_co_i32 s15, s15, 8
	s_wait_xcnt 0x0
	s_add_co_i32 s12, s12, 8
	ds_load_b64 v[104:105], v101
	v_cmp_eq_u32_e32 vcc_lo, 0, v100
	s_or_b32 s1, vcc_lo, s1
	s_wait_loadcnt_dscnt 0x0
	v_pk_mul_f32 v[106:107], v[104:105], v[102:103] op_sel:[1,1] op_sel_hi:[0,1]
	s_delay_alu instid0(VALU_DEP_1) | instskip(SKIP_1) | instid1(VALU_DEP_2)
	v_pk_fma_f32 v[108:109], v[104:105], v[102:103], v[106:107] op_sel_hi:[1,0,1]
	v_pk_fma_f32 v[102:103], v[104:105], v[102:103], v[106:107] neg_lo:[0,0,1] neg_hi:[0,0,1]
	v_mov_b32_e32 v103, v109
	s_delay_alu instid0(VALU_DEP_1)
	v_pk_add_f32 v[98:99], v[98:99], v[102:103]
	s_and_not1_b32 exec_lo, exec_lo, s1
	s_cbranch_execnz .LBB110_392
; %bb.393:
	s_or_b32 exec_lo, exec_lo, s1
.LBB110_394:
	s_delay_alu instid0(SALU_CYCLE_1) | instskip(SKIP_4) | instid1(VALU_DEP_1)
	s_or_b32 exec_lo, exec_lo, s14
	v_mov_b32_e32 v100, 0
	ds_load_b64 v[100:101], v100 offset:56
	s_wait_dscnt 0x0
	v_pk_mul_f32 v[102:103], v[98:99], v[100:101] op_sel:[1,1] op_sel_hi:[0,1]
	v_pk_fma_f32 v[104:105], v[98:99], v[100:101], v[102:103] op_sel_hi:[1,0,1]
	v_pk_fma_f32 v[98:99], v[98:99], v[100:101], v[102:103] neg_lo:[0,0,1] neg_hi:[0,0,1]
	s_delay_alu instid0(VALU_DEP_2)
	v_mov_b32_e32 v99, v105
	scratch_store_b64 off, v[98:99], off offset:56
.LBB110_395:
	s_wait_xcnt 0x0
	s_or_b32 exec_lo, exec_lo, s13
	scratch_load_b64 v[98:99], off, off offset:48
	v_cmp_lt_u32_e64 s1, 6, v0
	s_wait_loadcnt 0x0
	ds_store_b64 v1, v[98:99]
	s_wait_storecnt_dscnt 0x0
	s_barrier_signal -1
	s_barrier_wait -1
	s_wait_xcnt 0x0
	s_and_saveexec_b32 s12, s1
	s_cbranch_execz .LBB110_405
; %bb.396:
	s_and_not1_b32 vcc_lo, exec_lo, s5
	s_cbranch_vccnz .LBB110_398
; %bb.397:
	scratch_load_b64 v[98:99], v59, off
	ds_load_b64 v[100:101], v1
	s_wait_loadcnt_dscnt 0x0
	v_pk_mul_f32 v[102:103], v[100:101], v[98:99] op_sel:[1,1] op_sel_hi:[0,1]
	s_delay_alu instid0(VALU_DEP_1) | instskip(SKIP_1) | instid1(VALU_DEP_2)
	v_pk_fma_f32 v[104:105], v[100:101], v[98:99], v[102:103] op_sel_hi:[1,0,1]
	v_pk_fma_f32 v[98:99], v[100:101], v[98:99], v[102:103] neg_lo:[0,0,1] neg_hi:[0,0,1]
	v_mov_b32_e32 v99, v105
	s_cbranch_execz .LBB110_399
	s_branch .LBB110_400
.LBB110_398:
                                        ; implicit-def: $vgpr98_vgpr99
.LBB110_399:
	ds_load_b64 v[98:99], v1
.LBB110_400:
	s_and_saveexec_b32 s13, s0
	s_cbranch_execz .LBB110_404
; %bb.401:
	v_add_nc_u32_e32 v100, -7, v0
	s_movk_i32 s14, 0x1b8
	s_mov_b32 s0, 0
.LBB110_402:                            ; =>This Inner Loop Header: Depth=1
	scratch_load_b64 v[102:103], off, s11
	v_dual_mov_b32 v101, s14 :: v_dual_add_nc_u32 v100, -1, v100
	s_add_co_i32 s14, s14, 8
	s_wait_xcnt 0x0
	s_add_co_i32 s11, s11, 8
	ds_load_b64 v[104:105], v101
	v_cmp_eq_u32_e32 vcc_lo, 0, v100
	s_or_b32 s0, vcc_lo, s0
	s_wait_loadcnt_dscnt 0x0
	v_pk_mul_f32 v[106:107], v[104:105], v[102:103] op_sel:[1,1] op_sel_hi:[0,1]
	s_delay_alu instid0(VALU_DEP_1) | instskip(SKIP_1) | instid1(VALU_DEP_2)
	v_pk_fma_f32 v[108:109], v[104:105], v[102:103], v[106:107] op_sel_hi:[1,0,1]
	v_pk_fma_f32 v[102:103], v[104:105], v[102:103], v[106:107] neg_lo:[0,0,1] neg_hi:[0,0,1]
	v_mov_b32_e32 v103, v109
	s_delay_alu instid0(VALU_DEP_1)
	v_pk_add_f32 v[98:99], v[98:99], v[102:103]
	s_and_not1_b32 exec_lo, exec_lo, s0
	s_cbranch_execnz .LBB110_402
; %bb.403:
	s_or_b32 exec_lo, exec_lo, s0
.LBB110_404:
	s_delay_alu instid0(SALU_CYCLE_1) | instskip(SKIP_4) | instid1(VALU_DEP_1)
	s_or_b32 exec_lo, exec_lo, s13
	v_mov_b32_e32 v100, 0
	ds_load_b64 v[100:101], v100 offset:48
	s_wait_dscnt 0x0
	v_pk_mul_f32 v[102:103], v[98:99], v[100:101] op_sel:[1,1] op_sel_hi:[0,1]
	v_pk_fma_f32 v[104:105], v[98:99], v[100:101], v[102:103] op_sel_hi:[1,0,1]
	v_pk_fma_f32 v[98:99], v[98:99], v[100:101], v[102:103] neg_lo:[0,0,1] neg_hi:[0,0,1]
	s_delay_alu instid0(VALU_DEP_2)
	v_mov_b32_e32 v99, v105
	scratch_store_b64 off, v[98:99], off offset:48
.LBB110_405:
	s_wait_xcnt 0x0
	s_or_b32 exec_lo, exec_lo, s12
	scratch_load_b64 v[98:99], off, off offset:40
	v_cmp_lt_u32_e64 s0, 5, v0
	s_wait_loadcnt 0x0
	ds_store_b64 v1, v[98:99]
	s_wait_storecnt_dscnt 0x0
	s_barrier_signal -1
	s_barrier_wait -1
	s_wait_xcnt 0x0
	s_and_saveexec_b32 s11, s0
	s_cbranch_execz .LBB110_415
; %bb.406:
	s_and_not1_b32 vcc_lo, exec_lo, s5
	s_cbranch_vccnz .LBB110_408
; %bb.407:
	scratch_load_b64 v[98:99], v59, off
	ds_load_b64 v[100:101], v1
	s_wait_loadcnt_dscnt 0x0
	v_pk_mul_f32 v[102:103], v[100:101], v[98:99] op_sel:[1,1] op_sel_hi:[0,1]
	s_delay_alu instid0(VALU_DEP_1) | instskip(SKIP_1) | instid1(VALU_DEP_2)
	v_pk_fma_f32 v[104:105], v[100:101], v[98:99], v[102:103] op_sel_hi:[1,0,1]
	v_pk_fma_f32 v[98:99], v[100:101], v[98:99], v[102:103] neg_lo:[0,0,1] neg_hi:[0,0,1]
	v_mov_b32_e32 v99, v105
	s_cbranch_execz .LBB110_409
	s_branch .LBB110_410
.LBB110_408:
                                        ; implicit-def: $vgpr98_vgpr99
.LBB110_409:
	ds_load_b64 v[98:99], v1
.LBB110_410:
	s_and_saveexec_b32 s12, s1
	s_cbranch_execz .LBB110_414
; %bb.411:
	v_add_nc_u32_e32 v100, -6, v0
	s_movk_i32 s13, 0x1b0
	s_mov_b32 s1, 0
.LBB110_412:                            ; =>This Inner Loop Header: Depth=1
	scratch_load_b64 v[102:103], off, s10
	v_dual_mov_b32 v101, s13 :: v_dual_add_nc_u32 v100, -1, v100
	s_add_co_i32 s13, s13, 8
	s_wait_xcnt 0x0
	s_add_co_i32 s10, s10, 8
	ds_load_b64 v[104:105], v101
	v_cmp_eq_u32_e32 vcc_lo, 0, v100
	s_or_b32 s1, vcc_lo, s1
	s_wait_loadcnt_dscnt 0x0
	v_pk_mul_f32 v[106:107], v[104:105], v[102:103] op_sel:[1,1] op_sel_hi:[0,1]
	s_delay_alu instid0(VALU_DEP_1) | instskip(SKIP_1) | instid1(VALU_DEP_2)
	v_pk_fma_f32 v[108:109], v[104:105], v[102:103], v[106:107] op_sel_hi:[1,0,1]
	v_pk_fma_f32 v[102:103], v[104:105], v[102:103], v[106:107] neg_lo:[0,0,1] neg_hi:[0,0,1]
	v_mov_b32_e32 v103, v109
	s_delay_alu instid0(VALU_DEP_1)
	v_pk_add_f32 v[98:99], v[98:99], v[102:103]
	s_and_not1_b32 exec_lo, exec_lo, s1
	s_cbranch_execnz .LBB110_412
; %bb.413:
	s_or_b32 exec_lo, exec_lo, s1
.LBB110_414:
	s_delay_alu instid0(SALU_CYCLE_1) | instskip(SKIP_4) | instid1(VALU_DEP_1)
	s_or_b32 exec_lo, exec_lo, s12
	v_mov_b32_e32 v100, 0
	ds_load_b64 v[100:101], v100 offset:40
	s_wait_dscnt 0x0
	v_pk_mul_f32 v[102:103], v[98:99], v[100:101] op_sel:[1,1] op_sel_hi:[0,1]
	v_pk_fma_f32 v[104:105], v[98:99], v[100:101], v[102:103] op_sel_hi:[1,0,1]
	v_pk_fma_f32 v[98:99], v[98:99], v[100:101], v[102:103] neg_lo:[0,0,1] neg_hi:[0,0,1]
	s_delay_alu instid0(VALU_DEP_2)
	v_mov_b32_e32 v99, v105
	scratch_store_b64 off, v[98:99], off offset:40
.LBB110_415:
	s_wait_xcnt 0x0
	s_or_b32 exec_lo, exec_lo, s11
	scratch_load_b64 v[98:99], off, off offset:32
	v_cmp_lt_u32_e64 s1, 4, v0
	s_wait_loadcnt 0x0
	ds_store_b64 v1, v[98:99]
	s_wait_storecnt_dscnt 0x0
	s_barrier_signal -1
	s_barrier_wait -1
	s_wait_xcnt 0x0
	s_and_saveexec_b32 s10, s1
	s_cbranch_execz .LBB110_425
; %bb.416:
	s_and_not1_b32 vcc_lo, exec_lo, s5
	s_cbranch_vccnz .LBB110_418
; %bb.417:
	scratch_load_b64 v[98:99], v59, off
	ds_load_b64 v[100:101], v1
	s_wait_loadcnt_dscnt 0x0
	v_pk_mul_f32 v[102:103], v[100:101], v[98:99] op_sel:[1,1] op_sel_hi:[0,1]
	s_delay_alu instid0(VALU_DEP_1) | instskip(SKIP_1) | instid1(VALU_DEP_2)
	v_pk_fma_f32 v[104:105], v[100:101], v[98:99], v[102:103] op_sel_hi:[1,0,1]
	v_pk_fma_f32 v[98:99], v[100:101], v[98:99], v[102:103] neg_lo:[0,0,1] neg_hi:[0,0,1]
	v_mov_b32_e32 v99, v105
	s_cbranch_execz .LBB110_419
	s_branch .LBB110_420
.LBB110_418:
                                        ; implicit-def: $vgpr98_vgpr99
.LBB110_419:
	ds_load_b64 v[98:99], v1
.LBB110_420:
	s_and_saveexec_b32 s11, s0
	s_cbranch_execz .LBB110_424
; %bb.421:
	v_add_nc_u32_e32 v100, -5, v0
	s_movk_i32 s12, 0x1a8
	s_mov_b32 s0, 0
.LBB110_422:                            ; =>This Inner Loop Header: Depth=1
	scratch_load_b64 v[102:103], off, s9
	v_dual_mov_b32 v101, s12 :: v_dual_add_nc_u32 v100, -1, v100
	s_add_co_i32 s12, s12, 8
	s_wait_xcnt 0x0
	s_add_co_i32 s9, s9, 8
	ds_load_b64 v[104:105], v101
	v_cmp_eq_u32_e32 vcc_lo, 0, v100
	s_or_b32 s0, vcc_lo, s0
	s_wait_loadcnt_dscnt 0x0
	v_pk_mul_f32 v[106:107], v[104:105], v[102:103] op_sel:[1,1] op_sel_hi:[0,1]
	s_delay_alu instid0(VALU_DEP_1) | instskip(SKIP_1) | instid1(VALU_DEP_2)
	v_pk_fma_f32 v[108:109], v[104:105], v[102:103], v[106:107] op_sel_hi:[1,0,1]
	v_pk_fma_f32 v[102:103], v[104:105], v[102:103], v[106:107] neg_lo:[0,0,1] neg_hi:[0,0,1]
	v_mov_b32_e32 v103, v109
	s_delay_alu instid0(VALU_DEP_1)
	v_pk_add_f32 v[98:99], v[98:99], v[102:103]
	s_and_not1_b32 exec_lo, exec_lo, s0
	s_cbranch_execnz .LBB110_422
; %bb.423:
	s_or_b32 exec_lo, exec_lo, s0
.LBB110_424:
	s_delay_alu instid0(SALU_CYCLE_1) | instskip(SKIP_4) | instid1(VALU_DEP_1)
	s_or_b32 exec_lo, exec_lo, s11
	v_mov_b32_e32 v100, 0
	ds_load_b64 v[100:101], v100 offset:32
	s_wait_dscnt 0x0
	v_pk_mul_f32 v[102:103], v[98:99], v[100:101] op_sel:[1,1] op_sel_hi:[0,1]
	v_pk_fma_f32 v[104:105], v[98:99], v[100:101], v[102:103] op_sel_hi:[1,0,1]
	v_pk_fma_f32 v[98:99], v[98:99], v[100:101], v[102:103] neg_lo:[0,0,1] neg_hi:[0,0,1]
	s_delay_alu instid0(VALU_DEP_2)
	v_mov_b32_e32 v99, v105
	scratch_store_b64 off, v[98:99], off offset:32
.LBB110_425:
	s_wait_xcnt 0x0
	s_or_b32 exec_lo, exec_lo, s10
	scratch_load_b64 v[98:99], off, off offset:24
	v_cmp_lt_u32_e64 s0, 3, v0
	s_wait_loadcnt 0x0
	ds_store_b64 v1, v[98:99]
	s_wait_storecnt_dscnt 0x0
	s_barrier_signal -1
	s_barrier_wait -1
	s_wait_xcnt 0x0
	s_and_saveexec_b32 s9, s0
	s_cbranch_execz .LBB110_435
; %bb.426:
	s_and_not1_b32 vcc_lo, exec_lo, s5
	s_cbranch_vccnz .LBB110_428
; %bb.427:
	scratch_load_b64 v[98:99], v59, off
	ds_load_b64 v[100:101], v1
	s_wait_loadcnt_dscnt 0x0
	v_pk_mul_f32 v[102:103], v[100:101], v[98:99] op_sel:[1,1] op_sel_hi:[0,1]
	s_delay_alu instid0(VALU_DEP_1) | instskip(SKIP_1) | instid1(VALU_DEP_2)
	v_pk_fma_f32 v[104:105], v[100:101], v[98:99], v[102:103] op_sel_hi:[1,0,1]
	v_pk_fma_f32 v[98:99], v[100:101], v[98:99], v[102:103] neg_lo:[0,0,1] neg_hi:[0,0,1]
	v_mov_b32_e32 v99, v105
	s_cbranch_execz .LBB110_429
	s_branch .LBB110_430
.LBB110_428:
                                        ; implicit-def: $vgpr98_vgpr99
.LBB110_429:
	ds_load_b64 v[98:99], v1
.LBB110_430:
	s_and_saveexec_b32 s10, s1
	s_cbranch_execz .LBB110_434
; %bb.431:
	v_add_nc_u32_e32 v100, -4, v0
	s_movk_i32 s11, 0x1a0
	s_mov_b32 s1, 0
.LBB110_432:                            ; =>This Inner Loop Header: Depth=1
	scratch_load_b64 v[102:103], off, s8
	v_dual_mov_b32 v101, s11 :: v_dual_add_nc_u32 v100, -1, v100
	s_add_co_i32 s11, s11, 8
	s_wait_xcnt 0x0
	s_add_co_i32 s8, s8, 8
	ds_load_b64 v[104:105], v101
	v_cmp_eq_u32_e32 vcc_lo, 0, v100
	s_or_b32 s1, vcc_lo, s1
	s_wait_loadcnt_dscnt 0x0
	v_pk_mul_f32 v[106:107], v[104:105], v[102:103] op_sel:[1,1] op_sel_hi:[0,1]
	s_delay_alu instid0(VALU_DEP_1) | instskip(SKIP_1) | instid1(VALU_DEP_2)
	v_pk_fma_f32 v[108:109], v[104:105], v[102:103], v[106:107] op_sel_hi:[1,0,1]
	v_pk_fma_f32 v[102:103], v[104:105], v[102:103], v[106:107] neg_lo:[0,0,1] neg_hi:[0,0,1]
	v_mov_b32_e32 v103, v109
	s_delay_alu instid0(VALU_DEP_1)
	v_pk_add_f32 v[98:99], v[98:99], v[102:103]
	s_and_not1_b32 exec_lo, exec_lo, s1
	s_cbranch_execnz .LBB110_432
; %bb.433:
	s_or_b32 exec_lo, exec_lo, s1
.LBB110_434:
	s_delay_alu instid0(SALU_CYCLE_1) | instskip(SKIP_4) | instid1(VALU_DEP_1)
	s_or_b32 exec_lo, exec_lo, s10
	v_mov_b32_e32 v100, 0
	ds_load_b64 v[100:101], v100 offset:24
	s_wait_dscnt 0x0
	v_pk_mul_f32 v[102:103], v[98:99], v[100:101] op_sel:[1,1] op_sel_hi:[0,1]
	v_pk_fma_f32 v[104:105], v[98:99], v[100:101], v[102:103] op_sel_hi:[1,0,1]
	v_pk_fma_f32 v[98:99], v[98:99], v[100:101], v[102:103] neg_lo:[0,0,1] neg_hi:[0,0,1]
	s_delay_alu instid0(VALU_DEP_2)
	v_mov_b32_e32 v99, v105
	scratch_store_b64 off, v[98:99], off offset:24
.LBB110_435:
	s_wait_xcnt 0x0
	s_or_b32 exec_lo, exec_lo, s9
	scratch_load_b64 v[98:99], off, off offset:16
	v_cmp_lt_u32_e64 s1, 2, v0
	s_wait_loadcnt 0x0
	ds_store_b64 v1, v[98:99]
	s_wait_storecnt_dscnt 0x0
	s_barrier_signal -1
	s_barrier_wait -1
	s_wait_xcnt 0x0
	s_and_saveexec_b32 s8, s1
	s_cbranch_execz .LBB110_445
; %bb.436:
	s_and_not1_b32 vcc_lo, exec_lo, s5
	s_cbranch_vccnz .LBB110_438
; %bb.437:
	scratch_load_b64 v[98:99], v59, off
	ds_load_b64 v[100:101], v1
	s_wait_loadcnt_dscnt 0x0
	v_pk_mul_f32 v[102:103], v[100:101], v[98:99] op_sel:[1,1] op_sel_hi:[0,1]
	s_delay_alu instid0(VALU_DEP_1) | instskip(SKIP_1) | instid1(VALU_DEP_2)
	v_pk_fma_f32 v[104:105], v[100:101], v[98:99], v[102:103] op_sel_hi:[1,0,1]
	v_pk_fma_f32 v[98:99], v[100:101], v[98:99], v[102:103] neg_lo:[0,0,1] neg_hi:[0,0,1]
	v_mov_b32_e32 v99, v105
	s_cbranch_execz .LBB110_439
	s_branch .LBB110_440
.LBB110_438:
                                        ; implicit-def: $vgpr98_vgpr99
.LBB110_439:
	ds_load_b64 v[98:99], v1
.LBB110_440:
	s_and_saveexec_b32 s9, s0
	s_cbranch_execz .LBB110_444
; %bb.441:
	v_add_nc_u32_e32 v100, -3, v0
	s_movk_i32 s10, 0x198
	s_mov_b32 s0, 0
.LBB110_442:                            ; =>This Inner Loop Header: Depth=1
	scratch_load_b64 v[102:103], off, s7
	v_dual_mov_b32 v101, s10 :: v_dual_add_nc_u32 v100, -1, v100
	s_add_co_i32 s10, s10, 8
	s_wait_xcnt 0x0
	s_add_co_i32 s7, s7, 8
	ds_load_b64 v[104:105], v101
	v_cmp_eq_u32_e32 vcc_lo, 0, v100
	s_or_b32 s0, vcc_lo, s0
	s_wait_loadcnt_dscnt 0x0
	v_pk_mul_f32 v[106:107], v[104:105], v[102:103] op_sel:[1,1] op_sel_hi:[0,1]
	s_delay_alu instid0(VALU_DEP_1) | instskip(SKIP_1) | instid1(VALU_DEP_2)
	v_pk_fma_f32 v[108:109], v[104:105], v[102:103], v[106:107] op_sel_hi:[1,0,1]
	v_pk_fma_f32 v[102:103], v[104:105], v[102:103], v[106:107] neg_lo:[0,0,1] neg_hi:[0,0,1]
	v_mov_b32_e32 v103, v109
	s_delay_alu instid0(VALU_DEP_1)
	v_pk_add_f32 v[98:99], v[98:99], v[102:103]
	s_and_not1_b32 exec_lo, exec_lo, s0
	s_cbranch_execnz .LBB110_442
; %bb.443:
	s_or_b32 exec_lo, exec_lo, s0
.LBB110_444:
	s_delay_alu instid0(SALU_CYCLE_1) | instskip(SKIP_4) | instid1(VALU_DEP_1)
	s_or_b32 exec_lo, exec_lo, s9
	v_mov_b32_e32 v100, 0
	ds_load_b64 v[100:101], v100 offset:16
	s_wait_dscnt 0x0
	v_pk_mul_f32 v[102:103], v[98:99], v[100:101] op_sel:[1,1] op_sel_hi:[0,1]
	v_pk_fma_f32 v[104:105], v[98:99], v[100:101], v[102:103] op_sel_hi:[1,0,1]
	v_pk_fma_f32 v[98:99], v[98:99], v[100:101], v[102:103] neg_lo:[0,0,1] neg_hi:[0,0,1]
	s_delay_alu instid0(VALU_DEP_2)
	v_mov_b32_e32 v99, v105
	scratch_store_b64 off, v[98:99], off offset:16
.LBB110_445:
	s_wait_xcnt 0x0
	s_or_b32 exec_lo, exec_lo, s8
	scratch_load_b64 v[98:99], off, off offset:8
	v_cmp_lt_u32_e64 s0, 1, v0
	s_wait_loadcnt 0x0
	ds_store_b64 v1, v[98:99]
	s_wait_storecnt_dscnt 0x0
	s_barrier_signal -1
	s_barrier_wait -1
	s_wait_xcnt 0x0
	s_and_saveexec_b32 s7, s0
	s_cbranch_execz .LBB110_455
; %bb.446:
	s_and_not1_b32 vcc_lo, exec_lo, s5
	s_cbranch_vccnz .LBB110_448
; %bb.447:
	scratch_load_b64 v[98:99], v59, off
	ds_load_b64 v[100:101], v1
	s_wait_loadcnt_dscnt 0x0
	v_pk_mul_f32 v[102:103], v[100:101], v[98:99] op_sel:[1,1] op_sel_hi:[0,1]
	s_delay_alu instid0(VALU_DEP_1) | instskip(SKIP_1) | instid1(VALU_DEP_2)
	v_pk_fma_f32 v[104:105], v[100:101], v[98:99], v[102:103] op_sel_hi:[1,0,1]
	v_pk_fma_f32 v[98:99], v[100:101], v[98:99], v[102:103] neg_lo:[0,0,1] neg_hi:[0,0,1]
	v_mov_b32_e32 v99, v105
	s_cbranch_execz .LBB110_449
	s_branch .LBB110_450
.LBB110_448:
                                        ; implicit-def: $vgpr98_vgpr99
.LBB110_449:
	ds_load_b64 v[98:99], v1
.LBB110_450:
	s_and_saveexec_b32 s8, s1
	s_cbranch_execz .LBB110_454
; %bb.451:
	v_add_nc_u32_e32 v100, -2, v0
	s_movk_i32 s9, 0x190
	s_mov_b32 s1, 0
.LBB110_452:                            ; =>This Inner Loop Header: Depth=1
	scratch_load_b64 v[102:103], off, s6
	v_dual_mov_b32 v101, s9 :: v_dual_add_nc_u32 v100, -1, v100
	s_add_co_i32 s9, s9, 8
	s_wait_xcnt 0x0
	s_add_co_i32 s6, s6, 8
	ds_load_b64 v[104:105], v101
	v_cmp_eq_u32_e32 vcc_lo, 0, v100
	s_or_b32 s1, vcc_lo, s1
	s_wait_loadcnt_dscnt 0x0
	v_pk_mul_f32 v[106:107], v[104:105], v[102:103] op_sel:[1,1] op_sel_hi:[0,1]
	s_delay_alu instid0(VALU_DEP_1) | instskip(SKIP_1) | instid1(VALU_DEP_2)
	v_pk_fma_f32 v[108:109], v[104:105], v[102:103], v[106:107] op_sel_hi:[1,0,1]
	v_pk_fma_f32 v[102:103], v[104:105], v[102:103], v[106:107] neg_lo:[0,0,1] neg_hi:[0,0,1]
	v_mov_b32_e32 v103, v109
	s_delay_alu instid0(VALU_DEP_1)
	v_pk_add_f32 v[98:99], v[98:99], v[102:103]
	s_and_not1_b32 exec_lo, exec_lo, s1
	s_cbranch_execnz .LBB110_452
; %bb.453:
	s_or_b32 exec_lo, exec_lo, s1
.LBB110_454:
	s_delay_alu instid0(SALU_CYCLE_1) | instskip(SKIP_4) | instid1(VALU_DEP_1)
	s_or_b32 exec_lo, exec_lo, s8
	v_mov_b32_e32 v100, 0
	ds_load_b64 v[100:101], v100 offset:8
	s_wait_dscnt 0x0
	v_pk_mul_f32 v[102:103], v[98:99], v[100:101] op_sel:[1,1] op_sel_hi:[0,1]
	v_pk_fma_f32 v[104:105], v[98:99], v[100:101], v[102:103] op_sel_hi:[1,0,1]
	v_pk_fma_f32 v[98:99], v[98:99], v[100:101], v[102:103] neg_lo:[0,0,1] neg_hi:[0,0,1]
	s_delay_alu instid0(VALU_DEP_2)
	v_mov_b32_e32 v99, v105
	scratch_store_b64 off, v[98:99], off offset:8
.LBB110_455:
	s_wait_xcnt 0x0
	s_or_b32 exec_lo, exec_lo, s7
	scratch_load_b64 v[98:99], off, off
	s_mov_b32 s6, 0
	s_mov_b32 s1, 0
	s_mov_b32 s8, exec_lo
                                        ; implicit-def: $vgpr140
                                        ; implicit-def: $sgpr7
	s_wait_loadcnt 0x0
	ds_store_b64 v1, v[98:99]
	s_wait_storecnt_dscnt 0x0
	s_barrier_signal -1
	s_barrier_wait -1
	s_wait_xcnt 0x0
	v_cmpx_ne_u32_e32 0, v0
	s_cbranch_execz .LBB110_465
; %bb.456:
	s_and_not1_b32 vcc_lo, exec_lo, s5
	s_cbranch_vccnz .LBB110_458
; %bb.457:
	scratch_load_b64 v[100:101], v59, off
	ds_load_b64 v[102:103], v1
	s_wait_loadcnt_dscnt 0x0
	v_dual_mul_f32 v98, v103, v101 :: v_dual_mul_f32 v99, v102, v101
	s_delay_alu instid0(VALU_DEP_1)
	v_dual_fma_f32 v98, v102, v100, -v98 :: v_dual_fmac_f32 v99, v103, v100
	s_and_not1_b32 vcc_lo, exec_lo, s1
	s_cbranch_vccz .LBB110_459
	s_branch .LBB110_460
.LBB110_458:
                                        ; implicit-def: $vgpr98
.LBB110_459:
	ds_load_b64 v[98:99], v1
.LBB110_460:
	s_and_saveexec_b32 s1, s0
	s_cbranch_execz .LBB110_464
; %bb.461:
	v_add_nc_u32_e32 v100, -1, v0
	s_movk_i32 s7, 0x188
	s_mov_b32 s0, 0
.LBB110_462:                            ; =>This Inner Loop Header: Depth=1
	scratch_load_b64 v[102:103], off, s4
	v_mov_b32_e32 v101, s7
	s_add_co_i32 s7, s7, 8
	s_wait_xcnt 0x0
	s_add_co_i32 s4, s4, 8
	v_add_nc_u32_e32 v100, -1, v100
	ds_load_b64 v[104:105], v101
	v_cmp_eq_u32_e32 vcc_lo, 0, v100
	s_or_b32 s0, vcc_lo, s0
	s_wait_loadcnt_dscnt 0x0
	v_dual_mul_f32 v101, v105, v103 :: v_dual_mul_f32 v103, v104, v103
	s_delay_alu instid0(VALU_DEP_1) | instskip(NEXT) | instid1(VALU_DEP_1)
	v_dual_fma_f32 v101, v104, v102, -v101 :: v_dual_fmac_f32 v103, v105, v102
	v_dual_add_f32 v98, v98, v101 :: v_dual_add_f32 v99, v99, v103
	s_and_not1_b32 exec_lo, exec_lo, s0
	s_cbranch_execnz .LBB110_462
; %bb.463:
	s_or_b32 exec_lo, exec_lo, s0
.LBB110_464:
	s_delay_alu instid0(SALU_CYCLE_1)
	s_or_b32 exec_lo, exec_lo, s1
	v_mov_b32_e32 v100, 0
	s_mov_b32 s1, exec_lo
	s_or_b32 s7, 0, 4
	ds_load_b64 v[100:101], v100
	s_wait_dscnt 0x0
	v_dual_mul_f32 v102, v99, v101 :: v_dual_mul_f32 v140, v98, v101
	s_delay_alu instid0(VALU_DEP_1)
	v_dual_fma_f32 v98, v98, v100, -v102 :: v_dual_fmac_f32 v140, v99, v100
	scratch_store_b32 off, v98, off
.LBB110_465:
	s_wait_xcnt 0x0
	s_or_b32 exec_lo, exec_lo, s8
	s_delay_alu instid0(SALU_CYCLE_1)
	s_and_b32 vcc_lo, exec_lo, s6
	s_cbranch_vccz .LBB110_921
.LBB110_466:
	scratch_load_b64 v[98:99], off, off offset:8
	v_cmp_eq_u32_e64 s0, 0, v0
	s_wait_loadcnt 0x0
	ds_store_b64 v1, v[98:99]
	s_wait_storecnt_dscnt 0x0
	s_barrier_signal -1
	s_barrier_wait -1
	s_wait_xcnt 0x0
	s_and_saveexec_b32 s4, s0
	s_cbranch_execz .LBB110_472
; %bb.467:
	s_and_b32 vcc_lo, exec_lo, s5
	s_cbranch_vccz .LBB110_469
; %bb.468:
	scratch_load_b64 v[98:99], v59, off
	ds_load_b64 v[100:101], v1
	s_wait_loadcnt_dscnt 0x0
	v_pk_mul_f32 v[102:103], v[100:101], v[98:99] op_sel:[1,1] op_sel_hi:[0,1]
	v_pk_mul_f32 v[104:105], v[100:101], v[98:99] op_sel_hi:[1,0]
	s_delay_alu instid0(VALU_DEP_2) | instskip(NEXT) | instid1(VALU_DEP_2)
	v_pk_fma_f32 v[98:99], v[100:101], v[98:99], v[102:103] op_sel_hi:[1,0,1]
	v_sub_f32_e32 v98, v104, v102
	s_cbranch_execz .LBB110_470
	s_branch .LBB110_471
.LBB110_469:
                                        ; implicit-def: $vgpr99
.LBB110_470:
	ds_load_b64 v[98:99], v1
.LBB110_471:
	s_wait_dscnt 0x0
	v_dual_mov_b32 v100, 0 :: v_dual_mov_b32 v102, v99
	v_mov_b32_e32 v103, v98
	ds_load_b64 v[100:101], v100 offset:8
	s_wait_dscnt 0x0
	v_pk_mul_f32 v[102:103], v[102:103], v[100:101] op_sel:[0,1]
	s_delay_alu instid0(VALU_DEP_1) | instskip(SKIP_1) | instid1(VALU_DEP_2)
	v_pk_fma_f32 v[104:105], v[98:99], v[100:101], v[102:103] op_sel_hi:[1,0,1]
	v_pk_fma_f32 v[98:99], v[98:99], v[100:101], v[102:103] neg_lo:[0,0,1] neg_hi:[0,0,1]
	v_mov_b32_e32 v99, v105
	scratch_store_b64 off, v[98:99], off offset:8
.LBB110_472:
	s_wait_xcnt 0x0
	s_or_b32 exec_lo, exec_lo, s4
	scratch_load_b64 v[98:99], off, off offset:16
	v_cndmask_b32_e64 v100, 0, 1, s5
	s_mov_b32 s4, exec_lo
	s_wait_loadcnt 0x0
	ds_store_b64 v1, v[98:99]
	s_wait_storecnt_dscnt 0x0
	s_barrier_signal -1
	s_barrier_wait -1
	s_wait_xcnt 0x0
	v_cmpx_gt_u32_e32 2, v0
	s_cbranch_execz .LBB110_480
; %bb.473:
	s_and_not1_b32 vcc_lo, exec_lo, s5
	s_cbranch_vccnz .LBB110_475
; %bb.474:
	scratch_load_b64 v[98:99], v59, off
	ds_load_b64 v[102:103], v1
	s_wait_loadcnt_dscnt 0x0
	v_pk_mul_f32 v[104:105], v[102:103], v[98:99] op_sel:[1,1] op_sel_hi:[0,1]
	s_delay_alu instid0(VALU_DEP_1) | instskip(SKIP_1) | instid1(VALU_DEP_2)
	v_pk_fma_f32 v[106:107], v[102:103], v[98:99], v[104:105] op_sel_hi:[1,0,1]
	v_pk_fma_f32 v[98:99], v[102:103], v[98:99], v[104:105] neg_lo:[0,0,1] neg_hi:[0,0,1]
	v_mov_b32_e32 v99, v107
	s_cbranch_execz .LBB110_476
	s_branch .LBB110_477
.LBB110_475:
                                        ; implicit-def: $vgpr98_vgpr99
.LBB110_476:
	ds_load_b64 v[98:99], v1
.LBB110_477:
	s_and_saveexec_b32 s5, s0
	s_cbranch_execz .LBB110_479
; %bb.478:
	scratch_load_b64 v[102:103], off, off offset:8
	v_mov_b32_e32 v101, 0
	ds_load_b64 v[104:105], v101 offset:392
	s_wait_loadcnt_dscnt 0x0
	v_pk_mul_f32 v[106:107], v[104:105], v[102:103] op_sel:[1,1] op_sel_hi:[0,1]
	s_delay_alu instid0(VALU_DEP_1) | instskip(SKIP_1) | instid1(VALU_DEP_2)
	v_pk_fma_f32 v[108:109], v[104:105], v[102:103], v[106:107] op_sel_hi:[1,0,1]
	v_pk_fma_f32 v[102:103], v[104:105], v[102:103], v[106:107] neg_lo:[0,0,1] neg_hi:[0,0,1]
	v_mov_b32_e32 v103, v109
	s_delay_alu instid0(VALU_DEP_1)
	v_pk_add_f32 v[98:99], v[98:99], v[102:103]
.LBB110_479:
	s_or_b32 exec_lo, exec_lo, s5
	v_mov_b32_e32 v101, 0
	ds_load_b64 v[102:103], v101 offset:16
	s_wait_dscnt 0x0
	v_pk_mul_f32 v[104:105], v[98:99], v[102:103] op_sel:[1,1] op_sel_hi:[0,1]
	s_delay_alu instid0(VALU_DEP_1) | instskip(SKIP_1) | instid1(VALU_DEP_2)
	v_pk_fma_f32 v[106:107], v[98:99], v[102:103], v[104:105] op_sel_hi:[1,0,1]
	v_pk_fma_f32 v[98:99], v[98:99], v[102:103], v[104:105] neg_lo:[0,0,1] neg_hi:[0,0,1]
	v_mov_b32_e32 v99, v107
	scratch_store_b64 off, v[98:99], off offset:16
.LBB110_480:
	s_wait_xcnt 0x0
	s_or_b32 exec_lo, exec_lo, s4
	scratch_load_b64 v[98:99], off, off offset:24
	s_mov_b32 s4, exec_lo
	s_wait_loadcnt 0x0
	ds_store_b64 v1, v[98:99]
	s_wait_storecnt_dscnt 0x0
	s_barrier_signal -1
	s_barrier_wait -1
	s_wait_xcnt 0x0
	v_cmpx_gt_u32_e32 3, v0
	s_cbranch_execz .LBB110_490
; %bb.481:
	v_cmp_ne_u32_e32 vcc_lo, 1, v100
	s_cbranch_vccnz .LBB110_483
; %bb.482:
	scratch_load_b64 v[98:99], v59, off
	ds_load_b64 v[102:103], v1
	s_wait_loadcnt_dscnt 0x0
	v_pk_mul_f32 v[104:105], v[102:103], v[98:99] op_sel:[1,1] op_sel_hi:[0,1]
	s_delay_alu instid0(VALU_DEP_1) | instskip(SKIP_1) | instid1(VALU_DEP_2)
	v_pk_fma_f32 v[106:107], v[102:103], v[98:99], v[104:105] op_sel_hi:[1,0,1]
	v_pk_fma_f32 v[98:99], v[102:103], v[98:99], v[104:105] neg_lo:[0,0,1] neg_hi:[0,0,1]
	v_mov_b32_e32 v99, v107
	s_cbranch_execz .LBB110_484
	s_branch .LBB110_485
.LBB110_483:
                                        ; implicit-def: $vgpr98_vgpr99
.LBB110_484:
	ds_load_b64 v[98:99], v1
.LBB110_485:
	s_mov_b32 s5, exec_lo
	v_cmpx_ne_u32_e32 2, v0
	s_cbranch_execz .LBB110_489
; %bb.486:
	scratch_load_b64 v[102:103], v59, off offset:8
	ds_load_b64 v[104:105], v1 offset:8
	s_wait_loadcnt_dscnt 0x0
	v_pk_mul_f32 v[106:107], v[104:105], v[102:103] op_sel:[1,1] op_sel_hi:[0,1]
	s_delay_alu instid0(VALU_DEP_1) | instskip(SKIP_1) | instid1(VALU_DEP_2)
	v_pk_fma_f32 v[108:109], v[104:105], v[102:103], v[106:107] op_sel_hi:[1,0,1]
	v_pk_fma_f32 v[102:103], v[104:105], v[102:103], v[106:107] neg_lo:[0,0,1] neg_hi:[0,0,1]
	v_mov_b32_e32 v103, v109
	s_delay_alu instid0(VALU_DEP_1)
	v_pk_add_f32 v[98:99], v[98:99], v[102:103]
	s_and_saveexec_b32 s6, s0
	s_cbranch_execz .LBB110_488
; %bb.487:
	scratch_load_b64 v[102:103], off, off offset:16
	v_mov_b32_e32 v101, 0
	ds_load_b64 v[104:105], v101 offset:400
	s_wait_loadcnt_dscnt 0x0
	v_pk_mul_f32 v[106:107], v[104:105], v[102:103] op_sel:[1,1] op_sel_hi:[0,1]
	s_delay_alu instid0(VALU_DEP_1) | instskip(SKIP_1) | instid1(VALU_DEP_2)
	v_pk_fma_f32 v[108:109], v[104:105], v[102:103], v[106:107] op_sel_hi:[1,0,1]
	v_pk_fma_f32 v[102:103], v[104:105], v[102:103], v[106:107] neg_lo:[0,0,1] neg_hi:[0,0,1]
	v_mov_b32_e32 v103, v109
	s_delay_alu instid0(VALU_DEP_1)
	v_pk_add_f32 v[98:99], v[98:99], v[102:103]
.LBB110_488:
	s_or_b32 exec_lo, exec_lo, s6
.LBB110_489:
	s_delay_alu instid0(SALU_CYCLE_1) | instskip(SKIP_4) | instid1(VALU_DEP_1)
	s_or_b32 exec_lo, exec_lo, s5
	v_mov_b32_e32 v101, 0
	ds_load_b64 v[102:103], v101 offset:24
	s_wait_dscnt 0x0
	v_pk_mul_f32 v[104:105], v[98:99], v[102:103] op_sel:[1,1] op_sel_hi:[0,1]
	v_pk_fma_f32 v[106:107], v[98:99], v[102:103], v[104:105] op_sel_hi:[1,0,1]
	v_pk_fma_f32 v[98:99], v[98:99], v[102:103], v[104:105] neg_lo:[0,0,1] neg_hi:[0,0,1]
	s_delay_alu instid0(VALU_DEP_2)
	v_mov_b32_e32 v99, v107
	scratch_store_b64 off, v[98:99], off offset:24
.LBB110_490:
	s_wait_xcnt 0x0
	s_or_b32 exec_lo, exec_lo, s4
	scratch_load_b64 v[98:99], off, off offset:32
	s_mov_b32 s0, exec_lo
	s_wait_loadcnt 0x0
	ds_store_b64 v1, v[98:99]
	s_wait_storecnt_dscnt 0x0
	s_barrier_signal -1
	s_barrier_wait -1
	s_wait_xcnt 0x0
	v_cmpx_gt_u32_e32 4, v0
	s_cbranch_execz .LBB110_500
; %bb.491:
	v_cmp_ne_u32_e32 vcc_lo, 1, v100
	s_cbranch_vccnz .LBB110_493
; %bb.492:
	scratch_load_b64 v[98:99], v59, off
	ds_load_b64 v[102:103], v1
	s_wait_loadcnt_dscnt 0x0
	v_pk_mul_f32 v[104:105], v[102:103], v[98:99] op_sel:[1,1] op_sel_hi:[0,1]
	s_delay_alu instid0(VALU_DEP_1) | instskip(SKIP_1) | instid1(VALU_DEP_2)
	v_pk_fma_f32 v[106:107], v[102:103], v[98:99], v[104:105] op_sel_hi:[1,0,1]
	v_pk_fma_f32 v[98:99], v[102:103], v[98:99], v[104:105] neg_lo:[0,0,1] neg_hi:[0,0,1]
	v_mov_b32_e32 v99, v107
	s_cbranch_execz .LBB110_494
	s_branch .LBB110_495
.LBB110_493:
                                        ; implicit-def: $vgpr98_vgpr99
.LBB110_494:
	ds_load_b64 v[98:99], v1
.LBB110_495:
	s_mov_b32 s4, exec_lo
	v_cmpx_ne_u32_e32 3, v0
	s_cbranch_execz .LBB110_499
; %bb.496:
	v_add_nc_u32_e32 v101, 0x188, v58
	v_add3_u32 v102, 0, v58, 8
	v_mov_b32_e32 v103, v0
	s_mov_b32 s5, 0
.LBB110_497:                            ; =>This Inner Loop Header: Depth=1
	scratch_load_b64 v[104:105], v102, off
	ds_load_b64 v[106:107], v101
	s_wait_xcnt 0x0
	v_dual_add_nc_u32 v101, 8, v101 :: v_dual_add_nc_u32 v102, 8, v102
	s_wait_loadcnt_dscnt 0x0
	v_pk_mul_f32 v[108:109], v[106:107], v[104:105] op_sel:[1,1] op_sel_hi:[0,1]
	s_delay_alu instid0(VALU_DEP_1) | instskip(SKIP_2) | instid1(VALU_DEP_3)
	v_pk_fma_f32 v[110:111], v[106:107], v[104:105], v[108:109] op_sel_hi:[1,0,1]
	v_add_nc_u32_e32 v103, 1, v103
	v_pk_fma_f32 v[104:105], v[106:107], v[104:105], v[108:109] neg_lo:[0,0,1] neg_hi:[0,0,1]
	v_mov_b32_e32 v105, v111
	s_delay_alu instid0(VALU_DEP_3) | instskip(NEXT) | instid1(VALU_DEP_2)
	v_cmp_lt_u32_e32 vcc_lo, 2, v103
	v_pk_add_f32 v[98:99], v[98:99], v[104:105]
	s_or_b32 s5, vcc_lo, s5
	s_delay_alu instid0(SALU_CYCLE_1)
	s_and_not1_b32 exec_lo, exec_lo, s5
	s_cbranch_execnz .LBB110_497
; %bb.498:
	s_or_b32 exec_lo, exec_lo, s5
.LBB110_499:
	s_delay_alu instid0(SALU_CYCLE_1) | instskip(SKIP_4) | instid1(VALU_DEP_1)
	s_or_b32 exec_lo, exec_lo, s4
	v_mov_b32_e32 v101, 0
	ds_load_b64 v[102:103], v101 offset:32
	s_wait_dscnt 0x0
	v_pk_mul_f32 v[104:105], v[98:99], v[102:103] op_sel:[1,1] op_sel_hi:[0,1]
	v_pk_fma_f32 v[106:107], v[98:99], v[102:103], v[104:105] op_sel_hi:[1,0,1]
	v_pk_fma_f32 v[98:99], v[98:99], v[102:103], v[104:105] neg_lo:[0,0,1] neg_hi:[0,0,1]
	s_delay_alu instid0(VALU_DEP_2)
	v_mov_b32_e32 v99, v107
	scratch_store_b64 off, v[98:99], off offset:32
.LBB110_500:
	s_wait_xcnt 0x0
	s_or_b32 exec_lo, exec_lo, s0
	scratch_load_b64 v[98:99], off, off offset:40
	s_mov_b32 s0, exec_lo
	s_wait_loadcnt 0x0
	ds_store_b64 v1, v[98:99]
	s_wait_storecnt_dscnt 0x0
	s_barrier_signal -1
	s_barrier_wait -1
	s_wait_xcnt 0x0
	v_cmpx_gt_u32_e32 5, v0
	s_cbranch_execz .LBB110_510
; %bb.501:
	v_cmp_ne_u32_e32 vcc_lo, 1, v100
	s_cbranch_vccnz .LBB110_503
; %bb.502:
	scratch_load_b64 v[98:99], v59, off
	ds_load_b64 v[102:103], v1
	s_wait_loadcnt_dscnt 0x0
	v_pk_mul_f32 v[104:105], v[102:103], v[98:99] op_sel:[1,1] op_sel_hi:[0,1]
	s_delay_alu instid0(VALU_DEP_1) | instskip(SKIP_1) | instid1(VALU_DEP_2)
	v_pk_fma_f32 v[106:107], v[102:103], v[98:99], v[104:105] op_sel_hi:[1,0,1]
	v_pk_fma_f32 v[98:99], v[102:103], v[98:99], v[104:105] neg_lo:[0,0,1] neg_hi:[0,0,1]
	v_mov_b32_e32 v99, v107
	s_cbranch_execz .LBB110_504
	s_branch .LBB110_505
.LBB110_503:
                                        ; implicit-def: $vgpr98_vgpr99
.LBB110_504:
	ds_load_b64 v[98:99], v1
.LBB110_505:
	s_mov_b32 s4, exec_lo
	v_cmpx_ne_u32_e32 4, v0
	s_cbranch_execz .LBB110_509
; %bb.506:
	v_add_nc_u32_e32 v101, 0x188, v58
	v_add3_u32 v102, 0, v58, 8
	v_mov_b32_e32 v103, v0
	s_mov_b32 s5, 0
.LBB110_507:                            ; =>This Inner Loop Header: Depth=1
	scratch_load_b64 v[104:105], v102, off
	ds_load_b64 v[106:107], v101
	s_wait_xcnt 0x0
	v_dual_add_nc_u32 v101, 8, v101 :: v_dual_add_nc_u32 v102, 8, v102
	s_wait_loadcnt_dscnt 0x0
	v_pk_mul_f32 v[108:109], v[106:107], v[104:105] op_sel:[1,1] op_sel_hi:[0,1]
	s_delay_alu instid0(VALU_DEP_1) | instskip(SKIP_2) | instid1(VALU_DEP_3)
	v_pk_fma_f32 v[110:111], v[106:107], v[104:105], v[108:109] op_sel_hi:[1,0,1]
	v_add_nc_u32_e32 v103, 1, v103
	v_pk_fma_f32 v[104:105], v[106:107], v[104:105], v[108:109] neg_lo:[0,0,1] neg_hi:[0,0,1]
	v_mov_b32_e32 v105, v111
	s_delay_alu instid0(VALU_DEP_3) | instskip(NEXT) | instid1(VALU_DEP_2)
	v_cmp_lt_u32_e32 vcc_lo, 3, v103
	v_pk_add_f32 v[98:99], v[98:99], v[104:105]
	s_or_b32 s5, vcc_lo, s5
	s_delay_alu instid0(SALU_CYCLE_1)
	s_and_not1_b32 exec_lo, exec_lo, s5
	s_cbranch_execnz .LBB110_507
; %bb.508:
	s_or_b32 exec_lo, exec_lo, s5
.LBB110_509:
	s_delay_alu instid0(SALU_CYCLE_1) | instskip(SKIP_4) | instid1(VALU_DEP_1)
	s_or_b32 exec_lo, exec_lo, s4
	v_mov_b32_e32 v101, 0
	ds_load_b64 v[102:103], v101 offset:40
	s_wait_dscnt 0x0
	v_pk_mul_f32 v[104:105], v[98:99], v[102:103] op_sel:[1,1] op_sel_hi:[0,1]
	v_pk_fma_f32 v[106:107], v[98:99], v[102:103], v[104:105] op_sel_hi:[1,0,1]
	v_pk_fma_f32 v[98:99], v[98:99], v[102:103], v[104:105] neg_lo:[0,0,1] neg_hi:[0,0,1]
	s_delay_alu instid0(VALU_DEP_2)
	v_mov_b32_e32 v99, v107
	scratch_store_b64 off, v[98:99], off offset:40
.LBB110_510:
	s_wait_xcnt 0x0
	s_or_b32 exec_lo, exec_lo, s0
	scratch_load_b64 v[98:99], off, off offset:48
	s_mov_b32 s0, exec_lo
	s_wait_loadcnt 0x0
	ds_store_b64 v1, v[98:99]
	s_wait_storecnt_dscnt 0x0
	s_barrier_signal -1
	s_barrier_wait -1
	s_wait_xcnt 0x0
	v_cmpx_gt_u32_e32 6, v0
	s_cbranch_execz .LBB110_520
; %bb.511:
	v_cmp_ne_u32_e32 vcc_lo, 1, v100
	s_cbranch_vccnz .LBB110_513
; %bb.512:
	scratch_load_b64 v[98:99], v59, off
	ds_load_b64 v[102:103], v1
	s_wait_loadcnt_dscnt 0x0
	v_pk_mul_f32 v[104:105], v[102:103], v[98:99] op_sel:[1,1] op_sel_hi:[0,1]
	s_delay_alu instid0(VALU_DEP_1) | instskip(SKIP_1) | instid1(VALU_DEP_2)
	v_pk_fma_f32 v[106:107], v[102:103], v[98:99], v[104:105] op_sel_hi:[1,0,1]
	v_pk_fma_f32 v[98:99], v[102:103], v[98:99], v[104:105] neg_lo:[0,0,1] neg_hi:[0,0,1]
	v_mov_b32_e32 v99, v107
	s_cbranch_execz .LBB110_514
	s_branch .LBB110_515
.LBB110_513:
                                        ; implicit-def: $vgpr98_vgpr99
.LBB110_514:
	ds_load_b64 v[98:99], v1
.LBB110_515:
	s_mov_b32 s4, exec_lo
	v_cmpx_ne_u32_e32 5, v0
	s_cbranch_execz .LBB110_519
; %bb.516:
	v_add_nc_u32_e32 v101, 0x188, v58
	v_add3_u32 v102, 0, v58, 8
	v_mov_b32_e32 v103, v0
	s_mov_b32 s5, 0
.LBB110_517:                            ; =>This Inner Loop Header: Depth=1
	scratch_load_b64 v[104:105], v102, off
	ds_load_b64 v[106:107], v101
	s_wait_xcnt 0x0
	v_dual_add_nc_u32 v101, 8, v101 :: v_dual_add_nc_u32 v102, 8, v102
	s_wait_loadcnt_dscnt 0x0
	v_pk_mul_f32 v[108:109], v[106:107], v[104:105] op_sel:[1,1] op_sel_hi:[0,1]
	s_delay_alu instid0(VALU_DEP_1) | instskip(SKIP_2) | instid1(VALU_DEP_3)
	v_pk_fma_f32 v[110:111], v[106:107], v[104:105], v[108:109] op_sel_hi:[1,0,1]
	v_add_nc_u32_e32 v103, 1, v103
	v_pk_fma_f32 v[104:105], v[106:107], v[104:105], v[108:109] neg_lo:[0,0,1] neg_hi:[0,0,1]
	v_mov_b32_e32 v105, v111
	s_delay_alu instid0(VALU_DEP_3) | instskip(NEXT) | instid1(VALU_DEP_2)
	v_cmp_lt_u32_e32 vcc_lo, 4, v103
	v_pk_add_f32 v[98:99], v[98:99], v[104:105]
	s_or_b32 s5, vcc_lo, s5
	s_delay_alu instid0(SALU_CYCLE_1)
	s_and_not1_b32 exec_lo, exec_lo, s5
	s_cbranch_execnz .LBB110_517
; %bb.518:
	s_or_b32 exec_lo, exec_lo, s5
.LBB110_519:
	s_delay_alu instid0(SALU_CYCLE_1) | instskip(SKIP_4) | instid1(VALU_DEP_1)
	s_or_b32 exec_lo, exec_lo, s4
	v_mov_b32_e32 v101, 0
	ds_load_b64 v[102:103], v101 offset:48
	s_wait_dscnt 0x0
	v_pk_mul_f32 v[104:105], v[98:99], v[102:103] op_sel:[1,1] op_sel_hi:[0,1]
	v_pk_fma_f32 v[106:107], v[98:99], v[102:103], v[104:105] op_sel_hi:[1,0,1]
	v_pk_fma_f32 v[98:99], v[98:99], v[102:103], v[104:105] neg_lo:[0,0,1] neg_hi:[0,0,1]
	s_delay_alu instid0(VALU_DEP_2)
	v_mov_b32_e32 v99, v107
	scratch_store_b64 off, v[98:99], off offset:48
.LBB110_520:
	s_wait_xcnt 0x0
	s_or_b32 exec_lo, exec_lo, s0
	scratch_load_b64 v[98:99], off, off offset:56
	s_mov_b32 s0, exec_lo
	s_wait_loadcnt 0x0
	ds_store_b64 v1, v[98:99]
	s_wait_storecnt_dscnt 0x0
	s_barrier_signal -1
	s_barrier_wait -1
	s_wait_xcnt 0x0
	v_cmpx_gt_u32_e32 7, v0
	s_cbranch_execz .LBB110_530
; %bb.521:
	v_cmp_ne_u32_e32 vcc_lo, 1, v100
	s_cbranch_vccnz .LBB110_523
; %bb.522:
	scratch_load_b64 v[98:99], v59, off
	ds_load_b64 v[102:103], v1
	s_wait_loadcnt_dscnt 0x0
	v_pk_mul_f32 v[104:105], v[102:103], v[98:99] op_sel:[1,1] op_sel_hi:[0,1]
	s_delay_alu instid0(VALU_DEP_1) | instskip(SKIP_1) | instid1(VALU_DEP_2)
	v_pk_fma_f32 v[106:107], v[102:103], v[98:99], v[104:105] op_sel_hi:[1,0,1]
	v_pk_fma_f32 v[98:99], v[102:103], v[98:99], v[104:105] neg_lo:[0,0,1] neg_hi:[0,0,1]
	v_mov_b32_e32 v99, v107
	s_cbranch_execz .LBB110_524
	s_branch .LBB110_525
.LBB110_523:
                                        ; implicit-def: $vgpr98_vgpr99
.LBB110_524:
	ds_load_b64 v[98:99], v1
.LBB110_525:
	s_mov_b32 s4, exec_lo
	v_cmpx_ne_u32_e32 6, v0
	s_cbranch_execz .LBB110_529
; %bb.526:
	v_add_nc_u32_e32 v101, 0x188, v58
	v_add3_u32 v102, 0, v58, 8
	v_mov_b32_e32 v103, v0
	s_mov_b32 s5, 0
.LBB110_527:                            ; =>This Inner Loop Header: Depth=1
	scratch_load_b64 v[104:105], v102, off
	ds_load_b64 v[106:107], v101
	s_wait_xcnt 0x0
	v_dual_add_nc_u32 v101, 8, v101 :: v_dual_add_nc_u32 v102, 8, v102
	s_wait_loadcnt_dscnt 0x0
	v_pk_mul_f32 v[108:109], v[106:107], v[104:105] op_sel:[1,1] op_sel_hi:[0,1]
	s_delay_alu instid0(VALU_DEP_1) | instskip(SKIP_2) | instid1(VALU_DEP_3)
	v_pk_fma_f32 v[110:111], v[106:107], v[104:105], v[108:109] op_sel_hi:[1,0,1]
	v_add_nc_u32_e32 v103, 1, v103
	v_pk_fma_f32 v[104:105], v[106:107], v[104:105], v[108:109] neg_lo:[0,0,1] neg_hi:[0,0,1]
	v_mov_b32_e32 v105, v111
	s_delay_alu instid0(VALU_DEP_3) | instskip(NEXT) | instid1(VALU_DEP_2)
	v_cmp_lt_u32_e32 vcc_lo, 5, v103
	v_pk_add_f32 v[98:99], v[98:99], v[104:105]
	s_or_b32 s5, vcc_lo, s5
	s_delay_alu instid0(SALU_CYCLE_1)
	s_and_not1_b32 exec_lo, exec_lo, s5
	s_cbranch_execnz .LBB110_527
; %bb.528:
	s_or_b32 exec_lo, exec_lo, s5
.LBB110_529:
	s_delay_alu instid0(SALU_CYCLE_1) | instskip(SKIP_4) | instid1(VALU_DEP_1)
	s_or_b32 exec_lo, exec_lo, s4
	v_mov_b32_e32 v101, 0
	ds_load_b64 v[102:103], v101 offset:56
	s_wait_dscnt 0x0
	v_pk_mul_f32 v[104:105], v[98:99], v[102:103] op_sel:[1,1] op_sel_hi:[0,1]
	v_pk_fma_f32 v[106:107], v[98:99], v[102:103], v[104:105] op_sel_hi:[1,0,1]
	v_pk_fma_f32 v[98:99], v[98:99], v[102:103], v[104:105] neg_lo:[0,0,1] neg_hi:[0,0,1]
	s_delay_alu instid0(VALU_DEP_2)
	v_mov_b32_e32 v99, v107
	scratch_store_b64 off, v[98:99], off offset:56
.LBB110_530:
	s_wait_xcnt 0x0
	s_or_b32 exec_lo, exec_lo, s0
	scratch_load_b64 v[98:99], off, off offset:64
	s_mov_b32 s0, exec_lo
	s_wait_loadcnt 0x0
	ds_store_b64 v1, v[98:99]
	s_wait_storecnt_dscnt 0x0
	s_barrier_signal -1
	s_barrier_wait -1
	s_wait_xcnt 0x0
	v_cmpx_gt_u32_e32 8, v0
	s_cbranch_execz .LBB110_540
; %bb.531:
	v_cmp_ne_u32_e32 vcc_lo, 1, v100
	s_cbranch_vccnz .LBB110_533
; %bb.532:
	scratch_load_b64 v[98:99], v59, off
	ds_load_b64 v[102:103], v1
	s_wait_loadcnt_dscnt 0x0
	v_pk_mul_f32 v[104:105], v[102:103], v[98:99] op_sel:[1,1] op_sel_hi:[0,1]
	s_delay_alu instid0(VALU_DEP_1) | instskip(SKIP_1) | instid1(VALU_DEP_2)
	v_pk_fma_f32 v[106:107], v[102:103], v[98:99], v[104:105] op_sel_hi:[1,0,1]
	v_pk_fma_f32 v[98:99], v[102:103], v[98:99], v[104:105] neg_lo:[0,0,1] neg_hi:[0,0,1]
	v_mov_b32_e32 v99, v107
	s_cbranch_execz .LBB110_534
	s_branch .LBB110_535
.LBB110_533:
                                        ; implicit-def: $vgpr98_vgpr99
.LBB110_534:
	ds_load_b64 v[98:99], v1
.LBB110_535:
	s_mov_b32 s4, exec_lo
	v_cmpx_ne_u32_e32 7, v0
	s_cbranch_execz .LBB110_539
; %bb.536:
	v_add_nc_u32_e32 v101, 0x188, v58
	v_add3_u32 v102, 0, v58, 8
	v_mov_b32_e32 v103, v0
	s_mov_b32 s5, 0
.LBB110_537:                            ; =>This Inner Loop Header: Depth=1
	scratch_load_b64 v[104:105], v102, off
	ds_load_b64 v[106:107], v101
	s_wait_xcnt 0x0
	v_dual_add_nc_u32 v101, 8, v101 :: v_dual_add_nc_u32 v102, 8, v102
	s_wait_loadcnt_dscnt 0x0
	v_pk_mul_f32 v[108:109], v[106:107], v[104:105] op_sel:[1,1] op_sel_hi:[0,1]
	s_delay_alu instid0(VALU_DEP_1) | instskip(SKIP_2) | instid1(VALU_DEP_3)
	v_pk_fma_f32 v[110:111], v[106:107], v[104:105], v[108:109] op_sel_hi:[1,0,1]
	v_add_nc_u32_e32 v103, 1, v103
	v_pk_fma_f32 v[104:105], v[106:107], v[104:105], v[108:109] neg_lo:[0,0,1] neg_hi:[0,0,1]
	v_mov_b32_e32 v105, v111
	s_delay_alu instid0(VALU_DEP_3) | instskip(NEXT) | instid1(VALU_DEP_2)
	v_cmp_lt_u32_e32 vcc_lo, 6, v103
	v_pk_add_f32 v[98:99], v[98:99], v[104:105]
	s_or_b32 s5, vcc_lo, s5
	s_delay_alu instid0(SALU_CYCLE_1)
	s_and_not1_b32 exec_lo, exec_lo, s5
	s_cbranch_execnz .LBB110_537
; %bb.538:
	s_or_b32 exec_lo, exec_lo, s5
.LBB110_539:
	s_delay_alu instid0(SALU_CYCLE_1) | instskip(SKIP_4) | instid1(VALU_DEP_1)
	s_or_b32 exec_lo, exec_lo, s4
	v_mov_b32_e32 v101, 0
	ds_load_b64 v[102:103], v101 offset:64
	s_wait_dscnt 0x0
	v_pk_mul_f32 v[104:105], v[98:99], v[102:103] op_sel:[1,1] op_sel_hi:[0,1]
	v_pk_fma_f32 v[106:107], v[98:99], v[102:103], v[104:105] op_sel_hi:[1,0,1]
	v_pk_fma_f32 v[98:99], v[98:99], v[102:103], v[104:105] neg_lo:[0,0,1] neg_hi:[0,0,1]
	s_delay_alu instid0(VALU_DEP_2)
	v_mov_b32_e32 v99, v107
	scratch_store_b64 off, v[98:99], off offset:64
.LBB110_540:
	s_wait_xcnt 0x0
	s_or_b32 exec_lo, exec_lo, s0
	scratch_load_b64 v[98:99], off, off offset:72
	s_mov_b32 s0, exec_lo
	s_wait_loadcnt 0x0
	ds_store_b64 v1, v[98:99]
	s_wait_storecnt_dscnt 0x0
	s_barrier_signal -1
	s_barrier_wait -1
	s_wait_xcnt 0x0
	v_cmpx_gt_u32_e32 9, v0
	s_cbranch_execz .LBB110_550
; %bb.541:
	v_cmp_ne_u32_e32 vcc_lo, 1, v100
	s_cbranch_vccnz .LBB110_543
; %bb.542:
	scratch_load_b64 v[98:99], v59, off
	ds_load_b64 v[102:103], v1
	s_wait_loadcnt_dscnt 0x0
	v_pk_mul_f32 v[104:105], v[102:103], v[98:99] op_sel:[1,1] op_sel_hi:[0,1]
	s_delay_alu instid0(VALU_DEP_1) | instskip(SKIP_1) | instid1(VALU_DEP_2)
	v_pk_fma_f32 v[106:107], v[102:103], v[98:99], v[104:105] op_sel_hi:[1,0,1]
	v_pk_fma_f32 v[98:99], v[102:103], v[98:99], v[104:105] neg_lo:[0,0,1] neg_hi:[0,0,1]
	v_mov_b32_e32 v99, v107
	s_cbranch_execz .LBB110_544
	s_branch .LBB110_545
.LBB110_543:
                                        ; implicit-def: $vgpr98_vgpr99
.LBB110_544:
	ds_load_b64 v[98:99], v1
.LBB110_545:
	s_mov_b32 s4, exec_lo
	v_cmpx_ne_u32_e32 8, v0
	s_cbranch_execz .LBB110_549
; %bb.546:
	v_add_nc_u32_e32 v101, 0x188, v58
	v_add3_u32 v102, 0, v58, 8
	v_mov_b32_e32 v103, v0
	s_mov_b32 s5, 0
.LBB110_547:                            ; =>This Inner Loop Header: Depth=1
	scratch_load_b64 v[104:105], v102, off
	ds_load_b64 v[106:107], v101
	s_wait_xcnt 0x0
	v_dual_add_nc_u32 v101, 8, v101 :: v_dual_add_nc_u32 v102, 8, v102
	s_wait_loadcnt_dscnt 0x0
	v_pk_mul_f32 v[108:109], v[106:107], v[104:105] op_sel:[1,1] op_sel_hi:[0,1]
	s_delay_alu instid0(VALU_DEP_1) | instskip(SKIP_2) | instid1(VALU_DEP_3)
	v_pk_fma_f32 v[110:111], v[106:107], v[104:105], v[108:109] op_sel_hi:[1,0,1]
	v_add_nc_u32_e32 v103, 1, v103
	v_pk_fma_f32 v[104:105], v[106:107], v[104:105], v[108:109] neg_lo:[0,0,1] neg_hi:[0,0,1]
	v_mov_b32_e32 v105, v111
	s_delay_alu instid0(VALU_DEP_3) | instskip(NEXT) | instid1(VALU_DEP_2)
	v_cmp_lt_u32_e32 vcc_lo, 7, v103
	v_pk_add_f32 v[98:99], v[98:99], v[104:105]
	s_or_b32 s5, vcc_lo, s5
	s_delay_alu instid0(SALU_CYCLE_1)
	s_and_not1_b32 exec_lo, exec_lo, s5
	s_cbranch_execnz .LBB110_547
; %bb.548:
	s_or_b32 exec_lo, exec_lo, s5
.LBB110_549:
	s_delay_alu instid0(SALU_CYCLE_1) | instskip(SKIP_4) | instid1(VALU_DEP_1)
	s_or_b32 exec_lo, exec_lo, s4
	v_mov_b32_e32 v101, 0
	ds_load_b64 v[102:103], v101 offset:72
	s_wait_dscnt 0x0
	v_pk_mul_f32 v[104:105], v[98:99], v[102:103] op_sel:[1,1] op_sel_hi:[0,1]
	v_pk_fma_f32 v[106:107], v[98:99], v[102:103], v[104:105] op_sel_hi:[1,0,1]
	v_pk_fma_f32 v[98:99], v[98:99], v[102:103], v[104:105] neg_lo:[0,0,1] neg_hi:[0,0,1]
	s_delay_alu instid0(VALU_DEP_2)
	v_mov_b32_e32 v99, v107
	scratch_store_b64 off, v[98:99], off offset:72
.LBB110_550:
	s_wait_xcnt 0x0
	s_or_b32 exec_lo, exec_lo, s0
	scratch_load_b64 v[98:99], off, off offset:80
	s_mov_b32 s0, exec_lo
	s_wait_loadcnt 0x0
	ds_store_b64 v1, v[98:99]
	s_wait_storecnt_dscnt 0x0
	s_barrier_signal -1
	s_barrier_wait -1
	s_wait_xcnt 0x0
	v_cmpx_gt_u32_e32 10, v0
	s_cbranch_execz .LBB110_560
; %bb.551:
	v_cmp_ne_u32_e32 vcc_lo, 1, v100
	s_cbranch_vccnz .LBB110_553
; %bb.552:
	scratch_load_b64 v[98:99], v59, off
	ds_load_b64 v[102:103], v1
	s_wait_loadcnt_dscnt 0x0
	v_pk_mul_f32 v[104:105], v[102:103], v[98:99] op_sel:[1,1] op_sel_hi:[0,1]
	s_delay_alu instid0(VALU_DEP_1) | instskip(SKIP_1) | instid1(VALU_DEP_2)
	v_pk_fma_f32 v[106:107], v[102:103], v[98:99], v[104:105] op_sel_hi:[1,0,1]
	v_pk_fma_f32 v[98:99], v[102:103], v[98:99], v[104:105] neg_lo:[0,0,1] neg_hi:[0,0,1]
	v_mov_b32_e32 v99, v107
	s_cbranch_execz .LBB110_554
	s_branch .LBB110_555
.LBB110_553:
                                        ; implicit-def: $vgpr98_vgpr99
.LBB110_554:
	ds_load_b64 v[98:99], v1
.LBB110_555:
	s_mov_b32 s4, exec_lo
	v_cmpx_ne_u32_e32 9, v0
	s_cbranch_execz .LBB110_559
; %bb.556:
	v_add_nc_u32_e32 v101, 0x188, v58
	v_add3_u32 v102, 0, v58, 8
	v_mov_b32_e32 v103, v0
	s_mov_b32 s5, 0
.LBB110_557:                            ; =>This Inner Loop Header: Depth=1
	scratch_load_b64 v[104:105], v102, off
	ds_load_b64 v[106:107], v101
	s_wait_xcnt 0x0
	v_dual_add_nc_u32 v101, 8, v101 :: v_dual_add_nc_u32 v102, 8, v102
	s_wait_loadcnt_dscnt 0x0
	v_pk_mul_f32 v[108:109], v[106:107], v[104:105] op_sel:[1,1] op_sel_hi:[0,1]
	s_delay_alu instid0(VALU_DEP_1) | instskip(SKIP_2) | instid1(VALU_DEP_3)
	v_pk_fma_f32 v[110:111], v[106:107], v[104:105], v[108:109] op_sel_hi:[1,0,1]
	v_add_nc_u32_e32 v103, 1, v103
	v_pk_fma_f32 v[104:105], v[106:107], v[104:105], v[108:109] neg_lo:[0,0,1] neg_hi:[0,0,1]
	v_mov_b32_e32 v105, v111
	s_delay_alu instid0(VALU_DEP_3) | instskip(NEXT) | instid1(VALU_DEP_2)
	v_cmp_lt_u32_e32 vcc_lo, 8, v103
	v_pk_add_f32 v[98:99], v[98:99], v[104:105]
	s_or_b32 s5, vcc_lo, s5
	s_delay_alu instid0(SALU_CYCLE_1)
	s_and_not1_b32 exec_lo, exec_lo, s5
	s_cbranch_execnz .LBB110_557
; %bb.558:
	s_or_b32 exec_lo, exec_lo, s5
.LBB110_559:
	s_delay_alu instid0(SALU_CYCLE_1) | instskip(SKIP_4) | instid1(VALU_DEP_1)
	s_or_b32 exec_lo, exec_lo, s4
	v_mov_b32_e32 v101, 0
	ds_load_b64 v[102:103], v101 offset:80
	s_wait_dscnt 0x0
	v_pk_mul_f32 v[104:105], v[98:99], v[102:103] op_sel:[1,1] op_sel_hi:[0,1]
	v_pk_fma_f32 v[106:107], v[98:99], v[102:103], v[104:105] op_sel_hi:[1,0,1]
	v_pk_fma_f32 v[98:99], v[98:99], v[102:103], v[104:105] neg_lo:[0,0,1] neg_hi:[0,0,1]
	s_delay_alu instid0(VALU_DEP_2)
	v_mov_b32_e32 v99, v107
	scratch_store_b64 off, v[98:99], off offset:80
.LBB110_560:
	s_wait_xcnt 0x0
	s_or_b32 exec_lo, exec_lo, s0
	scratch_load_b64 v[98:99], off, off offset:88
	s_mov_b32 s0, exec_lo
	s_wait_loadcnt 0x0
	ds_store_b64 v1, v[98:99]
	s_wait_storecnt_dscnt 0x0
	s_barrier_signal -1
	s_barrier_wait -1
	s_wait_xcnt 0x0
	v_cmpx_gt_u32_e32 11, v0
	s_cbranch_execz .LBB110_570
; %bb.561:
	v_cmp_ne_u32_e32 vcc_lo, 1, v100
	s_cbranch_vccnz .LBB110_563
; %bb.562:
	scratch_load_b64 v[98:99], v59, off
	ds_load_b64 v[102:103], v1
	s_wait_loadcnt_dscnt 0x0
	v_pk_mul_f32 v[104:105], v[102:103], v[98:99] op_sel:[1,1] op_sel_hi:[0,1]
	s_delay_alu instid0(VALU_DEP_1) | instskip(SKIP_1) | instid1(VALU_DEP_2)
	v_pk_fma_f32 v[106:107], v[102:103], v[98:99], v[104:105] op_sel_hi:[1,0,1]
	v_pk_fma_f32 v[98:99], v[102:103], v[98:99], v[104:105] neg_lo:[0,0,1] neg_hi:[0,0,1]
	v_mov_b32_e32 v99, v107
	s_cbranch_execz .LBB110_564
	s_branch .LBB110_565
.LBB110_563:
                                        ; implicit-def: $vgpr98_vgpr99
.LBB110_564:
	ds_load_b64 v[98:99], v1
.LBB110_565:
	s_mov_b32 s4, exec_lo
	v_cmpx_ne_u32_e32 10, v0
	s_cbranch_execz .LBB110_569
; %bb.566:
	v_add_nc_u32_e32 v101, 0x188, v58
	v_add3_u32 v102, 0, v58, 8
	v_mov_b32_e32 v103, v0
	s_mov_b32 s5, 0
.LBB110_567:                            ; =>This Inner Loop Header: Depth=1
	scratch_load_b64 v[104:105], v102, off
	ds_load_b64 v[106:107], v101
	s_wait_xcnt 0x0
	v_dual_add_nc_u32 v101, 8, v101 :: v_dual_add_nc_u32 v102, 8, v102
	s_wait_loadcnt_dscnt 0x0
	v_pk_mul_f32 v[108:109], v[106:107], v[104:105] op_sel:[1,1] op_sel_hi:[0,1]
	s_delay_alu instid0(VALU_DEP_1) | instskip(SKIP_2) | instid1(VALU_DEP_3)
	v_pk_fma_f32 v[110:111], v[106:107], v[104:105], v[108:109] op_sel_hi:[1,0,1]
	v_add_nc_u32_e32 v103, 1, v103
	v_pk_fma_f32 v[104:105], v[106:107], v[104:105], v[108:109] neg_lo:[0,0,1] neg_hi:[0,0,1]
	v_mov_b32_e32 v105, v111
	s_delay_alu instid0(VALU_DEP_3) | instskip(NEXT) | instid1(VALU_DEP_2)
	v_cmp_lt_u32_e32 vcc_lo, 9, v103
	v_pk_add_f32 v[98:99], v[98:99], v[104:105]
	s_or_b32 s5, vcc_lo, s5
	s_delay_alu instid0(SALU_CYCLE_1)
	s_and_not1_b32 exec_lo, exec_lo, s5
	s_cbranch_execnz .LBB110_567
; %bb.568:
	s_or_b32 exec_lo, exec_lo, s5
.LBB110_569:
	s_delay_alu instid0(SALU_CYCLE_1) | instskip(SKIP_4) | instid1(VALU_DEP_1)
	s_or_b32 exec_lo, exec_lo, s4
	v_mov_b32_e32 v101, 0
	ds_load_b64 v[102:103], v101 offset:88
	s_wait_dscnt 0x0
	v_pk_mul_f32 v[104:105], v[98:99], v[102:103] op_sel:[1,1] op_sel_hi:[0,1]
	v_pk_fma_f32 v[106:107], v[98:99], v[102:103], v[104:105] op_sel_hi:[1,0,1]
	v_pk_fma_f32 v[98:99], v[98:99], v[102:103], v[104:105] neg_lo:[0,0,1] neg_hi:[0,0,1]
	s_delay_alu instid0(VALU_DEP_2)
	v_mov_b32_e32 v99, v107
	scratch_store_b64 off, v[98:99], off offset:88
.LBB110_570:
	s_wait_xcnt 0x0
	s_or_b32 exec_lo, exec_lo, s0
	scratch_load_b64 v[98:99], off, off offset:96
	s_mov_b32 s0, exec_lo
	s_wait_loadcnt 0x0
	ds_store_b64 v1, v[98:99]
	s_wait_storecnt_dscnt 0x0
	s_barrier_signal -1
	s_barrier_wait -1
	s_wait_xcnt 0x0
	v_cmpx_gt_u32_e32 12, v0
	s_cbranch_execz .LBB110_580
; %bb.571:
	v_cmp_ne_u32_e32 vcc_lo, 1, v100
	s_cbranch_vccnz .LBB110_573
; %bb.572:
	scratch_load_b64 v[98:99], v59, off
	ds_load_b64 v[102:103], v1
	s_wait_loadcnt_dscnt 0x0
	v_pk_mul_f32 v[104:105], v[102:103], v[98:99] op_sel:[1,1] op_sel_hi:[0,1]
	s_delay_alu instid0(VALU_DEP_1) | instskip(SKIP_1) | instid1(VALU_DEP_2)
	v_pk_fma_f32 v[106:107], v[102:103], v[98:99], v[104:105] op_sel_hi:[1,0,1]
	v_pk_fma_f32 v[98:99], v[102:103], v[98:99], v[104:105] neg_lo:[0,0,1] neg_hi:[0,0,1]
	v_mov_b32_e32 v99, v107
	s_cbranch_execz .LBB110_574
	s_branch .LBB110_575
.LBB110_573:
                                        ; implicit-def: $vgpr98_vgpr99
.LBB110_574:
	ds_load_b64 v[98:99], v1
.LBB110_575:
	s_mov_b32 s4, exec_lo
	v_cmpx_ne_u32_e32 11, v0
	s_cbranch_execz .LBB110_579
; %bb.576:
	v_add_nc_u32_e32 v101, 0x188, v58
	v_add3_u32 v102, 0, v58, 8
	v_mov_b32_e32 v103, v0
	s_mov_b32 s5, 0
.LBB110_577:                            ; =>This Inner Loop Header: Depth=1
	scratch_load_b64 v[104:105], v102, off
	ds_load_b64 v[106:107], v101
	s_wait_xcnt 0x0
	v_dual_add_nc_u32 v101, 8, v101 :: v_dual_add_nc_u32 v102, 8, v102
	s_wait_loadcnt_dscnt 0x0
	v_pk_mul_f32 v[108:109], v[106:107], v[104:105] op_sel:[1,1] op_sel_hi:[0,1]
	s_delay_alu instid0(VALU_DEP_1) | instskip(SKIP_2) | instid1(VALU_DEP_3)
	v_pk_fma_f32 v[110:111], v[106:107], v[104:105], v[108:109] op_sel_hi:[1,0,1]
	v_add_nc_u32_e32 v103, 1, v103
	v_pk_fma_f32 v[104:105], v[106:107], v[104:105], v[108:109] neg_lo:[0,0,1] neg_hi:[0,0,1]
	v_mov_b32_e32 v105, v111
	s_delay_alu instid0(VALU_DEP_3) | instskip(NEXT) | instid1(VALU_DEP_2)
	v_cmp_lt_u32_e32 vcc_lo, 10, v103
	v_pk_add_f32 v[98:99], v[98:99], v[104:105]
	s_or_b32 s5, vcc_lo, s5
	s_delay_alu instid0(SALU_CYCLE_1)
	s_and_not1_b32 exec_lo, exec_lo, s5
	s_cbranch_execnz .LBB110_577
; %bb.578:
	s_or_b32 exec_lo, exec_lo, s5
.LBB110_579:
	s_delay_alu instid0(SALU_CYCLE_1) | instskip(SKIP_4) | instid1(VALU_DEP_1)
	s_or_b32 exec_lo, exec_lo, s4
	v_mov_b32_e32 v101, 0
	ds_load_b64 v[102:103], v101 offset:96
	s_wait_dscnt 0x0
	v_pk_mul_f32 v[104:105], v[98:99], v[102:103] op_sel:[1,1] op_sel_hi:[0,1]
	v_pk_fma_f32 v[106:107], v[98:99], v[102:103], v[104:105] op_sel_hi:[1,0,1]
	v_pk_fma_f32 v[98:99], v[98:99], v[102:103], v[104:105] neg_lo:[0,0,1] neg_hi:[0,0,1]
	s_delay_alu instid0(VALU_DEP_2)
	v_mov_b32_e32 v99, v107
	scratch_store_b64 off, v[98:99], off offset:96
.LBB110_580:
	s_wait_xcnt 0x0
	s_or_b32 exec_lo, exec_lo, s0
	scratch_load_b64 v[98:99], off, off offset:104
	s_mov_b32 s0, exec_lo
	s_wait_loadcnt 0x0
	ds_store_b64 v1, v[98:99]
	s_wait_storecnt_dscnt 0x0
	s_barrier_signal -1
	s_barrier_wait -1
	s_wait_xcnt 0x0
	v_cmpx_gt_u32_e32 13, v0
	s_cbranch_execz .LBB110_590
; %bb.581:
	v_cmp_ne_u32_e32 vcc_lo, 1, v100
	s_cbranch_vccnz .LBB110_583
; %bb.582:
	scratch_load_b64 v[98:99], v59, off
	ds_load_b64 v[102:103], v1
	s_wait_loadcnt_dscnt 0x0
	v_pk_mul_f32 v[104:105], v[102:103], v[98:99] op_sel:[1,1] op_sel_hi:[0,1]
	s_delay_alu instid0(VALU_DEP_1) | instskip(SKIP_1) | instid1(VALU_DEP_2)
	v_pk_fma_f32 v[106:107], v[102:103], v[98:99], v[104:105] op_sel_hi:[1,0,1]
	v_pk_fma_f32 v[98:99], v[102:103], v[98:99], v[104:105] neg_lo:[0,0,1] neg_hi:[0,0,1]
	v_mov_b32_e32 v99, v107
	s_cbranch_execz .LBB110_584
	s_branch .LBB110_585
.LBB110_583:
                                        ; implicit-def: $vgpr98_vgpr99
.LBB110_584:
	ds_load_b64 v[98:99], v1
.LBB110_585:
	s_mov_b32 s4, exec_lo
	v_cmpx_ne_u32_e32 12, v0
	s_cbranch_execz .LBB110_589
; %bb.586:
	v_add_nc_u32_e32 v101, 0x188, v58
	v_add3_u32 v102, 0, v58, 8
	v_mov_b32_e32 v103, v0
	s_mov_b32 s5, 0
.LBB110_587:                            ; =>This Inner Loop Header: Depth=1
	scratch_load_b64 v[104:105], v102, off
	ds_load_b64 v[106:107], v101
	s_wait_xcnt 0x0
	v_dual_add_nc_u32 v101, 8, v101 :: v_dual_add_nc_u32 v102, 8, v102
	s_wait_loadcnt_dscnt 0x0
	v_pk_mul_f32 v[108:109], v[106:107], v[104:105] op_sel:[1,1] op_sel_hi:[0,1]
	s_delay_alu instid0(VALU_DEP_1) | instskip(SKIP_2) | instid1(VALU_DEP_3)
	v_pk_fma_f32 v[110:111], v[106:107], v[104:105], v[108:109] op_sel_hi:[1,0,1]
	v_add_nc_u32_e32 v103, 1, v103
	v_pk_fma_f32 v[104:105], v[106:107], v[104:105], v[108:109] neg_lo:[0,0,1] neg_hi:[0,0,1]
	v_mov_b32_e32 v105, v111
	s_delay_alu instid0(VALU_DEP_3) | instskip(NEXT) | instid1(VALU_DEP_2)
	v_cmp_lt_u32_e32 vcc_lo, 11, v103
	v_pk_add_f32 v[98:99], v[98:99], v[104:105]
	s_or_b32 s5, vcc_lo, s5
	s_delay_alu instid0(SALU_CYCLE_1)
	s_and_not1_b32 exec_lo, exec_lo, s5
	s_cbranch_execnz .LBB110_587
; %bb.588:
	s_or_b32 exec_lo, exec_lo, s5
.LBB110_589:
	s_delay_alu instid0(SALU_CYCLE_1) | instskip(SKIP_4) | instid1(VALU_DEP_1)
	s_or_b32 exec_lo, exec_lo, s4
	v_mov_b32_e32 v101, 0
	ds_load_b64 v[102:103], v101 offset:104
	s_wait_dscnt 0x0
	v_pk_mul_f32 v[104:105], v[98:99], v[102:103] op_sel:[1,1] op_sel_hi:[0,1]
	v_pk_fma_f32 v[106:107], v[98:99], v[102:103], v[104:105] op_sel_hi:[1,0,1]
	v_pk_fma_f32 v[98:99], v[98:99], v[102:103], v[104:105] neg_lo:[0,0,1] neg_hi:[0,0,1]
	s_delay_alu instid0(VALU_DEP_2)
	v_mov_b32_e32 v99, v107
	scratch_store_b64 off, v[98:99], off offset:104
.LBB110_590:
	s_wait_xcnt 0x0
	s_or_b32 exec_lo, exec_lo, s0
	scratch_load_b64 v[98:99], off, off offset:112
	s_mov_b32 s0, exec_lo
	s_wait_loadcnt 0x0
	ds_store_b64 v1, v[98:99]
	s_wait_storecnt_dscnt 0x0
	s_barrier_signal -1
	s_barrier_wait -1
	s_wait_xcnt 0x0
	v_cmpx_gt_u32_e32 14, v0
	s_cbranch_execz .LBB110_600
; %bb.591:
	v_cmp_ne_u32_e32 vcc_lo, 1, v100
	s_cbranch_vccnz .LBB110_593
; %bb.592:
	scratch_load_b64 v[98:99], v59, off
	ds_load_b64 v[102:103], v1
	s_wait_loadcnt_dscnt 0x0
	v_pk_mul_f32 v[104:105], v[102:103], v[98:99] op_sel:[1,1] op_sel_hi:[0,1]
	s_delay_alu instid0(VALU_DEP_1) | instskip(SKIP_1) | instid1(VALU_DEP_2)
	v_pk_fma_f32 v[106:107], v[102:103], v[98:99], v[104:105] op_sel_hi:[1,0,1]
	v_pk_fma_f32 v[98:99], v[102:103], v[98:99], v[104:105] neg_lo:[0,0,1] neg_hi:[0,0,1]
	v_mov_b32_e32 v99, v107
	s_cbranch_execz .LBB110_594
	s_branch .LBB110_595
.LBB110_593:
                                        ; implicit-def: $vgpr98_vgpr99
.LBB110_594:
	ds_load_b64 v[98:99], v1
.LBB110_595:
	s_mov_b32 s4, exec_lo
	v_cmpx_ne_u32_e32 13, v0
	s_cbranch_execz .LBB110_599
; %bb.596:
	v_add_nc_u32_e32 v101, 0x188, v58
	v_add3_u32 v102, 0, v58, 8
	v_mov_b32_e32 v103, v0
	s_mov_b32 s5, 0
.LBB110_597:                            ; =>This Inner Loop Header: Depth=1
	scratch_load_b64 v[104:105], v102, off
	ds_load_b64 v[106:107], v101
	s_wait_xcnt 0x0
	v_dual_add_nc_u32 v101, 8, v101 :: v_dual_add_nc_u32 v102, 8, v102
	s_wait_loadcnt_dscnt 0x0
	v_pk_mul_f32 v[108:109], v[106:107], v[104:105] op_sel:[1,1] op_sel_hi:[0,1]
	s_delay_alu instid0(VALU_DEP_1) | instskip(SKIP_2) | instid1(VALU_DEP_3)
	v_pk_fma_f32 v[110:111], v[106:107], v[104:105], v[108:109] op_sel_hi:[1,0,1]
	v_add_nc_u32_e32 v103, 1, v103
	v_pk_fma_f32 v[104:105], v[106:107], v[104:105], v[108:109] neg_lo:[0,0,1] neg_hi:[0,0,1]
	v_mov_b32_e32 v105, v111
	s_delay_alu instid0(VALU_DEP_3) | instskip(NEXT) | instid1(VALU_DEP_2)
	v_cmp_lt_u32_e32 vcc_lo, 12, v103
	v_pk_add_f32 v[98:99], v[98:99], v[104:105]
	s_or_b32 s5, vcc_lo, s5
	s_delay_alu instid0(SALU_CYCLE_1)
	s_and_not1_b32 exec_lo, exec_lo, s5
	s_cbranch_execnz .LBB110_597
; %bb.598:
	s_or_b32 exec_lo, exec_lo, s5
.LBB110_599:
	s_delay_alu instid0(SALU_CYCLE_1) | instskip(SKIP_4) | instid1(VALU_DEP_1)
	s_or_b32 exec_lo, exec_lo, s4
	v_mov_b32_e32 v101, 0
	ds_load_b64 v[102:103], v101 offset:112
	s_wait_dscnt 0x0
	v_pk_mul_f32 v[104:105], v[98:99], v[102:103] op_sel:[1,1] op_sel_hi:[0,1]
	v_pk_fma_f32 v[106:107], v[98:99], v[102:103], v[104:105] op_sel_hi:[1,0,1]
	v_pk_fma_f32 v[98:99], v[98:99], v[102:103], v[104:105] neg_lo:[0,0,1] neg_hi:[0,0,1]
	s_delay_alu instid0(VALU_DEP_2)
	v_mov_b32_e32 v99, v107
	scratch_store_b64 off, v[98:99], off offset:112
.LBB110_600:
	s_wait_xcnt 0x0
	s_or_b32 exec_lo, exec_lo, s0
	scratch_load_b64 v[98:99], off, off offset:120
	s_mov_b32 s0, exec_lo
	s_wait_loadcnt 0x0
	ds_store_b64 v1, v[98:99]
	s_wait_storecnt_dscnt 0x0
	s_barrier_signal -1
	s_barrier_wait -1
	s_wait_xcnt 0x0
	v_cmpx_gt_u32_e32 15, v0
	s_cbranch_execz .LBB110_610
; %bb.601:
	v_cmp_ne_u32_e32 vcc_lo, 1, v100
	s_cbranch_vccnz .LBB110_603
; %bb.602:
	scratch_load_b64 v[98:99], v59, off
	ds_load_b64 v[102:103], v1
	s_wait_loadcnt_dscnt 0x0
	v_pk_mul_f32 v[104:105], v[102:103], v[98:99] op_sel:[1,1] op_sel_hi:[0,1]
	s_delay_alu instid0(VALU_DEP_1) | instskip(SKIP_1) | instid1(VALU_DEP_2)
	v_pk_fma_f32 v[106:107], v[102:103], v[98:99], v[104:105] op_sel_hi:[1,0,1]
	v_pk_fma_f32 v[98:99], v[102:103], v[98:99], v[104:105] neg_lo:[0,0,1] neg_hi:[0,0,1]
	v_mov_b32_e32 v99, v107
	s_cbranch_execz .LBB110_604
	s_branch .LBB110_605
.LBB110_603:
                                        ; implicit-def: $vgpr98_vgpr99
.LBB110_604:
	ds_load_b64 v[98:99], v1
.LBB110_605:
	s_mov_b32 s4, exec_lo
	v_cmpx_ne_u32_e32 14, v0
	s_cbranch_execz .LBB110_609
; %bb.606:
	v_add_nc_u32_e32 v101, 0x188, v58
	v_add3_u32 v102, 0, v58, 8
	v_mov_b32_e32 v103, v0
	s_mov_b32 s5, 0
.LBB110_607:                            ; =>This Inner Loop Header: Depth=1
	scratch_load_b64 v[104:105], v102, off
	ds_load_b64 v[106:107], v101
	s_wait_xcnt 0x0
	v_dual_add_nc_u32 v101, 8, v101 :: v_dual_add_nc_u32 v102, 8, v102
	s_wait_loadcnt_dscnt 0x0
	v_pk_mul_f32 v[108:109], v[106:107], v[104:105] op_sel:[1,1] op_sel_hi:[0,1]
	s_delay_alu instid0(VALU_DEP_1) | instskip(SKIP_2) | instid1(VALU_DEP_3)
	v_pk_fma_f32 v[110:111], v[106:107], v[104:105], v[108:109] op_sel_hi:[1,0,1]
	v_add_nc_u32_e32 v103, 1, v103
	v_pk_fma_f32 v[104:105], v[106:107], v[104:105], v[108:109] neg_lo:[0,0,1] neg_hi:[0,0,1]
	v_mov_b32_e32 v105, v111
	s_delay_alu instid0(VALU_DEP_3) | instskip(NEXT) | instid1(VALU_DEP_2)
	v_cmp_lt_u32_e32 vcc_lo, 13, v103
	v_pk_add_f32 v[98:99], v[98:99], v[104:105]
	s_or_b32 s5, vcc_lo, s5
	s_delay_alu instid0(SALU_CYCLE_1)
	s_and_not1_b32 exec_lo, exec_lo, s5
	s_cbranch_execnz .LBB110_607
; %bb.608:
	s_or_b32 exec_lo, exec_lo, s5
.LBB110_609:
	s_delay_alu instid0(SALU_CYCLE_1) | instskip(SKIP_4) | instid1(VALU_DEP_1)
	s_or_b32 exec_lo, exec_lo, s4
	v_mov_b32_e32 v101, 0
	ds_load_b64 v[102:103], v101 offset:120
	s_wait_dscnt 0x0
	v_pk_mul_f32 v[104:105], v[98:99], v[102:103] op_sel:[1,1] op_sel_hi:[0,1]
	v_pk_fma_f32 v[106:107], v[98:99], v[102:103], v[104:105] op_sel_hi:[1,0,1]
	v_pk_fma_f32 v[98:99], v[98:99], v[102:103], v[104:105] neg_lo:[0,0,1] neg_hi:[0,0,1]
	s_delay_alu instid0(VALU_DEP_2)
	v_mov_b32_e32 v99, v107
	scratch_store_b64 off, v[98:99], off offset:120
.LBB110_610:
	s_wait_xcnt 0x0
	s_or_b32 exec_lo, exec_lo, s0
	scratch_load_b64 v[98:99], off, off offset:128
	s_mov_b32 s0, exec_lo
	s_wait_loadcnt 0x0
	ds_store_b64 v1, v[98:99]
	s_wait_storecnt_dscnt 0x0
	s_barrier_signal -1
	s_barrier_wait -1
	s_wait_xcnt 0x0
	v_cmpx_gt_u32_e32 16, v0
	s_cbranch_execz .LBB110_620
; %bb.611:
	v_cmp_ne_u32_e32 vcc_lo, 1, v100
	s_cbranch_vccnz .LBB110_613
; %bb.612:
	scratch_load_b64 v[98:99], v59, off
	ds_load_b64 v[102:103], v1
	s_wait_loadcnt_dscnt 0x0
	v_pk_mul_f32 v[104:105], v[102:103], v[98:99] op_sel:[1,1] op_sel_hi:[0,1]
	s_delay_alu instid0(VALU_DEP_1) | instskip(SKIP_1) | instid1(VALU_DEP_2)
	v_pk_fma_f32 v[106:107], v[102:103], v[98:99], v[104:105] op_sel_hi:[1,0,1]
	v_pk_fma_f32 v[98:99], v[102:103], v[98:99], v[104:105] neg_lo:[0,0,1] neg_hi:[0,0,1]
	v_mov_b32_e32 v99, v107
	s_cbranch_execz .LBB110_614
	s_branch .LBB110_615
.LBB110_613:
                                        ; implicit-def: $vgpr98_vgpr99
.LBB110_614:
	ds_load_b64 v[98:99], v1
.LBB110_615:
	s_mov_b32 s4, exec_lo
	v_cmpx_ne_u32_e32 15, v0
	s_cbranch_execz .LBB110_619
; %bb.616:
	v_add_nc_u32_e32 v101, 0x188, v58
	v_add3_u32 v102, 0, v58, 8
	v_mov_b32_e32 v103, v0
	s_mov_b32 s5, 0
.LBB110_617:                            ; =>This Inner Loop Header: Depth=1
	scratch_load_b64 v[104:105], v102, off
	ds_load_b64 v[106:107], v101
	s_wait_xcnt 0x0
	v_dual_add_nc_u32 v101, 8, v101 :: v_dual_add_nc_u32 v102, 8, v102
	s_wait_loadcnt_dscnt 0x0
	v_pk_mul_f32 v[108:109], v[106:107], v[104:105] op_sel:[1,1] op_sel_hi:[0,1]
	s_delay_alu instid0(VALU_DEP_1) | instskip(SKIP_2) | instid1(VALU_DEP_3)
	v_pk_fma_f32 v[110:111], v[106:107], v[104:105], v[108:109] op_sel_hi:[1,0,1]
	v_add_nc_u32_e32 v103, 1, v103
	v_pk_fma_f32 v[104:105], v[106:107], v[104:105], v[108:109] neg_lo:[0,0,1] neg_hi:[0,0,1]
	v_mov_b32_e32 v105, v111
	s_delay_alu instid0(VALU_DEP_3) | instskip(NEXT) | instid1(VALU_DEP_2)
	v_cmp_lt_u32_e32 vcc_lo, 14, v103
	v_pk_add_f32 v[98:99], v[98:99], v[104:105]
	s_or_b32 s5, vcc_lo, s5
	s_delay_alu instid0(SALU_CYCLE_1)
	s_and_not1_b32 exec_lo, exec_lo, s5
	s_cbranch_execnz .LBB110_617
; %bb.618:
	s_or_b32 exec_lo, exec_lo, s5
.LBB110_619:
	s_delay_alu instid0(SALU_CYCLE_1) | instskip(SKIP_4) | instid1(VALU_DEP_1)
	s_or_b32 exec_lo, exec_lo, s4
	v_mov_b32_e32 v101, 0
	ds_load_b64 v[102:103], v101 offset:128
	s_wait_dscnt 0x0
	v_pk_mul_f32 v[104:105], v[98:99], v[102:103] op_sel:[1,1] op_sel_hi:[0,1]
	v_pk_fma_f32 v[106:107], v[98:99], v[102:103], v[104:105] op_sel_hi:[1,0,1]
	v_pk_fma_f32 v[98:99], v[98:99], v[102:103], v[104:105] neg_lo:[0,0,1] neg_hi:[0,0,1]
	s_delay_alu instid0(VALU_DEP_2)
	v_mov_b32_e32 v99, v107
	scratch_store_b64 off, v[98:99], off offset:128
.LBB110_620:
	s_wait_xcnt 0x0
	s_or_b32 exec_lo, exec_lo, s0
	scratch_load_b64 v[98:99], off, off offset:136
	s_mov_b32 s0, exec_lo
	s_wait_loadcnt 0x0
	ds_store_b64 v1, v[98:99]
	s_wait_storecnt_dscnt 0x0
	s_barrier_signal -1
	s_barrier_wait -1
	s_wait_xcnt 0x0
	v_cmpx_gt_u32_e32 17, v0
	s_cbranch_execz .LBB110_630
; %bb.621:
	v_cmp_ne_u32_e32 vcc_lo, 1, v100
	s_cbranch_vccnz .LBB110_623
; %bb.622:
	scratch_load_b64 v[98:99], v59, off
	ds_load_b64 v[102:103], v1
	s_wait_loadcnt_dscnt 0x0
	v_pk_mul_f32 v[104:105], v[102:103], v[98:99] op_sel:[1,1] op_sel_hi:[0,1]
	s_delay_alu instid0(VALU_DEP_1) | instskip(SKIP_1) | instid1(VALU_DEP_2)
	v_pk_fma_f32 v[106:107], v[102:103], v[98:99], v[104:105] op_sel_hi:[1,0,1]
	v_pk_fma_f32 v[98:99], v[102:103], v[98:99], v[104:105] neg_lo:[0,0,1] neg_hi:[0,0,1]
	v_mov_b32_e32 v99, v107
	s_cbranch_execz .LBB110_624
	s_branch .LBB110_625
.LBB110_623:
                                        ; implicit-def: $vgpr98_vgpr99
.LBB110_624:
	ds_load_b64 v[98:99], v1
.LBB110_625:
	s_mov_b32 s4, exec_lo
	v_cmpx_ne_u32_e32 16, v0
	s_cbranch_execz .LBB110_629
; %bb.626:
	v_add_nc_u32_e32 v101, 0x188, v58
	v_add3_u32 v102, 0, v58, 8
	v_mov_b32_e32 v103, v0
	s_mov_b32 s5, 0
.LBB110_627:                            ; =>This Inner Loop Header: Depth=1
	scratch_load_b64 v[104:105], v102, off
	ds_load_b64 v[106:107], v101
	s_wait_xcnt 0x0
	v_dual_add_nc_u32 v101, 8, v101 :: v_dual_add_nc_u32 v102, 8, v102
	s_wait_loadcnt_dscnt 0x0
	v_pk_mul_f32 v[108:109], v[106:107], v[104:105] op_sel:[1,1] op_sel_hi:[0,1]
	s_delay_alu instid0(VALU_DEP_1) | instskip(SKIP_2) | instid1(VALU_DEP_3)
	v_pk_fma_f32 v[110:111], v[106:107], v[104:105], v[108:109] op_sel_hi:[1,0,1]
	v_add_nc_u32_e32 v103, 1, v103
	v_pk_fma_f32 v[104:105], v[106:107], v[104:105], v[108:109] neg_lo:[0,0,1] neg_hi:[0,0,1]
	v_mov_b32_e32 v105, v111
	s_delay_alu instid0(VALU_DEP_3) | instskip(NEXT) | instid1(VALU_DEP_2)
	v_cmp_lt_u32_e32 vcc_lo, 15, v103
	v_pk_add_f32 v[98:99], v[98:99], v[104:105]
	s_or_b32 s5, vcc_lo, s5
	s_delay_alu instid0(SALU_CYCLE_1)
	s_and_not1_b32 exec_lo, exec_lo, s5
	s_cbranch_execnz .LBB110_627
; %bb.628:
	s_or_b32 exec_lo, exec_lo, s5
.LBB110_629:
	s_delay_alu instid0(SALU_CYCLE_1) | instskip(SKIP_4) | instid1(VALU_DEP_1)
	s_or_b32 exec_lo, exec_lo, s4
	v_mov_b32_e32 v101, 0
	ds_load_b64 v[102:103], v101 offset:136
	s_wait_dscnt 0x0
	v_pk_mul_f32 v[104:105], v[98:99], v[102:103] op_sel:[1,1] op_sel_hi:[0,1]
	v_pk_fma_f32 v[106:107], v[98:99], v[102:103], v[104:105] op_sel_hi:[1,0,1]
	v_pk_fma_f32 v[98:99], v[98:99], v[102:103], v[104:105] neg_lo:[0,0,1] neg_hi:[0,0,1]
	s_delay_alu instid0(VALU_DEP_2)
	v_mov_b32_e32 v99, v107
	scratch_store_b64 off, v[98:99], off offset:136
.LBB110_630:
	s_wait_xcnt 0x0
	s_or_b32 exec_lo, exec_lo, s0
	scratch_load_b64 v[98:99], off, off offset:144
	s_mov_b32 s0, exec_lo
	s_wait_loadcnt 0x0
	ds_store_b64 v1, v[98:99]
	s_wait_storecnt_dscnt 0x0
	s_barrier_signal -1
	s_barrier_wait -1
	s_wait_xcnt 0x0
	v_cmpx_gt_u32_e32 18, v0
	s_cbranch_execz .LBB110_640
; %bb.631:
	v_cmp_ne_u32_e32 vcc_lo, 1, v100
	s_cbranch_vccnz .LBB110_633
; %bb.632:
	scratch_load_b64 v[98:99], v59, off
	ds_load_b64 v[102:103], v1
	s_wait_loadcnt_dscnt 0x0
	v_pk_mul_f32 v[104:105], v[102:103], v[98:99] op_sel:[1,1] op_sel_hi:[0,1]
	s_delay_alu instid0(VALU_DEP_1) | instskip(SKIP_1) | instid1(VALU_DEP_2)
	v_pk_fma_f32 v[106:107], v[102:103], v[98:99], v[104:105] op_sel_hi:[1,0,1]
	v_pk_fma_f32 v[98:99], v[102:103], v[98:99], v[104:105] neg_lo:[0,0,1] neg_hi:[0,0,1]
	v_mov_b32_e32 v99, v107
	s_cbranch_execz .LBB110_634
	s_branch .LBB110_635
.LBB110_633:
                                        ; implicit-def: $vgpr98_vgpr99
.LBB110_634:
	ds_load_b64 v[98:99], v1
.LBB110_635:
	s_mov_b32 s4, exec_lo
	v_cmpx_ne_u32_e32 17, v0
	s_cbranch_execz .LBB110_639
; %bb.636:
	v_add_nc_u32_e32 v101, 0x188, v58
	v_add3_u32 v102, 0, v58, 8
	v_mov_b32_e32 v103, v0
	s_mov_b32 s5, 0
.LBB110_637:                            ; =>This Inner Loop Header: Depth=1
	scratch_load_b64 v[104:105], v102, off
	ds_load_b64 v[106:107], v101
	s_wait_xcnt 0x0
	v_dual_add_nc_u32 v101, 8, v101 :: v_dual_add_nc_u32 v102, 8, v102
	s_wait_loadcnt_dscnt 0x0
	v_pk_mul_f32 v[108:109], v[106:107], v[104:105] op_sel:[1,1] op_sel_hi:[0,1]
	s_delay_alu instid0(VALU_DEP_1) | instskip(SKIP_2) | instid1(VALU_DEP_3)
	v_pk_fma_f32 v[110:111], v[106:107], v[104:105], v[108:109] op_sel_hi:[1,0,1]
	v_add_nc_u32_e32 v103, 1, v103
	v_pk_fma_f32 v[104:105], v[106:107], v[104:105], v[108:109] neg_lo:[0,0,1] neg_hi:[0,0,1]
	v_mov_b32_e32 v105, v111
	s_delay_alu instid0(VALU_DEP_3) | instskip(NEXT) | instid1(VALU_DEP_2)
	v_cmp_lt_u32_e32 vcc_lo, 16, v103
	v_pk_add_f32 v[98:99], v[98:99], v[104:105]
	s_or_b32 s5, vcc_lo, s5
	s_delay_alu instid0(SALU_CYCLE_1)
	s_and_not1_b32 exec_lo, exec_lo, s5
	s_cbranch_execnz .LBB110_637
; %bb.638:
	s_or_b32 exec_lo, exec_lo, s5
.LBB110_639:
	s_delay_alu instid0(SALU_CYCLE_1) | instskip(SKIP_4) | instid1(VALU_DEP_1)
	s_or_b32 exec_lo, exec_lo, s4
	v_mov_b32_e32 v101, 0
	ds_load_b64 v[102:103], v101 offset:144
	s_wait_dscnt 0x0
	v_pk_mul_f32 v[104:105], v[98:99], v[102:103] op_sel:[1,1] op_sel_hi:[0,1]
	v_pk_fma_f32 v[106:107], v[98:99], v[102:103], v[104:105] op_sel_hi:[1,0,1]
	v_pk_fma_f32 v[98:99], v[98:99], v[102:103], v[104:105] neg_lo:[0,0,1] neg_hi:[0,0,1]
	s_delay_alu instid0(VALU_DEP_2)
	v_mov_b32_e32 v99, v107
	scratch_store_b64 off, v[98:99], off offset:144
.LBB110_640:
	s_wait_xcnt 0x0
	s_or_b32 exec_lo, exec_lo, s0
	scratch_load_b64 v[98:99], off, off offset:152
	s_mov_b32 s0, exec_lo
	s_wait_loadcnt 0x0
	ds_store_b64 v1, v[98:99]
	s_wait_storecnt_dscnt 0x0
	s_barrier_signal -1
	s_barrier_wait -1
	s_wait_xcnt 0x0
	v_cmpx_gt_u32_e32 19, v0
	s_cbranch_execz .LBB110_650
; %bb.641:
	v_cmp_ne_u32_e32 vcc_lo, 1, v100
	s_cbranch_vccnz .LBB110_643
; %bb.642:
	scratch_load_b64 v[98:99], v59, off
	ds_load_b64 v[102:103], v1
	s_wait_loadcnt_dscnt 0x0
	v_pk_mul_f32 v[104:105], v[102:103], v[98:99] op_sel:[1,1] op_sel_hi:[0,1]
	s_delay_alu instid0(VALU_DEP_1) | instskip(SKIP_1) | instid1(VALU_DEP_2)
	v_pk_fma_f32 v[106:107], v[102:103], v[98:99], v[104:105] op_sel_hi:[1,0,1]
	v_pk_fma_f32 v[98:99], v[102:103], v[98:99], v[104:105] neg_lo:[0,0,1] neg_hi:[0,0,1]
	v_mov_b32_e32 v99, v107
	s_cbranch_execz .LBB110_644
	s_branch .LBB110_645
.LBB110_643:
                                        ; implicit-def: $vgpr98_vgpr99
.LBB110_644:
	ds_load_b64 v[98:99], v1
.LBB110_645:
	s_mov_b32 s4, exec_lo
	v_cmpx_ne_u32_e32 18, v0
	s_cbranch_execz .LBB110_649
; %bb.646:
	v_add_nc_u32_e32 v101, 0x188, v58
	v_add3_u32 v102, 0, v58, 8
	v_mov_b32_e32 v103, v0
	s_mov_b32 s5, 0
.LBB110_647:                            ; =>This Inner Loop Header: Depth=1
	scratch_load_b64 v[104:105], v102, off
	ds_load_b64 v[106:107], v101
	s_wait_xcnt 0x0
	v_dual_add_nc_u32 v101, 8, v101 :: v_dual_add_nc_u32 v102, 8, v102
	s_wait_loadcnt_dscnt 0x0
	v_pk_mul_f32 v[108:109], v[106:107], v[104:105] op_sel:[1,1] op_sel_hi:[0,1]
	s_delay_alu instid0(VALU_DEP_1) | instskip(SKIP_2) | instid1(VALU_DEP_3)
	v_pk_fma_f32 v[110:111], v[106:107], v[104:105], v[108:109] op_sel_hi:[1,0,1]
	v_add_nc_u32_e32 v103, 1, v103
	v_pk_fma_f32 v[104:105], v[106:107], v[104:105], v[108:109] neg_lo:[0,0,1] neg_hi:[0,0,1]
	v_mov_b32_e32 v105, v111
	s_delay_alu instid0(VALU_DEP_3) | instskip(NEXT) | instid1(VALU_DEP_2)
	v_cmp_lt_u32_e32 vcc_lo, 17, v103
	v_pk_add_f32 v[98:99], v[98:99], v[104:105]
	s_or_b32 s5, vcc_lo, s5
	s_delay_alu instid0(SALU_CYCLE_1)
	s_and_not1_b32 exec_lo, exec_lo, s5
	s_cbranch_execnz .LBB110_647
; %bb.648:
	s_or_b32 exec_lo, exec_lo, s5
.LBB110_649:
	s_delay_alu instid0(SALU_CYCLE_1) | instskip(SKIP_4) | instid1(VALU_DEP_1)
	s_or_b32 exec_lo, exec_lo, s4
	v_mov_b32_e32 v101, 0
	ds_load_b64 v[102:103], v101 offset:152
	s_wait_dscnt 0x0
	v_pk_mul_f32 v[104:105], v[98:99], v[102:103] op_sel:[1,1] op_sel_hi:[0,1]
	v_pk_fma_f32 v[106:107], v[98:99], v[102:103], v[104:105] op_sel_hi:[1,0,1]
	v_pk_fma_f32 v[98:99], v[98:99], v[102:103], v[104:105] neg_lo:[0,0,1] neg_hi:[0,0,1]
	s_delay_alu instid0(VALU_DEP_2)
	v_mov_b32_e32 v99, v107
	scratch_store_b64 off, v[98:99], off offset:152
.LBB110_650:
	s_wait_xcnt 0x0
	s_or_b32 exec_lo, exec_lo, s0
	scratch_load_b64 v[98:99], off, off offset:160
	s_mov_b32 s0, exec_lo
	s_wait_loadcnt 0x0
	ds_store_b64 v1, v[98:99]
	s_wait_storecnt_dscnt 0x0
	s_barrier_signal -1
	s_barrier_wait -1
	s_wait_xcnt 0x0
	v_cmpx_gt_u32_e32 20, v0
	s_cbranch_execz .LBB110_660
; %bb.651:
	v_cmp_ne_u32_e32 vcc_lo, 1, v100
	s_cbranch_vccnz .LBB110_653
; %bb.652:
	scratch_load_b64 v[98:99], v59, off
	ds_load_b64 v[102:103], v1
	s_wait_loadcnt_dscnt 0x0
	v_pk_mul_f32 v[104:105], v[102:103], v[98:99] op_sel:[1,1] op_sel_hi:[0,1]
	s_delay_alu instid0(VALU_DEP_1) | instskip(SKIP_1) | instid1(VALU_DEP_2)
	v_pk_fma_f32 v[106:107], v[102:103], v[98:99], v[104:105] op_sel_hi:[1,0,1]
	v_pk_fma_f32 v[98:99], v[102:103], v[98:99], v[104:105] neg_lo:[0,0,1] neg_hi:[0,0,1]
	v_mov_b32_e32 v99, v107
	s_cbranch_execz .LBB110_654
	s_branch .LBB110_655
.LBB110_653:
                                        ; implicit-def: $vgpr98_vgpr99
.LBB110_654:
	ds_load_b64 v[98:99], v1
.LBB110_655:
	s_mov_b32 s4, exec_lo
	v_cmpx_ne_u32_e32 19, v0
	s_cbranch_execz .LBB110_659
; %bb.656:
	v_add_nc_u32_e32 v101, 0x188, v58
	v_add3_u32 v102, 0, v58, 8
	v_mov_b32_e32 v103, v0
	s_mov_b32 s5, 0
.LBB110_657:                            ; =>This Inner Loop Header: Depth=1
	scratch_load_b64 v[104:105], v102, off
	ds_load_b64 v[106:107], v101
	s_wait_xcnt 0x0
	v_dual_add_nc_u32 v101, 8, v101 :: v_dual_add_nc_u32 v102, 8, v102
	s_wait_loadcnt_dscnt 0x0
	v_pk_mul_f32 v[108:109], v[106:107], v[104:105] op_sel:[1,1] op_sel_hi:[0,1]
	s_delay_alu instid0(VALU_DEP_1) | instskip(SKIP_2) | instid1(VALU_DEP_3)
	v_pk_fma_f32 v[110:111], v[106:107], v[104:105], v[108:109] op_sel_hi:[1,0,1]
	v_add_nc_u32_e32 v103, 1, v103
	v_pk_fma_f32 v[104:105], v[106:107], v[104:105], v[108:109] neg_lo:[0,0,1] neg_hi:[0,0,1]
	v_mov_b32_e32 v105, v111
	s_delay_alu instid0(VALU_DEP_3) | instskip(NEXT) | instid1(VALU_DEP_2)
	v_cmp_lt_u32_e32 vcc_lo, 18, v103
	v_pk_add_f32 v[98:99], v[98:99], v[104:105]
	s_or_b32 s5, vcc_lo, s5
	s_delay_alu instid0(SALU_CYCLE_1)
	s_and_not1_b32 exec_lo, exec_lo, s5
	s_cbranch_execnz .LBB110_657
; %bb.658:
	s_or_b32 exec_lo, exec_lo, s5
.LBB110_659:
	s_delay_alu instid0(SALU_CYCLE_1) | instskip(SKIP_4) | instid1(VALU_DEP_1)
	s_or_b32 exec_lo, exec_lo, s4
	v_mov_b32_e32 v101, 0
	ds_load_b64 v[102:103], v101 offset:160
	s_wait_dscnt 0x0
	v_pk_mul_f32 v[104:105], v[98:99], v[102:103] op_sel:[1,1] op_sel_hi:[0,1]
	v_pk_fma_f32 v[106:107], v[98:99], v[102:103], v[104:105] op_sel_hi:[1,0,1]
	v_pk_fma_f32 v[98:99], v[98:99], v[102:103], v[104:105] neg_lo:[0,0,1] neg_hi:[0,0,1]
	s_delay_alu instid0(VALU_DEP_2)
	v_mov_b32_e32 v99, v107
	scratch_store_b64 off, v[98:99], off offset:160
.LBB110_660:
	s_wait_xcnt 0x0
	s_or_b32 exec_lo, exec_lo, s0
	scratch_load_b64 v[98:99], off, off offset:168
	s_mov_b32 s0, exec_lo
	s_wait_loadcnt 0x0
	ds_store_b64 v1, v[98:99]
	s_wait_storecnt_dscnt 0x0
	s_barrier_signal -1
	s_barrier_wait -1
	s_wait_xcnt 0x0
	v_cmpx_gt_u32_e32 21, v0
	s_cbranch_execz .LBB110_670
; %bb.661:
	v_cmp_ne_u32_e32 vcc_lo, 1, v100
	s_cbranch_vccnz .LBB110_663
; %bb.662:
	scratch_load_b64 v[98:99], v59, off
	ds_load_b64 v[102:103], v1
	s_wait_loadcnt_dscnt 0x0
	v_pk_mul_f32 v[104:105], v[102:103], v[98:99] op_sel:[1,1] op_sel_hi:[0,1]
	s_delay_alu instid0(VALU_DEP_1) | instskip(SKIP_1) | instid1(VALU_DEP_2)
	v_pk_fma_f32 v[106:107], v[102:103], v[98:99], v[104:105] op_sel_hi:[1,0,1]
	v_pk_fma_f32 v[98:99], v[102:103], v[98:99], v[104:105] neg_lo:[0,0,1] neg_hi:[0,0,1]
	v_mov_b32_e32 v99, v107
	s_cbranch_execz .LBB110_664
	s_branch .LBB110_665
.LBB110_663:
                                        ; implicit-def: $vgpr98_vgpr99
.LBB110_664:
	ds_load_b64 v[98:99], v1
.LBB110_665:
	s_mov_b32 s4, exec_lo
	v_cmpx_ne_u32_e32 20, v0
	s_cbranch_execz .LBB110_669
; %bb.666:
	v_add_nc_u32_e32 v101, 0x188, v58
	v_add3_u32 v102, 0, v58, 8
	v_mov_b32_e32 v103, v0
	s_mov_b32 s5, 0
.LBB110_667:                            ; =>This Inner Loop Header: Depth=1
	scratch_load_b64 v[104:105], v102, off
	ds_load_b64 v[106:107], v101
	s_wait_xcnt 0x0
	v_dual_add_nc_u32 v101, 8, v101 :: v_dual_add_nc_u32 v102, 8, v102
	s_wait_loadcnt_dscnt 0x0
	v_pk_mul_f32 v[108:109], v[106:107], v[104:105] op_sel:[1,1] op_sel_hi:[0,1]
	s_delay_alu instid0(VALU_DEP_1) | instskip(SKIP_2) | instid1(VALU_DEP_3)
	v_pk_fma_f32 v[110:111], v[106:107], v[104:105], v[108:109] op_sel_hi:[1,0,1]
	v_add_nc_u32_e32 v103, 1, v103
	v_pk_fma_f32 v[104:105], v[106:107], v[104:105], v[108:109] neg_lo:[0,0,1] neg_hi:[0,0,1]
	v_mov_b32_e32 v105, v111
	s_delay_alu instid0(VALU_DEP_3) | instskip(NEXT) | instid1(VALU_DEP_2)
	v_cmp_lt_u32_e32 vcc_lo, 19, v103
	v_pk_add_f32 v[98:99], v[98:99], v[104:105]
	s_or_b32 s5, vcc_lo, s5
	s_delay_alu instid0(SALU_CYCLE_1)
	s_and_not1_b32 exec_lo, exec_lo, s5
	s_cbranch_execnz .LBB110_667
; %bb.668:
	s_or_b32 exec_lo, exec_lo, s5
.LBB110_669:
	s_delay_alu instid0(SALU_CYCLE_1) | instskip(SKIP_4) | instid1(VALU_DEP_1)
	s_or_b32 exec_lo, exec_lo, s4
	v_mov_b32_e32 v101, 0
	ds_load_b64 v[102:103], v101 offset:168
	s_wait_dscnt 0x0
	v_pk_mul_f32 v[104:105], v[98:99], v[102:103] op_sel:[1,1] op_sel_hi:[0,1]
	v_pk_fma_f32 v[106:107], v[98:99], v[102:103], v[104:105] op_sel_hi:[1,0,1]
	v_pk_fma_f32 v[98:99], v[98:99], v[102:103], v[104:105] neg_lo:[0,0,1] neg_hi:[0,0,1]
	s_delay_alu instid0(VALU_DEP_2)
	v_mov_b32_e32 v99, v107
	scratch_store_b64 off, v[98:99], off offset:168
.LBB110_670:
	s_wait_xcnt 0x0
	s_or_b32 exec_lo, exec_lo, s0
	scratch_load_b64 v[98:99], off, off offset:176
	s_mov_b32 s0, exec_lo
	s_wait_loadcnt 0x0
	ds_store_b64 v1, v[98:99]
	s_wait_storecnt_dscnt 0x0
	s_barrier_signal -1
	s_barrier_wait -1
	s_wait_xcnt 0x0
	v_cmpx_gt_u32_e32 22, v0
	s_cbranch_execz .LBB110_680
; %bb.671:
	v_cmp_ne_u32_e32 vcc_lo, 1, v100
	s_cbranch_vccnz .LBB110_673
; %bb.672:
	scratch_load_b64 v[98:99], v59, off
	ds_load_b64 v[102:103], v1
	s_wait_loadcnt_dscnt 0x0
	v_pk_mul_f32 v[104:105], v[102:103], v[98:99] op_sel:[1,1] op_sel_hi:[0,1]
	s_delay_alu instid0(VALU_DEP_1) | instskip(SKIP_1) | instid1(VALU_DEP_2)
	v_pk_fma_f32 v[106:107], v[102:103], v[98:99], v[104:105] op_sel_hi:[1,0,1]
	v_pk_fma_f32 v[98:99], v[102:103], v[98:99], v[104:105] neg_lo:[0,0,1] neg_hi:[0,0,1]
	v_mov_b32_e32 v99, v107
	s_cbranch_execz .LBB110_674
	s_branch .LBB110_675
.LBB110_673:
                                        ; implicit-def: $vgpr98_vgpr99
.LBB110_674:
	ds_load_b64 v[98:99], v1
.LBB110_675:
	s_mov_b32 s4, exec_lo
	v_cmpx_ne_u32_e32 21, v0
	s_cbranch_execz .LBB110_679
; %bb.676:
	v_add_nc_u32_e32 v101, 0x188, v58
	v_add3_u32 v102, 0, v58, 8
	v_mov_b32_e32 v103, v0
	s_mov_b32 s5, 0
.LBB110_677:                            ; =>This Inner Loop Header: Depth=1
	scratch_load_b64 v[104:105], v102, off
	ds_load_b64 v[106:107], v101
	s_wait_xcnt 0x0
	v_dual_add_nc_u32 v101, 8, v101 :: v_dual_add_nc_u32 v102, 8, v102
	s_wait_loadcnt_dscnt 0x0
	v_pk_mul_f32 v[108:109], v[106:107], v[104:105] op_sel:[1,1] op_sel_hi:[0,1]
	s_delay_alu instid0(VALU_DEP_1) | instskip(SKIP_2) | instid1(VALU_DEP_3)
	v_pk_fma_f32 v[110:111], v[106:107], v[104:105], v[108:109] op_sel_hi:[1,0,1]
	v_add_nc_u32_e32 v103, 1, v103
	v_pk_fma_f32 v[104:105], v[106:107], v[104:105], v[108:109] neg_lo:[0,0,1] neg_hi:[0,0,1]
	v_mov_b32_e32 v105, v111
	s_delay_alu instid0(VALU_DEP_3) | instskip(NEXT) | instid1(VALU_DEP_2)
	v_cmp_lt_u32_e32 vcc_lo, 20, v103
	v_pk_add_f32 v[98:99], v[98:99], v[104:105]
	s_or_b32 s5, vcc_lo, s5
	s_delay_alu instid0(SALU_CYCLE_1)
	s_and_not1_b32 exec_lo, exec_lo, s5
	s_cbranch_execnz .LBB110_677
; %bb.678:
	s_or_b32 exec_lo, exec_lo, s5
.LBB110_679:
	s_delay_alu instid0(SALU_CYCLE_1) | instskip(SKIP_4) | instid1(VALU_DEP_1)
	s_or_b32 exec_lo, exec_lo, s4
	v_mov_b32_e32 v101, 0
	ds_load_b64 v[102:103], v101 offset:176
	s_wait_dscnt 0x0
	v_pk_mul_f32 v[104:105], v[98:99], v[102:103] op_sel:[1,1] op_sel_hi:[0,1]
	v_pk_fma_f32 v[106:107], v[98:99], v[102:103], v[104:105] op_sel_hi:[1,0,1]
	v_pk_fma_f32 v[98:99], v[98:99], v[102:103], v[104:105] neg_lo:[0,0,1] neg_hi:[0,0,1]
	s_delay_alu instid0(VALU_DEP_2)
	v_mov_b32_e32 v99, v107
	scratch_store_b64 off, v[98:99], off offset:176
.LBB110_680:
	s_wait_xcnt 0x0
	s_or_b32 exec_lo, exec_lo, s0
	scratch_load_b64 v[98:99], off, off offset:184
	s_mov_b32 s0, exec_lo
	s_wait_loadcnt 0x0
	ds_store_b64 v1, v[98:99]
	s_wait_storecnt_dscnt 0x0
	s_barrier_signal -1
	s_barrier_wait -1
	s_wait_xcnt 0x0
	v_cmpx_gt_u32_e32 23, v0
	s_cbranch_execz .LBB110_690
; %bb.681:
	v_cmp_ne_u32_e32 vcc_lo, 1, v100
	s_cbranch_vccnz .LBB110_683
; %bb.682:
	scratch_load_b64 v[98:99], v59, off
	ds_load_b64 v[102:103], v1
	s_wait_loadcnt_dscnt 0x0
	v_pk_mul_f32 v[104:105], v[102:103], v[98:99] op_sel:[1,1] op_sel_hi:[0,1]
	s_delay_alu instid0(VALU_DEP_1) | instskip(SKIP_1) | instid1(VALU_DEP_2)
	v_pk_fma_f32 v[106:107], v[102:103], v[98:99], v[104:105] op_sel_hi:[1,0,1]
	v_pk_fma_f32 v[98:99], v[102:103], v[98:99], v[104:105] neg_lo:[0,0,1] neg_hi:[0,0,1]
	v_mov_b32_e32 v99, v107
	s_cbranch_execz .LBB110_684
	s_branch .LBB110_685
.LBB110_683:
                                        ; implicit-def: $vgpr98_vgpr99
.LBB110_684:
	ds_load_b64 v[98:99], v1
.LBB110_685:
	s_mov_b32 s4, exec_lo
	v_cmpx_ne_u32_e32 22, v0
	s_cbranch_execz .LBB110_689
; %bb.686:
	v_add_nc_u32_e32 v101, 0x188, v58
	v_add3_u32 v102, 0, v58, 8
	v_mov_b32_e32 v103, v0
	s_mov_b32 s5, 0
.LBB110_687:                            ; =>This Inner Loop Header: Depth=1
	scratch_load_b64 v[104:105], v102, off
	ds_load_b64 v[106:107], v101
	s_wait_xcnt 0x0
	v_dual_add_nc_u32 v101, 8, v101 :: v_dual_add_nc_u32 v102, 8, v102
	s_wait_loadcnt_dscnt 0x0
	v_pk_mul_f32 v[108:109], v[106:107], v[104:105] op_sel:[1,1] op_sel_hi:[0,1]
	s_delay_alu instid0(VALU_DEP_1) | instskip(SKIP_2) | instid1(VALU_DEP_3)
	v_pk_fma_f32 v[110:111], v[106:107], v[104:105], v[108:109] op_sel_hi:[1,0,1]
	v_add_nc_u32_e32 v103, 1, v103
	v_pk_fma_f32 v[104:105], v[106:107], v[104:105], v[108:109] neg_lo:[0,0,1] neg_hi:[0,0,1]
	v_mov_b32_e32 v105, v111
	s_delay_alu instid0(VALU_DEP_3) | instskip(NEXT) | instid1(VALU_DEP_2)
	v_cmp_lt_u32_e32 vcc_lo, 21, v103
	v_pk_add_f32 v[98:99], v[98:99], v[104:105]
	s_or_b32 s5, vcc_lo, s5
	s_delay_alu instid0(SALU_CYCLE_1)
	s_and_not1_b32 exec_lo, exec_lo, s5
	s_cbranch_execnz .LBB110_687
; %bb.688:
	s_or_b32 exec_lo, exec_lo, s5
.LBB110_689:
	s_delay_alu instid0(SALU_CYCLE_1) | instskip(SKIP_4) | instid1(VALU_DEP_1)
	s_or_b32 exec_lo, exec_lo, s4
	v_mov_b32_e32 v101, 0
	ds_load_b64 v[102:103], v101 offset:184
	s_wait_dscnt 0x0
	v_pk_mul_f32 v[104:105], v[98:99], v[102:103] op_sel:[1,1] op_sel_hi:[0,1]
	v_pk_fma_f32 v[106:107], v[98:99], v[102:103], v[104:105] op_sel_hi:[1,0,1]
	v_pk_fma_f32 v[98:99], v[98:99], v[102:103], v[104:105] neg_lo:[0,0,1] neg_hi:[0,0,1]
	s_delay_alu instid0(VALU_DEP_2)
	v_mov_b32_e32 v99, v107
	scratch_store_b64 off, v[98:99], off offset:184
.LBB110_690:
	s_wait_xcnt 0x0
	s_or_b32 exec_lo, exec_lo, s0
	scratch_load_b64 v[98:99], off, off offset:192
	s_mov_b32 s0, exec_lo
	s_wait_loadcnt 0x0
	ds_store_b64 v1, v[98:99]
	s_wait_storecnt_dscnt 0x0
	s_barrier_signal -1
	s_barrier_wait -1
	s_wait_xcnt 0x0
	v_cmpx_gt_u32_e32 24, v0
	s_cbranch_execz .LBB110_700
; %bb.691:
	v_cmp_ne_u32_e32 vcc_lo, 1, v100
	s_cbranch_vccnz .LBB110_693
; %bb.692:
	scratch_load_b64 v[98:99], v59, off
	ds_load_b64 v[102:103], v1
	s_wait_loadcnt_dscnt 0x0
	v_pk_mul_f32 v[104:105], v[102:103], v[98:99] op_sel:[1,1] op_sel_hi:[0,1]
	s_delay_alu instid0(VALU_DEP_1) | instskip(SKIP_1) | instid1(VALU_DEP_2)
	v_pk_fma_f32 v[106:107], v[102:103], v[98:99], v[104:105] op_sel_hi:[1,0,1]
	v_pk_fma_f32 v[98:99], v[102:103], v[98:99], v[104:105] neg_lo:[0,0,1] neg_hi:[0,0,1]
	v_mov_b32_e32 v99, v107
	s_cbranch_execz .LBB110_694
	s_branch .LBB110_695
.LBB110_693:
                                        ; implicit-def: $vgpr98_vgpr99
.LBB110_694:
	ds_load_b64 v[98:99], v1
.LBB110_695:
	s_mov_b32 s4, exec_lo
	v_cmpx_ne_u32_e32 23, v0
	s_cbranch_execz .LBB110_699
; %bb.696:
	v_add_nc_u32_e32 v101, 0x188, v58
	v_add3_u32 v102, 0, v58, 8
	v_mov_b32_e32 v103, v0
	s_mov_b32 s5, 0
.LBB110_697:                            ; =>This Inner Loop Header: Depth=1
	scratch_load_b64 v[104:105], v102, off
	ds_load_b64 v[106:107], v101
	s_wait_xcnt 0x0
	v_dual_add_nc_u32 v101, 8, v101 :: v_dual_add_nc_u32 v102, 8, v102
	s_wait_loadcnt_dscnt 0x0
	v_pk_mul_f32 v[108:109], v[106:107], v[104:105] op_sel:[1,1] op_sel_hi:[0,1]
	s_delay_alu instid0(VALU_DEP_1) | instskip(SKIP_2) | instid1(VALU_DEP_3)
	v_pk_fma_f32 v[110:111], v[106:107], v[104:105], v[108:109] op_sel_hi:[1,0,1]
	v_add_nc_u32_e32 v103, 1, v103
	v_pk_fma_f32 v[104:105], v[106:107], v[104:105], v[108:109] neg_lo:[0,0,1] neg_hi:[0,0,1]
	v_mov_b32_e32 v105, v111
	s_delay_alu instid0(VALU_DEP_3) | instskip(NEXT) | instid1(VALU_DEP_2)
	v_cmp_lt_u32_e32 vcc_lo, 22, v103
	v_pk_add_f32 v[98:99], v[98:99], v[104:105]
	s_or_b32 s5, vcc_lo, s5
	s_delay_alu instid0(SALU_CYCLE_1)
	s_and_not1_b32 exec_lo, exec_lo, s5
	s_cbranch_execnz .LBB110_697
; %bb.698:
	s_or_b32 exec_lo, exec_lo, s5
.LBB110_699:
	s_delay_alu instid0(SALU_CYCLE_1) | instskip(SKIP_4) | instid1(VALU_DEP_1)
	s_or_b32 exec_lo, exec_lo, s4
	v_mov_b32_e32 v101, 0
	ds_load_b64 v[102:103], v101 offset:192
	s_wait_dscnt 0x0
	v_pk_mul_f32 v[104:105], v[98:99], v[102:103] op_sel:[1,1] op_sel_hi:[0,1]
	v_pk_fma_f32 v[106:107], v[98:99], v[102:103], v[104:105] op_sel_hi:[1,0,1]
	v_pk_fma_f32 v[98:99], v[98:99], v[102:103], v[104:105] neg_lo:[0,0,1] neg_hi:[0,0,1]
	s_delay_alu instid0(VALU_DEP_2)
	v_mov_b32_e32 v99, v107
	scratch_store_b64 off, v[98:99], off offset:192
.LBB110_700:
	s_wait_xcnt 0x0
	s_or_b32 exec_lo, exec_lo, s0
	scratch_load_b64 v[98:99], off, off offset:200
	s_mov_b32 s0, exec_lo
	s_wait_loadcnt 0x0
	ds_store_b64 v1, v[98:99]
	s_wait_storecnt_dscnt 0x0
	s_barrier_signal -1
	s_barrier_wait -1
	s_wait_xcnt 0x0
	v_cmpx_gt_u32_e32 25, v0
	s_cbranch_execz .LBB110_710
; %bb.701:
	v_cmp_ne_u32_e32 vcc_lo, 1, v100
	s_cbranch_vccnz .LBB110_703
; %bb.702:
	scratch_load_b64 v[98:99], v59, off
	ds_load_b64 v[102:103], v1
	s_wait_loadcnt_dscnt 0x0
	v_pk_mul_f32 v[104:105], v[102:103], v[98:99] op_sel:[1,1] op_sel_hi:[0,1]
	s_delay_alu instid0(VALU_DEP_1) | instskip(SKIP_1) | instid1(VALU_DEP_2)
	v_pk_fma_f32 v[106:107], v[102:103], v[98:99], v[104:105] op_sel_hi:[1,0,1]
	v_pk_fma_f32 v[98:99], v[102:103], v[98:99], v[104:105] neg_lo:[0,0,1] neg_hi:[0,0,1]
	v_mov_b32_e32 v99, v107
	s_cbranch_execz .LBB110_704
	s_branch .LBB110_705
.LBB110_703:
                                        ; implicit-def: $vgpr98_vgpr99
.LBB110_704:
	ds_load_b64 v[98:99], v1
.LBB110_705:
	s_mov_b32 s4, exec_lo
	v_cmpx_ne_u32_e32 24, v0
	s_cbranch_execz .LBB110_709
; %bb.706:
	v_add_nc_u32_e32 v101, 0x188, v58
	v_add3_u32 v102, 0, v58, 8
	v_mov_b32_e32 v103, v0
	s_mov_b32 s5, 0
.LBB110_707:                            ; =>This Inner Loop Header: Depth=1
	scratch_load_b64 v[104:105], v102, off
	ds_load_b64 v[106:107], v101
	s_wait_xcnt 0x0
	v_dual_add_nc_u32 v101, 8, v101 :: v_dual_add_nc_u32 v102, 8, v102
	s_wait_loadcnt_dscnt 0x0
	v_pk_mul_f32 v[108:109], v[106:107], v[104:105] op_sel:[1,1] op_sel_hi:[0,1]
	s_delay_alu instid0(VALU_DEP_1) | instskip(SKIP_2) | instid1(VALU_DEP_3)
	v_pk_fma_f32 v[110:111], v[106:107], v[104:105], v[108:109] op_sel_hi:[1,0,1]
	v_add_nc_u32_e32 v103, 1, v103
	v_pk_fma_f32 v[104:105], v[106:107], v[104:105], v[108:109] neg_lo:[0,0,1] neg_hi:[0,0,1]
	v_mov_b32_e32 v105, v111
	s_delay_alu instid0(VALU_DEP_3) | instskip(NEXT) | instid1(VALU_DEP_2)
	v_cmp_lt_u32_e32 vcc_lo, 23, v103
	v_pk_add_f32 v[98:99], v[98:99], v[104:105]
	s_or_b32 s5, vcc_lo, s5
	s_delay_alu instid0(SALU_CYCLE_1)
	s_and_not1_b32 exec_lo, exec_lo, s5
	s_cbranch_execnz .LBB110_707
; %bb.708:
	s_or_b32 exec_lo, exec_lo, s5
.LBB110_709:
	s_delay_alu instid0(SALU_CYCLE_1) | instskip(SKIP_4) | instid1(VALU_DEP_1)
	s_or_b32 exec_lo, exec_lo, s4
	v_mov_b32_e32 v101, 0
	ds_load_b64 v[102:103], v101 offset:200
	s_wait_dscnt 0x0
	v_pk_mul_f32 v[104:105], v[98:99], v[102:103] op_sel:[1,1] op_sel_hi:[0,1]
	v_pk_fma_f32 v[106:107], v[98:99], v[102:103], v[104:105] op_sel_hi:[1,0,1]
	v_pk_fma_f32 v[98:99], v[98:99], v[102:103], v[104:105] neg_lo:[0,0,1] neg_hi:[0,0,1]
	s_delay_alu instid0(VALU_DEP_2)
	v_mov_b32_e32 v99, v107
	scratch_store_b64 off, v[98:99], off offset:200
.LBB110_710:
	s_wait_xcnt 0x0
	s_or_b32 exec_lo, exec_lo, s0
	scratch_load_b64 v[98:99], off, off offset:208
	s_mov_b32 s0, exec_lo
	s_wait_loadcnt 0x0
	ds_store_b64 v1, v[98:99]
	s_wait_storecnt_dscnt 0x0
	s_barrier_signal -1
	s_barrier_wait -1
	s_wait_xcnt 0x0
	v_cmpx_gt_u32_e32 26, v0
	s_cbranch_execz .LBB110_720
; %bb.711:
	v_cmp_ne_u32_e32 vcc_lo, 1, v100
	s_cbranch_vccnz .LBB110_713
; %bb.712:
	scratch_load_b64 v[98:99], v59, off
	ds_load_b64 v[102:103], v1
	s_wait_loadcnt_dscnt 0x0
	v_pk_mul_f32 v[104:105], v[102:103], v[98:99] op_sel:[1,1] op_sel_hi:[0,1]
	s_delay_alu instid0(VALU_DEP_1) | instskip(SKIP_1) | instid1(VALU_DEP_2)
	v_pk_fma_f32 v[106:107], v[102:103], v[98:99], v[104:105] op_sel_hi:[1,0,1]
	v_pk_fma_f32 v[98:99], v[102:103], v[98:99], v[104:105] neg_lo:[0,0,1] neg_hi:[0,0,1]
	v_mov_b32_e32 v99, v107
	s_cbranch_execz .LBB110_714
	s_branch .LBB110_715
.LBB110_713:
                                        ; implicit-def: $vgpr98_vgpr99
.LBB110_714:
	ds_load_b64 v[98:99], v1
.LBB110_715:
	s_mov_b32 s4, exec_lo
	v_cmpx_ne_u32_e32 25, v0
	s_cbranch_execz .LBB110_719
; %bb.716:
	v_add_nc_u32_e32 v101, 0x188, v58
	v_add3_u32 v102, 0, v58, 8
	v_mov_b32_e32 v103, v0
	s_mov_b32 s5, 0
.LBB110_717:                            ; =>This Inner Loop Header: Depth=1
	scratch_load_b64 v[104:105], v102, off
	ds_load_b64 v[106:107], v101
	s_wait_xcnt 0x0
	v_dual_add_nc_u32 v101, 8, v101 :: v_dual_add_nc_u32 v102, 8, v102
	s_wait_loadcnt_dscnt 0x0
	v_pk_mul_f32 v[108:109], v[106:107], v[104:105] op_sel:[1,1] op_sel_hi:[0,1]
	s_delay_alu instid0(VALU_DEP_1) | instskip(SKIP_2) | instid1(VALU_DEP_3)
	v_pk_fma_f32 v[110:111], v[106:107], v[104:105], v[108:109] op_sel_hi:[1,0,1]
	v_add_nc_u32_e32 v103, 1, v103
	v_pk_fma_f32 v[104:105], v[106:107], v[104:105], v[108:109] neg_lo:[0,0,1] neg_hi:[0,0,1]
	v_mov_b32_e32 v105, v111
	s_delay_alu instid0(VALU_DEP_3) | instskip(NEXT) | instid1(VALU_DEP_2)
	v_cmp_lt_u32_e32 vcc_lo, 24, v103
	v_pk_add_f32 v[98:99], v[98:99], v[104:105]
	s_or_b32 s5, vcc_lo, s5
	s_delay_alu instid0(SALU_CYCLE_1)
	s_and_not1_b32 exec_lo, exec_lo, s5
	s_cbranch_execnz .LBB110_717
; %bb.718:
	s_or_b32 exec_lo, exec_lo, s5
.LBB110_719:
	s_delay_alu instid0(SALU_CYCLE_1) | instskip(SKIP_4) | instid1(VALU_DEP_1)
	s_or_b32 exec_lo, exec_lo, s4
	v_mov_b32_e32 v101, 0
	ds_load_b64 v[102:103], v101 offset:208
	s_wait_dscnt 0x0
	v_pk_mul_f32 v[104:105], v[98:99], v[102:103] op_sel:[1,1] op_sel_hi:[0,1]
	v_pk_fma_f32 v[106:107], v[98:99], v[102:103], v[104:105] op_sel_hi:[1,0,1]
	v_pk_fma_f32 v[98:99], v[98:99], v[102:103], v[104:105] neg_lo:[0,0,1] neg_hi:[0,0,1]
	s_delay_alu instid0(VALU_DEP_2)
	v_mov_b32_e32 v99, v107
	scratch_store_b64 off, v[98:99], off offset:208
.LBB110_720:
	s_wait_xcnt 0x0
	s_or_b32 exec_lo, exec_lo, s0
	scratch_load_b64 v[98:99], off, off offset:216
	s_mov_b32 s0, exec_lo
	s_wait_loadcnt 0x0
	ds_store_b64 v1, v[98:99]
	s_wait_storecnt_dscnt 0x0
	s_barrier_signal -1
	s_barrier_wait -1
	s_wait_xcnt 0x0
	v_cmpx_gt_u32_e32 27, v0
	s_cbranch_execz .LBB110_730
; %bb.721:
	v_cmp_ne_u32_e32 vcc_lo, 1, v100
	s_cbranch_vccnz .LBB110_723
; %bb.722:
	scratch_load_b64 v[98:99], v59, off
	ds_load_b64 v[102:103], v1
	s_wait_loadcnt_dscnt 0x0
	v_pk_mul_f32 v[104:105], v[102:103], v[98:99] op_sel:[1,1] op_sel_hi:[0,1]
	s_delay_alu instid0(VALU_DEP_1) | instskip(SKIP_1) | instid1(VALU_DEP_2)
	v_pk_fma_f32 v[106:107], v[102:103], v[98:99], v[104:105] op_sel_hi:[1,0,1]
	v_pk_fma_f32 v[98:99], v[102:103], v[98:99], v[104:105] neg_lo:[0,0,1] neg_hi:[0,0,1]
	v_mov_b32_e32 v99, v107
	s_cbranch_execz .LBB110_724
	s_branch .LBB110_725
.LBB110_723:
                                        ; implicit-def: $vgpr98_vgpr99
.LBB110_724:
	ds_load_b64 v[98:99], v1
.LBB110_725:
	s_mov_b32 s4, exec_lo
	v_cmpx_ne_u32_e32 26, v0
	s_cbranch_execz .LBB110_729
; %bb.726:
	v_add_nc_u32_e32 v101, 0x188, v58
	v_add3_u32 v102, 0, v58, 8
	v_mov_b32_e32 v103, v0
	s_mov_b32 s5, 0
.LBB110_727:                            ; =>This Inner Loop Header: Depth=1
	scratch_load_b64 v[104:105], v102, off
	ds_load_b64 v[106:107], v101
	s_wait_xcnt 0x0
	v_dual_add_nc_u32 v101, 8, v101 :: v_dual_add_nc_u32 v102, 8, v102
	s_wait_loadcnt_dscnt 0x0
	v_pk_mul_f32 v[108:109], v[106:107], v[104:105] op_sel:[1,1] op_sel_hi:[0,1]
	s_delay_alu instid0(VALU_DEP_1) | instskip(SKIP_2) | instid1(VALU_DEP_3)
	v_pk_fma_f32 v[110:111], v[106:107], v[104:105], v[108:109] op_sel_hi:[1,0,1]
	v_add_nc_u32_e32 v103, 1, v103
	v_pk_fma_f32 v[104:105], v[106:107], v[104:105], v[108:109] neg_lo:[0,0,1] neg_hi:[0,0,1]
	v_mov_b32_e32 v105, v111
	s_delay_alu instid0(VALU_DEP_3) | instskip(NEXT) | instid1(VALU_DEP_2)
	v_cmp_lt_u32_e32 vcc_lo, 25, v103
	v_pk_add_f32 v[98:99], v[98:99], v[104:105]
	s_or_b32 s5, vcc_lo, s5
	s_delay_alu instid0(SALU_CYCLE_1)
	s_and_not1_b32 exec_lo, exec_lo, s5
	s_cbranch_execnz .LBB110_727
; %bb.728:
	s_or_b32 exec_lo, exec_lo, s5
.LBB110_729:
	s_delay_alu instid0(SALU_CYCLE_1) | instskip(SKIP_4) | instid1(VALU_DEP_1)
	s_or_b32 exec_lo, exec_lo, s4
	v_mov_b32_e32 v101, 0
	ds_load_b64 v[102:103], v101 offset:216
	s_wait_dscnt 0x0
	v_pk_mul_f32 v[104:105], v[98:99], v[102:103] op_sel:[1,1] op_sel_hi:[0,1]
	v_pk_fma_f32 v[106:107], v[98:99], v[102:103], v[104:105] op_sel_hi:[1,0,1]
	v_pk_fma_f32 v[98:99], v[98:99], v[102:103], v[104:105] neg_lo:[0,0,1] neg_hi:[0,0,1]
	s_delay_alu instid0(VALU_DEP_2)
	v_mov_b32_e32 v99, v107
	scratch_store_b64 off, v[98:99], off offset:216
.LBB110_730:
	s_wait_xcnt 0x0
	s_or_b32 exec_lo, exec_lo, s0
	scratch_load_b64 v[98:99], off, off offset:224
	s_mov_b32 s0, exec_lo
	s_wait_loadcnt 0x0
	ds_store_b64 v1, v[98:99]
	s_wait_storecnt_dscnt 0x0
	s_barrier_signal -1
	s_barrier_wait -1
	s_wait_xcnt 0x0
	v_cmpx_gt_u32_e32 28, v0
	s_cbranch_execz .LBB110_740
; %bb.731:
	v_cmp_ne_u32_e32 vcc_lo, 1, v100
	s_cbranch_vccnz .LBB110_733
; %bb.732:
	scratch_load_b64 v[98:99], v59, off
	ds_load_b64 v[102:103], v1
	s_wait_loadcnt_dscnt 0x0
	v_pk_mul_f32 v[104:105], v[102:103], v[98:99] op_sel:[1,1] op_sel_hi:[0,1]
	s_delay_alu instid0(VALU_DEP_1) | instskip(SKIP_1) | instid1(VALU_DEP_2)
	v_pk_fma_f32 v[106:107], v[102:103], v[98:99], v[104:105] op_sel_hi:[1,0,1]
	v_pk_fma_f32 v[98:99], v[102:103], v[98:99], v[104:105] neg_lo:[0,0,1] neg_hi:[0,0,1]
	v_mov_b32_e32 v99, v107
	s_cbranch_execz .LBB110_734
	s_branch .LBB110_735
.LBB110_733:
                                        ; implicit-def: $vgpr98_vgpr99
.LBB110_734:
	ds_load_b64 v[98:99], v1
.LBB110_735:
	s_mov_b32 s4, exec_lo
	v_cmpx_ne_u32_e32 27, v0
	s_cbranch_execz .LBB110_739
; %bb.736:
	v_add_nc_u32_e32 v101, 0x188, v58
	v_add3_u32 v102, 0, v58, 8
	v_mov_b32_e32 v103, v0
	s_mov_b32 s5, 0
.LBB110_737:                            ; =>This Inner Loop Header: Depth=1
	scratch_load_b64 v[104:105], v102, off
	ds_load_b64 v[106:107], v101
	s_wait_xcnt 0x0
	v_dual_add_nc_u32 v101, 8, v101 :: v_dual_add_nc_u32 v102, 8, v102
	s_wait_loadcnt_dscnt 0x0
	v_pk_mul_f32 v[108:109], v[106:107], v[104:105] op_sel:[1,1] op_sel_hi:[0,1]
	s_delay_alu instid0(VALU_DEP_1) | instskip(SKIP_2) | instid1(VALU_DEP_3)
	v_pk_fma_f32 v[110:111], v[106:107], v[104:105], v[108:109] op_sel_hi:[1,0,1]
	v_add_nc_u32_e32 v103, 1, v103
	v_pk_fma_f32 v[104:105], v[106:107], v[104:105], v[108:109] neg_lo:[0,0,1] neg_hi:[0,0,1]
	v_mov_b32_e32 v105, v111
	s_delay_alu instid0(VALU_DEP_3) | instskip(NEXT) | instid1(VALU_DEP_2)
	v_cmp_lt_u32_e32 vcc_lo, 26, v103
	v_pk_add_f32 v[98:99], v[98:99], v[104:105]
	s_or_b32 s5, vcc_lo, s5
	s_delay_alu instid0(SALU_CYCLE_1)
	s_and_not1_b32 exec_lo, exec_lo, s5
	s_cbranch_execnz .LBB110_737
; %bb.738:
	s_or_b32 exec_lo, exec_lo, s5
.LBB110_739:
	s_delay_alu instid0(SALU_CYCLE_1) | instskip(SKIP_4) | instid1(VALU_DEP_1)
	s_or_b32 exec_lo, exec_lo, s4
	v_mov_b32_e32 v101, 0
	ds_load_b64 v[102:103], v101 offset:224
	s_wait_dscnt 0x0
	v_pk_mul_f32 v[104:105], v[98:99], v[102:103] op_sel:[1,1] op_sel_hi:[0,1]
	v_pk_fma_f32 v[106:107], v[98:99], v[102:103], v[104:105] op_sel_hi:[1,0,1]
	v_pk_fma_f32 v[98:99], v[98:99], v[102:103], v[104:105] neg_lo:[0,0,1] neg_hi:[0,0,1]
	s_delay_alu instid0(VALU_DEP_2)
	v_mov_b32_e32 v99, v107
	scratch_store_b64 off, v[98:99], off offset:224
.LBB110_740:
	s_wait_xcnt 0x0
	s_or_b32 exec_lo, exec_lo, s0
	scratch_load_b64 v[98:99], off, off offset:232
	s_mov_b32 s0, exec_lo
	s_wait_loadcnt 0x0
	ds_store_b64 v1, v[98:99]
	s_wait_storecnt_dscnt 0x0
	s_barrier_signal -1
	s_barrier_wait -1
	s_wait_xcnt 0x0
	v_cmpx_gt_u32_e32 29, v0
	s_cbranch_execz .LBB110_750
; %bb.741:
	v_cmp_ne_u32_e32 vcc_lo, 1, v100
	s_cbranch_vccnz .LBB110_743
; %bb.742:
	scratch_load_b64 v[98:99], v59, off
	ds_load_b64 v[102:103], v1
	s_wait_loadcnt_dscnt 0x0
	v_pk_mul_f32 v[104:105], v[102:103], v[98:99] op_sel:[1,1] op_sel_hi:[0,1]
	s_delay_alu instid0(VALU_DEP_1) | instskip(SKIP_1) | instid1(VALU_DEP_2)
	v_pk_fma_f32 v[106:107], v[102:103], v[98:99], v[104:105] op_sel_hi:[1,0,1]
	v_pk_fma_f32 v[98:99], v[102:103], v[98:99], v[104:105] neg_lo:[0,0,1] neg_hi:[0,0,1]
	v_mov_b32_e32 v99, v107
	s_cbranch_execz .LBB110_744
	s_branch .LBB110_745
.LBB110_743:
                                        ; implicit-def: $vgpr98_vgpr99
.LBB110_744:
	ds_load_b64 v[98:99], v1
.LBB110_745:
	s_mov_b32 s4, exec_lo
	v_cmpx_ne_u32_e32 28, v0
	s_cbranch_execz .LBB110_749
; %bb.746:
	v_add_nc_u32_e32 v101, 0x188, v58
	v_add3_u32 v102, 0, v58, 8
	v_mov_b32_e32 v103, v0
	s_mov_b32 s5, 0
.LBB110_747:                            ; =>This Inner Loop Header: Depth=1
	scratch_load_b64 v[104:105], v102, off
	ds_load_b64 v[106:107], v101
	s_wait_xcnt 0x0
	v_dual_add_nc_u32 v101, 8, v101 :: v_dual_add_nc_u32 v102, 8, v102
	s_wait_loadcnt_dscnt 0x0
	v_pk_mul_f32 v[108:109], v[106:107], v[104:105] op_sel:[1,1] op_sel_hi:[0,1]
	s_delay_alu instid0(VALU_DEP_1) | instskip(SKIP_2) | instid1(VALU_DEP_3)
	v_pk_fma_f32 v[110:111], v[106:107], v[104:105], v[108:109] op_sel_hi:[1,0,1]
	v_add_nc_u32_e32 v103, 1, v103
	v_pk_fma_f32 v[104:105], v[106:107], v[104:105], v[108:109] neg_lo:[0,0,1] neg_hi:[0,0,1]
	v_mov_b32_e32 v105, v111
	s_delay_alu instid0(VALU_DEP_3) | instskip(NEXT) | instid1(VALU_DEP_2)
	v_cmp_lt_u32_e32 vcc_lo, 27, v103
	v_pk_add_f32 v[98:99], v[98:99], v[104:105]
	s_or_b32 s5, vcc_lo, s5
	s_delay_alu instid0(SALU_CYCLE_1)
	s_and_not1_b32 exec_lo, exec_lo, s5
	s_cbranch_execnz .LBB110_747
; %bb.748:
	s_or_b32 exec_lo, exec_lo, s5
.LBB110_749:
	s_delay_alu instid0(SALU_CYCLE_1) | instskip(SKIP_4) | instid1(VALU_DEP_1)
	s_or_b32 exec_lo, exec_lo, s4
	v_mov_b32_e32 v101, 0
	ds_load_b64 v[102:103], v101 offset:232
	s_wait_dscnt 0x0
	v_pk_mul_f32 v[104:105], v[98:99], v[102:103] op_sel:[1,1] op_sel_hi:[0,1]
	v_pk_fma_f32 v[106:107], v[98:99], v[102:103], v[104:105] op_sel_hi:[1,0,1]
	v_pk_fma_f32 v[98:99], v[98:99], v[102:103], v[104:105] neg_lo:[0,0,1] neg_hi:[0,0,1]
	s_delay_alu instid0(VALU_DEP_2)
	v_mov_b32_e32 v99, v107
	scratch_store_b64 off, v[98:99], off offset:232
.LBB110_750:
	s_wait_xcnt 0x0
	s_or_b32 exec_lo, exec_lo, s0
	scratch_load_b64 v[98:99], off, off offset:240
	s_mov_b32 s0, exec_lo
	s_wait_loadcnt 0x0
	ds_store_b64 v1, v[98:99]
	s_wait_storecnt_dscnt 0x0
	s_barrier_signal -1
	s_barrier_wait -1
	s_wait_xcnt 0x0
	v_cmpx_gt_u32_e32 30, v0
	s_cbranch_execz .LBB110_760
; %bb.751:
	v_cmp_ne_u32_e32 vcc_lo, 1, v100
	s_cbranch_vccnz .LBB110_753
; %bb.752:
	scratch_load_b64 v[98:99], v59, off
	ds_load_b64 v[102:103], v1
	s_wait_loadcnt_dscnt 0x0
	v_pk_mul_f32 v[104:105], v[102:103], v[98:99] op_sel:[1,1] op_sel_hi:[0,1]
	s_delay_alu instid0(VALU_DEP_1) | instskip(SKIP_1) | instid1(VALU_DEP_2)
	v_pk_fma_f32 v[106:107], v[102:103], v[98:99], v[104:105] op_sel_hi:[1,0,1]
	v_pk_fma_f32 v[98:99], v[102:103], v[98:99], v[104:105] neg_lo:[0,0,1] neg_hi:[0,0,1]
	v_mov_b32_e32 v99, v107
	s_cbranch_execz .LBB110_754
	s_branch .LBB110_755
.LBB110_753:
                                        ; implicit-def: $vgpr98_vgpr99
.LBB110_754:
	ds_load_b64 v[98:99], v1
.LBB110_755:
	s_mov_b32 s4, exec_lo
	v_cmpx_ne_u32_e32 29, v0
	s_cbranch_execz .LBB110_759
; %bb.756:
	v_add_nc_u32_e32 v101, 0x188, v58
	v_add3_u32 v102, 0, v58, 8
	v_mov_b32_e32 v103, v0
	s_mov_b32 s5, 0
.LBB110_757:                            ; =>This Inner Loop Header: Depth=1
	scratch_load_b64 v[104:105], v102, off
	ds_load_b64 v[106:107], v101
	s_wait_xcnt 0x0
	v_dual_add_nc_u32 v101, 8, v101 :: v_dual_add_nc_u32 v102, 8, v102
	s_wait_loadcnt_dscnt 0x0
	v_pk_mul_f32 v[108:109], v[106:107], v[104:105] op_sel:[1,1] op_sel_hi:[0,1]
	s_delay_alu instid0(VALU_DEP_1) | instskip(SKIP_2) | instid1(VALU_DEP_3)
	v_pk_fma_f32 v[110:111], v[106:107], v[104:105], v[108:109] op_sel_hi:[1,0,1]
	v_add_nc_u32_e32 v103, 1, v103
	v_pk_fma_f32 v[104:105], v[106:107], v[104:105], v[108:109] neg_lo:[0,0,1] neg_hi:[0,0,1]
	v_mov_b32_e32 v105, v111
	s_delay_alu instid0(VALU_DEP_3) | instskip(NEXT) | instid1(VALU_DEP_2)
	v_cmp_lt_u32_e32 vcc_lo, 28, v103
	v_pk_add_f32 v[98:99], v[98:99], v[104:105]
	s_or_b32 s5, vcc_lo, s5
	s_delay_alu instid0(SALU_CYCLE_1)
	s_and_not1_b32 exec_lo, exec_lo, s5
	s_cbranch_execnz .LBB110_757
; %bb.758:
	s_or_b32 exec_lo, exec_lo, s5
.LBB110_759:
	s_delay_alu instid0(SALU_CYCLE_1) | instskip(SKIP_4) | instid1(VALU_DEP_1)
	s_or_b32 exec_lo, exec_lo, s4
	v_mov_b32_e32 v101, 0
	ds_load_b64 v[102:103], v101 offset:240
	s_wait_dscnt 0x0
	v_pk_mul_f32 v[104:105], v[98:99], v[102:103] op_sel:[1,1] op_sel_hi:[0,1]
	v_pk_fma_f32 v[106:107], v[98:99], v[102:103], v[104:105] op_sel_hi:[1,0,1]
	v_pk_fma_f32 v[98:99], v[98:99], v[102:103], v[104:105] neg_lo:[0,0,1] neg_hi:[0,0,1]
	s_delay_alu instid0(VALU_DEP_2)
	v_mov_b32_e32 v99, v107
	scratch_store_b64 off, v[98:99], off offset:240
.LBB110_760:
	s_wait_xcnt 0x0
	s_or_b32 exec_lo, exec_lo, s0
	scratch_load_b64 v[98:99], off, off offset:248
	s_mov_b32 s0, exec_lo
	s_wait_loadcnt 0x0
	ds_store_b64 v1, v[98:99]
	s_wait_storecnt_dscnt 0x0
	s_barrier_signal -1
	s_barrier_wait -1
	s_wait_xcnt 0x0
	v_cmpx_gt_u32_e32 31, v0
	s_cbranch_execz .LBB110_770
; %bb.761:
	v_cmp_ne_u32_e32 vcc_lo, 1, v100
	s_cbranch_vccnz .LBB110_763
; %bb.762:
	scratch_load_b64 v[98:99], v59, off
	ds_load_b64 v[102:103], v1
	s_wait_loadcnt_dscnt 0x0
	v_pk_mul_f32 v[104:105], v[102:103], v[98:99] op_sel:[1,1] op_sel_hi:[0,1]
	s_delay_alu instid0(VALU_DEP_1) | instskip(SKIP_1) | instid1(VALU_DEP_2)
	v_pk_fma_f32 v[106:107], v[102:103], v[98:99], v[104:105] op_sel_hi:[1,0,1]
	v_pk_fma_f32 v[98:99], v[102:103], v[98:99], v[104:105] neg_lo:[0,0,1] neg_hi:[0,0,1]
	v_mov_b32_e32 v99, v107
	s_cbranch_execz .LBB110_764
	s_branch .LBB110_765
.LBB110_763:
                                        ; implicit-def: $vgpr98_vgpr99
.LBB110_764:
	ds_load_b64 v[98:99], v1
.LBB110_765:
	s_mov_b32 s4, exec_lo
	v_cmpx_ne_u32_e32 30, v0
	s_cbranch_execz .LBB110_769
; %bb.766:
	v_add_nc_u32_e32 v101, 0x188, v58
	v_add3_u32 v102, 0, v58, 8
	v_mov_b32_e32 v103, v0
	s_mov_b32 s5, 0
.LBB110_767:                            ; =>This Inner Loop Header: Depth=1
	scratch_load_b64 v[104:105], v102, off
	ds_load_b64 v[106:107], v101
	s_wait_xcnt 0x0
	v_dual_add_nc_u32 v101, 8, v101 :: v_dual_add_nc_u32 v102, 8, v102
	s_wait_loadcnt_dscnt 0x0
	v_pk_mul_f32 v[108:109], v[106:107], v[104:105] op_sel:[1,1] op_sel_hi:[0,1]
	s_delay_alu instid0(VALU_DEP_1) | instskip(SKIP_2) | instid1(VALU_DEP_3)
	v_pk_fma_f32 v[110:111], v[106:107], v[104:105], v[108:109] op_sel_hi:[1,0,1]
	v_add_nc_u32_e32 v103, 1, v103
	v_pk_fma_f32 v[104:105], v[106:107], v[104:105], v[108:109] neg_lo:[0,0,1] neg_hi:[0,0,1]
	v_mov_b32_e32 v105, v111
	s_delay_alu instid0(VALU_DEP_3) | instskip(NEXT) | instid1(VALU_DEP_2)
	v_cmp_lt_u32_e32 vcc_lo, 29, v103
	v_pk_add_f32 v[98:99], v[98:99], v[104:105]
	s_or_b32 s5, vcc_lo, s5
	s_delay_alu instid0(SALU_CYCLE_1)
	s_and_not1_b32 exec_lo, exec_lo, s5
	s_cbranch_execnz .LBB110_767
; %bb.768:
	s_or_b32 exec_lo, exec_lo, s5
.LBB110_769:
	s_delay_alu instid0(SALU_CYCLE_1) | instskip(SKIP_4) | instid1(VALU_DEP_1)
	s_or_b32 exec_lo, exec_lo, s4
	v_mov_b32_e32 v101, 0
	ds_load_b64 v[102:103], v101 offset:248
	s_wait_dscnt 0x0
	v_pk_mul_f32 v[104:105], v[98:99], v[102:103] op_sel:[1,1] op_sel_hi:[0,1]
	v_pk_fma_f32 v[106:107], v[98:99], v[102:103], v[104:105] op_sel_hi:[1,0,1]
	v_pk_fma_f32 v[98:99], v[98:99], v[102:103], v[104:105] neg_lo:[0,0,1] neg_hi:[0,0,1]
	s_delay_alu instid0(VALU_DEP_2)
	v_mov_b32_e32 v99, v107
	scratch_store_b64 off, v[98:99], off offset:248
.LBB110_770:
	s_wait_xcnt 0x0
	s_or_b32 exec_lo, exec_lo, s0
	scratch_load_b64 v[98:99], off, off offset:256
	s_mov_b32 s0, exec_lo
	s_wait_loadcnt 0x0
	ds_store_b64 v1, v[98:99]
	s_wait_storecnt_dscnt 0x0
	s_barrier_signal -1
	s_barrier_wait -1
	s_wait_xcnt 0x0
	v_cmpx_gt_u32_e32 32, v0
	s_cbranch_execz .LBB110_780
; %bb.771:
	v_cmp_ne_u32_e32 vcc_lo, 1, v100
	s_cbranch_vccnz .LBB110_773
; %bb.772:
	scratch_load_b64 v[98:99], v59, off
	ds_load_b64 v[102:103], v1
	s_wait_loadcnt_dscnt 0x0
	v_pk_mul_f32 v[104:105], v[102:103], v[98:99] op_sel:[1,1] op_sel_hi:[0,1]
	s_delay_alu instid0(VALU_DEP_1) | instskip(SKIP_1) | instid1(VALU_DEP_2)
	v_pk_fma_f32 v[106:107], v[102:103], v[98:99], v[104:105] op_sel_hi:[1,0,1]
	v_pk_fma_f32 v[98:99], v[102:103], v[98:99], v[104:105] neg_lo:[0,0,1] neg_hi:[0,0,1]
	v_mov_b32_e32 v99, v107
	s_cbranch_execz .LBB110_774
	s_branch .LBB110_775
.LBB110_773:
                                        ; implicit-def: $vgpr98_vgpr99
.LBB110_774:
	ds_load_b64 v[98:99], v1
.LBB110_775:
	s_mov_b32 s4, exec_lo
	v_cmpx_ne_u32_e32 31, v0
	s_cbranch_execz .LBB110_779
; %bb.776:
	v_add_nc_u32_e32 v101, 0x188, v58
	v_add3_u32 v102, 0, v58, 8
	v_mov_b32_e32 v103, v0
	s_mov_b32 s5, 0
.LBB110_777:                            ; =>This Inner Loop Header: Depth=1
	scratch_load_b64 v[104:105], v102, off
	ds_load_b64 v[106:107], v101
	s_wait_xcnt 0x0
	v_dual_add_nc_u32 v101, 8, v101 :: v_dual_add_nc_u32 v102, 8, v102
	s_wait_loadcnt_dscnt 0x0
	v_pk_mul_f32 v[108:109], v[106:107], v[104:105] op_sel:[1,1] op_sel_hi:[0,1]
	s_delay_alu instid0(VALU_DEP_1) | instskip(SKIP_2) | instid1(VALU_DEP_3)
	v_pk_fma_f32 v[110:111], v[106:107], v[104:105], v[108:109] op_sel_hi:[1,0,1]
	v_add_nc_u32_e32 v103, 1, v103
	v_pk_fma_f32 v[104:105], v[106:107], v[104:105], v[108:109] neg_lo:[0,0,1] neg_hi:[0,0,1]
	v_mov_b32_e32 v105, v111
	s_delay_alu instid0(VALU_DEP_3) | instskip(NEXT) | instid1(VALU_DEP_2)
	v_cmp_lt_u32_e32 vcc_lo, 30, v103
	v_pk_add_f32 v[98:99], v[98:99], v[104:105]
	s_or_b32 s5, vcc_lo, s5
	s_delay_alu instid0(SALU_CYCLE_1)
	s_and_not1_b32 exec_lo, exec_lo, s5
	s_cbranch_execnz .LBB110_777
; %bb.778:
	s_or_b32 exec_lo, exec_lo, s5
.LBB110_779:
	s_delay_alu instid0(SALU_CYCLE_1) | instskip(SKIP_4) | instid1(VALU_DEP_1)
	s_or_b32 exec_lo, exec_lo, s4
	v_mov_b32_e32 v101, 0
	ds_load_b64 v[102:103], v101 offset:256
	s_wait_dscnt 0x0
	v_pk_mul_f32 v[104:105], v[98:99], v[102:103] op_sel:[1,1] op_sel_hi:[0,1]
	v_pk_fma_f32 v[106:107], v[98:99], v[102:103], v[104:105] op_sel_hi:[1,0,1]
	v_pk_fma_f32 v[98:99], v[98:99], v[102:103], v[104:105] neg_lo:[0,0,1] neg_hi:[0,0,1]
	s_delay_alu instid0(VALU_DEP_2)
	v_mov_b32_e32 v99, v107
	scratch_store_b64 off, v[98:99], off offset:256
.LBB110_780:
	s_wait_xcnt 0x0
	s_or_b32 exec_lo, exec_lo, s0
	scratch_load_b64 v[98:99], off, off offset:264
	s_mov_b32 s0, exec_lo
	s_wait_loadcnt 0x0
	ds_store_b64 v1, v[98:99]
	s_wait_storecnt_dscnt 0x0
	s_barrier_signal -1
	s_barrier_wait -1
	s_wait_xcnt 0x0
	v_cmpx_gt_u32_e32 33, v0
	s_cbranch_execz .LBB110_790
; %bb.781:
	v_cmp_ne_u32_e32 vcc_lo, 1, v100
	s_cbranch_vccnz .LBB110_783
; %bb.782:
	scratch_load_b64 v[98:99], v59, off
	ds_load_b64 v[102:103], v1
	s_wait_loadcnt_dscnt 0x0
	v_pk_mul_f32 v[104:105], v[102:103], v[98:99] op_sel:[1,1] op_sel_hi:[0,1]
	s_delay_alu instid0(VALU_DEP_1) | instskip(SKIP_1) | instid1(VALU_DEP_2)
	v_pk_fma_f32 v[106:107], v[102:103], v[98:99], v[104:105] op_sel_hi:[1,0,1]
	v_pk_fma_f32 v[98:99], v[102:103], v[98:99], v[104:105] neg_lo:[0,0,1] neg_hi:[0,0,1]
	v_mov_b32_e32 v99, v107
	s_cbranch_execz .LBB110_784
	s_branch .LBB110_785
.LBB110_783:
                                        ; implicit-def: $vgpr98_vgpr99
.LBB110_784:
	ds_load_b64 v[98:99], v1
.LBB110_785:
	s_mov_b32 s4, exec_lo
	v_cmpx_ne_u32_e32 32, v0
	s_cbranch_execz .LBB110_789
; %bb.786:
	v_add_nc_u32_e32 v101, 0x188, v58
	v_add3_u32 v102, 0, v58, 8
	v_mov_b32_e32 v103, v0
	s_mov_b32 s5, 0
.LBB110_787:                            ; =>This Inner Loop Header: Depth=1
	scratch_load_b64 v[104:105], v102, off
	ds_load_b64 v[106:107], v101
	s_wait_xcnt 0x0
	v_dual_add_nc_u32 v101, 8, v101 :: v_dual_add_nc_u32 v102, 8, v102
	s_wait_loadcnt_dscnt 0x0
	v_pk_mul_f32 v[108:109], v[106:107], v[104:105] op_sel:[1,1] op_sel_hi:[0,1]
	s_delay_alu instid0(VALU_DEP_1) | instskip(SKIP_2) | instid1(VALU_DEP_3)
	v_pk_fma_f32 v[110:111], v[106:107], v[104:105], v[108:109] op_sel_hi:[1,0,1]
	v_add_nc_u32_e32 v103, 1, v103
	v_pk_fma_f32 v[104:105], v[106:107], v[104:105], v[108:109] neg_lo:[0,0,1] neg_hi:[0,0,1]
	v_mov_b32_e32 v105, v111
	s_delay_alu instid0(VALU_DEP_3) | instskip(NEXT) | instid1(VALU_DEP_2)
	v_cmp_lt_u32_e32 vcc_lo, 31, v103
	v_pk_add_f32 v[98:99], v[98:99], v[104:105]
	s_or_b32 s5, vcc_lo, s5
	s_delay_alu instid0(SALU_CYCLE_1)
	s_and_not1_b32 exec_lo, exec_lo, s5
	s_cbranch_execnz .LBB110_787
; %bb.788:
	s_or_b32 exec_lo, exec_lo, s5
.LBB110_789:
	s_delay_alu instid0(SALU_CYCLE_1) | instskip(SKIP_4) | instid1(VALU_DEP_1)
	s_or_b32 exec_lo, exec_lo, s4
	v_mov_b32_e32 v101, 0
	ds_load_b64 v[102:103], v101 offset:264
	s_wait_dscnt 0x0
	v_pk_mul_f32 v[104:105], v[98:99], v[102:103] op_sel:[1,1] op_sel_hi:[0,1]
	v_pk_fma_f32 v[106:107], v[98:99], v[102:103], v[104:105] op_sel_hi:[1,0,1]
	v_pk_fma_f32 v[98:99], v[98:99], v[102:103], v[104:105] neg_lo:[0,0,1] neg_hi:[0,0,1]
	s_delay_alu instid0(VALU_DEP_2)
	v_mov_b32_e32 v99, v107
	scratch_store_b64 off, v[98:99], off offset:264
.LBB110_790:
	s_wait_xcnt 0x0
	s_or_b32 exec_lo, exec_lo, s0
	scratch_load_b64 v[98:99], off, off offset:272
	s_mov_b32 s0, exec_lo
	s_wait_loadcnt 0x0
	ds_store_b64 v1, v[98:99]
	s_wait_storecnt_dscnt 0x0
	s_barrier_signal -1
	s_barrier_wait -1
	s_wait_xcnt 0x0
	v_cmpx_gt_u32_e32 34, v0
	s_cbranch_execz .LBB110_800
; %bb.791:
	v_cmp_ne_u32_e32 vcc_lo, 1, v100
	s_cbranch_vccnz .LBB110_793
; %bb.792:
	scratch_load_b64 v[98:99], v59, off
	ds_load_b64 v[102:103], v1
	s_wait_loadcnt_dscnt 0x0
	v_pk_mul_f32 v[104:105], v[102:103], v[98:99] op_sel:[1,1] op_sel_hi:[0,1]
	s_delay_alu instid0(VALU_DEP_1) | instskip(SKIP_1) | instid1(VALU_DEP_2)
	v_pk_fma_f32 v[106:107], v[102:103], v[98:99], v[104:105] op_sel_hi:[1,0,1]
	v_pk_fma_f32 v[98:99], v[102:103], v[98:99], v[104:105] neg_lo:[0,0,1] neg_hi:[0,0,1]
	v_mov_b32_e32 v99, v107
	s_cbranch_execz .LBB110_794
	s_branch .LBB110_795
.LBB110_793:
                                        ; implicit-def: $vgpr98_vgpr99
.LBB110_794:
	ds_load_b64 v[98:99], v1
.LBB110_795:
	s_mov_b32 s4, exec_lo
	v_cmpx_ne_u32_e32 33, v0
	s_cbranch_execz .LBB110_799
; %bb.796:
	v_add_nc_u32_e32 v101, 0x188, v58
	v_add3_u32 v102, 0, v58, 8
	v_mov_b32_e32 v103, v0
	s_mov_b32 s5, 0
.LBB110_797:                            ; =>This Inner Loop Header: Depth=1
	scratch_load_b64 v[104:105], v102, off
	ds_load_b64 v[106:107], v101
	s_wait_xcnt 0x0
	v_dual_add_nc_u32 v101, 8, v101 :: v_dual_add_nc_u32 v102, 8, v102
	s_wait_loadcnt_dscnt 0x0
	v_pk_mul_f32 v[108:109], v[106:107], v[104:105] op_sel:[1,1] op_sel_hi:[0,1]
	s_delay_alu instid0(VALU_DEP_1) | instskip(SKIP_2) | instid1(VALU_DEP_3)
	v_pk_fma_f32 v[110:111], v[106:107], v[104:105], v[108:109] op_sel_hi:[1,0,1]
	v_add_nc_u32_e32 v103, 1, v103
	v_pk_fma_f32 v[104:105], v[106:107], v[104:105], v[108:109] neg_lo:[0,0,1] neg_hi:[0,0,1]
	v_mov_b32_e32 v105, v111
	s_delay_alu instid0(VALU_DEP_3) | instskip(NEXT) | instid1(VALU_DEP_2)
	v_cmp_lt_u32_e32 vcc_lo, 32, v103
	v_pk_add_f32 v[98:99], v[98:99], v[104:105]
	s_or_b32 s5, vcc_lo, s5
	s_delay_alu instid0(SALU_CYCLE_1)
	s_and_not1_b32 exec_lo, exec_lo, s5
	s_cbranch_execnz .LBB110_797
; %bb.798:
	s_or_b32 exec_lo, exec_lo, s5
.LBB110_799:
	s_delay_alu instid0(SALU_CYCLE_1) | instskip(SKIP_4) | instid1(VALU_DEP_1)
	s_or_b32 exec_lo, exec_lo, s4
	v_mov_b32_e32 v101, 0
	ds_load_b64 v[102:103], v101 offset:272
	s_wait_dscnt 0x0
	v_pk_mul_f32 v[104:105], v[98:99], v[102:103] op_sel:[1,1] op_sel_hi:[0,1]
	v_pk_fma_f32 v[106:107], v[98:99], v[102:103], v[104:105] op_sel_hi:[1,0,1]
	v_pk_fma_f32 v[98:99], v[98:99], v[102:103], v[104:105] neg_lo:[0,0,1] neg_hi:[0,0,1]
	s_delay_alu instid0(VALU_DEP_2)
	v_mov_b32_e32 v99, v107
	scratch_store_b64 off, v[98:99], off offset:272
.LBB110_800:
	s_wait_xcnt 0x0
	s_or_b32 exec_lo, exec_lo, s0
	scratch_load_b64 v[98:99], off, off offset:280
	s_mov_b32 s0, exec_lo
	s_wait_loadcnt 0x0
	ds_store_b64 v1, v[98:99]
	s_wait_storecnt_dscnt 0x0
	s_barrier_signal -1
	s_barrier_wait -1
	s_wait_xcnt 0x0
	v_cmpx_gt_u32_e32 35, v0
	s_cbranch_execz .LBB110_810
; %bb.801:
	v_cmp_ne_u32_e32 vcc_lo, 1, v100
	s_cbranch_vccnz .LBB110_803
; %bb.802:
	scratch_load_b64 v[98:99], v59, off
	ds_load_b64 v[102:103], v1
	s_wait_loadcnt_dscnt 0x0
	v_pk_mul_f32 v[104:105], v[102:103], v[98:99] op_sel:[1,1] op_sel_hi:[0,1]
	s_delay_alu instid0(VALU_DEP_1) | instskip(SKIP_1) | instid1(VALU_DEP_2)
	v_pk_fma_f32 v[106:107], v[102:103], v[98:99], v[104:105] op_sel_hi:[1,0,1]
	v_pk_fma_f32 v[98:99], v[102:103], v[98:99], v[104:105] neg_lo:[0,0,1] neg_hi:[0,0,1]
	v_mov_b32_e32 v99, v107
	s_cbranch_execz .LBB110_804
	s_branch .LBB110_805
.LBB110_803:
                                        ; implicit-def: $vgpr98_vgpr99
.LBB110_804:
	ds_load_b64 v[98:99], v1
.LBB110_805:
	s_mov_b32 s4, exec_lo
	v_cmpx_ne_u32_e32 34, v0
	s_cbranch_execz .LBB110_809
; %bb.806:
	v_add_nc_u32_e32 v101, 0x188, v58
	v_add3_u32 v102, 0, v58, 8
	v_mov_b32_e32 v103, v0
	s_mov_b32 s5, 0
.LBB110_807:                            ; =>This Inner Loop Header: Depth=1
	scratch_load_b64 v[104:105], v102, off
	ds_load_b64 v[106:107], v101
	s_wait_xcnt 0x0
	v_dual_add_nc_u32 v101, 8, v101 :: v_dual_add_nc_u32 v102, 8, v102
	s_wait_loadcnt_dscnt 0x0
	v_pk_mul_f32 v[108:109], v[106:107], v[104:105] op_sel:[1,1] op_sel_hi:[0,1]
	s_delay_alu instid0(VALU_DEP_1) | instskip(SKIP_2) | instid1(VALU_DEP_3)
	v_pk_fma_f32 v[110:111], v[106:107], v[104:105], v[108:109] op_sel_hi:[1,0,1]
	v_add_nc_u32_e32 v103, 1, v103
	v_pk_fma_f32 v[104:105], v[106:107], v[104:105], v[108:109] neg_lo:[0,0,1] neg_hi:[0,0,1]
	v_mov_b32_e32 v105, v111
	s_delay_alu instid0(VALU_DEP_3) | instskip(NEXT) | instid1(VALU_DEP_2)
	v_cmp_lt_u32_e32 vcc_lo, 33, v103
	v_pk_add_f32 v[98:99], v[98:99], v[104:105]
	s_or_b32 s5, vcc_lo, s5
	s_delay_alu instid0(SALU_CYCLE_1)
	s_and_not1_b32 exec_lo, exec_lo, s5
	s_cbranch_execnz .LBB110_807
; %bb.808:
	s_or_b32 exec_lo, exec_lo, s5
.LBB110_809:
	s_delay_alu instid0(SALU_CYCLE_1) | instskip(SKIP_4) | instid1(VALU_DEP_1)
	s_or_b32 exec_lo, exec_lo, s4
	v_mov_b32_e32 v101, 0
	ds_load_b64 v[102:103], v101 offset:280
	s_wait_dscnt 0x0
	v_pk_mul_f32 v[104:105], v[98:99], v[102:103] op_sel:[1,1] op_sel_hi:[0,1]
	v_pk_fma_f32 v[106:107], v[98:99], v[102:103], v[104:105] op_sel_hi:[1,0,1]
	v_pk_fma_f32 v[98:99], v[98:99], v[102:103], v[104:105] neg_lo:[0,0,1] neg_hi:[0,0,1]
	s_delay_alu instid0(VALU_DEP_2)
	v_mov_b32_e32 v99, v107
	scratch_store_b64 off, v[98:99], off offset:280
.LBB110_810:
	s_wait_xcnt 0x0
	s_or_b32 exec_lo, exec_lo, s0
	scratch_load_b64 v[98:99], off, off offset:288
	s_mov_b32 s0, exec_lo
	s_wait_loadcnt 0x0
	ds_store_b64 v1, v[98:99]
	s_wait_storecnt_dscnt 0x0
	s_barrier_signal -1
	s_barrier_wait -1
	s_wait_xcnt 0x0
	v_cmpx_gt_u32_e32 36, v0
	s_cbranch_execz .LBB110_820
; %bb.811:
	v_cmp_ne_u32_e32 vcc_lo, 1, v100
	s_cbranch_vccnz .LBB110_813
; %bb.812:
	scratch_load_b64 v[98:99], v59, off
	ds_load_b64 v[102:103], v1
	s_wait_loadcnt_dscnt 0x0
	v_pk_mul_f32 v[104:105], v[102:103], v[98:99] op_sel:[1,1] op_sel_hi:[0,1]
	s_delay_alu instid0(VALU_DEP_1) | instskip(SKIP_1) | instid1(VALU_DEP_2)
	v_pk_fma_f32 v[106:107], v[102:103], v[98:99], v[104:105] op_sel_hi:[1,0,1]
	v_pk_fma_f32 v[98:99], v[102:103], v[98:99], v[104:105] neg_lo:[0,0,1] neg_hi:[0,0,1]
	v_mov_b32_e32 v99, v107
	s_cbranch_execz .LBB110_814
	s_branch .LBB110_815
.LBB110_813:
                                        ; implicit-def: $vgpr98_vgpr99
.LBB110_814:
	ds_load_b64 v[98:99], v1
.LBB110_815:
	s_mov_b32 s4, exec_lo
	v_cmpx_ne_u32_e32 35, v0
	s_cbranch_execz .LBB110_819
; %bb.816:
	v_add_nc_u32_e32 v101, 0x188, v58
	v_add3_u32 v102, 0, v58, 8
	v_mov_b32_e32 v103, v0
	s_mov_b32 s5, 0
.LBB110_817:                            ; =>This Inner Loop Header: Depth=1
	scratch_load_b64 v[104:105], v102, off
	ds_load_b64 v[106:107], v101
	s_wait_xcnt 0x0
	v_dual_add_nc_u32 v101, 8, v101 :: v_dual_add_nc_u32 v102, 8, v102
	s_wait_loadcnt_dscnt 0x0
	v_pk_mul_f32 v[108:109], v[106:107], v[104:105] op_sel:[1,1] op_sel_hi:[0,1]
	s_delay_alu instid0(VALU_DEP_1) | instskip(SKIP_2) | instid1(VALU_DEP_3)
	v_pk_fma_f32 v[110:111], v[106:107], v[104:105], v[108:109] op_sel_hi:[1,0,1]
	v_add_nc_u32_e32 v103, 1, v103
	v_pk_fma_f32 v[104:105], v[106:107], v[104:105], v[108:109] neg_lo:[0,0,1] neg_hi:[0,0,1]
	v_mov_b32_e32 v105, v111
	s_delay_alu instid0(VALU_DEP_3) | instskip(NEXT) | instid1(VALU_DEP_2)
	v_cmp_lt_u32_e32 vcc_lo, 34, v103
	v_pk_add_f32 v[98:99], v[98:99], v[104:105]
	s_or_b32 s5, vcc_lo, s5
	s_delay_alu instid0(SALU_CYCLE_1)
	s_and_not1_b32 exec_lo, exec_lo, s5
	s_cbranch_execnz .LBB110_817
; %bb.818:
	s_or_b32 exec_lo, exec_lo, s5
.LBB110_819:
	s_delay_alu instid0(SALU_CYCLE_1) | instskip(SKIP_4) | instid1(VALU_DEP_1)
	s_or_b32 exec_lo, exec_lo, s4
	v_mov_b32_e32 v101, 0
	ds_load_b64 v[102:103], v101 offset:288
	s_wait_dscnt 0x0
	v_pk_mul_f32 v[104:105], v[98:99], v[102:103] op_sel:[1,1] op_sel_hi:[0,1]
	v_pk_fma_f32 v[106:107], v[98:99], v[102:103], v[104:105] op_sel_hi:[1,0,1]
	v_pk_fma_f32 v[98:99], v[98:99], v[102:103], v[104:105] neg_lo:[0,0,1] neg_hi:[0,0,1]
	s_delay_alu instid0(VALU_DEP_2)
	v_mov_b32_e32 v99, v107
	scratch_store_b64 off, v[98:99], off offset:288
.LBB110_820:
	s_wait_xcnt 0x0
	s_or_b32 exec_lo, exec_lo, s0
	scratch_load_b64 v[98:99], off, off offset:296
	s_mov_b32 s0, exec_lo
	s_wait_loadcnt 0x0
	ds_store_b64 v1, v[98:99]
	s_wait_storecnt_dscnt 0x0
	s_barrier_signal -1
	s_barrier_wait -1
	s_wait_xcnt 0x0
	v_cmpx_gt_u32_e32 37, v0
	s_cbranch_execz .LBB110_830
; %bb.821:
	v_cmp_ne_u32_e32 vcc_lo, 1, v100
	s_cbranch_vccnz .LBB110_823
; %bb.822:
	scratch_load_b64 v[98:99], v59, off
	ds_load_b64 v[102:103], v1
	s_wait_loadcnt_dscnt 0x0
	v_pk_mul_f32 v[104:105], v[102:103], v[98:99] op_sel:[1,1] op_sel_hi:[0,1]
	s_delay_alu instid0(VALU_DEP_1) | instskip(SKIP_1) | instid1(VALU_DEP_2)
	v_pk_fma_f32 v[106:107], v[102:103], v[98:99], v[104:105] op_sel_hi:[1,0,1]
	v_pk_fma_f32 v[98:99], v[102:103], v[98:99], v[104:105] neg_lo:[0,0,1] neg_hi:[0,0,1]
	v_mov_b32_e32 v99, v107
	s_cbranch_execz .LBB110_824
	s_branch .LBB110_825
.LBB110_823:
                                        ; implicit-def: $vgpr98_vgpr99
.LBB110_824:
	ds_load_b64 v[98:99], v1
.LBB110_825:
	s_mov_b32 s4, exec_lo
	v_cmpx_ne_u32_e32 36, v0
	s_cbranch_execz .LBB110_829
; %bb.826:
	v_add_nc_u32_e32 v101, 0x188, v58
	v_add3_u32 v102, 0, v58, 8
	v_mov_b32_e32 v103, v0
	s_mov_b32 s5, 0
.LBB110_827:                            ; =>This Inner Loop Header: Depth=1
	scratch_load_b64 v[104:105], v102, off
	ds_load_b64 v[106:107], v101
	s_wait_xcnt 0x0
	v_dual_add_nc_u32 v101, 8, v101 :: v_dual_add_nc_u32 v102, 8, v102
	s_wait_loadcnt_dscnt 0x0
	v_pk_mul_f32 v[108:109], v[106:107], v[104:105] op_sel:[1,1] op_sel_hi:[0,1]
	s_delay_alu instid0(VALU_DEP_1) | instskip(SKIP_2) | instid1(VALU_DEP_3)
	v_pk_fma_f32 v[110:111], v[106:107], v[104:105], v[108:109] op_sel_hi:[1,0,1]
	v_add_nc_u32_e32 v103, 1, v103
	v_pk_fma_f32 v[104:105], v[106:107], v[104:105], v[108:109] neg_lo:[0,0,1] neg_hi:[0,0,1]
	v_mov_b32_e32 v105, v111
	s_delay_alu instid0(VALU_DEP_3) | instskip(NEXT) | instid1(VALU_DEP_2)
	v_cmp_lt_u32_e32 vcc_lo, 35, v103
	v_pk_add_f32 v[98:99], v[98:99], v[104:105]
	s_or_b32 s5, vcc_lo, s5
	s_delay_alu instid0(SALU_CYCLE_1)
	s_and_not1_b32 exec_lo, exec_lo, s5
	s_cbranch_execnz .LBB110_827
; %bb.828:
	s_or_b32 exec_lo, exec_lo, s5
.LBB110_829:
	s_delay_alu instid0(SALU_CYCLE_1) | instskip(SKIP_4) | instid1(VALU_DEP_1)
	s_or_b32 exec_lo, exec_lo, s4
	v_mov_b32_e32 v101, 0
	ds_load_b64 v[102:103], v101 offset:296
	s_wait_dscnt 0x0
	v_pk_mul_f32 v[104:105], v[98:99], v[102:103] op_sel:[1,1] op_sel_hi:[0,1]
	v_pk_fma_f32 v[106:107], v[98:99], v[102:103], v[104:105] op_sel_hi:[1,0,1]
	v_pk_fma_f32 v[98:99], v[98:99], v[102:103], v[104:105] neg_lo:[0,0,1] neg_hi:[0,0,1]
	s_delay_alu instid0(VALU_DEP_2)
	v_mov_b32_e32 v99, v107
	scratch_store_b64 off, v[98:99], off offset:296
.LBB110_830:
	s_wait_xcnt 0x0
	s_or_b32 exec_lo, exec_lo, s0
	scratch_load_b64 v[98:99], off, off offset:304
	s_mov_b32 s0, exec_lo
	s_wait_loadcnt 0x0
	ds_store_b64 v1, v[98:99]
	s_wait_storecnt_dscnt 0x0
	s_barrier_signal -1
	s_barrier_wait -1
	s_wait_xcnt 0x0
	v_cmpx_gt_u32_e32 38, v0
	s_cbranch_execz .LBB110_840
; %bb.831:
	v_cmp_ne_u32_e32 vcc_lo, 1, v100
	s_cbranch_vccnz .LBB110_833
; %bb.832:
	scratch_load_b64 v[98:99], v59, off
	ds_load_b64 v[102:103], v1
	s_wait_loadcnt_dscnt 0x0
	v_pk_mul_f32 v[104:105], v[102:103], v[98:99] op_sel:[1,1] op_sel_hi:[0,1]
	s_delay_alu instid0(VALU_DEP_1) | instskip(SKIP_1) | instid1(VALU_DEP_2)
	v_pk_fma_f32 v[106:107], v[102:103], v[98:99], v[104:105] op_sel_hi:[1,0,1]
	v_pk_fma_f32 v[98:99], v[102:103], v[98:99], v[104:105] neg_lo:[0,0,1] neg_hi:[0,0,1]
	v_mov_b32_e32 v99, v107
	s_cbranch_execz .LBB110_834
	s_branch .LBB110_835
.LBB110_833:
                                        ; implicit-def: $vgpr98_vgpr99
.LBB110_834:
	ds_load_b64 v[98:99], v1
.LBB110_835:
	s_mov_b32 s4, exec_lo
	v_cmpx_ne_u32_e32 37, v0
	s_cbranch_execz .LBB110_839
; %bb.836:
	v_add_nc_u32_e32 v101, 0x188, v58
	v_add3_u32 v102, 0, v58, 8
	v_mov_b32_e32 v103, v0
	s_mov_b32 s5, 0
.LBB110_837:                            ; =>This Inner Loop Header: Depth=1
	scratch_load_b64 v[104:105], v102, off
	ds_load_b64 v[106:107], v101
	s_wait_xcnt 0x0
	v_dual_add_nc_u32 v101, 8, v101 :: v_dual_add_nc_u32 v102, 8, v102
	s_wait_loadcnt_dscnt 0x0
	v_pk_mul_f32 v[108:109], v[106:107], v[104:105] op_sel:[1,1] op_sel_hi:[0,1]
	s_delay_alu instid0(VALU_DEP_1) | instskip(SKIP_2) | instid1(VALU_DEP_3)
	v_pk_fma_f32 v[110:111], v[106:107], v[104:105], v[108:109] op_sel_hi:[1,0,1]
	v_add_nc_u32_e32 v103, 1, v103
	v_pk_fma_f32 v[104:105], v[106:107], v[104:105], v[108:109] neg_lo:[0,0,1] neg_hi:[0,0,1]
	v_mov_b32_e32 v105, v111
	s_delay_alu instid0(VALU_DEP_3) | instskip(NEXT) | instid1(VALU_DEP_2)
	v_cmp_lt_u32_e32 vcc_lo, 36, v103
	v_pk_add_f32 v[98:99], v[98:99], v[104:105]
	s_or_b32 s5, vcc_lo, s5
	s_delay_alu instid0(SALU_CYCLE_1)
	s_and_not1_b32 exec_lo, exec_lo, s5
	s_cbranch_execnz .LBB110_837
; %bb.838:
	s_or_b32 exec_lo, exec_lo, s5
.LBB110_839:
	s_delay_alu instid0(SALU_CYCLE_1) | instskip(SKIP_4) | instid1(VALU_DEP_1)
	s_or_b32 exec_lo, exec_lo, s4
	v_mov_b32_e32 v101, 0
	ds_load_b64 v[102:103], v101 offset:304
	s_wait_dscnt 0x0
	v_pk_mul_f32 v[104:105], v[98:99], v[102:103] op_sel:[1,1] op_sel_hi:[0,1]
	v_pk_fma_f32 v[106:107], v[98:99], v[102:103], v[104:105] op_sel_hi:[1,0,1]
	v_pk_fma_f32 v[98:99], v[98:99], v[102:103], v[104:105] neg_lo:[0,0,1] neg_hi:[0,0,1]
	s_delay_alu instid0(VALU_DEP_2)
	v_mov_b32_e32 v99, v107
	scratch_store_b64 off, v[98:99], off offset:304
.LBB110_840:
	s_wait_xcnt 0x0
	s_or_b32 exec_lo, exec_lo, s0
	scratch_load_b64 v[98:99], off, off offset:312
	s_mov_b32 s0, exec_lo
	s_wait_loadcnt 0x0
	ds_store_b64 v1, v[98:99]
	s_wait_storecnt_dscnt 0x0
	s_barrier_signal -1
	s_barrier_wait -1
	s_wait_xcnt 0x0
	v_cmpx_gt_u32_e32 39, v0
	s_cbranch_execz .LBB110_850
; %bb.841:
	v_cmp_ne_u32_e32 vcc_lo, 1, v100
	s_cbranch_vccnz .LBB110_843
; %bb.842:
	scratch_load_b64 v[98:99], v59, off
	ds_load_b64 v[102:103], v1
	s_wait_loadcnt_dscnt 0x0
	v_pk_mul_f32 v[104:105], v[102:103], v[98:99] op_sel:[1,1] op_sel_hi:[0,1]
	s_delay_alu instid0(VALU_DEP_1) | instskip(SKIP_1) | instid1(VALU_DEP_2)
	v_pk_fma_f32 v[106:107], v[102:103], v[98:99], v[104:105] op_sel_hi:[1,0,1]
	v_pk_fma_f32 v[98:99], v[102:103], v[98:99], v[104:105] neg_lo:[0,0,1] neg_hi:[0,0,1]
	v_mov_b32_e32 v99, v107
	s_cbranch_execz .LBB110_844
	s_branch .LBB110_845
.LBB110_843:
                                        ; implicit-def: $vgpr98_vgpr99
.LBB110_844:
	ds_load_b64 v[98:99], v1
.LBB110_845:
	s_mov_b32 s4, exec_lo
	v_cmpx_ne_u32_e32 38, v0
	s_cbranch_execz .LBB110_849
; %bb.846:
	v_add_nc_u32_e32 v101, 0x188, v58
	v_add3_u32 v102, 0, v58, 8
	v_mov_b32_e32 v103, v0
	s_mov_b32 s5, 0
.LBB110_847:                            ; =>This Inner Loop Header: Depth=1
	scratch_load_b64 v[104:105], v102, off
	ds_load_b64 v[106:107], v101
	s_wait_xcnt 0x0
	v_dual_add_nc_u32 v101, 8, v101 :: v_dual_add_nc_u32 v102, 8, v102
	s_wait_loadcnt_dscnt 0x0
	v_pk_mul_f32 v[108:109], v[106:107], v[104:105] op_sel:[1,1] op_sel_hi:[0,1]
	s_delay_alu instid0(VALU_DEP_1) | instskip(SKIP_2) | instid1(VALU_DEP_3)
	v_pk_fma_f32 v[110:111], v[106:107], v[104:105], v[108:109] op_sel_hi:[1,0,1]
	v_add_nc_u32_e32 v103, 1, v103
	v_pk_fma_f32 v[104:105], v[106:107], v[104:105], v[108:109] neg_lo:[0,0,1] neg_hi:[0,0,1]
	v_mov_b32_e32 v105, v111
	s_delay_alu instid0(VALU_DEP_3) | instskip(NEXT) | instid1(VALU_DEP_2)
	v_cmp_lt_u32_e32 vcc_lo, 37, v103
	v_pk_add_f32 v[98:99], v[98:99], v[104:105]
	s_or_b32 s5, vcc_lo, s5
	s_delay_alu instid0(SALU_CYCLE_1)
	s_and_not1_b32 exec_lo, exec_lo, s5
	s_cbranch_execnz .LBB110_847
; %bb.848:
	s_or_b32 exec_lo, exec_lo, s5
.LBB110_849:
	s_delay_alu instid0(SALU_CYCLE_1) | instskip(SKIP_4) | instid1(VALU_DEP_1)
	s_or_b32 exec_lo, exec_lo, s4
	v_mov_b32_e32 v101, 0
	ds_load_b64 v[102:103], v101 offset:312
	s_wait_dscnt 0x0
	v_pk_mul_f32 v[104:105], v[98:99], v[102:103] op_sel:[1,1] op_sel_hi:[0,1]
	v_pk_fma_f32 v[106:107], v[98:99], v[102:103], v[104:105] op_sel_hi:[1,0,1]
	v_pk_fma_f32 v[98:99], v[98:99], v[102:103], v[104:105] neg_lo:[0,0,1] neg_hi:[0,0,1]
	s_delay_alu instid0(VALU_DEP_2)
	v_mov_b32_e32 v99, v107
	scratch_store_b64 off, v[98:99], off offset:312
.LBB110_850:
	s_wait_xcnt 0x0
	s_or_b32 exec_lo, exec_lo, s0
	scratch_load_b64 v[98:99], off, off offset:320
	s_mov_b32 s0, exec_lo
	s_wait_loadcnt 0x0
	ds_store_b64 v1, v[98:99]
	s_wait_storecnt_dscnt 0x0
	s_barrier_signal -1
	s_barrier_wait -1
	s_wait_xcnt 0x0
	v_cmpx_gt_u32_e32 40, v0
	s_cbranch_execz .LBB110_860
; %bb.851:
	v_cmp_ne_u32_e32 vcc_lo, 1, v100
	s_cbranch_vccnz .LBB110_853
; %bb.852:
	scratch_load_b64 v[98:99], v59, off
	ds_load_b64 v[102:103], v1
	s_wait_loadcnt_dscnt 0x0
	v_pk_mul_f32 v[104:105], v[102:103], v[98:99] op_sel:[1,1] op_sel_hi:[0,1]
	s_delay_alu instid0(VALU_DEP_1) | instskip(SKIP_1) | instid1(VALU_DEP_2)
	v_pk_fma_f32 v[106:107], v[102:103], v[98:99], v[104:105] op_sel_hi:[1,0,1]
	v_pk_fma_f32 v[98:99], v[102:103], v[98:99], v[104:105] neg_lo:[0,0,1] neg_hi:[0,0,1]
	v_mov_b32_e32 v99, v107
	s_cbranch_execz .LBB110_854
	s_branch .LBB110_855
.LBB110_853:
                                        ; implicit-def: $vgpr98_vgpr99
.LBB110_854:
	ds_load_b64 v[98:99], v1
.LBB110_855:
	s_mov_b32 s4, exec_lo
	v_cmpx_ne_u32_e32 39, v0
	s_cbranch_execz .LBB110_859
; %bb.856:
	v_add_nc_u32_e32 v101, 0x188, v58
	v_add3_u32 v102, 0, v58, 8
	v_mov_b32_e32 v103, v0
	s_mov_b32 s5, 0
.LBB110_857:                            ; =>This Inner Loop Header: Depth=1
	scratch_load_b64 v[104:105], v102, off
	ds_load_b64 v[106:107], v101
	s_wait_xcnt 0x0
	v_dual_add_nc_u32 v101, 8, v101 :: v_dual_add_nc_u32 v102, 8, v102
	s_wait_loadcnt_dscnt 0x0
	v_pk_mul_f32 v[108:109], v[106:107], v[104:105] op_sel:[1,1] op_sel_hi:[0,1]
	s_delay_alu instid0(VALU_DEP_1) | instskip(SKIP_2) | instid1(VALU_DEP_3)
	v_pk_fma_f32 v[110:111], v[106:107], v[104:105], v[108:109] op_sel_hi:[1,0,1]
	v_add_nc_u32_e32 v103, 1, v103
	v_pk_fma_f32 v[104:105], v[106:107], v[104:105], v[108:109] neg_lo:[0,0,1] neg_hi:[0,0,1]
	v_mov_b32_e32 v105, v111
	s_delay_alu instid0(VALU_DEP_3) | instskip(NEXT) | instid1(VALU_DEP_2)
	v_cmp_lt_u32_e32 vcc_lo, 38, v103
	v_pk_add_f32 v[98:99], v[98:99], v[104:105]
	s_or_b32 s5, vcc_lo, s5
	s_delay_alu instid0(SALU_CYCLE_1)
	s_and_not1_b32 exec_lo, exec_lo, s5
	s_cbranch_execnz .LBB110_857
; %bb.858:
	s_or_b32 exec_lo, exec_lo, s5
.LBB110_859:
	s_delay_alu instid0(SALU_CYCLE_1) | instskip(SKIP_4) | instid1(VALU_DEP_1)
	s_or_b32 exec_lo, exec_lo, s4
	v_mov_b32_e32 v101, 0
	ds_load_b64 v[102:103], v101 offset:320
	s_wait_dscnt 0x0
	v_pk_mul_f32 v[104:105], v[98:99], v[102:103] op_sel:[1,1] op_sel_hi:[0,1]
	v_pk_fma_f32 v[106:107], v[98:99], v[102:103], v[104:105] op_sel_hi:[1,0,1]
	v_pk_fma_f32 v[98:99], v[98:99], v[102:103], v[104:105] neg_lo:[0,0,1] neg_hi:[0,0,1]
	s_delay_alu instid0(VALU_DEP_2)
	v_mov_b32_e32 v99, v107
	scratch_store_b64 off, v[98:99], off offset:320
.LBB110_860:
	s_wait_xcnt 0x0
	s_or_b32 exec_lo, exec_lo, s0
	scratch_load_b64 v[98:99], off, off offset:328
	s_mov_b32 s0, exec_lo
	s_wait_loadcnt 0x0
	ds_store_b64 v1, v[98:99]
	s_wait_storecnt_dscnt 0x0
	s_barrier_signal -1
	s_barrier_wait -1
	s_wait_xcnt 0x0
	v_cmpx_gt_u32_e32 41, v0
	s_cbranch_execz .LBB110_870
; %bb.861:
	v_cmp_ne_u32_e32 vcc_lo, 1, v100
	s_cbranch_vccnz .LBB110_863
; %bb.862:
	scratch_load_b64 v[98:99], v59, off
	ds_load_b64 v[102:103], v1
	s_wait_loadcnt_dscnt 0x0
	v_pk_mul_f32 v[104:105], v[102:103], v[98:99] op_sel:[1,1] op_sel_hi:[0,1]
	s_delay_alu instid0(VALU_DEP_1) | instskip(SKIP_1) | instid1(VALU_DEP_2)
	v_pk_fma_f32 v[106:107], v[102:103], v[98:99], v[104:105] op_sel_hi:[1,0,1]
	v_pk_fma_f32 v[98:99], v[102:103], v[98:99], v[104:105] neg_lo:[0,0,1] neg_hi:[0,0,1]
	v_mov_b32_e32 v99, v107
	s_cbranch_execz .LBB110_864
	s_branch .LBB110_865
.LBB110_863:
                                        ; implicit-def: $vgpr98_vgpr99
.LBB110_864:
	ds_load_b64 v[98:99], v1
.LBB110_865:
	s_mov_b32 s4, exec_lo
	v_cmpx_ne_u32_e32 40, v0
	s_cbranch_execz .LBB110_869
; %bb.866:
	v_add_nc_u32_e32 v101, 0x188, v58
	v_add3_u32 v102, 0, v58, 8
	v_mov_b32_e32 v103, v0
	s_mov_b32 s5, 0
.LBB110_867:                            ; =>This Inner Loop Header: Depth=1
	scratch_load_b64 v[104:105], v102, off
	ds_load_b64 v[106:107], v101
	s_wait_xcnt 0x0
	v_dual_add_nc_u32 v101, 8, v101 :: v_dual_add_nc_u32 v102, 8, v102
	s_wait_loadcnt_dscnt 0x0
	v_pk_mul_f32 v[108:109], v[106:107], v[104:105] op_sel:[1,1] op_sel_hi:[0,1]
	s_delay_alu instid0(VALU_DEP_1) | instskip(SKIP_2) | instid1(VALU_DEP_3)
	v_pk_fma_f32 v[110:111], v[106:107], v[104:105], v[108:109] op_sel_hi:[1,0,1]
	v_add_nc_u32_e32 v103, 1, v103
	v_pk_fma_f32 v[104:105], v[106:107], v[104:105], v[108:109] neg_lo:[0,0,1] neg_hi:[0,0,1]
	v_mov_b32_e32 v105, v111
	s_delay_alu instid0(VALU_DEP_3) | instskip(NEXT) | instid1(VALU_DEP_2)
	v_cmp_lt_u32_e32 vcc_lo, 39, v103
	v_pk_add_f32 v[98:99], v[98:99], v[104:105]
	s_or_b32 s5, vcc_lo, s5
	s_delay_alu instid0(SALU_CYCLE_1)
	s_and_not1_b32 exec_lo, exec_lo, s5
	s_cbranch_execnz .LBB110_867
; %bb.868:
	s_or_b32 exec_lo, exec_lo, s5
.LBB110_869:
	s_delay_alu instid0(SALU_CYCLE_1) | instskip(SKIP_4) | instid1(VALU_DEP_1)
	s_or_b32 exec_lo, exec_lo, s4
	v_mov_b32_e32 v101, 0
	ds_load_b64 v[102:103], v101 offset:328
	s_wait_dscnt 0x0
	v_pk_mul_f32 v[104:105], v[98:99], v[102:103] op_sel:[1,1] op_sel_hi:[0,1]
	v_pk_fma_f32 v[106:107], v[98:99], v[102:103], v[104:105] op_sel_hi:[1,0,1]
	v_pk_fma_f32 v[98:99], v[98:99], v[102:103], v[104:105] neg_lo:[0,0,1] neg_hi:[0,0,1]
	s_delay_alu instid0(VALU_DEP_2)
	v_mov_b32_e32 v99, v107
	scratch_store_b64 off, v[98:99], off offset:328
.LBB110_870:
	s_wait_xcnt 0x0
	s_or_b32 exec_lo, exec_lo, s0
	scratch_load_b64 v[98:99], off, off offset:336
	s_mov_b32 s0, exec_lo
	s_wait_loadcnt 0x0
	ds_store_b64 v1, v[98:99]
	s_wait_storecnt_dscnt 0x0
	s_barrier_signal -1
	s_barrier_wait -1
	s_wait_xcnt 0x0
	v_cmpx_gt_u32_e32 42, v0
	s_cbranch_execz .LBB110_880
; %bb.871:
	v_cmp_ne_u32_e32 vcc_lo, 1, v100
	s_cbranch_vccnz .LBB110_873
; %bb.872:
	scratch_load_b64 v[98:99], v59, off
	ds_load_b64 v[102:103], v1
	s_wait_loadcnt_dscnt 0x0
	v_pk_mul_f32 v[104:105], v[102:103], v[98:99] op_sel:[1,1] op_sel_hi:[0,1]
	s_delay_alu instid0(VALU_DEP_1) | instskip(SKIP_1) | instid1(VALU_DEP_2)
	v_pk_fma_f32 v[106:107], v[102:103], v[98:99], v[104:105] op_sel_hi:[1,0,1]
	v_pk_fma_f32 v[98:99], v[102:103], v[98:99], v[104:105] neg_lo:[0,0,1] neg_hi:[0,0,1]
	v_mov_b32_e32 v99, v107
	s_cbranch_execz .LBB110_874
	s_branch .LBB110_875
.LBB110_873:
                                        ; implicit-def: $vgpr98_vgpr99
.LBB110_874:
	ds_load_b64 v[98:99], v1
.LBB110_875:
	s_mov_b32 s4, exec_lo
	v_cmpx_ne_u32_e32 41, v0
	s_cbranch_execz .LBB110_879
; %bb.876:
	v_add_nc_u32_e32 v101, 0x188, v58
	v_add3_u32 v102, 0, v58, 8
	v_mov_b32_e32 v103, v0
	s_mov_b32 s5, 0
.LBB110_877:                            ; =>This Inner Loop Header: Depth=1
	scratch_load_b64 v[104:105], v102, off
	ds_load_b64 v[106:107], v101
	s_wait_xcnt 0x0
	v_dual_add_nc_u32 v101, 8, v101 :: v_dual_add_nc_u32 v102, 8, v102
	s_wait_loadcnt_dscnt 0x0
	v_pk_mul_f32 v[108:109], v[106:107], v[104:105] op_sel:[1,1] op_sel_hi:[0,1]
	s_delay_alu instid0(VALU_DEP_1) | instskip(SKIP_2) | instid1(VALU_DEP_3)
	v_pk_fma_f32 v[110:111], v[106:107], v[104:105], v[108:109] op_sel_hi:[1,0,1]
	v_add_nc_u32_e32 v103, 1, v103
	v_pk_fma_f32 v[104:105], v[106:107], v[104:105], v[108:109] neg_lo:[0,0,1] neg_hi:[0,0,1]
	v_mov_b32_e32 v105, v111
	s_delay_alu instid0(VALU_DEP_3) | instskip(NEXT) | instid1(VALU_DEP_2)
	v_cmp_lt_u32_e32 vcc_lo, 40, v103
	v_pk_add_f32 v[98:99], v[98:99], v[104:105]
	s_or_b32 s5, vcc_lo, s5
	s_delay_alu instid0(SALU_CYCLE_1)
	s_and_not1_b32 exec_lo, exec_lo, s5
	s_cbranch_execnz .LBB110_877
; %bb.878:
	s_or_b32 exec_lo, exec_lo, s5
.LBB110_879:
	s_delay_alu instid0(SALU_CYCLE_1) | instskip(SKIP_4) | instid1(VALU_DEP_1)
	s_or_b32 exec_lo, exec_lo, s4
	v_mov_b32_e32 v101, 0
	ds_load_b64 v[102:103], v101 offset:336
	s_wait_dscnt 0x0
	v_pk_mul_f32 v[104:105], v[98:99], v[102:103] op_sel:[1,1] op_sel_hi:[0,1]
	v_pk_fma_f32 v[106:107], v[98:99], v[102:103], v[104:105] op_sel_hi:[1,0,1]
	v_pk_fma_f32 v[98:99], v[98:99], v[102:103], v[104:105] neg_lo:[0,0,1] neg_hi:[0,0,1]
	s_delay_alu instid0(VALU_DEP_2)
	v_mov_b32_e32 v99, v107
	scratch_store_b64 off, v[98:99], off offset:336
.LBB110_880:
	s_wait_xcnt 0x0
	s_or_b32 exec_lo, exec_lo, s0
	scratch_load_b64 v[98:99], off, off offset:344
	s_mov_b32 s0, exec_lo
	s_wait_loadcnt 0x0
	ds_store_b64 v1, v[98:99]
	s_wait_storecnt_dscnt 0x0
	s_barrier_signal -1
	s_barrier_wait -1
	s_wait_xcnt 0x0
	v_cmpx_gt_u32_e32 43, v0
	s_cbranch_execz .LBB110_890
; %bb.881:
	v_cmp_ne_u32_e32 vcc_lo, 1, v100
	s_cbranch_vccnz .LBB110_883
; %bb.882:
	scratch_load_b64 v[98:99], v59, off
	ds_load_b64 v[102:103], v1
	s_wait_loadcnt_dscnt 0x0
	v_pk_mul_f32 v[104:105], v[102:103], v[98:99] op_sel:[1,1] op_sel_hi:[0,1]
	s_delay_alu instid0(VALU_DEP_1) | instskip(SKIP_1) | instid1(VALU_DEP_2)
	v_pk_fma_f32 v[106:107], v[102:103], v[98:99], v[104:105] op_sel_hi:[1,0,1]
	v_pk_fma_f32 v[98:99], v[102:103], v[98:99], v[104:105] neg_lo:[0,0,1] neg_hi:[0,0,1]
	v_mov_b32_e32 v99, v107
	s_cbranch_execz .LBB110_884
	s_branch .LBB110_885
.LBB110_883:
                                        ; implicit-def: $vgpr98_vgpr99
.LBB110_884:
	ds_load_b64 v[98:99], v1
.LBB110_885:
	s_mov_b32 s4, exec_lo
	v_cmpx_ne_u32_e32 42, v0
	s_cbranch_execz .LBB110_889
; %bb.886:
	v_add_nc_u32_e32 v101, 0x188, v58
	v_add3_u32 v102, 0, v58, 8
	v_mov_b32_e32 v103, v0
	s_mov_b32 s5, 0
.LBB110_887:                            ; =>This Inner Loop Header: Depth=1
	scratch_load_b64 v[104:105], v102, off
	ds_load_b64 v[106:107], v101
	s_wait_xcnt 0x0
	v_dual_add_nc_u32 v101, 8, v101 :: v_dual_add_nc_u32 v102, 8, v102
	s_wait_loadcnt_dscnt 0x0
	v_pk_mul_f32 v[108:109], v[106:107], v[104:105] op_sel:[1,1] op_sel_hi:[0,1]
	s_delay_alu instid0(VALU_DEP_1) | instskip(SKIP_2) | instid1(VALU_DEP_3)
	v_pk_fma_f32 v[110:111], v[106:107], v[104:105], v[108:109] op_sel_hi:[1,0,1]
	v_add_nc_u32_e32 v103, 1, v103
	v_pk_fma_f32 v[104:105], v[106:107], v[104:105], v[108:109] neg_lo:[0,0,1] neg_hi:[0,0,1]
	v_mov_b32_e32 v105, v111
	s_delay_alu instid0(VALU_DEP_3) | instskip(NEXT) | instid1(VALU_DEP_2)
	v_cmp_lt_u32_e32 vcc_lo, 41, v103
	v_pk_add_f32 v[98:99], v[98:99], v[104:105]
	s_or_b32 s5, vcc_lo, s5
	s_delay_alu instid0(SALU_CYCLE_1)
	s_and_not1_b32 exec_lo, exec_lo, s5
	s_cbranch_execnz .LBB110_887
; %bb.888:
	s_or_b32 exec_lo, exec_lo, s5
.LBB110_889:
	s_delay_alu instid0(SALU_CYCLE_1) | instskip(SKIP_4) | instid1(VALU_DEP_1)
	s_or_b32 exec_lo, exec_lo, s4
	v_mov_b32_e32 v101, 0
	ds_load_b64 v[102:103], v101 offset:344
	s_wait_dscnt 0x0
	v_pk_mul_f32 v[104:105], v[98:99], v[102:103] op_sel:[1,1] op_sel_hi:[0,1]
	v_pk_fma_f32 v[106:107], v[98:99], v[102:103], v[104:105] op_sel_hi:[1,0,1]
	v_pk_fma_f32 v[98:99], v[98:99], v[102:103], v[104:105] neg_lo:[0,0,1] neg_hi:[0,0,1]
	s_delay_alu instid0(VALU_DEP_2)
	v_mov_b32_e32 v99, v107
	scratch_store_b64 off, v[98:99], off offset:344
.LBB110_890:
	s_wait_xcnt 0x0
	s_or_b32 exec_lo, exec_lo, s0
	scratch_load_b64 v[98:99], off, off offset:352
	s_mov_b32 s0, exec_lo
	s_wait_loadcnt 0x0
	ds_store_b64 v1, v[98:99]
	s_wait_storecnt_dscnt 0x0
	s_barrier_signal -1
	s_barrier_wait -1
	s_wait_xcnt 0x0
	v_cmpx_gt_u32_e32 44, v0
	s_cbranch_execz .LBB110_900
; %bb.891:
	v_cmp_ne_u32_e32 vcc_lo, 1, v100
	s_cbranch_vccnz .LBB110_893
; %bb.892:
	scratch_load_b64 v[98:99], v59, off
	ds_load_b64 v[102:103], v1
	s_wait_loadcnt_dscnt 0x0
	v_pk_mul_f32 v[104:105], v[102:103], v[98:99] op_sel:[1,1] op_sel_hi:[0,1]
	s_delay_alu instid0(VALU_DEP_1) | instskip(SKIP_1) | instid1(VALU_DEP_2)
	v_pk_fma_f32 v[106:107], v[102:103], v[98:99], v[104:105] op_sel_hi:[1,0,1]
	v_pk_fma_f32 v[98:99], v[102:103], v[98:99], v[104:105] neg_lo:[0,0,1] neg_hi:[0,0,1]
	v_mov_b32_e32 v99, v107
	s_cbranch_execz .LBB110_894
	s_branch .LBB110_895
.LBB110_893:
                                        ; implicit-def: $vgpr98_vgpr99
.LBB110_894:
	ds_load_b64 v[98:99], v1
.LBB110_895:
	s_mov_b32 s4, exec_lo
	v_cmpx_ne_u32_e32 43, v0
	s_cbranch_execz .LBB110_899
; %bb.896:
	v_add_nc_u32_e32 v101, 0x188, v58
	v_add3_u32 v102, 0, v58, 8
	v_mov_b32_e32 v103, v0
	s_mov_b32 s5, 0
.LBB110_897:                            ; =>This Inner Loop Header: Depth=1
	scratch_load_b64 v[104:105], v102, off
	ds_load_b64 v[106:107], v101
	s_wait_xcnt 0x0
	v_dual_add_nc_u32 v101, 8, v101 :: v_dual_add_nc_u32 v102, 8, v102
	s_wait_loadcnt_dscnt 0x0
	v_pk_mul_f32 v[108:109], v[106:107], v[104:105] op_sel:[1,1] op_sel_hi:[0,1]
	s_delay_alu instid0(VALU_DEP_1) | instskip(SKIP_2) | instid1(VALU_DEP_3)
	v_pk_fma_f32 v[110:111], v[106:107], v[104:105], v[108:109] op_sel_hi:[1,0,1]
	v_add_nc_u32_e32 v103, 1, v103
	v_pk_fma_f32 v[104:105], v[106:107], v[104:105], v[108:109] neg_lo:[0,0,1] neg_hi:[0,0,1]
	v_mov_b32_e32 v105, v111
	s_delay_alu instid0(VALU_DEP_3) | instskip(NEXT) | instid1(VALU_DEP_2)
	v_cmp_lt_u32_e32 vcc_lo, 42, v103
	v_pk_add_f32 v[98:99], v[98:99], v[104:105]
	s_or_b32 s5, vcc_lo, s5
	s_delay_alu instid0(SALU_CYCLE_1)
	s_and_not1_b32 exec_lo, exec_lo, s5
	s_cbranch_execnz .LBB110_897
; %bb.898:
	s_or_b32 exec_lo, exec_lo, s5
.LBB110_899:
	s_delay_alu instid0(SALU_CYCLE_1) | instskip(SKIP_4) | instid1(VALU_DEP_1)
	s_or_b32 exec_lo, exec_lo, s4
	v_mov_b32_e32 v101, 0
	ds_load_b64 v[102:103], v101 offset:352
	s_wait_dscnt 0x0
	v_pk_mul_f32 v[104:105], v[98:99], v[102:103] op_sel:[1,1] op_sel_hi:[0,1]
	v_pk_fma_f32 v[106:107], v[98:99], v[102:103], v[104:105] op_sel_hi:[1,0,1]
	v_pk_fma_f32 v[98:99], v[98:99], v[102:103], v[104:105] neg_lo:[0,0,1] neg_hi:[0,0,1]
	s_delay_alu instid0(VALU_DEP_2)
	v_mov_b32_e32 v99, v107
	scratch_store_b64 off, v[98:99], off offset:352
.LBB110_900:
	s_wait_xcnt 0x0
	s_or_b32 exec_lo, exec_lo, s0
	scratch_load_b64 v[98:99], off, off offset:360
	v_cmp_gt_u32_e64 s0, 45, v0
	s_wait_loadcnt 0x0
	ds_store_b64 v1, v[98:99]
	s_wait_storecnt_dscnt 0x0
	s_barrier_signal -1
	s_barrier_wait -1
	s_wait_xcnt 0x0
	s_and_saveexec_b32 s4, s0
	s_cbranch_execz .LBB110_910
; %bb.901:
	v_cmp_ne_u32_e32 vcc_lo, 1, v100
	s_cbranch_vccnz .LBB110_903
; %bb.902:
	scratch_load_b64 v[98:99], v59, off
	ds_load_b64 v[102:103], v1
	s_wait_loadcnt_dscnt 0x0
	v_pk_mul_f32 v[104:105], v[102:103], v[98:99] op_sel:[1,1] op_sel_hi:[0,1]
	s_delay_alu instid0(VALU_DEP_1) | instskip(SKIP_1) | instid1(VALU_DEP_2)
	v_pk_fma_f32 v[106:107], v[102:103], v[98:99], v[104:105] op_sel_hi:[1,0,1]
	v_pk_fma_f32 v[98:99], v[102:103], v[98:99], v[104:105] neg_lo:[0,0,1] neg_hi:[0,0,1]
	v_mov_b32_e32 v99, v107
	s_cbranch_execz .LBB110_904
	s_branch .LBB110_905
.LBB110_903:
                                        ; implicit-def: $vgpr98_vgpr99
.LBB110_904:
	ds_load_b64 v[98:99], v1
.LBB110_905:
	s_mov_b32 s5, exec_lo
	v_cmpx_ne_u32_e32 44, v0
	s_cbranch_execz .LBB110_909
; %bb.906:
	v_add_nc_u32_e32 v101, 0x188, v58
	v_add3_u32 v102, 0, v58, 8
	v_mov_b32_e32 v103, v0
	s_mov_b32 s6, 0
.LBB110_907:                            ; =>This Inner Loop Header: Depth=1
	scratch_load_b64 v[104:105], v102, off
	ds_load_b64 v[106:107], v101
	s_wait_xcnt 0x0
	v_dual_add_nc_u32 v101, 8, v101 :: v_dual_add_nc_u32 v102, 8, v102
	s_wait_loadcnt_dscnt 0x0
	v_pk_mul_f32 v[108:109], v[106:107], v[104:105] op_sel:[1,1] op_sel_hi:[0,1]
	s_delay_alu instid0(VALU_DEP_1) | instskip(SKIP_2) | instid1(VALU_DEP_3)
	v_pk_fma_f32 v[110:111], v[106:107], v[104:105], v[108:109] op_sel_hi:[1,0,1]
	v_add_nc_u32_e32 v103, 1, v103
	v_pk_fma_f32 v[104:105], v[106:107], v[104:105], v[108:109] neg_lo:[0,0,1] neg_hi:[0,0,1]
	v_mov_b32_e32 v105, v111
	s_delay_alu instid0(VALU_DEP_3) | instskip(NEXT) | instid1(VALU_DEP_2)
	v_cmp_lt_u32_e32 vcc_lo, 43, v103
	v_pk_add_f32 v[98:99], v[98:99], v[104:105]
	s_or_b32 s6, vcc_lo, s6
	s_delay_alu instid0(SALU_CYCLE_1)
	s_and_not1_b32 exec_lo, exec_lo, s6
	s_cbranch_execnz .LBB110_907
; %bb.908:
	s_or_b32 exec_lo, exec_lo, s6
.LBB110_909:
	s_delay_alu instid0(SALU_CYCLE_1) | instskip(SKIP_4) | instid1(VALU_DEP_1)
	s_or_b32 exec_lo, exec_lo, s5
	v_mov_b32_e32 v101, 0
	ds_load_b64 v[102:103], v101 offset:360
	s_wait_dscnt 0x0
	v_pk_mul_f32 v[104:105], v[98:99], v[102:103] op_sel:[1,1] op_sel_hi:[0,1]
	v_pk_fma_f32 v[106:107], v[98:99], v[102:103], v[104:105] op_sel_hi:[1,0,1]
	v_pk_fma_f32 v[98:99], v[98:99], v[102:103], v[104:105] neg_lo:[0,0,1] neg_hi:[0,0,1]
	s_delay_alu instid0(VALU_DEP_2)
	v_mov_b32_e32 v99, v107
	scratch_store_b64 off, v[98:99], off offset:360
.LBB110_910:
	s_wait_xcnt 0x0
	s_or_b32 exec_lo, exec_lo, s4
	scratch_load_b64 v[98:99], off, off offset:368
	s_mov_b32 s4, exec_lo
                                        ; implicit-def: $vgpr140
                                        ; implicit-def: $sgpr7
	s_wait_loadcnt 0x0
	ds_store_b64 v1, v[98:99]
	s_wait_storecnt_dscnt 0x0
	s_barrier_signal -1
	s_barrier_wait -1
	s_wait_xcnt 0x0
	v_cmpx_ne_u32_e32 46, v0
	s_cbranch_execz .LBB110_920
; %bb.911:
	v_cmp_ne_u32_e32 vcc_lo, 1, v100
	s_cbranch_vccnz .LBB110_913
; %bb.912:
	scratch_load_b64 v[100:101], v59, off
	ds_load_b64 v[102:103], v1
	s_wait_loadcnt_dscnt 0x0
	v_dual_mul_f32 v59, v103, v101 :: v_dual_mul_f32 v99, v102, v101
	s_delay_alu instid0(VALU_DEP_1) | instskip(NEXT) | instid1(VALU_DEP_2)
	v_fma_f32 v98, v102, v100, -v59
	v_fmac_f32_e32 v99, v103, v100
	s_cbranch_execz .LBB110_914
	s_branch .LBB110_915
.LBB110_913:
                                        ; implicit-def: $vgpr99
.LBB110_914:
	ds_load_b64 v[98:99], v1
.LBB110_915:
	s_and_saveexec_b32 s5, s0
	s_cbranch_execz .LBB110_919
; %bb.916:
	v_add_nc_u32_e32 v1, 0x188, v58
	v_add3_u32 v58, 0, v58, 8
	s_mov_b32 s0, 0
.LBB110_917:                            ; =>This Inner Loop Header: Depth=1
	scratch_load_b64 v[100:101], v58, off
	ds_load_b64 v[102:103], v1
	v_dual_add_nc_u32 v0, 1, v0 :: v_dual_add_nc_u32 v1, 8, v1
	s_delay_alu instid0(VALU_DEP_1) | instskip(SKIP_3) | instid1(VALU_DEP_1)
	v_cmp_lt_u32_e32 vcc_lo, 44, v0
	s_or_b32 s0, vcc_lo, s0
	s_wait_loadcnt_dscnt 0x0
	v_dual_mul_f32 v59, v103, v101 :: v_dual_mul_f32 v101, v102, v101
	v_dual_fma_f32 v59, v102, v100, -v59 :: v_dual_fmac_f32 v101, v103, v100
	s_delay_alu instid0(VALU_DEP_1) | instskip(NEXT) | instid1(VALU_DEP_2)
	v_dual_add_nc_u32 v58, 8, v58 :: v_dual_add_f32 v98, v98, v59
	v_add_f32_e32 v99, v99, v101
	s_and_not1_b32 exec_lo, exec_lo, s0
	s_cbranch_execnz .LBB110_917
; %bb.918:
	s_or_b32 exec_lo, exec_lo, s0
.LBB110_919:
	s_delay_alu instid0(SALU_CYCLE_1)
	s_or_b32 exec_lo, exec_lo, s5
	v_mov_b32_e32 v0, 0
	s_movk_i32 s7, 0x174
	s_or_b32 s1, s1, exec_lo
	ds_load_b64 v[0:1], v0 offset:368
	s_wait_dscnt 0x0
	v_dual_mul_f32 v58, v99, v1 :: v_dual_mul_f32 v140, v98, v1
	s_delay_alu instid0(VALU_DEP_1)
	v_dual_fma_f32 v1, v98, v0, -v58 :: v_dual_fmac_f32 v140, v99, v0
	scratch_store_b32 off, v1, off offset:368
.LBB110_920:
	s_wait_xcnt 0x0
	s_or_b32 exec_lo, exec_lo, s4
.LBB110_921:
	v_lshl_add_u64 v[138:139], v[6:7], 3, s[2:3]
	v_lshl_add_u64 v[136:137], v[8:9], 3, s[2:3]
	;; [unrolled: 1-line block ×45, first 2 shown]
	s_and_saveexec_b32 s0, s1
	s_cbranch_execz .LBB110_923
; %bb.922:
	scratch_store_b32 off, v140, s7
.LBB110_923:
	s_wait_xcnt 0x0
	s_or_b32 exec_lo, exec_lo, s0
	scratch_load_b64 v[50:51], off, off
	s_wait_loadcnt 0x0
	flat_store_b64 v[2:3], v[50:51]
	scratch_load_b64 v[2:3], off, off offset:8
	s_wait_loadcnt 0x0
	flat_store_b64 v[4:5], v[2:3]
	scratch_load_b64 v[2:3], off, off offset:16
	s_wait_loadcnt 0x0
	flat_store_b64 v[138:139], v[2:3]
	scratch_load_b64 v[2:3], off, off offset:24
	s_wait_loadcnt 0x0
	flat_store_b64 v[136:137], v[2:3]
	scratch_load_b64 v[2:3], off, off offset:32
	s_wait_loadcnt 0x0
	flat_store_b64 v[134:135], v[2:3]
	scratch_load_b64 v[2:3], off, off offset:40
	s_wait_loadcnt 0x0
	flat_store_b64 v[132:133], v[2:3]
	scratch_load_b64 v[2:3], off, off offset:48
	s_wait_loadcnt 0x0
	flat_store_b64 v[130:131], v[2:3]
	scratch_load_b64 v[2:3], off, off offset:56
	s_wait_loadcnt 0x0
	flat_store_b64 v[128:129], v[2:3]
	scratch_load_b64 v[2:3], off, off offset:64
	s_wait_loadcnt 0x0
	flat_store_b64 v[126:127], v[2:3]
	scratch_load_b64 v[2:3], off, off offset:72
	s_wait_loadcnt 0x0
	flat_store_b64 v[124:125], v[2:3]
	scratch_load_b64 v[2:3], off, off offset:80
	s_wait_loadcnt 0x0
	flat_store_b64 v[122:123], v[2:3]
	scratch_load_b64 v[2:3], off, off offset:88
	s_wait_loadcnt 0x0
	flat_store_b64 v[120:121], v[2:3]
	scratch_load_b64 v[2:3], off, off offset:96
	s_wait_loadcnt 0x0
	flat_store_b64 v[118:119], v[2:3]
	scratch_load_b64 v[2:3], off, off offset:104
	s_wait_loadcnt 0x0
	flat_store_b64 v[116:117], v[2:3]
	scratch_load_b64 v[2:3], off, off offset:112
	s_wait_loadcnt 0x0
	flat_store_b64 v[114:115], v[2:3]
	scratch_load_b64 v[2:3], off, off offset:120
	s_wait_loadcnt 0x0
	flat_store_b64 v[112:113], v[2:3]
	scratch_load_b64 v[2:3], off, off offset:128
	s_wait_loadcnt 0x0
	flat_store_b64 v[110:111], v[2:3]
	scratch_load_b64 v[2:3], off, off offset:136
	s_wait_loadcnt 0x0
	flat_store_b64 v[108:109], v[2:3]
	scratch_load_b64 v[2:3], off, off offset:144
	s_wait_loadcnt 0x0
	flat_store_b64 v[106:107], v[2:3]
	scratch_load_b64 v[2:3], off, off offset:152
	s_wait_loadcnt 0x0
	flat_store_b64 v[104:105], v[2:3]
	scratch_load_b64 v[2:3], off, off offset:160
	s_wait_loadcnt 0x0
	flat_store_b64 v[102:103], v[2:3]
	scratch_load_b64 v[2:3], off, off offset:168
	s_wait_loadcnt 0x0
	flat_store_b64 v[100:101], v[2:3]
	scratch_load_b64 v[2:3], off, off offset:176
	s_wait_loadcnt 0x0
	flat_store_b64 v[98:99], v[2:3]
	scratch_load_b64 v[2:3], off, off offset:184
	s_wait_loadcnt 0x0
	flat_store_b64 v[58:59], v[2:3]
	scratch_load_b64 v[2:3], off, off offset:192
	s_wait_loadcnt 0x0
	flat_store_b64 v[48:49], v[2:3]
	scratch_load_b64 v[2:3], off, off offset:200
	s_wait_loadcnt 0x0
	flat_store_b64 v[46:47], v[2:3]
	scratch_load_b64 v[2:3], off, off offset:208
	s_wait_loadcnt 0x0
	flat_store_b64 v[44:45], v[2:3]
	scratch_load_b64 v[2:3], off, off offset:216
	s_wait_loadcnt 0x0
	flat_store_b64 v[42:43], v[2:3]
	scratch_load_b64 v[2:3], off, off offset:224
	s_wait_loadcnt 0x0
	flat_store_b64 v[40:41], v[2:3]
	scratch_load_b64 v[2:3], off, off offset:232
	s_wait_loadcnt 0x0
	flat_store_b64 v[38:39], v[2:3]
	scratch_load_b64 v[2:3], off, off offset:240
	s_wait_loadcnt 0x0
	flat_store_b64 v[36:37], v[2:3]
	scratch_load_b64 v[2:3], off, off offset:248
	s_wait_loadcnt 0x0
	flat_store_b64 v[34:35], v[2:3]
	scratch_load_b64 v[2:3], off, off offset:256
	s_wait_loadcnt 0x0
	flat_store_b64 v[32:33], v[2:3]
	scratch_load_b64 v[2:3], off, off offset:264
	s_wait_loadcnt 0x0
	flat_store_b64 v[30:31], v[2:3]
	scratch_load_b64 v[2:3], off, off offset:272
	s_wait_loadcnt 0x0
	flat_store_b64 v[28:29], v[2:3]
	scratch_load_b64 v[2:3], off, off offset:280
	s_wait_loadcnt 0x0
	flat_store_b64 v[26:27], v[2:3]
	scratch_load_b64 v[2:3], off, off offset:288
	s_wait_loadcnt 0x0
	flat_store_b64 v[24:25], v[2:3]
	scratch_load_b64 v[2:3], off, off offset:296
	s_wait_loadcnt 0x0
	flat_store_b64 v[22:23], v[2:3]
	scratch_load_b64 v[2:3], off, off offset:304
	s_wait_loadcnt 0x0
	flat_store_b64 v[20:21], v[2:3]
	scratch_load_b64 v[2:3], off, off offset:312
	s_wait_loadcnt 0x0
	flat_store_b64 v[18:19], v[2:3]
	scratch_load_b64 v[2:3], off, off offset:320
	s_wait_loadcnt 0x0
	flat_store_b64 v[16:17], v[2:3]
	scratch_load_b64 v[2:3], off, off offset:328
	s_wait_loadcnt 0x0
	flat_store_b64 v[14:15], v[2:3]
	scratch_load_b64 v[2:3], off, off offset:336
	s_wait_loadcnt 0x0
	flat_store_b64 v[12:13], v[2:3]
	scratch_load_b64 v[2:3], off, off offset:344
	s_wait_loadcnt 0x0
	flat_store_b64 v[10:11], v[2:3]
	scratch_load_b64 v[2:3], off, off offset:352
	s_wait_loadcnt 0x0
	flat_store_b64 v[8:9], v[2:3]
	scratch_load_b64 v[2:3], off, off offset:360
	s_wait_loadcnt 0x0
	flat_store_b64 v[6:7], v[2:3]
	scratch_load_b64 v[2:3], off, off offset:368
	s_wait_loadcnt 0x0
	flat_store_b64 v[0:1], v[2:3]
.LBB110_924:
	s_sendmsg sendmsg(MSG_DEALLOC_VGPRS)
	s_endpgm
	.section	.rodata,"a",@progbits
	.p2align	6, 0x0
	.amdhsa_kernel _ZN9rocsolver6v33100L18trti2_kernel_smallILi47E19rocblas_complex_numIfEPKPS3_EEv13rocblas_fill_17rocblas_diagonal_T1_iil
		.amdhsa_group_segment_fixed_size 760
		.amdhsa_private_segment_fixed_size 384
		.amdhsa_kernarg_size 32
		.amdhsa_user_sgpr_count 2
		.amdhsa_user_sgpr_dispatch_ptr 0
		.amdhsa_user_sgpr_queue_ptr 0
		.amdhsa_user_sgpr_kernarg_segment_ptr 1
		.amdhsa_user_sgpr_dispatch_id 0
		.amdhsa_user_sgpr_kernarg_preload_length 0
		.amdhsa_user_sgpr_kernarg_preload_offset 0
		.amdhsa_user_sgpr_private_segment_size 0
		.amdhsa_wavefront_size32 1
		.amdhsa_uses_dynamic_stack 0
		.amdhsa_enable_private_segment 1
		.amdhsa_system_sgpr_workgroup_id_x 1
		.amdhsa_system_sgpr_workgroup_id_y 0
		.amdhsa_system_sgpr_workgroup_id_z 0
		.amdhsa_system_sgpr_workgroup_info 0
		.amdhsa_system_vgpr_workitem_id 0
		.amdhsa_next_free_vgpr 141
		.amdhsa_next_free_sgpr 53
		.amdhsa_named_barrier_count 0
		.amdhsa_reserve_vcc 1
		.amdhsa_float_round_mode_32 0
		.amdhsa_float_round_mode_16_64 0
		.amdhsa_float_denorm_mode_32 3
		.amdhsa_float_denorm_mode_16_64 3
		.amdhsa_fp16_overflow 0
		.amdhsa_memory_ordered 1
		.amdhsa_forward_progress 1
		.amdhsa_inst_pref_size 255
		.amdhsa_round_robin_scheduling 0
		.amdhsa_exception_fp_ieee_invalid_op 0
		.amdhsa_exception_fp_denorm_src 0
		.amdhsa_exception_fp_ieee_div_zero 0
		.amdhsa_exception_fp_ieee_overflow 0
		.amdhsa_exception_fp_ieee_underflow 0
		.amdhsa_exception_fp_ieee_inexact 0
		.amdhsa_exception_int_div_zero 0
	.end_amdhsa_kernel
	.section	.text._ZN9rocsolver6v33100L18trti2_kernel_smallILi47E19rocblas_complex_numIfEPKPS3_EEv13rocblas_fill_17rocblas_diagonal_T1_iil,"axG",@progbits,_ZN9rocsolver6v33100L18trti2_kernel_smallILi47E19rocblas_complex_numIfEPKPS3_EEv13rocblas_fill_17rocblas_diagonal_T1_iil,comdat
.Lfunc_end110:
	.size	_ZN9rocsolver6v33100L18trti2_kernel_smallILi47E19rocblas_complex_numIfEPKPS3_EEv13rocblas_fill_17rocblas_diagonal_T1_iil, .Lfunc_end110-_ZN9rocsolver6v33100L18trti2_kernel_smallILi47E19rocblas_complex_numIfEPKPS3_EEv13rocblas_fill_17rocblas_diagonal_T1_iil
                                        ; -- End function
	.set _ZN9rocsolver6v33100L18trti2_kernel_smallILi47E19rocblas_complex_numIfEPKPS3_EEv13rocblas_fill_17rocblas_diagonal_T1_iil.num_vgpr, 141
	.set _ZN9rocsolver6v33100L18trti2_kernel_smallILi47E19rocblas_complex_numIfEPKPS3_EEv13rocblas_fill_17rocblas_diagonal_T1_iil.num_agpr, 0
	.set _ZN9rocsolver6v33100L18trti2_kernel_smallILi47E19rocblas_complex_numIfEPKPS3_EEv13rocblas_fill_17rocblas_diagonal_T1_iil.numbered_sgpr, 53
	.set _ZN9rocsolver6v33100L18trti2_kernel_smallILi47E19rocblas_complex_numIfEPKPS3_EEv13rocblas_fill_17rocblas_diagonal_T1_iil.num_named_barrier, 0
	.set _ZN9rocsolver6v33100L18trti2_kernel_smallILi47E19rocblas_complex_numIfEPKPS3_EEv13rocblas_fill_17rocblas_diagonal_T1_iil.private_seg_size, 384
	.set _ZN9rocsolver6v33100L18trti2_kernel_smallILi47E19rocblas_complex_numIfEPKPS3_EEv13rocblas_fill_17rocblas_diagonal_T1_iil.uses_vcc, 1
	.set _ZN9rocsolver6v33100L18trti2_kernel_smallILi47E19rocblas_complex_numIfEPKPS3_EEv13rocblas_fill_17rocblas_diagonal_T1_iil.uses_flat_scratch, 0
	.set _ZN9rocsolver6v33100L18trti2_kernel_smallILi47E19rocblas_complex_numIfEPKPS3_EEv13rocblas_fill_17rocblas_diagonal_T1_iil.has_dyn_sized_stack, 0
	.set _ZN9rocsolver6v33100L18trti2_kernel_smallILi47E19rocblas_complex_numIfEPKPS3_EEv13rocblas_fill_17rocblas_diagonal_T1_iil.has_recursion, 0
	.set _ZN9rocsolver6v33100L18trti2_kernel_smallILi47E19rocblas_complex_numIfEPKPS3_EEv13rocblas_fill_17rocblas_diagonal_T1_iil.has_indirect_call, 0
	.section	.AMDGPU.csdata,"",@progbits
; Kernel info:
; codeLenInByte = 36280
; TotalNumSgprs: 55
; NumVgprs: 141
; ScratchSize: 384
; MemoryBound: 0
; FloatMode: 240
; IeeeMode: 1
; LDSByteSize: 760 bytes/workgroup (compile time only)
; SGPRBlocks: 0
; VGPRBlocks: 8
; NumSGPRsForWavesPerEU: 55
; NumVGPRsForWavesPerEU: 141
; NamedBarCnt: 0
; Occupancy: 7
; WaveLimiterHint : 1
; COMPUTE_PGM_RSRC2:SCRATCH_EN: 1
; COMPUTE_PGM_RSRC2:USER_SGPR: 2
; COMPUTE_PGM_RSRC2:TRAP_HANDLER: 0
; COMPUTE_PGM_RSRC2:TGID_X_EN: 1
; COMPUTE_PGM_RSRC2:TGID_Y_EN: 0
; COMPUTE_PGM_RSRC2:TGID_Z_EN: 0
; COMPUTE_PGM_RSRC2:TIDIG_COMP_CNT: 0
	.section	.text._ZN9rocsolver6v33100L18trti2_kernel_smallILi48E19rocblas_complex_numIfEPKPS3_EEv13rocblas_fill_17rocblas_diagonal_T1_iil,"axG",@progbits,_ZN9rocsolver6v33100L18trti2_kernel_smallILi48E19rocblas_complex_numIfEPKPS3_EEv13rocblas_fill_17rocblas_diagonal_T1_iil,comdat
	.globl	_ZN9rocsolver6v33100L18trti2_kernel_smallILi48E19rocblas_complex_numIfEPKPS3_EEv13rocblas_fill_17rocblas_diagonal_T1_iil ; -- Begin function _ZN9rocsolver6v33100L18trti2_kernel_smallILi48E19rocblas_complex_numIfEPKPS3_EEv13rocblas_fill_17rocblas_diagonal_T1_iil
	.p2align	8
	.type	_ZN9rocsolver6v33100L18trti2_kernel_smallILi48E19rocblas_complex_numIfEPKPS3_EEv13rocblas_fill_17rocblas_diagonal_T1_iil,@function
_ZN9rocsolver6v33100L18trti2_kernel_smallILi48E19rocblas_complex_numIfEPKPS3_EEv13rocblas_fill_17rocblas_diagonal_T1_iil: ; @_ZN9rocsolver6v33100L18trti2_kernel_smallILi48E19rocblas_complex_numIfEPKPS3_EEv13rocblas_fill_17rocblas_diagonal_T1_iil
; %bb.0:
	s_mov_b32 s2, exec_lo
	v_cmpx_gt_u32_e32 48, v0
	s_cbranch_execz .LBB111_944
; %bb.1:
	s_clause 0x1
	s_load_b64 s[2:3], s[0:1], 0x10
	s_load_b128 s[4:7], s[0:1], 0x0
	s_wait_xcnt 0x0
	s_bfe_u32 s0, ttmp6, 0x4000c
	s_and_b32 s1, ttmp6, 15
	s_add_co_i32 s0, s0, 1
	s_getreg_b32 s8, hwreg(HW_REG_IB_STS2, 6, 4)
	s_mul_i32 s0, ttmp9, s0
	v_dual_mov_b32 v59, 0 :: v_dual_lshlrev_b32 v58, 3, v0
	s_add_co_i32 s0, s1, s0
	s_wait_kmcnt 0x0
	s_ashr_i32 s1, s2, 31
	s_cmp_eq_u32 s8, 0
	s_cselect_b32 s8, ttmp9, s0
	s_mov_b32 s0, s2
	s_ashr_i32 s9, s8, 31
	s_lshl_b64 s[0:1], s[0:1], 3
	s_lshl_b64 s[8:9], s[8:9], 3
	s_delay_alu instid0(SALU_CYCLE_1)
	s_add_nc_u64 s[6:7], s[6:7], s[8:9]
	s_load_b64 s[6:7], s[6:7], 0x0
	s_wait_kmcnt 0x0
	s_add_nc_u64 s[6:7], s[6:7], s[0:1]
	s_mov_b32 s0, s3
	flat_load_b64 v[6:7], v0, s[6:7] scale_offset
	v_add_nc_u64_e32 v[2:3], s[6:7], v[58:59]
	s_ashr_i32 s1, s3, 31
	s_cmp_lg_u32 s5, 0x84
	s_delay_alu instid0(VALU_DEP_1)
	v_lshl_add_u64 v[4:5], s[0:1], 3, v[2:3]
	s_mov_b32 s0, -1
	s_wait_loadcnt_dscnt 0x0
	scratch_store_b64 off, v[6:7], off
	flat_load_b64 v[8:9], v[4:5]
	s_wait_xcnt 0x1
	v_add3_u32 v6, s3, s3, v0
	s_wait_loadcnt_dscnt 0x0
	scratch_store_b64 off, v[8:9], off offset:8
	flat_load_b64 v[10:11], v6, s[6:7] scale_offset
	s_wait_xcnt 0x1
	v_add_nc_u32_e32 v8, s3, v6
	s_wait_loadcnt_dscnt 0x0
	scratch_store_b64 off, v[10:11], off offset:16
	flat_load_b64 v[12:13], v8, s[6:7] scale_offset
	s_wait_xcnt 0x1
	v_add_nc_u32_e32 v10, s3, v8
	;; [unrolled: 5-line block ×45, first 2 shown]
	s_cselect_b32 s3, -1, 0
	s_delay_alu instid0(SALU_CYCLE_1)
	s_and_b32 vcc_lo, exec_lo, s3
	s_wait_loadcnt_dscnt 0x0
	scratch_store_b64 off, v[100:101], off offset:368
	flat_load_b64 v[100:101], v98, s[6:7] scale_offset
	s_wait_loadcnt_dscnt 0x0
	scratch_store_b64 off, v[100:101], off offset:376
	s_cbranch_vccz .LBB111_7
; %bb.2:
	scratch_load_b64 v[100:101], v0, off scale_offset
                                        ; implicit-def: $vgpr105
                                        ; implicit-def: $vgpr102
	s_wait_loadcnt 0x0
	v_cmp_ngt_f32_e64 s0, |v100|, |v101|
	s_wait_xcnt 0x0
	s_and_saveexec_b32 s1, s0
	s_delay_alu instid0(SALU_CYCLE_1)
	s_xor_b32 s0, exec_lo, s1
	s_cbranch_execz .LBB111_4
; %bb.3:
	v_div_scale_f32 v1, null, v101, v101, v100
	v_div_scale_f32 v11, vcc_lo, v100, v101, v100
	s_delay_alu instid0(VALU_DEP_2) | instskip(SKIP_1) | instid1(TRANS32_DEP_1)
	v_rcp_f32_e32 v7, v1
	v_nop
	v_fma_f32 v9, -v1, v7, 1.0
	s_delay_alu instid0(VALU_DEP_1) | instskip(NEXT) | instid1(VALU_DEP_1)
	v_fmac_f32_e32 v7, v9, v7
	v_mul_f32_e32 v9, v11, v7
	s_delay_alu instid0(VALU_DEP_1) | instskip(NEXT) | instid1(VALU_DEP_1)
	v_fma_f32 v13, -v1, v9, v11
	v_fmac_f32_e32 v9, v13, v7
	s_delay_alu instid0(VALU_DEP_1) | instskip(NEXT) | instid1(VALU_DEP_1)
	v_fma_f32 v1, -v1, v9, v11
	v_div_fmas_f32 v1, v1, v7, v9
	s_delay_alu instid0(VALU_DEP_1) | instskip(NEXT) | instid1(VALU_DEP_1)
	v_div_fixup_f32 v1, v1, v101, v100
	v_fmac_f32_e32 v101, v100, v1
	s_delay_alu instid0(VALU_DEP_1) | instskip(NEXT) | instid1(VALU_DEP_1)
	v_div_scale_f32 v7, null, v101, v101, -1.0
	v_rcp_f32_e32 v9, v7
	v_nop
	s_delay_alu instid0(TRANS32_DEP_1) | instskip(NEXT) | instid1(VALU_DEP_1)
	v_fma_f32 v11, -v7, v9, 1.0
	v_fmac_f32_e32 v9, v11, v9
	v_div_scale_f32 v11, vcc_lo, -1.0, v101, -1.0
	s_delay_alu instid0(VALU_DEP_1) | instskip(NEXT) | instid1(VALU_DEP_1)
	v_mul_f32_e32 v13, v11, v9
	v_fma_f32 v15, -v7, v13, v11
	s_delay_alu instid0(VALU_DEP_1) | instskip(NEXT) | instid1(VALU_DEP_1)
	v_fmac_f32_e32 v13, v15, v9
	v_fma_f32 v7, -v7, v13, v11
	s_delay_alu instid0(VALU_DEP_1) | instskip(NEXT) | instid1(VALU_DEP_1)
	v_div_fmas_f32 v7, v7, v9, v13
	v_div_fixup_f32 v105, v7, v101, -1.0
                                        ; implicit-def: $vgpr100_vgpr101
	s_delay_alu instid0(VALU_DEP_1) | instskip(NEXT) | instid1(VALU_DEP_1)
	v_mul_f32_e32 v102, v1, v105
	v_xor_b32_e32 v104, 0x80000000, v102
.LBB111_4:
	s_or_saveexec_b32 s0, s0
	v_lshl_add_u32 v1, v0, 3, 0
	s_xor_b32 exec_lo, exec_lo, s0
	s_cbranch_execz .LBB111_6
; %bb.5:
	v_div_scale_f32 v7, null, v100, v100, v101
	v_div_scale_f32 v13, vcc_lo, v101, v100, v101
	s_delay_alu instid0(VALU_DEP_2) | instskip(SKIP_1) | instid1(TRANS32_DEP_1)
	v_rcp_f32_e32 v9, v7
	v_nop
	v_fma_f32 v11, -v7, v9, 1.0
	s_delay_alu instid0(VALU_DEP_1) | instskip(NEXT) | instid1(VALU_DEP_1)
	v_fmac_f32_e32 v9, v11, v9
	v_mul_f32_e32 v11, v13, v9
	s_delay_alu instid0(VALU_DEP_1) | instskip(NEXT) | instid1(VALU_DEP_1)
	v_fma_f32 v15, -v7, v11, v13
	v_fmac_f32_e32 v11, v15, v9
	s_delay_alu instid0(VALU_DEP_1) | instskip(NEXT) | instid1(VALU_DEP_1)
	v_fma_f32 v7, -v7, v11, v13
	v_div_fmas_f32 v7, v7, v9, v11
	s_delay_alu instid0(VALU_DEP_1) | instskip(NEXT) | instid1(VALU_DEP_1)
	v_div_fixup_f32 v7, v7, v100, v101
	v_fmac_f32_e32 v100, v101, v7
	s_delay_alu instid0(VALU_DEP_1) | instskip(SKIP_1) | instid1(VALU_DEP_2)
	v_div_scale_f32 v9, null, v100, v100, 1.0
	v_div_scale_f32 v15, vcc_lo, 1.0, v100, 1.0
	v_rcp_f32_e32 v11, v9
	v_nop
	s_delay_alu instid0(TRANS32_DEP_1) | instskip(NEXT) | instid1(VALU_DEP_1)
	v_fma_f32 v13, -v9, v11, 1.0
	v_fmac_f32_e32 v11, v13, v11
	s_delay_alu instid0(VALU_DEP_1) | instskip(NEXT) | instid1(VALU_DEP_1)
	v_mul_f32_e32 v13, v15, v11
	v_fma_f32 v17, -v9, v13, v15
	s_delay_alu instid0(VALU_DEP_1) | instskip(NEXT) | instid1(VALU_DEP_1)
	v_fmac_f32_e32 v13, v17, v11
	v_fma_f32 v9, -v9, v13, v15
	s_delay_alu instid0(VALU_DEP_1) | instskip(NEXT) | instid1(VALU_DEP_1)
	v_div_fmas_f32 v9, v9, v11, v13
	v_div_fixup_f32 v104, v9, v100, 1.0
	s_delay_alu instid0(VALU_DEP_1)
	v_xor_b32_e32 v102, 0x80000000, v104
	v_mul_f32_e64 v105, v7, -v104
.LBB111_6:
	s_or_b32 exec_lo, exec_lo, s0
	s_delay_alu instid0(VALU_DEP_1)
	v_xor_b32_e32 v103, 0x80000000, v105
	s_mov_b32 s0, 0
	scratch_store_b64 v1, v[104:105], off
	ds_store_b64 v58, v[102:103]
.LBB111_7:
	s_and_b32 vcc_lo, exec_lo, s0
	s_cbranch_vccz .LBB111_9
; %bb.8:
	s_mov_b64 s[0:1], 0xbf800000
	s_wait_xcnt 0x0
	v_mov_b64_e32 v[100:101], s[0:1]
	ds_store_b64 v58, v[100:101]
.LBB111_9:
	v_dual_ashrrev_i32 v7, 31, v6 :: v_dual_ashrrev_i32 v9, 31, v8
	v_dual_ashrrev_i32 v11, 31, v10 :: v_dual_ashrrev_i32 v13, 31, v12
	v_dual_ashrrev_i32 v15, 31, v14 :: v_dual_ashrrev_i32 v17, 31, v16
	v_dual_ashrrev_i32 v19, 31, v18 :: v_dual_ashrrev_i32 v21, 31, v20
	v_dual_ashrrev_i32 v23, 31, v22 :: v_dual_ashrrev_i32 v25, 31, v24
	v_dual_ashrrev_i32 v27, 31, v26 :: v_dual_ashrrev_i32 v29, 31, v28
	v_dual_ashrrev_i32 v31, 31, v30 :: v_dual_ashrrev_i32 v33, 31, v32
	v_dual_ashrrev_i32 v35, 31, v34 :: v_dual_ashrrev_i32 v37, 31, v36
	v_dual_ashrrev_i32 v39, 31, v38 :: v_dual_ashrrev_i32 v41, 31, v40
	v_dual_ashrrev_i32 v43, 31, v42 :: v_dual_ashrrev_i32 v45, 31, v44
	v_dual_ashrrev_i32 v47, 31, v46 :: v_dual_ashrrev_i32 v49, 31, v48
	v_dual_ashrrev_i32 v51, 31, v50 :: v_dual_ashrrev_i32 v53, 31, v52
	v_dual_ashrrev_i32 v55, 31, v54 :: v_dual_ashrrev_i32 v57, 31, v56
	v_dual_ashrrev_i32 v61, 31, v60 :: v_dual_ashrrev_i32 v63, 31, v62
	v_dual_ashrrev_i32 v65, 31, v64 :: v_dual_ashrrev_i32 v67, 31, v66
	v_dual_ashrrev_i32 v69, 31, v68 :: v_dual_ashrrev_i32 v71, 31, v70
	v_dual_ashrrev_i32 v73, 31, v72 :: v_dual_ashrrev_i32 v75, 31, v74
	v_dual_ashrrev_i32 v77, 31, v76 :: v_dual_ashrrev_i32 v79, 31, v78
	v_dual_ashrrev_i32 v81, 31, v80 :: v_dual_ashrrev_i32 v83, 31, v82
	v_dual_ashrrev_i32 v85, 31, v84 :: v_dual_ashrrev_i32 v87, 31, v86
	v_dual_ashrrev_i32 v89, 31, v88 :: v_dual_ashrrev_i32 v91, 31, v90
	v_dual_ashrrev_i32 v93, 31, v92 :: v_dual_ashrrev_i32 v95, 31, v94
	v_dual_ashrrev_i32 v97, 31, v96 :: v_dual_ashrrev_i32 v99, 31, v98
	s_wait_xcnt 0x0
	v_add_nc_u32_e32 v1, 0x180, v58
	v_mov_b32_e32 v59, v58
	s_cmp_eq_u32 s4, 0x79
	s_cbranch_scc1 .LBB111_13
; %bb.10:
	scratch_load_b64 v[100:101], off, off offset:368
	v_cmp_eq_u32_e64 s0, 47, v0
	s_movk_i32 s1, 0x48
	s_movk_i32 s14, 0x50
	;; [unrolled: 1-line block ×37, first 2 shown]
	s_wait_loadcnt 0x0
	ds_store_b64 v1, v[100:101]
	s_wait_storecnt_dscnt 0x0
	s_barrier_signal -1
	s_barrier_wait -1
	s_wait_xcnt 0x0
	s_and_saveexec_b32 s2, s0
	s_cbranch_execz .LBB111_17
; %bb.11:
	s_and_b32 vcc_lo, exec_lo, s3
	s_cbranch_vccz .LBB111_14
; %bb.12:
	scratch_load_b64 v[100:101], v59, off
	ds_load_b64 v[102:103], v1
	s_wait_loadcnt_dscnt 0x0
	v_pk_mul_f32 v[104:105], v[102:103], v[100:101] op_sel:[1,1] op_sel_hi:[0,1]
	v_pk_mul_f32 v[106:107], v[102:103], v[100:101] op_sel_hi:[1,0]
	s_delay_alu instid0(VALU_DEP_2) | instskip(NEXT) | instid1(VALU_DEP_2)
	v_pk_fma_f32 v[100:101], v[102:103], v[100:101], v[104:105] op_sel_hi:[1,0,1]
	v_sub_f32_e32 v100, v106, v104
	s_cbranch_execz .LBB111_15
	s_branch .LBB111_16
.LBB111_13:
	s_mov_b32 s1, 0
                                        ; implicit-def: $vgpr142
                                        ; implicit-def: $sgpr5
	s_cbranch_execnz .LBB111_476
	s_branch .LBB111_941
.LBB111_14:
                                        ; implicit-def: $vgpr101
.LBB111_15:
	ds_load_b64 v[100:101], v1
.LBB111_16:
	s_wait_dscnt 0x0
	v_dual_mov_b32 v102, 0 :: v_dual_mov_b32 v104, v101
	v_mov_b32_e32 v105, v100
	ds_load_b64 v[102:103], v102 offset:368
	s_wait_dscnt 0x0
	v_pk_mul_f32 v[104:105], v[104:105], v[102:103] op_sel:[0,1]
	s_delay_alu instid0(VALU_DEP_1) | instskip(SKIP_1) | instid1(VALU_DEP_2)
	v_pk_fma_f32 v[106:107], v[100:101], v[102:103], v[104:105] op_sel_hi:[1,0,1]
	v_pk_fma_f32 v[100:101], v[100:101], v[102:103], v[104:105] neg_lo:[0,0,1] neg_hi:[0,0,1]
	v_mov_b32_e32 v101, v107
	scratch_store_b64 off, v[100:101], off offset:368
.LBB111_17:
	s_wait_xcnt 0x0
	s_or_b32 exec_lo, exec_lo, s2
	scratch_load_b64 v[100:101], off, off offset:360
	s_mov_b32 s13, s1
	v_cmp_lt_u32_e64 s1, 45, v0
	s_or_b32 s4, 0, 8
	s_mov_b32 s5, 16
	s_mov_b32 s8, 24
	;; [unrolled: 1-line block ×7, first 2 shown]
	s_wait_loadcnt 0x0
	ds_store_b64 v1, v[100:101]
	s_wait_storecnt_dscnt 0x0
	s_barrier_signal -1
	s_barrier_wait -1
	s_wait_xcnt 0x0
	s_and_saveexec_b32 s51, s1
	s_cbranch_execz .LBB111_25
; %bb.18:
	s_and_not1_b32 vcc_lo, exec_lo, s3
	s_cbranch_vccnz .LBB111_20
; %bb.19:
	scratch_load_b64 v[100:101], v59, off
	ds_load_b64 v[102:103], v1
	s_wait_loadcnt_dscnt 0x0
	v_pk_mul_f32 v[104:105], v[102:103], v[100:101] op_sel:[1,1] op_sel_hi:[0,1]
	s_delay_alu instid0(VALU_DEP_1) | instskip(SKIP_1) | instid1(VALU_DEP_2)
	v_pk_fma_f32 v[106:107], v[102:103], v[100:101], v[104:105] op_sel_hi:[1,0,1]
	v_pk_fma_f32 v[100:101], v[102:103], v[100:101], v[104:105] neg_lo:[0,0,1] neg_hi:[0,0,1]
	v_mov_b32_e32 v101, v107
	s_cbranch_execz .LBB111_21
	s_branch .LBB111_22
.LBB111_20:
                                        ; implicit-def: $vgpr100_vgpr101
.LBB111_21:
	ds_load_b64 v[100:101], v1
.LBB111_22:
	s_and_saveexec_b32 s52, s0
	s_cbranch_execz .LBB111_24
; %bb.23:
	scratch_load_b64 v[102:103], off, off offset:368
	v_mov_b32_e32 v104, 0
	ds_load_b64 v[104:105], v104 offset:752
	s_wait_loadcnt_dscnt 0x0
	v_pk_mul_f32 v[106:107], v[104:105], v[102:103] op_sel:[1,1] op_sel_hi:[0,1]
	s_delay_alu instid0(VALU_DEP_1) | instskip(SKIP_1) | instid1(VALU_DEP_2)
	v_pk_fma_f32 v[108:109], v[104:105], v[102:103], v[106:107] op_sel_hi:[1,0,1]
	v_pk_fma_f32 v[102:103], v[104:105], v[102:103], v[106:107] neg_lo:[0,0,1] neg_hi:[0,0,1]
	v_mov_b32_e32 v103, v109
	s_delay_alu instid0(VALU_DEP_1)
	v_pk_add_f32 v[100:101], v[100:101], v[102:103]
.LBB111_24:
	s_or_b32 exec_lo, exec_lo, s52
	v_mov_b32_e32 v102, 0
	ds_load_b64 v[102:103], v102 offset:360
	s_wait_dscnt 0x0
	v_pk_mul_f32 v[104:105], v[100:101], v[102:103] op_sel:[1,1] op_sel_hi:[0,1]
	s_delay_alu instid0(VALU_DEP_1) | instskip(SKIP_1) | instid1(VALU_DEP_2)
	v_pk_fma_f32 v[106:107], v[100:101], v[102:103], v[104:105] op_sel_hi:[1,0,1]
	v_pk_fma_f32 v[100:101], v[100:101], v[102:103], v[104:105] neg_lo:[0,0,1] neg_hi:[0,0,1]
	v_mov_b32_e32 v101, v107
	scratch_store_b64 off, v[100:101], off offset:360
.LBB111_25:
	s_wait_xcnt 0x0
	s_or_b32 exec_lo, exec_lo, s51
	scratch_load_b64 v[100:101], off, off offset:352
	v_cmp_lt_u32_e64 s0, 44, v0
	s_wait_loadcnt 0x0
	ds_store_b64 v1, v[100:101]
	s_wait_storecnt_dscnt 0x0
	s_barrier_signal -1
	s_barrier_wait -1
	s_wait_xcnt 0x0
	s_and_saveexec_b32 s51, s0
	s_cbranch_execz .LBB111_35
; %bb.26:
	s_and_not1_b32 vcc_lo, exec_lo, s3
	s_cbranch_vccnz .LBB111_28
; %bb.27:
	scratch_load_b64 v[100:101], v59, off
	ds_load_b64 v[102:103], v1
	s_wait_loadcnt_dscnt 0x0
	v_pk_mul_f32 v[104:105], v[102:103], v[100:101] op_sel:[1,1] op_sel_hi:[0,1]
	s_delay_alu instid0(VALU_DEP_1) | instskip(SKIP_1) | instid1(VALU_DEP_2)
	v_pk_fma_f32 v[106:107], v[102:103], v[100:101], v[104:105] op_sel_hi:[1,0,1]
	v_pk_fma_f32 v[100:101], v[102:103], v[100:101], v[104:105] neg_lo:[0,0,1] neg_hi:[0,0,1]
	v_mov_b32_e32 v101, v107
	s_cbranch_execz .LBB111_29
	s_branch .LBB111_30
.LBB111_28:
                                        ; implicit-def: $vgpr100_vgpr101
.LBB111_29:
	ds_load_b64 v[100:101], v1
.LBB111_30:
	s_and_saveexec_b32 s52, s1
	s_cbranch_execz .LBB111_34
; %bb.31:
	v_subrev_nc_u32_e32 v102, 45, v0
	s_movk_i32 s53, 0x2e8
	s_mov_b32 s1, 0
.LBB111_32:                             ; =>This Inner Loop Header: Depth=1
	scratch_load_b64 v[104:105], off, s50
	v_dual_mov_b32 v103, s53 :: v_dual_add_nc_u32 v102, -1, v102
	s_add_co_i32 s53, s53, 8
	s_wait_xcnt 0x0
	s_add_co_i32 s50, s50, 8
	ds_load_b64 v[106:107], v103
	v_cmp_eq_u32_e32 vcc_lo, 0, v102
	s_or_b32 s1, vcc_lo, s1
	s_wait_loadcnt_dscnt 0x0
	v_pk_mul_f32 v[108:109], v[106:107], v[104:105] op_sel:[1,1] op_sel_hi:[0,1]
	s_delay_alu instid0(VALU_DEP_1) | instskip(SKIP_1) | instid1(VALU_DEP_2)
	v_pk_fma_f32 v[110:111], v[106:107], v[104:105], v[108:109] op_sel_hi:[1,0,1]
	v_pk_fma_f32 v[104:105], v[106:107], v[104:105], v[108:109] neg_lo:[0,0,1] neg_hi:[0,0,1]
	v_mov_b32_e32 v105, v111
	s_delay_alu instid0(VALU_DEP_1)
	v_pk_add_f32 v[100:101], v[100:101], v[104:105]
	s_and_not1_b32 exec_lo, exec_lo, s1
	s_cbranch_execnz .LBB111_32
; %bb.33:
	s_or_b32 exec_lo, exec_lo, s1
.LBB111_34:
	s_delay_alu instid0(SALU_CYCLE_1) | instskip(SKIP_4) | instid1(VALU_DEP_1)
	s_or_b32 exec_lo, exec_lo, s52
	v_mov_b32_e32 v102, 0
	ds_load_b64 v[102:103], v102 offset:352
	s_wait_dscnt 0x0
	v_pk_mul_f32 v[104:105], v[100:101], v[102:103] op_sel:[1,1] op_sel_hi:[0,1]
	v_pk_fma_f32 v[106:107], v[100:101], v[102:103], v[104:105] op_sel_hi:[1,0,1]
	v_pk_fma_f32 v[100:101], v[100:101], v[102:103], v[104:105] neg_lo:[0,0,1] neg_hi:[0,0,1]
	s_delay_alu instid0(VALU_DEP_2)
	v_mov_b32_e32 v101, v107
	scratch_store_b64 off, v[100:101], off offset:352
.LBB111_35:
	s_wait_xcnt 0x0
	s_or_b32 exec_lo, exec_lo, s51
	scratch_load_b64 v[100:101], off, off offset:344
	v_cmp_lt_u32_e64 s1, 43, v0
	s_wait_loadcnt 0x0
	ds_store_b64 v1, v[100:101]
	s_wait_storecnt_dscnt 0x0
	s_barrier_signal -1
	s_barrier_wait -1
	s_wait_xcnt 0x0
	s_and_saveexec_b32 s50, s1
	s_cbranch_execz .LBB111_45
; %bb.36:
	s_and_not1_b32 vcc_lo, exec_lo, s3
	s_cbranch_vccnz .LBB111_38
; %bb.37:
	scratch_load_b64 v[100:101], v59, off
	ds_load_b64 v[102:103], v1
	s_wait_loadcnt_dscnt 0x0
	v_pk_mul_f32 v[104:105], v[102:103], v[100:101] op_sel:[1,1] op_sel_hi:[0,1]
	s_delay_alu instid0(VALU_DEP_1) | instskip(SKIP_1) | instid1(VALU_DEP_2)
	v_pk_fma_f32 v[106:107], v[102:103], v[100:101], v[104:105] op_sel_hi:[1,0,1]
	v_pk_fma_f32 v[100:101], v[102:103], v[100:101], v[104:105] neg_lo:[0,0,1] neg_hi:[0,0,1]
	v_mov_b32_e32 v101, v107
	s_cbranch_execz .LBB111_39
	s_branch .LBB111_40
.LBB111_38:
                                        ; implicit-def: $vgpr100_vgpr101
.LBB111_39:
	ds_load_b64 v[100:101], v1
.LBB111_40:
	s_and_saveexec_b32 s51, s0
	s_cbranch_execz .LBB111_44
; %bb.41:
	v_subrev_nc_u32_e32 v102, 44, v0
	s_movk_i32 s52, 0x2e0
	s_mov_b32 s0, 0
.LBB111_42:                             ; =>This Inner Loop Header: Depth=1
	scratch_load_b64 v[104:105], off, s49
	v_dual_mov_b32 v103, s52 :: v_dual_add_nc_u32 v102, -1, v102
	s_add_co_i32 s52, s52, 8
	s_wait_xcnt 0x0
	s_add_co_i32 s49, s49, 8
	ds_load_b64 v[106:107], v103
	v_cmp_eq_u32_e32 vcc_lo, 0, v102
	s_or_b32 s0, vcc_lo, s0
	s_wait_loadcnt_dscnt 0x0
	v_pk_mul_f32 v[108:109], v[106:107], v[104:105] op_sel:[1,1] op_sel_hi:[0,1]
	s_delay_alu instid0(VALU_DEP_1) | instskip(SKIP_1) | instid1(VALU_DEP_2)
	v_pk_fma_f32 v[110:111], v[106:107], v[104:105], v[108:109] op_sel_hi:[1,0,1]
	v_pk_fma_f32 v[104:105], v[106:107], v[104:105], v[108:109] neg_lo:[0,0,1] neg_hi:[0,0,1]
	v_mov_b32_e32 v105, v111
	s_delay_alu instid0(VALU_DEP_1)
	v_pk_add_f32 v[100:101], v[100:101], v[104:105]
	s_and_not1_b32 exec_lo, exec_lo, s0
	s_cbranch_execnz .LBB111_42
; %bb.43:
	s_or_b32 exec_lo, exec_lo, s0
.LBB111_44:
	s_delay_alu instid0(SALU_CYCLE_1) | instskip(SKIP_4) | instid1(VALU_DEP_1)
	s_or_b32 exec_lo, exec_lo, s51
	v_mov_b32_e32 v102, 0
	ds_load_b64 v[102:103], v102 offset:344
	s_wait_dscnt 0x0
	v_pk_mul_f32 v[104:105], v[100:101], v[102:103] op_sel:[1,1] op_sel_hi:[0,1]
	v_pk_fma_f32 v[106:107], v[100:101], v[102:103], v[104:105] op_sel_hi:[1,0,1]
	v_pk_fma_f32 v[100:101], v[100:101], v[102:103], v[104:105] neg_lo:[0,0,1] neg_hi:[0,0,1]
	s_delay_alu instid0(VALU_DEP_2)
	v_mov_b32_e32 v101, v107
	scratch_store_b64 off, v[100:101], off offset:344
.LBB111_45:
	s_wait_xcnt 0x0
	s_or_b32 exec_lo, exec_lo, s50
	scratch_load_b64 v[100:101], off, off offset:336
	v_cmp_lt_u32_e64 s0, 42, v0
	s_wait_loadcnt 0x0
	ds_store_b64 v1, v[100:101]
	s_wait_storecnt_dscnt 0x0
	s_barrier_signal -1
	s_barrier_wait -1
	s_wait_xcnt 0x0
	s_and_saveexec_b32 s49, s0
	s_cbranch_execz .LBB111_55
; %bb.46:
	s_and_not1_b32 vcc_lo, exec_lo, s3
	s_cbranch_vccnz .LBB111_48
; %bb.47:
	scratch_load_b64 v[100:101], v59, off
	ds_load_b64 v[102:103], v1
	s_wait_loadcnt_dscnt 0x0
	v_pk_mul_f32 v[104:105], v[102:103], v[100:101] op_sel:[1,1] op_sel_hi:[0,1]
	s_delay_alu instid0(VALU_DEP_1) | instskip(SKIP_1) | instid1(VALU_DEP_2)
	v_pk_fma_f32 v[106:107], v[102:103], v[100:101], v[104:105] op_sel_hi:[1,0,1]
	v_pk_fma_f32 v[100:101], v[102:103], v[100:101], v[104:105] neg_lo:[0,0,1] neg_hi:[0,0,1]
	v_mov_b32_e32 v101, v107
	s_cbranch_execz .LBB111_49
	s_branch .LBB111_50
.LBB111_48:
                                        ; implicit-def: $vgpr100_vgpr101
.LBB111_49:
	ds_load_b64 v[100:101], v1
.LBB111_50:
	s_and_saveexec_b32 s50, s1
	s_cbranch_execz .LBB111_54
; %bb.51:
	v_subrev_nc_u32_e32 v102, 43, v0
	s_movk_i32 s51, 0x2d8
	s_mov_b32 s1, 0
.LBB111_52:                             ; =>This Inner Loop Header: Depth=1
	scratch_load_b64 v[104:105], off, s48
	v_dual_mov_b32 v103, s51 :: v_dual_add_nc_u32 v102, -1, v102
	s_add_co_i32 s51, s51, 8
	s_wait_xcnt 0x0
	s_add_co_i32 s48, s48, 8
	ds_load_b64 v[106:107], v103
	v_cmp_eq_u32_e32 vcc_lo, 0, v102
	s_or_b32 s1, vcc_lo, s1
	s_wait_loadcnt_dscnt 0x0
	v_pk_mul_f32 v[108:109], v[106:107], v[104:105] op_sel:[1,1] op_sel_hi:[0,1]
	s_delay_alu instid0(VALU_DEP_1) | instskip(SKIP_1) | instid1(VALU_DEP_2)
	v_pk_fma_f32 v[110:111], v[106:107], v[104:105], v[108:109] op_sel_hi:[1,0,1]
	v_pk_fma_f32 v[104:105], v[106:107], v[104:105], v[108:109] neg_lo:[0,0,1] neg_hi:[0,0,1]
	v_mov_b32_e32 v105, v111
	s_delay_alu instid0(VALU_DEP_1)
	v_pk_add_f32 v[100:101], v[100:101], v[104:105]
	s_and_not1_b32 exec_lo, exec_lo, s1
	s_cbranch_execnz .LBB111_52
; %bb.53:
	s_or_b32 exec_lo, exec_lo, s1
.LBB111_54:
	s_delay_alu instid0(SALU_CYCLE_1) | instskip(SKIP_4) | instid1(VALU_DEP_1)
	s_or_b32 exec_lo, exec_lo, s50
	v_mov_b32_e32 v102, 0
	ds_load_b64 v[102:103], v102 offset:336
	s_wait_dscnt 0x0
	v_pk_mul_f32 v[104:105], v[100:101], v[102:103] op_sel:[1,1] op_sel_hi:[0,1]
	v_pk_fma_f32 v[106:107], v[100:101], v[102:103], v[104:105] op_sel_hi:[1,0,1]
	v_pk_fma_f32 v[100:101], v[100:101], v[102:103], v[104:105] neg_lo:[0,0,1] neg_hi:[0,0,1]
	s_delay_alu instid0(VALU_DEP_2)
	v_mov_b32_e32 v101, v107
	scratch_store_b64 off, v[100:101], off offset:336
.LBB111_55:
	s_wait_xcnt 0x0
	s_or_b32 exec_lo, exec_lo, s49
	scratch_load_b64 v[100:101], off, off offset:328
	v_cmp_lt_u32_e64 s1, 41, v0
	s_wait_loadcnt 0x0
	ds_store_b64 v1, v[100:101]
	s_wait_storecnt_dscnt 0x0
	s_barrier_signal -1
	s_barrier_wait -1
	s_wait_xcnt 0x0
	s_and_saveexec_b32 s48, s1
	s_cbranch_execz .LBB111_65
; %bb.56:
	s_and_not1_b32 vcc_lo, exec_lo, s3
	s_cbranch_vccnz .LBB111_58
; %bb.57:
	scratch_load_b64 v[100:101], v59, off
	ds_load_b64 v[102:103], v1
	s_wait_loadcnt_dscnt 0x0
	v_pk_mul_f32 v[104:105], v[102:103], v[100:101] op_sel:[1,1] op_sel_hi:[0,1]
	s_delay_alu instid0(VALU_DEP_1) | instskip(SKIP_1) | instid1(VALU_DEP_2)
	v_pk_fma_f32 v[106:107], v[102:103], v[100:101], v[104:105] op_sel_hi:[1,0,1]
	v_pk_fma_f32 v[100:101], v[102:103], v[100:101], v[104:105] neg_lo:[0,0,1] neg_hi:[0,0,1]
	v_mov_b32_e32 v101, v107
	s_cbranch_execz .LBB111_59
	s_branch .LBB111_60
.LBB111_58:
                                        ; implicit-def: $vgpr100_vgpr101
.LBB111_59:
	ds_load_b64 v[100:101], v1
.LBB111_60:
	s_and_saveexec_b32 s49, s0
	s_cbranch_execz .LBB111_64
; %bb.61:
	v_subrev_nc_u32_e32 v102, 42, v0
	s_movk_i32 s50, 0x2d0
	s_mov_b32 s0, 0
.LBB111_62:                             ; =>This Inner Loop Header: Depth=1
	scratch_load_b64 v[104:105], off, s47
	v_dual_mov_b32 v103, s50 :: v_dual_add_nc_u32 v102, -1, v102
	s_add_co_i32 s50, s50, 8
	s_wait_xcnt 0x0
	s_add_co_i32 s47, s47, 8
	ds_load_b64 v[106:107], v103
	v_cmp_eq_u32_e32 vcc_lo, 0, v102
	s_or_b32 s0, vcc_lo, s0
	s_wait_loadcnt_dscnt 0x0
	v_pk_mul_f32 v[108:109], v[106:107], v[104:105] op_sel:[1,1] op_sel_hi:[0,1]
	s_delay_alu instid0(VALU_DEP_1) | instskip(SKIP_1) | instid1(VALU_DEP_2)
	v_pk_fma_f32 v[110:111], v[106:107], v[104:105], v[108:109] op_sel_hi:[1,0,1]
	v_pk_fma_f32 v[104:105], v[106:107], v[104:105], v[108:109] neg_lo:[0,0,1] neg_hi:[0,0,1]
	v_mov_b32_e32 v105, v111
	s_delay_alu instid0(VALU_DEP_1)
	v_pk_add_f32 v[100:101], v[100:101], v[104:105]
	s_and_not1_b32 exec_lo, exec_lo, s0
	s_cbranch_execnz .LBB111_62
; %bb.63:
	s_or_b32 exec_lo, exec_lo, s0
.LBB111_64:
	s_delay_alu instid0(SALU_CYCLE_1) | instskip(SKIP_4) | instid1(VALU_DEP_1)
	s_or_b32 exec_lo, exec_lo, s49
	v_mov_b32_e32 v102, 0
	ds_load_b64 v[102:103], v102 offset:328
	s_wait_dscnt 0x0
	v_pk_mul_f32 v[104:105], v[100:101], v[102:103] op_sel:[1,1] op_sel_hi:[0,1]
	v_pk_fma_f32 v[106:107], v[100:101], v[102:103], v[104:105] op_sel_hi:[1,0,1]
	v_pk_fma_f32 v[100:101], v[100:101], v[102:103], v[104:105] neg_lo:[0,0,1] neg_hi:[0,0,1]
	s_delay_alu instid0(VALU_DEP_2)
	v_mov_b32_e32 v101, v107
	scratch_store_b64 off, v[100:101], off offset:328
.LBB111_65:
	s_wait_xcnt 0x0
	s_or_b32 exec_lo, exec_lo, s48
	scratch_load_b64 v[100:101], off, off offset:320
	v_cmp_lt_u32_e64 s0, 40, v0
	s_wait_loadcnt 0x0
	ds_store_b64 v1, v[100:101]
	s_wait_storecnt_dscnt 0x0
	s_barrier_signal -1
	s_barrier_wait -1
	s_wait_xcnt 0x0
	s_and_saveexec_b32 s47, s0
	s_cbranch_execz .LBB111_75
; %bb.66:
	s_and_not1_b32 vcc_lo, exec_lo, s3
	s_cbranch_vccnz .LBB111_68
; %bb.67:
	scratch_load_b64 v[100:101], v59, off
	ds_load_b64 v[102:103], v1
	s_wait_loadcnt_dscnt 0x0
	v_pk_mul_f32 v[104:105], v[102:103], v[100:101] op_sel:[1,1] op_sel_hi:[0,1]
	s_delay_alu instid0(VALU_DEP_1) | instskip(SKIP_1) | instid1(VALU_DEP_2)
	v_pk_fma_f32 v[106:107], v[102:103], v[100:101], v[104:105] op_sel_hi:[1,0,1]
	v_pk_fma_f32 v[100:101], v[102:103], v[100:101], v[104:105] neg_lo:[0,0,1] neg_hi:[0,0,1]
	v_mov_b32_e32 v101, v107
	s_cbranch_execz .LBB111_69
	s_branch .LBB111_70
.LBB111_68:
                                        ; implicit-def: $vgpr100_vgpr101
.LBB111_69:
	ds_load_b64 v[100:101], v1
.LBB111_70:
	s_and_saveexec_b32 s48, s1
	s_cbranch_execz .LBB111_74
; %bb.71:
	v_subrev_nc_u32_e32 v102, 41, v0
	s_movk_i32 s49, 0x2c8
	s_mov_b32 s1, 0
.LBB111_72:                             ; =>This Inner Loop Header: Depth=1
	scratch_load_b64 v[104:105], off, s46
	v_dual_mov_b32 v103, s49 :: v_dual_add_nc_u32 v102, -1, v102
	s_add_co_i32 s49, s49, 8
	s_wait_xcnt 0x0
	s_add_co_i32 s46, s46, 8
	ds_load_b64 v[106:107], v103
	v_cmp_eq_u32_e32 vcc_lo, 0, v102
	s_or_b32 s1, vcc_lo, s1
	s_wait_loadcnt_dscnt 0x0
	v_pk_mul_f32 v[108:109], v[106:107], v[104:105] op_sel:[1,1] op_sel_hi:[0,1]
	s_delay_alu instid0(VALU_DEP_1) | instskip(SKIP_1) | instid1(VALU_DEP_2)
	v_pk_fma_f32 v[110:111], v[106:107], v[104:105], v[108:109] op_sel_hi:[1,0,1]
	v_pk_fma_f32 v[104:105], v[106:107], v[104:105], v[108:109] neg_lo:[0,0,1] neg_hi:[0,0,1]
	v_mov_b32_e32 v105, v111
	s_delay_alu instid0(VALU_DEP_1)
	v_pk_add_f32 v[100:101], v[100:101], v[104:105]
	s_and_not1_b32 exec_lo, exec_lo, s1
	s_cbranch_execnz .LBB111_72
; %bb.73:
	s_or_b32 exec_lo, exec_lo, s1
.LBB111_74:
	s_delay_alu instid0(SALU_CYCLE_1) | instskip(SKIP_4) | instid1(VALU_DEP_1)
	s_or_b32 exec_lo, exec_lo, s48
	v_mov_b32_e32 v102, 0
	ds_load_b64 v[102:103], v102 offset:320
	s_wait_dscnt 0x0
	v_pk_mul_f32 v[104:105], v[100:101], v[102:103] op_sel:[1,1] op_sel_hi:[0,1]
	v_pk_fma_f32 v[106:107], v[100:101], v[102:103], v[104:105] op_sel_hi:[1,0,1]
	v_pk_fma_f32 v[100:101], v[100:101], v[102:103], v[104:105] neg_lo:[0,0,1] neg_hi:[0,0,1]
	s_delay_alu instid0(VALU_DEP_2)
	v_mov_b32_e32 v101, v107
	scratch_store_b64 off, v[100:101], off offset:320
.LBB111_75:
	s_wait_xcnt 0x0
	s_or_b32 exec_lo, exec_lo, s47
	scratch_load_b64 v[100:101], off, off offset:312
	v_cmp_lt_u32_e64 s1, 39, v0
	s_wait_loadcnt 0x0
	ds_store_b64 v1, v[100:101]
	s_wait_storecnt_dscnt 0x0
	s_barrier_signal -1
	s_barrier_wait -1
	s_wait_xcnt 0x0
	s_and_saveexec_b32 s46, s1
	s_cbranch_execz .LBB111_85
; %bb.76:
	s_and_not1_b32 vcc_lo, exec_lo, s3
	s_cbranch_vccnz .LBB111_78
; %bb.77:
	scratch_load_b64 v[100:101], v59, off
	ds_load_b64 v[102:103], v1
	s_wait_loadcnt_dscnt 0x0
	v_pk_mul_f32 v[104:105], v[102:103], v[100:101] op_sel:[1,1] op_sel_hi:[0,1]
	s_delay_alu instid0(VALU_DEP_1) | instskip(SKIP_1) | instid1(VALU_DEP_2)
	v_pk_fma_f32 v[106:107], v[102:103], v[100:101], v[104:105] op_sel_hi:[1,0,1]
	v_pk_fma_f32 v[100:101], v[102:103], v[100:101], v[104:105] neg_lo:[0,0,1] neg_hi:[0,0,1]
	v_mov_b32_e32 v101, v107
	s_cbranch_execz .LBB111_79
	s_branch .LBB111_80
.LBB111_78:
                                        ; implicit-def: $vgpr100_vgpr101
.LBB111_79:
	ds_load_b64 v[100:101], v1
.LBB111_80:
	s_and_saveexec_b32 s47, s0
	s_cbranch_execz .LBB111_84
; %bb.81:
	v_subrev_nc_u32_e32 v102, 40, v0
	s_movk_i32 s48, 0x2c0
	s_mov_b32 s0, 0
.LBB111_82:                             ; =>This Inner Loop Header: Depth=1
	scratch_load_b64 v[104:105], off, s45
	v_dual_mov_b32 v103, s48 :: v_dual_add_nc_u32 v102, -1, v102
	s_add_co_i32 s48, s48, 8
	s_wait_xcnt 0x0
	s_add_co_i32 s45, s45, 8
	ds_load_b64 v[106:107], v103
	v_cmp_eq_u32_e32 vcc_lo, 0, v102
	s_or_b32 s0, vcc_lo, s0
	s_wait_loadcnt_dscnt 0x0
	v_pk_mul_f32 v[108:109], v[106:107], v[104:105] op_sel:[1,1] op_sel_hi:[0,1]
	s_delay_alu instid0(VALU_DEP_1) | instskip(SKIP_1) | instid1(VALU_DEP_2)
	v_pk_fma_f32 v[110:111], v[106:107], v[104:105], v[108:109] op_sel_hi:[1,0,1]
	v_pk_fma_f32 v[104:105], v[106:107], v[104:105], v[108:109] neg_lo:[0,0,1] neg_hi:[0,0,1]
	v_mov_b32_e32 v105, v111
	s_delay_alu instid0(VALU_DEP_1)
	v_pk_add_f32 v[100:101], v[100:101], v[104:105]
	s_and_not1_b32 exec_lo, exec_lo, s0
	s_cbranch_execnz .LBB111_82
; %bb.83:
	s_or_b32 exec_lo, exec_lo, s0
.LBB111_84:
	s_delay_alu instid0(SALU_CYCLE_1) | instskip(SKIP_4) | instid1(VALU_DEP_1)
	s_or_b32 exec_lo, exec_lo, s47
	v_mov_b32_e32 v102, 0
	ds_load_b64 v[102:103], v102 offset:312
	s_wait_dscnt 0x0
	v_pk_mul_f32 v[104:105], v[100:101], v[102:103] op_sel:[1,1] op_sel_hi:[0,1]
	v_pk_fma_f32 v[106:107], v[100:101], v[102:103], v[104:105] op_sel_hi:[1,0,1]
	v_pk_fma_f32 v[100:101], v[100:101], v[102:103], v[104:105] neg_lo:[0,0,1] neg_hi:[0,0,1]
	s_delay_alu instid0(VALU_DEP_2)
	v_mov_b32_e32 v101, v107
	scratch_store_b64 off, v[100:101], off offset:312
.LBB111_85:
	s_wait_xcnt 0x0
	s_or_b32 exec_lo, exec_lo, s46
	scratch_load_b64 v[100:101], off, off offset:304
	v_cmp_lt_u32_e64 s0, 38, v0
	s_wait_loadcnt 0x0
	ds_store_b64 v1, v[100:101]
	s_wait_storecnt_dscnt 0x0
	s_barrier_signal -1
	s_barrier_wait -1
	s_wait_xcnt 0x0
	s_and_saveexec_b32 s45, s0
	s_cbranch_execz .LBB111_95
; %bb.86:
	s_and_not1_b32 vcc_lo, exec_lo, s3
	s_cbranch_vccnz .LBB111_88
; %bb.87:
	scratch_load_b64 v[100:101], v59, off
	ds_load_b64 v[102:103], v1
	s_wait_loadcnt_dscnt 0x0
	v_pk_mul_f32 v[104:105], v[102:103], v[100:101] op_sel:[1,1] op_sel_hi:[0,1]
	s_delay_alu instid0(VALU_DEP_1) | instskip(SKIP_1) | instid1(VALU_DEP_2)
	v_pk_fma_f32 v[106:107], v[102:103], v[100:101], v[104:105] op_sel_hi:[1,0,1]
	v_pk_fma_f32 v[100:101], v[102:103], v[100:101], v[104:105] neg_lo:[0,0,1] neg_hi:[0,0,1]
	v_mov_b32_e32 v101, v107
	s_cbranch_execz .LBB111_89
	s_branch .LBB111_90
.LBB111_88:
                                        ; implicit-def: $vgpr100_vgpr101
.LBB111_89:
	ds_load_b64 v[100:101], v1
.LBB111_90:
	s_and_saveexec_b32 s46, s1
	s_cbranch_execz .LBB111_94
; %bb.91:
	v_subrev_nc_u32_e32 v102, 39, v0
	s_movk_i32 s47, 0x2b8
	s_mov_b32 s1, 0
.LBB111_92:                             ; =>This Inner Loop Header: Depth=1
	scratch_load_b64 v[104:105], off, s44
	v_dual_mov_b32 v103, s47 :: v_dual_add_nc_u32 v102, -1, v102
	s_add_co_i32 s47, s47, 8
	s_wait_xcnt 0x0
	s_add_co_i32 s44, s44, 8
	ds_load_b64 v[106:107], v103
	v_cmp_eq_u32_e32 vcc_lo, 0, v102
	s_or_b32 s1, vcc_lo, s1
	s_wait_loadcnt_dscnt 0x0
	v_pk_mul_f32 v[108:109], v[106:107], v[104:105] op_sel:[1,1] op_sel_hi:[0,1]
	s_delay_alu instid0(VALU_DEP_1) | instskip(SKIP_1) | instid1(VALU_DEP_2)
	v_pk_fma_f32 v[110:111], v[106:107], v[104:105], v[108:109] op_sel_hi:[1,0,1]
	v_pk_fma_f32 v[104:105], v[106:107], v[104:105], v[108:109] neg_lo:[0,0,1] neg_hi:[0,0,1]
	v_mov_b32_e32 v105, v111
	s_delay_alu instid0(VALU_DEP_1)
	v_pk_add_f32 v[100:101], v[100:101], v[104:105]
	s_and_not1_b32 exec_lo, exec_lo, s1
	s_cbranch_execnz .LBB111_92
; %bb.93:
	s_or_b32 exec_lo, exec_lo, s1
.LBB111_94:
	s_delay_alu instid0(SALU_CYCLE_1) | instskip(SKIP_4) | instid1(VALU_DEP_1)
	s_or_b32 exec_lo, exec_lo, s46
	v_mov_b32_e32 v102, 0
	ds_load_b64 v[102:103], v102 offset:304
	s_wait_dscnt 0x0
	v_pk_mul_f32 v[104:105], v[100:101], v[102:103] op_sel:[1,1] op_sel_hi:[0,1]
	v_pk_fma_f32 v[106:107], v[100:101], v[102:103], v[104:105] op_sel_hi:[1,0,1]
	v_pk_fma_f32 v[100:101], v[100:101], v[102:103], v[104:105] neg_lo:[0,0,1] neg_hi:[0,0,1]
	s_delay_alu instid0(VALU_DEP_2)
	v_mov_b32_e32 v101, v107
	scratch_store_b64 off, v[100:101], off offset:304
.LBB111_95:
	s_wait_xcnt 0x0
	s_or_b32 exec_lo, exec_lo, s45
	scratch_load_b64 v[100:101], off, off offset:296
	v_cmp_lt_u32_e64 s1, 37, v0
	s_wait_loadcnt 0x0
	ds_store_b64 v1, v[100:101]
	s_wait_storecnt_dscnt 0x0
	s_barrier_signal -1
	s_barrier_wait -1
	s_wait_xcnt 0x0
	s_and_saveexec_b32 s44, s1
	s_cbranch_execz .LBB111_105
; %bb.96:
	s_and_not1_b32 vcc_lo, exec_lo, s3
	s_cbranch_vccnz .LBB111_98
; %bb.97:
	scratch_load_b64 v[100:101], v59, off
	ds_load_b64 v[102:103], v1
	s_wait_loadcnt_dscnt 0x0
	v_pk_mul_f32 v[104:105], v[102:103], v[100:101] op_sel:[1,1] op_sel_hi:[0,1]
	s_delay_alu instid0(VALU_DEP_1) | instskip(SKIP_1) | instid1(VALU_DEP_2)
	v_pk_fma_f32 v[106:107], v[102:103], v[100:101], v[104:105] op_sel_hi:[1,0,1]
	v_pk_fma_f32 v[100:101], v[102:103], v[100:101], v[104:105] neg_lo:[0,0,1] neg_hi:[0,0,1]
	v_mov_b32_e32 v101, v107
	s_cbranch_execz .LBB111_99
	s_branch .LBB111_100
.LBB111_98:
                                        ; implicit-def: $vgpr100_vgpr101
.LBB111_99:
	ds_load_b64 v[100:101], v1
.LBB111_100:
	s_and_saveexec_b32 s45, s0
	s_cbranch_execz .LBB111_104
; %bb.101:
	v_subrev_nc_u32_e32 v102, 38, v0
	s_movk_i32 s46, 0x2b0
	s_mov_b32 s0, 0
.LBB111_102:                            ; =>This Inner Loop Header: Depth=1
	scratch_load_b64 v[104:105], off, s43
	v_dual_mov_b32 v103, s46 :: v_dual_add_nc_u32 v102, -1, v102
	s_add_co_i32 s46, s46, 8
	s_wait_xcnt 0x0
	s_add_co_i32 s43, s43, 8
	ds_load_b64 v[106:107], v103
	v_cmp_eq_u32_e32 vcc_lo, 0, v102
	s_or_b32 s0, vcc_lo, s0
	s_wait_loadcnt_dscnt 0x0
	v_pk_mul_f32 v[108:109], v[106:107], v[104:105] op_sel:[1,1] op_sel_hi:[0,1]
	s_delay_alu instid0(VALU_DEP_1) | instskip(SKIP_1) | instid1(VALU_DEP_2)
	v_pk_fma_f32 v[110:111], v[106:107], v[104:105], v[108:109] op_sel_hi:[1,0,1]
	v_pk_fma_f32 v[104:105], v[106:107], v[104:105], v[108:109] neg_lo:[0,0,1] neg_hi:[0,0,1]
	v_mov_b32_e32 v105, v111
	s_delay_alu instid0(VALU_DEP_1)
	v_pk_add_f32 v[100:101], v[100:101], v[104:105]
	s_and_not1_b32 exec_lo, exec_lo, s0
	s_cbranch_execnz .LBB111_102
; %bb.103:
	s_or_b32 exec_lo, exec_lo, s0
.LBB111_104:
	s_delay_alu instid0(SALU_CYCLE_1) | instskip(SKIP_4) | instid1(VALU_DEP_1)
	s_or_b32 exec_lo, exec_lo, s45
	v_mov_b32_e32 v102, 0
	ds_load_b64 v[102:103], v102 offset:296
	s_wait_dscnt 0x0
	v_pk_mul_f32 v[104:105], v[100:101], v[102:103] op_sel:[1,1] op_sel_hi:[0,1]
	v_pk_fma_f32 v[106:107], v[100:101], v[102:103], v[104:105] op_sel_hi:[1,0,1]
	v_pk_fma_f32 v[100:101], v[100:101], v[102:103], v[104:105] neg_lo:[0,0,1] neg_hi:[0,0,1]
	s_delay_alu instid0(VALU_DEP_2)
	v_mov_b32_e32 v101, v107
	scratch_store_b64 off, v[100:101], off offset:296
.LBB111_105:
	s_wait_xcnt 0x0
	s_or_b32 exec_lo, exec_lo, s44
	scratch_load_b64 v[100:101], off, off offset:288
	v_cmp_lt_u32_e64 s0, 36, v0
	s_wait_loadcnt 0x0
	ds_store_b64 v1, v[100:101]
	s_wait_storecnt_dscnt 0x0
	s_barrier_signal -1
	s_barrier_wait -1
	s_wait_xcnt 0x0
	s_and_saveexec_b32 s43, s0
	s_cbranch_execz .LBB111_115
; %bb.106:
	s_and_not1_b32 vcc_lo, exec_lo, s3
	s_cbranch_vccnz .LBB111_108
; %bb.107:
	scratch_load_b64 v[100:101], v59, off
	ds_load_b64 v[102:103], v1
	s_wait_loadcnt_dscnt 0x0
	v_pk_mul_f32 v[104:105], v[102:103], v[100:101] op_sel:[1,1] op_sel_hi:[0,1]
	s_delay_alu instid0(VALU_DEP_1) | instskip(SKIP_1) | instid1(VALU_DEP_2)
	v_pk_fma_f32 v[106:107], v[102:103], v[100:101], v[104:105] op_sel_hi:[1,0,1]
	v_pk_fma_f32 v[100:101], v[102:103], v[100:101], v[104:105] neg_lo:[0,0,1] neg_hi:[0,0,1]
	v_mov_b32_e32 v101, v107
	s_cbranch_execz .LBB111_109
	s_branch .LBB111_110
.LBB111_108:
                                        ; implicit-def: $vgpr100_vgpr101
.LBB111_109:
	ds_load_b64 v[100:101], v1
.LBB111_110:
	s_and_saveexec_b32 s44, s1
	s_cbranch_execz .LBB111_114
; %bb.111:
	v_subrev_nc_u32_e32 v102, 37, v0
	s_movk_i32 s45, 0x2a8
	s_mov_b32 s1, 0
.LBB111_112:                            ; =>This Inner Loop Header: Depth=1
	scratch_load_b64 v[104:105], off, s42
	v_dual_mov_b32 v103, s45 :: v_dual_add_nc_u32 v102, -1, v102
	s_add_co_i32 s45, s45, 8
	s_wait_xcnt 0x0
	s_add_co_i32 s42, s42, 8
	ds_load_b64 v[106:107], v103
	v_cmp_eq_u32_e32 vcc_lo, 0, v102
	s_or_b32 s1, vcc_lo, s1
	s_wait_loadcnt_dscnt 0x0
	v_pk_mul_f32 v[108:109], v[106:107], v[104:105] op_sel:[1,1] op_sel_hi:[0,1]
	s_delay_alu instid0(VALU_DEP_1) | instskip(SKIP_1) | instid1(VALU_DEP_2)
	v_pk_fma_f32 v[110:111], v[106:107], v[104:105], v[108:109] op_sel_hi:[1,0,1]
	v_pk_fma_f32 v[104:105], v[106:107], v[104:105], v[108:109] neg_lo:[0,0,1] neg_hi:[0,0,1]
	v_mov_b32_e32 v105, v111
	s_delay_alu instid0(VALU_DEP_1)
	v_pk_add_f32 v[100:101], v[100:101], v[104:105]
	s_and_not1_b32 exec_lo, exec_lo, s1
	s_cbranch_execnz .LBB111_112
; %bb.113:
	s_or_b32 exec_lo, exec_lo, s1
.LBB111_114:
	s_delay_alu instid0(SALU_CYCLE_1) | instskip(SKIP_4) | instid1(VALU_DEP_1)
	s_or_b32 exec_lo, exec_lo, s44
	v_mov_b32_e32 v102, 0
	ds_load_b64 v[102:103], v102 offset:288
	s_wait_dscnt 0x0
	v_pk_mul_f32 v[104:105], v[100:101], v[102:103] op_sel:[1,1] op_sel_hi:[0,1]
	v_pk_fma_f32 v[106:107], v[100:101], v[102:103], v[104:105] op_sel_hi:[1,0,1]
	v_pk_fma_f32 v[100:101], v[100:101], v[102:103], v[104:105] neg_lo:[0,0,1] neg_hi:[0,0,1]
	s_delay_alu instid0(VALU_DEP_2)
	v_mov_b32_e32 v101, v107
	scratch_store_b64 off, v[100:101], off offset:288
.LBB111_115:
	s_wait_xcnt 0x0
	s_or_b32 exec_lo, exec_lo, s43
	scratch_load_b64 v[100:101], off, off offset:280
	v_cmp_lt_u32_e64 s1, 35, v0
	s_wait_loadcnt 0x0
	ds_store_b64 v1, v[100:101]
	s_wait_storecnt_dscnt 0x0
	s_barrier_signal -1
	s_barrier_wait -1
	s_wait_xcnt 0x0
	s_and_saveexec_b32 s42, s1
	s_cbranch_execz .LBB111_125
; %bb.116:
	s_and_not1_b32 vcc_lo, exec_lo, s3
	s_cbranch_vccnz .LBB111_118
; %bb.117:
	scratch_load_b64 v[100:101], v59, off
	ds_load_b64 v[102:103], v1
	s_wait_loadcnt_dscnt 0x0
	v_pk_mul_f32 v[104:105], v[102:103], v[100:101] op_sel:[1,1] op_sel_hi:[0,1]
	s_delay_alu instid0(VALU_DEP_1) | instskip(SKIP_1) | instid1(VALU_DEP_2)
	v_pk_fma_f32 v[106:107], v[102:103], v[100:101], v[104:105] op_sel_hi:[1,0,1]
	v_pk_fma_f32 v[100:101], v[102:103], v[100:101], v[104:105] neg_lo:[0,0,1] neg_hi:[0,0,1]
	v_mov_b32_e32 v101, v107
	s_cbranch_execz .LBB111_119
	s_branch .LBB111_120
.LBB111_118:
                                        ; implicit-def: $vgpr100_vgpr101
.LBB111_119:
	ds_load_b64 v[100:101], v1
.LBB111_120:
	s_and_saveexec_b32 s43, s0
	s_cbranch_execz .LBB111_124
; %bb.121:
	v_subrev_nc_u32_e32 v102, 36, v0
	s_movk_i32 s44, 0x2a0
	s_mov_b32 s0, 0
.LBB111_122:                            ; =>This Inner Loop Header: Depth=1
	scratch_load_b64 v[104:105], off, s41
	v_dual_mov_b32 v103, s44 :: v_dual_add_nc_u32 v102, -1, v102
	s_add_co_i32 s44, s44, 8
	s_wait_xcnt 0x0
	s_add_co_i32 s41, s41, 8
	ds_load_b64 v[106:107], v103
	v_cmp_eq_u32_e32 vcc_lo, 0, v102
	s_or_b32 s0, vcc_lo, s0
	s_wait_loadcnt_dscnt 0x0
	v_pk_mul_f32 v[108:109], v[106:107], v[104:105] op_sel:[1,1] op_sel_hi:[0,1]
	s_delay_alu instid0(VALU_DEP_1) | instskip(SKIP_1) | instid1(VALU_DEP_2)
	v_pk_fma_f32 v[110:111], v[106:107], v[104:105], v[108:109] op_sel_hi:[1,0,1]
	v_pk_fma_f32 v[104:105], v[106:107], v[104:105], v[108:109] neg_lo:[0,0,1] neg_hi:[0,0,1]
	v_mov_b32_e32 v105, v111
	s_delay_alu instid0(VALU_DEP_1)
	v_pk_add_f32 v[100:101], v[100:101], v[104:105]
	s_and_not1_b32 exec_lo, exec_lo, s0
	s_cbranch_execnz .LBB111_122
; %bb.123:
	s_or_b32 exec_lo, exec_lo, s0
.LBB111_124:
	s_delay_alu instid0(SALU_CYCLE_1) | instskip(SKIP_4) | instid1(VALU_DEP_1)
	s_or_b32 exec_lo, exec_lo, s43
	v_mov_b32_e32 v102, 0
	ds_load_b64 v[102:103], v102 offset:280
	s_wait_dscnt 0x0
	v_pk_mul_f32 v[104:105], v[100:101], v[102:103] op_sel:[1,1] op_sel_hi:[0,1]
	v_pk_fma_f32 v[106:107], v[100:101], v[102:103], v[104:105] op_sel_hi:[1,0,1]
	v_pk_fma_f32 v[100:101], v[100:101], v[102:103], v[104:105] neg_lo:[0,0,1] neg_hi:[0,0,1]
	s_delay_alu instid0(VALU_DEP_2)
	v_mov_b32_e32 v101, v107
	scratch_store_b64 off, v[100:101], off offset:280
.LBB111_125:
	s_wait_xcnt 0x0
	s_or_b32 exec_lo, exec_lo, s42
	scratch_load_b64 v[100:101], off, off offset:272
	v_cmp_lt_u32_e64 s0, 34, v0
	s_wait_loadcnt 0x0
	ds_store_b64 v1, v[100:101]
	s_wait_storecnt_dscnt 0x0
	s_barrier_signal -1
	s_barrier_wait -1
	s_wait_xcnt 0x0
	s_and_saveexec_b32 s41, s0
	s_cbranch_execz .LBB111_135
; %bb.126:
	s_and_not1_b32 vcc_lo, exec_lo, s3
	s_cbranch_vccnz .LBB111_128
; %bb.127:
	scratch_load_b64 v[100:101], v59, off
	ds_load_b64 v[102:103], v1
	s_wait_loadcnt_dscnt 0x0
	v_pk_mul_f32 v[104:105], v[102:103], v[100:101] op_sel:[1,1] op_sel_hi:[0,1]
	s_delay_alu instid0(VALU_DEP_1) | instskip(SKIP_1) | instid1(VALU_DEP_2)
	v_pk_fma_f32 v[106:107], v[102:103], v[100:101], v[104:105] op_sel_hi:[1,0,1]
	v_pk_fma_f32 v[100:101], v[102:103], v[100:101], v[104:105] neg_lo:[0,0,1] neg_hi:[0,0,1]
	v_mov_b32_e32 v101, v107
	s_cbranch_execz .LBB111_129
	s_branch .LBB111_130
.LBB111_128:
                                        ; implicit-def: $vgpr100_vgpr101
.LBB111_129:
	ds_load_b64 v[100:101], v1
.LBB111_130:
	s_and_saveexec_b32 s42, s1
	s_cbranch_execz .LBB111_134
; %bb.131:
	v_subrev_nc_u32_e32 v102, 35, v0
	s_movk_i32 s43, 0x298
	s_mov_b32 s1, 0
.LBB111_132:                            ; =>This Inner Loop Header: Depth=1
	scratch_load_b64 v[104:105], off, s40
	v_dual_mov_b32 v103, s43 :: v_dual_add_nc_u32 v102, -1, v102
	s_add_co_i32 s43, s43, 8
	s_wait_xcnt 0x0
	s_add_co_i32 s40, s40, 8
	ds_load_b64 v[106:107], v103
	v_cmp_eq_u32_e32 vcc_lo, 0, v102
	s_or_b32 s1, vcc_lo, s1
	s_wait_loadcnt_dscnt 0x0
	v_pk_mul_f32 v[108:109], v[106:107], v[104:105] op_sel:[1,1] op_sel_hi:[0,1]
	s_delay_alu instid0(VALU_DEP_1) | instskip(SKIP_1) | instid1(VALU_DEP_2)
	v_pk_fma_f32 v[110:111], v[106:107], v[104:105], v[108:109] op_sel_hi:[1,0,1]
	v_pk_fma_f32 v[104:105], v[106:107], v[104:105], v[108:109] neg_lo:[0,0,1] neg_hi:[0,0,1]
	v_mov_b32_e32 v105, v111
	s_delay_alu instid0(VALU_DEP_1)
	v_pk_add_f32 v[100:101], v[100:101], v[104:105]
	s_and_not1_b32 exec_lo, exec_lo, s1
	s_cbranch_execnz .LBB111_132
; %bb.133:
	s_or_b32 exec_lo, exec_lo, s1
.LBB111_134:
	s_delay_alu instid0(SALU_CYCLE_1) | instskip(SKIP_4) | instid1(VALU_DEP_1)
	s_or_b32 exec_lo, exec_lo, s42
	v_mov_b32_e32 v102, 0
	ds_load_b64 v[102:103], v102 offset:272
	s_wait_dscnt 0x0
	v_pk_mul_f32 v[104:105], v[100:101], v[102:103] op_sel:[1,1] op_sel_hi:[0,1]
	v_pk_fma_f32 v[106:107], v[100:101], v[102:103], v[104:105] op_sel_hi:[1,0,1]
	v_pk_fma_f32 v[100:101], v[100:101], v[102:103], v[104:105] neg_lo:[0,0,1] neg_hi:[0,0,1]
	s_delay_alu instid0(VALU_DEP_2)
	v_mov_b32_e32 v101, v107
	scratch_store_b64 off, v[100:101], off offset:272
.LBB111_135:
	s_wait_xcnt 0x0
	s_or_b32 exec_lo, exec_lo, s41
	scratch_load_b64 v[100:101], off, off offset:264
	v_cmp_lt_u32_e64 s1, 33, v0
	s_wait_loadcnt 0x0
	ds_store_b64 v1, v[100:101]
	s_wait_storecnt_dscnt 0x0
	s_barrier_signal -1
	s_barrier_wait -1
	s_wait_xcnt 0x0
	s_and_saveexec_b32 s40, s1
	s_cbranch_execz .LBB111_145
; %bb.136:
	s_and_not1_b32 vcc_lo, exec_lo, s3
	s_cbranch_vccnz .LBB111_138
; %bb.137:
	scratch_load_b64 v[100:101], v59, off
	ds_load_b64 v[102:103], v1
	s_wait_loadcnt_dscnt 0x0
	v_pk_mul_f32 v[104:105], v[102:103], v[100:101] op_sel:[1,1] op_sel_hi:[0,1]
	s_delay_alu instid0(VALU_DEP_1) | instskip(SKIP_1) | instid1(VALU_DEP_2)
	v_pk_fma_f32 v[106:107], v[102:103], v[100:101], v[104:105] op_sel_hi:[1,0,1]
	v_pk_fma_f32 v[100:101], v[102:103], v[100:101], v[104:105] neg_lo:[0,0,1] neg_hi:[0,0,1]
	v_mov_b32_e32 v101, v107
	s_cbranch_execz .LBB111_139
	s_branch .LBB111_140
.LBB111_138:
                                        ; implicit-def: $vgpr100_vgpr101
.LBB111_139:
	ds_load_b64 v[100:101], v1
.LBB111_140:
	s_and_saveexec_b32 s41, s0
	s_cbranch_execz .LBB111_144
; %bb.141:
	v_subrev_nc_u32_e32 v102, 34, v0
	s_movk_i32 s42, 0x290
	s_mov_b32 s0, 0
.LBB111_142:                            ; =>This Inner Loop Header: Depth=1
	scratch_load_b64 v[104:105], off, s39
	v_dual_mov_b32 v103, s42 :: v_dual_add_nc_u32 v102, -1, v102
	s_add_co_i32 s42, s42, 8
	s_wait_xcnt 0x0
	s_add_co_i32 s39, s39, 8
	ds_load_b64 v[106:107], v103
	v_cmp_eq_u32_e32 vcc_lo, 0, v102
	s_or_b32 s0, vcc_lo, s0
	s_wait_loadcnt_dscnt 0x0
	v_pk_mul_f32 v[108:109], v[106:107], v[104:105] op_sel:[1,1] op_sel_hi:[0,1]
	s_delay_alu instid0(VALU_DEP_1) | instskip(SKIP_1) | instid1(VALU_DEP_2)
	v_pk_fma_f32 v[110:111], v[106:107], v[104:105], v[108:109] op_sel_hi:[1,0,1]
	v_pk_fma_f32 v[104:105], v[106:107], v[104:105], v[108:109] neg_lo:[0,0,1] neg_hi:[0,0,1]
	v_mov_b32_e32 v105, v111
	s_delay_alu instid0(VALU_DEP_1)
	v_pk_add_f32 v[100:101], v[100:101], v[104:105]
	s_and_not1_b32 exec_lo, exec_lo, s0
	s_cbranch_execnz .LBB111_142
; %bb.143:
	s_or_b32 exec_lo, exec_lo, s0
.LBB111_144:
	s_delay_alu instid0(SALU_CYCLE_1) | instskip(SKIP_4) | instid1(VALU_DEP_1)
	s_or_b32 exec_lo, exec_lo, s41
	v_mov_b32_e32 v102, 0
	ds_load_b64 v[102:103], v102 offset:264
	s_wait_dscnt 0x0
	v_pk_mul_f32 v[104:105], v[100:101], v[102:103] op_sel:[1,1] op_sel_hi:[0,1]
	v_pk_fma_f32 v[106:107], v[100:101], v[102:103], v[104:105] op_sel_hi:[1,0,1]
	v_pk_fma_f32 v[100:101], v[100:101], v[102:103], v[104:105] neg_lo:[0,0,1] neg_hi:[0,0,1]
	s_delay_alu instid0(VALU_DEP_2)
	v_mov_b32_e32 v101, v107
	scratch_store_b64 off, v[100:101], off offset:264
.LBB111_145:
	s_wait_xcnt 0x0
	s_or_b32 exec_lo, exec_lo, s40
	scratch_load_b64 v[100:101], off, off offset:256
	v_cmp_lt_u32_e64 s0, 32, v0
	s_wait_loadcnt 0x0
	ds_store_b64 v1, v[100:101]
	s_wait_storecnt_dscnt 0x0
	s_barrier_signal -1
	s_barrier_wait -1
	s_wait_xcnt 0x0
	s_and_saveexec_b32 s39, s0
	s_cbranch_execz .LBB111_155
; %bb.146:
	s_and_not1_b32 vcc_lo, exec_lo, s3
	s_cbranch_vccnz .LBB111_148
; %bb.147:
	scratch_load_b64 v[100:101], v59, off
	ds_load_b64 v[102:103], v1
	s_wait_loadcnt_dscnt 0x0
	v_pk_mul_f32 v[104:105], v[102:103], v[100:101] op_sel:[1,1] op_sel_hi:[0,1]
	s_delay_alu instid0(VALU_DEP_1) | instskip(SKIP_1) | instid1(VALU_DEP_2)
	v_pk_fma_f32 v[106:107], v[102:103], v[100:101], v[104:105] op_sel_hi:[1,0,1]
	v_pk_fma_f32 v[100:101], v[102:103], v[100:101], v[104:105] neg_lo:[0,0,1] neg_hi:[0,0,1]
	v_mov_b32_e32 v101, v107
	s_cbranch_execz .LBB111_149
	s_branch .LBB111_150
.LBB111_148:
                                        ; implicit-def: $vgpr100_vgpr101
.LBB111_149:
	ds_load_b64 v[100:101], v1
.LBB111_150:
	s_and_saveexec_b32 s40, s1
	s_cbranch_execz .LBB111_154
; %bb.151:
	v_subrev_nc_u32_e32 v102, 33, v0
	s_movk_i32 s41, 0x288
	s_mov_b32 s1, 0
.LBB111_152:                            ; =>This Inner Loop Header: Depth=1
	scratch_load_b64 v[104:105], off, s38
	v_dual_mov_b32 v103, s41 :: v_dual_add_nc_u32 v102, -1, v102
	s_add_co_i32 s41, s41, 8
	s_wait_xcnt 0x0
	s_add_co_i32 s38, s38, 8
	ds_load_b64 v[106:107], v103
	v_cmp_eq_u32_e32 vcc_lo, 0, v102
	s_or_b32 s1, vcc_lo, s1
	s_wait_loadcnt_dscnt 0x0
	v_pk_mul_f32 v[108:109], v[106:107], v[104:105] op_sel:[1,1] op_sel_hi:[0,1]
	s_delay_alu instid0(VALU_DEP_1) | instskip(SKIP_1) | instid1(VALU_DEP_2)
	v_pk_fma_f32 v[110:111], v[106:107], v[104:105], v[108:109] op_sel_hi:[1,0,1]
	v_pk_fma_f32 v[104:105], v[106:107], v[104:105], v[108:109] neg_lo:[0,0,1] neg_hi:[0,0,1]
	v_mov_b32_e32 v105, v111
	s_delay_alu instid0(VALU_DEP_1)
	v_pk_add_f32 v[100:101], v[100:101], v[104:105]
	s_and_not1_b32 exec_lo, exec_lo, s1
	s_cbranch_execnz .LBB111_152
; %bb.153:
	s_or_b32 exec_lo, exec_lo, s1
.LBB111_154:
	s_delay_alu instid0(SALU_CYCLE_1) | instskip(SKIP_4) | instid1(VALU_DEP_1)
	s_or_b32 exec_lo, exec_lo, s40
	v_mov_b32_e32 v102, 0
	ds_load_b64 v[102:103], v102 offset:256
	s_wait_dscnt 0x0
	v_pk_mul_f32 v[104:105], v[100:101], v[102:103] op_sel:[1,1] op_sel_hi:[0,1]
	v_pk_fma_f32 v[106:107], v[100:101], v[102:103], v[104:105] op_sel_hi:[1,0,1]
	v_pk_fma_f32 v[100:101], v[100:101], v[102:103], v[104:105] neg_lo:[0,0,1] neg_hi:[0,0,1]
	s_delay_alu instid0(VALU_DEP_2)
	v_mov_b32_e32 v101, v107
	scratch_store_b64 off, v[100:101], off offset:256
.LBB111_155:
	s_wait_xcnt 0x0
	s_or_b32 exec_lo, exec_lo, s39
	scratch_load_b64 v[100:101], off, off offset:248
	v_cmp_lt_u32_e64 s1, 31, v0
	s_wait_loadcnt 0x0
	ds_store_b64 v1, v[100:101]
	s_wait_storecnt_dscnt 0x0
	s_barrier_signal -1
	s_barrier_wait -1
	s_wait_xcnt 0x0
	s_and_saveexec_b32 s38, s1
	s_cbranch_execz .LBB111_165
; %bb.156:
	s_and_not1_b32 vcc_lo, exec_lo, s3
	s_cbranch_vccnz .LBB111_158
; %bb.157:
	scratch_load_b64 v[100:101], v59, off
	ds_load_b64 v[102:103], v1
	s_wait_loadcnt_dscnt 0x0
	v_pk_mul_f32 v[104:105], v[102:103], v[100:101] op_sel:[1,1] op_sel_hi:[0,1]
	s_delay_alu instid0(VALU_DEP_1) | instskip(SKIP_1) | instid1(VALU_DEP_2)
	v_pk_fma_f32 v[106:107], v[102:103], v[100:101], v[104:105] op_sel_hi:[1,0,1]
	v_pk_fma_f32 v[100:101], v[102:103], v[100:101], v[104:105] neg_lo:[0,0,1] neg_hi:[0,0,1]
	v_mov_b32_e32 v101, v107
	s_cbranch_execz .LBB111_159
	s_branch .LBB111_160
.LBB111_158:
                                        ; implicit-def: $vgpr100_vgpr101
.LBB111_159:
	ds_load_b64 v[100:101], v1
.LBB111_160:
	s_and_saveexec_b32 s39, s0
	s_cbranch_execz .LBB111_164
; %bb.161:
	v_subrev_nc_u32_e32 v102, 32, v0
	s_movk_i32 s40, 0x280
	s_mov_b32 s0, 0
.LBB111_162:                            ; =>This Inner Loop Header: Depth=1
	scratch_load_b64 v[104:105], off, s37
	v_dual_mov_b32 v103, s40 :: v_dual_add_nc_u32 v102, -1, v102
	s_add_co_i32 s40, s40, 8
	s_wait_xcnt 0x0
	s_add_co_i32 s37, s37, 8
	ds_load_b64 v[106:107], v103
	v_cmp_eq_u32_e32 vcc_lo, 0, v102
	s_or_b32 s0, vcc_lo, s0
	s_wait_loadcnt_dscnt 0x0
	v_pk_mul_f32 v[108:109], v[106:107], v[104:105] op_sel:[1,1] op_sel_hi:[0,1]
	s_delay_alu instid0(VALU_DEP_1) | instskip(SKIP_1) | instid1(VALU_DEP_2)
	v_pk_fma_f32 v[110:111], v[106:107], v[104:105], v[108:109] op_sel_hi:[1,0,1]
	v_pk_fma_f32 v[104:105], v[106:107], v[104:105], v[108:109] neg_lo:[0,0,1] neg_hi:[0,0,1]
	v_mov_b32_e32 v105, v111
	s_delay_alu instid0(VALU_DEP_1)
	v_pk_add_f32 v[100:101], v[100:101], v[104:105]
	s_and_not1_b32 exec_lo, exec_lo, s0
	s_cbranch_execnz .LBB111_162
; %bb.163:
	s_or_b32 exec_lo, exec_lo, s0
.LBB111_164:
	s_delay_alu instid0(SALU_CYCLE_1) | instskip(SKIP_4) | instid1(VALU_DEP_1)
	s_or_b32 exec_lo, exec_lo, s39
	v_mov_b32_e32 v102, 0
	ds_load_b64 v[102:103], v102 offset:248
	s_wait_dscnt 0x0
	v_pk_mul_f32 v[104:105], v[100:101], v[102:103] op_sel:[1,1] op_sel_hi:[0,1]
	v_pk_fma_f32 v[106:107], v[100:101], v[102:103], v[104:105] op_sel_hi:[1,0,1]
	v_pk_fma_f32 v[100:101], v[100:101], v[102:103], v[104:105] neg_lo:[0,0,1] neg_hi:[0,0,1]
	s_delay_alu instid0(VALU_DEP_2)
	v_mov_b32_e32 v101, v107
	scratch_store_b64 off, v[100:101], off offset:248
.LBB111_165:
	s_wait_xcnt 0x0
	s_or_b32 exec_lo, exec_lo, s38
	scratch_load_b64 v[100:101], off, off offset:240
	v_cmp_lt_u32_e64 s0, 30, v0
	s_wait_loadcnt 0x0
	ds_store_b64 v1, v[100:101]
	s_wait_storecnt_dscnt 0x0
	s_barrier_signal -1
	s_barrier_wait -1
	s_wait_xcnt 0x0
	s_and_saveexec_b32 s37, s0
	s_cbranch_execz .LBB111_175
; %bb.166:
	s_and_not1_b32 vcc_lo, exec_lo, s3
	s_cbranch_vccnz .LBB111_168
; %bb.167:
	scratch_load_b64 v[100:101], v59, off
	ds_load_b64 v[102:103], v1
	s_wait_loadcnt_dscnt 0x0
	v_pk_mul_f32 v[104:105], v[102:103], v[100:101] op_sel:[1,1] op_sel_hi:[0,1]
	s_delay_alu instid0(VALU_DEP_1) | instskip(SKIP_1) | instid1(VALU_DEP_2)
	v_pk_fma_f32 v[106:107], v[102:103], v[100:101], v[104:105] op_sel_hi:[1,0,1]
	v_pk_fma_f32 v[100:101], v[102:103], v[100:101], v[104:105] neg_lo:[0,0,1] neg_hi:[0,0,1]
	v_mov_b32_e32 v101, v107
	s_cbranch_execz .LBB111_169
	s_branch .LBB111_170
.LBB111_168:
                                        ; implicit-def: $vgpr100_vgpr101
.LBB111_169:
	ds_load_b64 v[100:101], v1
.LBB111_170:
	s_and_saveexec_b32 s38, s1
	s_cbranch_execz .LBB111_174
; %bb.171:
	v_subrev_nc_u32_e32 v102, 31, v0
	s_movk_i32 s39, 0x278
	s_mov_b32 s1, 0
.LBB111_172:                            ; =>This Inner Loop Header: Depth=1
	scratch_load_b64 v[104:105], off, s36
	v_dual_mov_b32 v103, s39 :: v_dual_add_nc_u32 v102, -1, v102
	s_add_co_i32 s39, s39, 8
	s_wait_xcnt 0x0
	s_add_co_i32 s36, s36, 8
	ds_load_b64 v[106:107], v103
	v_cmp_eq_u32_e32 vcc_lo, 0, v102
	s_or_b32 s1, vcc_lo, s1
	s_wait_loadcnt_dscnt 0x0
	v_pk_mul_f32 v[108:109], v[106:107], v[104:105] op_sel:[1,1] op_sel_hi:[0,1]
	s_delay_alu instid0(VALU_DEP_1) | instskip(SKIP_1) | instid1(VALU_DEP_2)
	v_pk_fma_f32 v[110:111], v[106:107], v[104:105], v[108:109] op_sel_hi:[1,0,1]
	v_pk_fma_f32 v[104:105], v[106:107], v[104:105], v[108:109] neg_lo:[0,0,1] neg_hi:[0,0,1]
	v_mov_b32_e32 v105, v111
	s_delay_alu instid0(VALU_DEP_1)
	v_pk_add_f32 v[100:101], v[100:101], v[104:105]
	s_and_not1_b32 exec_lo, exec_lo, s1
	s_cbranch_execnz .LBB111_172
; %bb.173:
	s_or_b32 exec_lo, exec_lo, s1
.LBB111_174:
	s_delay_alu instid0(SALU_CYCLE_1) | instskip(SKIP_4) | instid1(VALU_DEP_1)
	s_or_b32 exec_lo, exec_lo, s38
	v_mov_b32_e32 v102, 0
	ds_load_b64 v[102:103], v102 offset:240
	s_wait_dscnt 0x0
	v_pk_mul_f32 v[104:105], v[100:101], v[102:103] op_sel:[1,1] op_sel_hi:[0,1]
	v_pk_fma_f32 v[106:107], v[100:101], v[102:103], v[104:105] op_sel_hi:[1,0,1]
	v_pk_fma_f32 v[100:101], v[100:101], v[102:103], v[104:105] neg_lo:[0,0,1] neg_hi:[0,0,1]
	s_delay_alu instid0(VALU_DEP_2)
	v_mov_b32_e32 v101, v107
	scratch_store_b64 off, v[100:101], off offset:240
.LBB111_175:
	s_wait_xcnt 0x0
	s_or_b32 exec_lo, exec_lo, s37
	scratch_load_b64 v[100:101], off, off offset:232
	v_cmp_lt_u32_e64 s1, 29, v0
	s_wait_loadcnt 0x0
	ds_store_b64 v1, v[100:101]
	s_wait_storecnt_dscnt 0x0
	s_barrier_signal -1
	s_barrier_wait -1
	s_wait_xcnt 0x0
	s_and_saveexec_b32 s36, s1
	s_cbranch_execz .LBB111_185
; %bb.176:
	s_and_not1_b32 vcc_lo, exec_lo, s3
	s_cbranch_vccnz .LBB111_178
; %bb.177:
	scratch_load_b64 v[100:101], v59, off
	ds_load_b64 v[102:103], v1
	s_wait_loadcnt_dscnt 0x0
	v_pk_mul_f32 v[104:105], v[102:103], v[100:101] op_sel:[1,1] op_sel_hi:[0,1]
	s_delay_alu instid0(VALU_DEP_1) | instskip(SKIP_1) | instid1(VALU_DEP_2)
	v_pk_fma_f32 v[106:107], v[102:103], v[100:101], v[104:105] op_sel_hi:[1,0,1]
	v_pk_fma_f32 v[100:101], v[102:103], v[100:101], v[104:105] neg_lo:[0,0,1] neg_hi:[0,0,1]
	v_mov_b32_e32 v101, v107
	s_cbranch_execz .LBB111_179
	s_branch .LBB111_180
.LBB111_178:
                                        ; implicit-def: $vgpr100_vgpr101
.LBB111_179:
	ds_load_b64 v[100:101], v1
.LBB111_180:
	s_and_saveexec_b32 s37, s0
	s_cbranch_execz .LBB111_184
; %bb.181:
	v_subrev_nc_u32_e32 v102, 30, v0
	s_movk_i32 s38, 0x270
	s_mov_b32 s0, 0
.LBB111_182:                            ; =>This Inner Loop Header: Depth=1
	scratch_load_b64 v[104:105], off, s35
	v_dual_mov_b32 v103, s38 :: v_dual_add_nc_u32 v102, -1, v102
	s_add_co_i32 s38, s38, 8
	s_wait_xcnt 0x0
	s_add_co_i32 s35, s35, 8
	ds_load_b64 v[106:107], v103
	v_cmp_eq_u32_e32 vcc_lo, 0, v102
	s_or_b32 s0, vcc_lo, s0
	s_wait_loadcnt_dscnt 0x0
	v_pk_mul_f32 v[108:109], v[106:107], v[104:105] op_sel:[1,1] op_sel_hi:[0,1]
	s_delay_alu instid0(VALU_DEP_1) | instskip(SKIP_1) | instid1(VALU_DEP_2)
	v_pk_fma_f32 v[110:111], v[106:107], v[104:105], v[108:109] op_sel_hi:[1,0,1]
	v_pk_fma_f32 v[104:105], v[106:107], v[104:105], v[108:109] neg_lo:[0,0,1] neg_hi:[0,0,1]
	v_mov_b32_e32 v105, v111
	s_delay_alu instid0(VALU_DEP_1)
	v_pk_add_f32 v[100:101], v[100:101], v[104:105]
	s_and_not1_b32 exec_lo, exec_lo, s0
	s_cbranch_execnz .LBB111_182
; %bb.183:
	s_or_b32 exec_lo, exec_lo, s0
.LBB111_184:
	s_delay_alu instid0(SALU_CYCLE_1) | instskip(SKIP_4) | instid1(VALU_DEP_1)
	s_or_b32 exec_lo, exec_lo, s37
	v_mov_b32_e32 v102, 0
	ds_load_b64 v[102:103], v102 offset:232
	s_wait_dscnt 0x0
	v_pk_mul_f32 v[104:105], v[100:101], v[102:103] op_sel:[1,1] op_sel_hi:[0,1]
	v_pk_fma_f32 v[106:107], v[100:101], v[102:103], v[104:105] op_sel_hi:[1,0,1]
	v_pk_fma_f32 v[100:101], v[100:101], v[102:103], v[104:105] neg_lo:[0,0,1] neg_hi:[0,0,1]
	s_delay_alu instid0(VALU_DEP_2)
	v_mov_b32_e32 v101, v107
	scratch_store_b64 off, v[100:101], off offset:232
.LBB111_185:
	s_wait_xcnt 0x0
	s_or_b32 exec_lo, exec_lo, s36
	scratch_load_b64 v[100:101], off, off offset:224
	v_cmp_lt_u32_e64 s0, 28, v0
	s_wait_loadcnt 0x0
	ds_store_b64 v1, v[100:101]
	s_wait_storecnt_dscnt 0x0
	s_barrier_signal -1
	s_barrier_wait -1
	s_wait_xcnt 0x0
	s_and_saveexec_b32 s35, s0
	s_cbranch_execz .LBB111_195
; %bb.186:
	s_and_not1_b32 vcc_lo, exec_lo, s3
	s_cbranch_vccnz .LBB111_188
; %bb.187:
	scratch_load_b64 v[100:101], v59, off
	ds_load_b64 v[102:103], v1
	s_wait_loadcnt_dscnt 0x0
	v_pk_mul_f32 v[104:105], v[102:103], v[100:101] op_sel:[1,1] op_sel_hi:[0,1]
	s_delay_alu instid0(VALU_DEP_1) | instskip(SKIP_1) | instid1(VALU_DEP_2)
	v_pk_fma_f32 v[106:107], v[102:103], v[100:101], v[104:105] op_sel_hi:[1,0,1]
	v_pk_fma_f32 v[100:101], v[102:103], v[100:101], v[104:105] neg_lo:[0,0,1] neg_hi:[0,0,1]
	v_mov_b32_e32 v101, v107
	s_cbranch_execz .LBB111_189
	s_branch .LBB111_190
.LBB111_188:
                                        ; implicit-def: $vgpr100_vgpr101
.LBB111_189:
	ds_load_b64 v[100:101], v1
.LBB111_190:
	s_and_saveexec_b32 s36, s1
	s_cbranch_execz .LBB111_194
; %bb.191:
	v_subrev_nc_u32_e32 v102, 29, v0
	s_movk_i32 s37, 0x268
	s_mov_b32 s1, 0
.LBB111_192:                            ; =>This Inner Loop Header: Depth=1
	scratch_load_b64 v[104:105], off, s34
	v_dual_mov_b32 v103, s37 :: v_dual_add_nc_u32 v102, -1, v102
	s_add_co_i32 s37, s37, 8
	s_wait_xcnt 0x0
	s_add_co_i32 s34, s34, 8
	ds_load_b64 v[106:107], v103
	v_cmp_eq_u32_e32 vcc_lo, 0, v102
	s_or_b32 s1, vcc_lo, s1
	s_wait_loadcnt_dscnt 0x0
	v_pk_mul_f32 v[108:109], v[106:107], v[104:105] op_sel:[1,1] op_sel_hi:[0,1]
	s_delay_alu instid0(VALU_DEP_1) | instskip(SKIP_1) | instid1(VALU_DEP_2)
	v_pk_fma_f32 v[110:111], v[106:107], v[104:105], v[108:109] op_sel_hi:[1,0,1]
	v_pk_fma_f32 v[104:105], v[106:107], v[104:105], v[108:109] neg_lo:[0,0,1] neg_hi:[0,0,1]
	v_mov_b32_e32 v105, v111
	s_delay_alu instid0(VALU_DEP_1)
	v_pk_add_f32 v[100:101], v[100:101], v[104:105]
	s_and_not1_b32 exec_lo, exec_lo, s1
	s_cbranch_execnz .LBB111_192
; %bb.193:
	s_or_b32 exec_lo, exec_lo, s1
.LBB111_194:
	s_delay_alu instid0(SALU_CYCLE_1) | instskip(SKIP_4) | instid1(VALU_DEP_1)
	s_or_b32 exec_lo, exec_lo, s36
	v_mov_b32_e32 v102, 0
	ds_load_b64 v[102:103], v102 offset:224
	s_wait_dscnt 0x0
	v_pk_mul_f32 v[104:105], v[100:101], v[102:103] op_sel:[1,1] op_sel_hi:[0,1]
	v_pk_fma_f32 v[106:107], v[100:101], v[102:103], v[104:105] op_sel_hi:[1,0,1]
	v_pk_fma_f32 v[100:101], v[100:101], v[102:103], v[104:105] neg_lo:[0,0,1] neg_hi:[0,0,1]
	s_delay_alu instid0(VALU_DEP_2)
	v_mov_b32_e32 v101, v107
	scratch_store_b64 off, v[100:101], off offset:224
.LBB111_195:
	s_wait_xcnt 0x0
	s_or_b32 exec_lo, exec_lo, s35
	scratch_load_b64 v[100:101], off, off offset:216
	v_cmp_lt_u32_e64 s1, 27, v0
	s_wait_loadcnt 0x0
	ds_store_b64 v1, v[100:101]
	s_wait_storecnt_dscnt 0x0
	s_barrier_signal -1
	s_barrier_wait -1
	s_wait_xcnt 0x0
	s_and_saveexec_b32 s34, s1
	s_cbranch_execz .LBB111_205
; %bb.196:
	s_and_not1_b32 vcc_lo, exec_lo, s3
	s_cbranch_vccnz .LBB111_198
; %bb.197:
	scratch_load_b64 v[100:101], v59, off
	ds_load_b64 v[102:103], v1
	s_wait_loadcnt_dscnt 0x0
	v_pk_mul_f32 v[104:105], v[102:103], v[100:101] op_sel:[1,1] op_sel_hi:[0,1]
	s_delay_alu instid0(VALU_DEP_1) | instskip(SKIP_1) | instid1(VALU_DEP_2)
	v_pk_fma_f32 v[106:107], v[102:103], v[100:101], v[104:105] op_sel_hi:[1,0,1]
	v_pk_fma_f32 v[100:101], v[102:103], v[100:101], v[104:105] neg_lo:[0,0,1] neg_hi:[0,0,1]
	v_mov_b32_e32 v101, v107
	s_cbranch_execz .LBB111_199
	s_branch .LBB111_200
.LBB111_198:
                                        ; implicit-def: $vgpr100_vgpr101
.LBB111_199:
	ds_load_b64 v[100:101], v1
.LBB111_200:
	s_and_saveexec_b32 s35, s0
	s_cbranch_execz .LBB111_204
; %bb.201:
	v_subrev_nc_u32_e32 v102, 28, v0
	s_movk_i32 s36, 0x260
	s_mov_b32 s0, 0
.LBB111_202:                            ; =>This Inner Loop Header: Depth=1
	scratch_load_b64 v[104:105], off, s33
	v_dual_mov_b32 v103, s36 :: v_dual_add_nc_u32 v102, -1, v102
	s_add_co_i32 s36, s36, 8
	s_wait_xcnt 0x0
	s_add_co_i32 s33, s33, 8
	ds_load_b64 v[106:107], v103
	v_cmp_eq_u32_e32 vcc_lo, 0, v102
	s_or_b32 s0, vcc_lo, s0
	s_wait_loadcnt_dscnt 0x0
	v_pk_mul_f32 v[108:109], v[106:107], v[104:105] op_sel:[1,1] op_sel_hi:[0,1]
	s_delay_alu instid0(VALU_DEP_1) | instskip(SKIP_1) | instid1(VALU_DEP_2)
	v_pk_fma_f32 v[110:111], v[106:107], v[104:105], v[108:109] op_sel_hi:[1,0,1]
	v_pk_fma_f32 v[104:105], v[106:107], v[104:105], v[108:109] neg_lo:[0,0,1] neg_hi:[0,0,1]
	v_mov_b32_e32 v105, v111
	s_delay_alu instid0(VALU_DEP_1)
	v_pk_add_f32 v[100:101], v[100:101], v[104:105]
	s_and_not1_b32 exec_lo, exec_lo, s0
	s_cbranch_execnz .LBB111_202
; %bb.203:
	s_or_b32 exec_lo, exec_lo, s0
.LBB111_204:
	s_delay_alu instid0(SALU_CYCLE_1) | instskip(SKIP_4) | instid1(VALU_DEP_1)
	s_or_b32 exec_lo, exec_lo, s35
	v_mov_b32_e32 v102, 0
	ds_load_b64 v[102:103], v102 offset:216
	s_wait_dscnt 0x0
	v_pk_mul_f32 v[104:105], v[100:101], v[102:103] op_sel:[1,1] op_sel_hi:[0,1]
	v_pk_fma_f32 v[106:107], v[100:101], v[102:103], v[104:105] op_sel_hi:[1,0,1]
	v_pk_fma_f32 v[100:101], v[100:101], v[102:103], v[104:105] neg_lo:[0,0,1] neg_hi:[0,0,1]
	s_delay_alu instid0(VALU_DEP_2)
	v_mov_b32_e32 v101, v107
	scratch_store_b64 off, v[100:101], off offset:216
.LBB111_205:
	s_wait_xcnt 0x0
	s_or_b32 exec_lo, exec_lo, s34
	scratch_load_b64 v[100:101], off, off offset:208
	v_cmp_lt_u32_e64 s0, 26, v0
	s_wait_loadcnt 0x0
	ds_store_b64 v1, v[100:101]
	s_wait_storecnt_dscnt 0x0
	s_barrier_signal -1
	s_barrier_wait -1
	s_wait_xcnt 0x0
	s_and_saveexec_b32 s33, s0
	s_cbranch_execz .LBB111_215
; %bb.206:
	s_and_not1_b32 vcc_lo, exec_lo, s3
	s_cbranch_vccnz .LBB111_208
; %bb.207:
	scratch_load_b64 v[100:101], v59, off
	ds_load_b64 v[102:103], v1
	s_wait_loadcnt_dscnt 0x0
	v_pk_mul_f32 v[104:105], v[102:103], v[100:101] op_sel:[1,1] op_sel_hi:[0,1]
	s_delay_alu instid0(VALU_DEP_1) | instskip(SKIP_1) | instid1(VALU_DEP_2)
	v_pk_fma_f32 v[106:107], v[102:103], v[100:101], v[104:105] op_sel_hi:[1,0,1]
	v_pk_fma_f32 v[100:101], v[102:103], v[100:101], v[104:105] neg_lo:[0,0,1] neg_hi:[0,0,1]
	v_mov_b32_e32 v101, v107
	s_cbranch_execz .LBB111_209
	s_branch .LBB111_210
.LBB111_208:
                                        ; implicit-def: $vgpr100_vgpr101
.LBB111_209:
	ds_load_b64 v[100:101], v1
.LBB111_210:
	s_and_saveexec_b32 s34, s1
	s_cbranch_execz .LBB111_214
; %bb.211:
	v_subrev_nc_u32_e32 v102, 27, v0
	s_movk_i32 s35, 0x258
	s_mov_b32 s1, 0
.LBB111_212:                            ; =>This Inner Loop Header: Depth=1
	scratch_load_b64 v[104:105], off, s31
	v_dual_mov_b32 v103, s35 :: v_dual_add_nc_u32 v102, -1, v102
	s_add_co_i32 s35, s35, 8
	s_wait_xcnt 0x0
	s_add_co_i32 s31, s31, 8
	ds_load_b64 v[106:107], v103
	v_cmp_eq_u32_e32 vcc_lo, 0, v102
	s_or_b32 s1, vcc_lo, s1
	s_wait_loadcnt_dscnt 0x0
	v_pk_mul_f32 v[108:109], v[106:107], v[104:105] op_sel:[1,1] op_sel_hi:[0,1]
	s_delay_alu instid0(VALU_DEP_1) | instskip(SKIP_1) | instid1(VALU_DEP_2)
	v_pk_fma_f32 v[110:111], v[106:107], v[104:105], v[108:109] op_sel_hi:[1,0,1]
	v_pk_fma_f32 v[104:105], v[106:107], v[104:105], v[108:109] neg_lo:[0,0,1] neg_hi:[0,0,1]
	v_mov_b32_e32 v105, v111
	s_delay_alu instid0(VALU_DEP_1)
	v_pk_add_f32 v[100:101], v[100:101], v[104:105]
	s_and_not1_b32 exec_lo, exec_lo, s1
	s_cbranch_execnz .LBB111_212
; %bb.213:
	s_or_b32 exec_lo, exec_lo, s1
.LBB111_214:
	s_delay_alu instid0(SALU_CYCLE_1) | instskip(SKIP_4) | instid1(VALU_DEP_1)
	s_or_b32 exec_lo, exec_lo, s34
	v_mov_b32_e32 v102, 0
	ds_load_b64 v[102:103], v102 offset:208
	s_wait_dscnt 0x0
	v_pk_mul_f32 v[104:105], v[100:101], v[102:103] op_sel:[1,1] op_sel_hi:[0,1]
	v_pk_fma_f32 v[106:107], v[100:101], v[102:103], v[104:105] op_sel_hi:[1,0,1]
	v_pk_fma_f32 v[100:101], v[100:101], v[102:103], v[104:105] neg_lo:[0,0,1] neg_hi:[0,0,1]
	s_delay_alu instid0(VALU_DEP_2)
	v_mov_b32_e32 v101, v107
	scratch_store_b64 off, v[100:101], off offset:208
.LBB111_215:
	s_wait_xcnt 0x0
	s_or_b32 exec_lo, exec_lo, s33
	scratch_load_b64 v[100:101], off, off offset:200
	v_cmp_lt_u32_e64 s1, 25, v0
	s_wait_loadcnt 0x0
	ds_store_b64 v1, v[100:101]
	s_wait_storecnt_dscnt 0x0
	s_barrier_signal -1
	s_barrier_wait -1
	s_wait_xcnt 0x0
	s_and_saveexec_b32 s31, s1
	s_cbranch_execz .LBB111_225
; %bb.216:
	s_and_not1_b32 vcc_lo, exec_lo, s3
	s_cbranch_vccnz .LBB111_218
; %bb.217:
	scratch_load_b64 v[100:101], v59, off
	ds_load_b64 v[102:103], v1
	s_wait_loadcnt_dscnt 0x0
	v_pk_mul_f32 v[104:105], v[102:103], v[100:101] op_sel:[1,1] op_sel_hi:[0,1]
	s_delay_alu instid0(VALU_DEP_1) | instskip(SKIP_1) | instid1(VALU_DEP_2)
	v_pk_fma_f32 v[106:107], v[102:103], v[100:101], v[104:105] op_sel_hi:[1,0,1]
	v_pk_fma_f32 v[100:101], v[102:103], v[100:101], v[104:105] neg_lo:[0,0,1] neg_hi:[0,0,1]
	v_mov_b32_e32 v101, v107
	s_cbranch_execz .LBB111_219
	s_branch .LBB111_220
.LBB111_218:
                                        ; implicit-def: $vgpr100_vgpr101
.LBB111_219:
	ds_load_b64 v[100:101], v1
.LBB111_220:
	s_and_saveexec_b32 s33, s0
	s_cbranch_execz .LBB111_224
; %bb.221:
	v_subrev_nc_u32_e32 v102, 26, v0
	s_movk_i32 s34, 0x250
	s_mov_b32 s0, 0
.LBB111_222:                            ; =>This Inner Loop Header: Depth=1
	scratch_load_b64 v[104:105], off, s30
	v_dual_mov_b32 v103, s34 :: v_dual_add_nc_u32 v102, -1, v102
	s_add_co_i32 s34, s34, 8
	s_wait_xcnt 0x0
	s_add_co_i32 s30, s30, 8
	ds_load_b64 v[106:107], v103
	v_cmp_eq_u32_e32 vcc_lo, 0, v102
	s_or_b32 s0, vcc_lo, s0
	s_wait_loadcnt_dscnt 0x0
	v_pk_mul_f32 v[108:109], v[106:107], v[104:105] op_sel:[1,1] op_sel_hi:[0,1]
	s_delay_alu instid0(VALU_DEP_1) | instskip(SKIP_1) | instid1(VALU_DEP_2)
	v_pk_fma_f32 v[110:111], v[106:107], v[104:105], v[108:109] op_sel_hi:[1,0,1]
	v_pk_fma_f32 v[104:105], v[106:107], v[104:105], v[108:109] neg_lo:[0,0,1] neg_hi:[0,0,1]
	v_mov_b32_e32 v105, v111
	s_delay_alu instid0(VALU_DEP_1)
	v_pk_add_f32 v[100:101], v[100:101], v[104:105]
	s_and_not1_b32 exec_lo, exec_lo, s0
	s_cbranch_execnz .LBB111_222
; %bb.223:
	s_or_b32 exec_lo, exec_lo, s0
.LBB111_224:
	s_delay_alu instid0(SALU_CYCLE_1) | instskip(SKIP_4) | instid1(VALU_DEP_1)
	s_or_b32 exec_lo, exec_lo, s33
	v_mov_b32_e32 v102, 0
	ds_load_b64 v[102:103], v102 offset:200
	s_wait_dscnt 0x0
	v_pk_mul_f32 v[104:105], v[100:101], v[102:103] op_sel:[1,1] op_sel_hi:[0,1]
	v_pk_fma_f32 v[106:107], v[100:101], v[102:103], v[104:105] op_sel_hi:[1,0,1]
	v_pk_fma_f32 v[100:101], v[100:101], v[102:103], v[104:105] neg_lo:[0,0,1] neg_hi:[0,0,1]
	s_delay_alu instid0(VALU_DEP_2)
	v_mov_b32_e32 v101, v107
	scratch_store_b64 off, v[100:101], off offset:200
.LBB111_225:
	s_wait_xcnt 0x0
	s_or_b32 exec_lo, exec_lo, s31
	scratch_load_b64 v[100:101], off, off offset:192
	v_cmp_lt_u32_e64 s0, 24, v0
	s_wait_loadcnt 0x0
	ds_store_b64 v1, v[100:101]
	s_wait_storecnt_dscnt 0x0
	s_barrier_signal -1
	s_barrier_wait -1
	s_wait_xcnt 0x0
	s_and_saveexec_b32 s30, s0
	s_cbranch_execz .LBB111_235
; %bb.226:
	s_and_not1_b32 vcc_lo, exec_lo, s3
	s_cbranch_vccnz .LBB111_228
; %bb.227:
	scratch_load_b64 v[100:101], v59, off
	ds_load_b64 v[102:103], v1
	s_wait_loadcnt_dscnt 0x0
	v_pk_mul_f32 v[104:105], v[102:103], v[100:101] op_sel:[1,1] op_sel_hi:[0,1]
	s_delay_alu instid0(VALU_DEP_1) | instskip(SKIP_1) | instid1(VALU_DEP_2)
	v_pk_fma_f32 v[106:107], v[102:103], v[100:101], v[104:105] op_sel_hi:[1,0,1]
	v_pk_fma_f32 v[100:101], v[102:103], v[100:101], v[104:105] neg_lo:[0,0,1] neg_hi:[0,0,1]
	v_mov_b32_e32 v101, v107
	s_cbranch_execz .LBB111_229
	s_branch .LBB111_230
.LBB111_228:
                                        ; implicit-def: $vgpr100_vgpr101
.LBB111_229:
	ds_load_b64 v[100:101], v1
.LBB111_230:
	s_and_saveexec_b32 s31, s1
	s_cbranch_execz .LBB111_234
; %bb.231:
	v_subrev_nc_u32_e32 v102, 25, v0
	s_movk_i32 s33, 0x248
	s_mov_b32 s1, 0
.LBB111_232:                            ; =>This Inner Loop Header: Depth=1
	scratch_load_b64 v[104:105], off, s29
	v_dual_mov_b32 v103, s33 :: v_dual_add_nc_u32 v102, -1, v102
	s_add_co_i32 s33, s33, 8
	s_wait_xcnt 0x0
	s_add_co_i32 s29, s29, 8
	ds_load_b64 v[106:107], v103
	v_cmp_eq_u32_e32 vcc_lo, 0, v102
	s_or_b32 s1, vcc_lo, s1
	s_wait_loadcnt_dscnt 0x0
	v_pk_mul_f32 v[108:109], v[106:107], v[104:105] op_sel:[1,1] op_sel_hi:[0,1]
	s_delay_alu instid0(VALU_DEP_1) | instskip(SKIP_1) | instid1(VALU_DEP_2)
	v_pk_fma_f32 v[110:111], v[106:107], v[104:105], v[108:109] op_sel_hi:[1,0,1]
	v_pk_fma_f32 v[104:105], v[106:107], v[104:105], v[108:109] neg_lo:[0,0,1] neg_hi:[0,0,1]
	v_mov_b32_e32 v105, v111
	s_delay_alu instid0(VALU_DEP_1)
	v_pk_add_f32 v[100:101], v[100:101], v[104:105]
	s_and_not1_b32 exec_lo, exec_lo, s1
	s_cbranch_execnz .LBB111_232
; %bb.233:
	s_or_b32 exec_lo, exec_lo, s1
.LBB111_234:
	s_delay_alu instid0(SALU_CYCLE_1) | instskip(SKIP_4) | instid1(VALU_DEP_1)
	s_or_b32 exec_lo, exec_lo, s31
	v_mov_b32_e32 v102, 0
	ds_load_b64 v[102:103], v102 offset:192
	s_wait_dscnt 0x0
	v_pk_mul_f32 v[104:105], v[100:101], v[102:103] op_sel:[1,1] op_sel_hi:[0,1]
	v_pk_fma_f32 v[106:107], v[100:101], v[102:103], v[104:105] op_sel_hi:[1,0,1]
	v_pk_fma_f32 v[100:101], v[100:101], v[102:103], v[104:105] neg_lo:[0,0,1] neg_hi:[0,0,1]
	s_delay_alu instid0(VALU_DEP_2)
	v_mov_b32_e32 v101, v107
	scratch_store_b64 off, v[100:101], off offset:192
.LBB111_235:
	s_wait_xcnt 0x0
	s_or_b32 exec_lo, exec_lo, s30
	scratch_load_b64 v[100:101], off, off offset:184
	v_cmp_lt_u32_e64 s1, 23, v0
	s_wait_loadcnt 0x0
	ds_store_b64 v1, v[100:101]
	s_wait_storecnt_dscnt 0x0
	s_barrier_signal -1
	s_barrier_wait -1
	s_wait_xcnt 0x0
	s_and_saveexec_b32 s29, s1
	s_cbranch_execz .LBB111_245
; %bb.236:
	s_and_not1_b32 vcc_lo, exec_lo, s3
	s_cbranch_vccnz .LBB111_238
; %bb.237:
	scratch_load_b64 v[100:101], v59, off
	ds_load_b64 v[102:103], v1
	s_wait_loadcnt_dscnt 0x0
	v_pk_mul_f32 v[104:105], v[102:103], v[100:101] op_sel:[1,1] op_sel_hi:[0,1]
	s_delay_alu instid0(VALU_DEP_1) | instskip(SKIP_1) | instid1(VALU_DEP_2)
	v_pk_fma_f32 v[106:107], v[102:103], v[100:101], v[104:105] op_sel_hi:[1,0,1]
	v_pk_fma_f32 v[100:101], v[102:103], v[100:101], v[104:105] neg_lo:[0,0,1] neg_hi:[0,0,1]
	v_mov_b32_e32 v101, v107
	s_cbranch_execz .LBB111_239
	s_branch .LBB111_240
.LBB111_238:
                                        ; implicit-def: $vgpr100_vgpr101
.LBB111_239:
	ds_load_b64 v[100:101], v1
.LBB111_240:
	s_and_saveexec_b32 s30, s0
	s_cbranch_execz .LBB111_244
; %bb.241:
	v_subrev_nc_u32_e32 v102, 24, v0
	s_movk_i32 s31, 0x240
	s_mov_b32 s0, 0
.LBB111_242:                            ; =>This Inner Loop Header: Depth=1
	scratch_load_b64 v[104:105], off, s28
	v_dual_mov_b32 v103, s31 :: v_dual_add_nc_u32 v102, -1, v102
	s_add_co_i32 s31, s31, 8
	s_wait_xcnt 0x0
	s_add_co_i32 s28, s28, 8
	ds_load_b64 v[106:107], v103
	v_cmp_eq_u32_e32 vcc_lo, 0, v102
	s_or_b32 s0, vcc_lo, s0
	s_wait_loadcnt_dscnt 0x0
	v_pk_mul_f32 v[108:109], v[106:107], v[104:105] op_sel:[1,1] op_sel_hi:[0,1]
	s_delay_alu instid0(VALU_DEP_1) | instskip(SKIP_1) | instid1(VALU_DEP_2)
	v_pk_fma_f32 v[110:111], v[106:107], v[104:105], v[108:109] op_sel_hi:[1,0,1]
	v_pk_fma_f32 v[104:105], v[106:107], v[104:105], v[108:109] neg_lo:[0,0,1] neg_hi:[0,0,1]
	v_mov_b32_e32 v105, v111
	s_delay_alu instid0(VALU_DEP_1)
	v_pk_add_f32 v[100:101], v[100:101], v[104:105]
	s_and_not1_b32 exec_lo, exec_lo, s0
	s_cbranch_execnz .LBB111_242
; %bb.243:
	s_or_b32 exec_lo, exec_lo, s0
.LBB111_244:
	s_delay_alu instid0(SALU_CYCLE_1) | instskip(SKIP_4) | instid1(VALU_DEP_1)
	s_or_b32 exec_lo, exec_lo, s30
	v_mov_b32_e32 v102, 0
	ds_load_b64 v[102:103], v102 offset:184
	s_wait_dscnt 0x0
	v_pk_mul_f32 v[104:105], v[100:101], v[102:103] op_sel:[1,1] op_sel_hi:[0,1]
	v_pk_fma_f32 v[106:107], v[100:101], v[102:103], v[104:105] op_sel_hi:[1,0,1]
	v_pk_fma_f32 v[100:101], v[100:101], v[102:103], v[104:105] neg_lo:[0,0,1] neg_hi:[0,0,1]
	s_delay_alu instid0(VALU_DEP_2)
	v_mov_b32_e32 v101, v107
	scratch_store_b64 off, v[100:101], off offset:184
.LBB111_245:
	s_wait_xcnt 0x0
	s_or_b32 exec_lo, exec_lo, s29
	scratch_load_b64 v[100:101], off, off offset:176
	v_cmp_lt_u32_e64 s0, 22, v0
	s_wait_loadcnt 0x0
	ds_store_b64 v1, v[100:101]
	s_wait_storecnt_dscnt 0x0
	s_barrier_signal -1
	s_barrier_wait -1
	s_wait_xcnt 0x0
	s_and_saveexec_b32 s28, s0
	s_cbranch_execz .LBB111_255
; %bb.246:
	s_and_not1_b32 vcc_lo, exec_lo, s3
	s_cbranch_vccnz .LBB111_248
; %bb.247:
	scratch_load_b64 v[100:101], v59, off
	ds_load_b64 v[102:103], v1
	s_wait_loadcnt_dscnt 0x0
	v_pk_mul_f32 v[104:105], v[102:103], v[100:101] op_sel:[1,1] op_sel_hi:[0,1]
	s_delay_alu instid0(VALU_DEP_1) | instskip(SKIP_1) | instid1(VALU_DEP_2)
	v_pk_fma_f32 v[106:107], v[102:103], v[100:101], v[104:105] op_sel_hi:[1,0,1]
	v_pk_fma_f32 v[100:101], v[102:103], v[100:101], v[104:105] neg_lo:[0,0,1] neg_hi:[0,0,1]
	v_mov_b32_e32 v101, v107
	s_cbranch_execz .LBB111_249
	s_branch .LBB111_250
.LBB111_248:
                                        ; implicit-def: $vgpr100_vgpr101
.LBB111_249:
	ds_load_b64 v[100:101], v1
.LBB111_250:
	s_and_saveexec_b32 s29, s1
	s_cbranch_execz .LBB111_254
; %bb.251:
	v_subrev_nc_u32_e32 v102, 23, v0
	s_movk_i32 s30, 0x238
	s_mov_b32 s1, 0
.LBB111_252:                            ; =>This Inner Loop Header: Depth=1
	scratch_load_b64 v[104:105], off, s27
	v_dual_mov_b32 v103, s30 :: v_dual_add_nc_u32 v102, -1, v102
	s_add_co_i32 s30, s30, 8
	s_wait_xcnt 0x0
	s_add_co_i32 s27, s27, 8
	ds_load_b64 v[106:107], v103
	v_cmp_eq_u32_e32 vcc_lo, 0, v102
	s_or_b32 s1, vcc_lo, s1
	s_wait_loadcnt_dscnt 0x0
	v_pk_mul_f32 v[108:109], v[106:107], v[104:105] op_sel:[1,1] op_sel_hi:[0,1]
	s_delay_alu instid0(VALU_DEP_1) | instskip(SKIP_1) | instid1(VALU_DEP_2)
	v_pk_fma_f32 v[110:111], v[106:107], v[104:105], v[108:109] op_sel_hi:[1,0,1]
	v_pk_fma_f32 v[104:105], v[106:107], v[104:105], v[108:109] neg_lo:[0,0,1] neg_hi:[0,0,1]
	v_mov_b32_e32 v105, v111
	s_delay_alu instid0(VALU_DEP_1)
	v_pk_add_f32 v[100:101], v[100:101], v[104:105]
	s_and_not1_b32 exec_lo, exec_lo, s1
	s_cbranch_execnz .LBB111_252
; %bb.253:
	s_or_b32 exec_lo, exec_lo, s1
.LBB111_254:
	s_delay_alu instid0(SALU_CYCLE_1) | instskip(SKIP_4) | instid1(VALU_DEP_1)
	s_or_b32 exec_lo, exec_lo, s29
	v_mov_b32_e32 v102, 0
	ds_load_b64 v[102:103], v102 offset:176
	s_wait_dscnt 0x0
	v_pk_mul_f32 v[104:105], v[100:101], v[102:103] op_sel:[1,1] op_sel_hi:[0,1]
	v_pk_fma_f32 v[106:107], v[100:101], v[102:103], v[104:105] op_sel_hi:[1,0,1]
	v_pk_fma_f32 v[100:101], v[100:101], v[102:103], v[104:105] neg_lo:[0,0,1] neg_hi:[0,0,1]
	s_delay_alu instid0(VALU_DEP_2)
	v_mov_b32_e32 v101, v107
	scratch_store_b64 off, v[100:101], off offset:176
.LBB111_255:
	s_wait_xcnt 0x0
	s_or_b32 exec_lo, exec_lo, s28
	scratch_load_b64 v[100:101], off, off offset:168
	v_cmp_lt_u32_e64 s1, 21, v0
	s_wait_loadcnt 0x0
	ds_store_b64 v1, v[100:101]
	s_wait_storecnt_dscnt 0x0
	s_barrier_signal -1
	s_barrier_wait -1
	s_wait_xcnt 0x0
	s_and_saveexec_b32 s27, s1
	s_cbranch_execz .LBB111_265
; %bb.256:
	s_and_not1_b32 vcc_lo, exec_lo, s3
	s_cbranch_vccnz .LBB111_258
; %bb.257:
	scratch_load_b64 v[100:101], v59, off
	ds_load_b64 v[102:103], v1
	s_wait_loadcnt_dscnt 0x0
	v_pk_mul_f32 v[104:105], v[102:103], v[100:101] op_sel:[1,1] op_sel_hi:[0,1]
	s_delay_alu instid0(VALU_DEP_1) | instskip(SKIP_1) | instid1(VALU_DEP_2)
	v_pk_fma_f32 v[106:107], v[102:103], v[100:101], v[104:105] op_sel_hi:[1,0,1]
	v_pk_fma_f32 v[100:101], v[102:103], v[100:101], v[104:105] neg_lo:[0,0,1] neg_hi:[0,0,1]
	v_mov_b32_e32 v101, v107
	s_cbranch_execz .LBB111_259
	s_branch .LBB111_260
.LBB111_258:
                                        ; implicit-def: $vgpr100_vgpr101
.LBB111_259:
	ds_load_b64 v[100:101], v1
.LBB111_260:
	s_and_saveexec_b32 s28, s0
	s_cbranch_execz .LBB111_264
; %bb.261:
	v_subrev_nc_u32_e32 v102, 22, v0
	s_movk_i32 s29, 0x230
	s_mov_b32 s0, 0
.LBB111_262:                            ; =>This Inner Loop Header: Depth=1
	scratch_load_b64 v[104:105], off, s26
	v_dual_mov_b32 v103, s29 :: v_dual_add_nc_u32 v102, -1, v102
	s_add_co_i32 s29, s29, 8
	s_wait_xcnt 0x0
	s_add_co_i32 s26, s26, 8
	ds_load_b64 v[106:107], v103
	v_cmp_eq_u32_e32 vcc_lo, 0, v102
	s_or_b32 s0, vcc_lo, s0
	s_wait_loadcnt_dscnt 0x0
	v_pk_mul_f32 v[108:109], v[106:107], v[104:105] op_sel:[1,1] op_sel_hi:[0,1]
	s_delay_alu instid0(VALU_DEP_1) | instskip(SKIP_1) | instid1(VALU_DEP_2)
	v_pk_fma_f32 v[110:111], v[106:107], v[104:105], v[108:109] op_sel_hi:[1,0,1]
	v_pk_fma_f32 v[104:105], v[106:107], v[104:105], v[108:109] neg_lo:[0,0,1] neg_hi:[0,0,1]
	v_mov_b32_e32 v105, v111
	s_delay_alu instid0(VALU_DEP_1)
	v_pk_add_f32 v[100:101], v[100:101], v[104:105]
	s_and_not1_b32 exec_lo, exec_lo, s0
	s_cbranch_execnz .LBB111_262
; %bb.263:
	s_or_b32 exec_lo, exec_lo, s0
.LBB111_264:
	s_delay_alu instid0(SALU_CYCLE_1) | instskip(SKIP_4) | instid1(VALU_DEP_1)
	s_or_b32 exec_lo, exec_lo, s28
	v_mov_b32_e32 v102, 0
	ds_load_b64 v[102:103], v102 offset:168
	s_wait_dscnt 0x0
	v_pk_mul_f32 v[104:105], v[100:101], v[102:103] op_sel:[1,1] op_sel_hi:[0,1]
	v_pk_fma_f32 v[106:107], v[100:101], v[102:103], v[104:105] op_sel_hi:[1,0,1]
	v_pk_fma_f32 v[100:101], v[100:101], v[102:103], v[104:105] neg_lo:[0,0,1] neg_hi:[0,0,1]
	s_delay_alu instid0(VALU_DEP_2)
	v_mov_b32_e32 v101, v107
	scratch_store_b64 off, v[100:101], off offset:168
.LBB111_265:
	s_wait_xcnt 0x0
	s_or_b32 exec_lo, exec_lo, s27
	scratch_load_b64 v[100:101], off, off offset:160
	v_cmp_lt_u32_e64 s0, 20, v0
	s_wait_loadcnt 0x0
	ds_store_b64 v1, v[100:101]
	s_wait_storecnt_dscnt 0x0
	s_barrier_signal -1
	s_barrier_wait -1
	s_wait_xcnt 0x0
	s_and_saveexec_b32 s26, s0
	s_cbranch_execz .LBB111_275
; %bb.266:
	s_and_not1_b32 vcc_lo, exec_lo, s3
	s_cbranch_vccnz .LBB111_268
; %bb.267:
	scratch_load_b64 v[100:101], v59, off
	ds_load_b64 v[102:103], v1
	s_wait_loadcnt_dscnt 0x0
	v_pk_mul_f32 v[104:105], v[102:103], v[100:101] op_sel:[1,1] op_sel_hi:[0,1]
	s_delay_alu instid0(VALU_DEP_1) | instskip(SKIP_1) | instid1(VALU_DEP_2)
	v_pk_fma_f32 v[106:107], v[102:103], v[100:101], v[104:105] op_sel_hi:[1,0,1]
	v_pk_fma_f32 v[100:101], v[102:103], v[100:101], v[104:105] neg_lo:[0,0,1] neg_hi:[0,0,1]
	v_mov_b32_e32 v101, v107
	s_cbranch_execz .LBB111_269
	s_branch .LBB111_270
.LBB111_268:
                                        ; implicit-def: $vgpr100_vgpr101
.LBB111_269:
	ds_load_b64 v[100:101], v1
.LBB111_270:
	s_and_saveexec_b32 s27, s1
	s_cbranch_execz .LBB111_274
; %bb.271:
	v_subrev_nc_u32_e32 v102, 21, v0
	s_movk_i32 s28, 0x228
	s_mov_b32 s1, 0
.LBB111_272:                            ; =>This Inner Loop Header: Depth=1
	scratch_load_b64 v[104:105], off, s25
	v_dual_mov_b32 v103, s28 :: v_dual_add_nc_u32 v102, -1, v102
	s_add_co_i32 s28, s28, 8
	s_wait_xcnt 0x0
	s_add_co_i32 s25, s25, 8
	ds_load_b64 v[106:107], v103
	v_cmp_eq_u32_e32 vcc_lo, 0, v102
	s_or_b32 s1, vcc_lo, s1
	s_wait_loadcnt_dscnt 0x0
	v_pk_mul_f32 v[108:109], v[106:107], v[104:105] op_sel:[1,1] op_sel_hi:[0,1]
	s_delay_alu instid0(VALU_DEP_1) | instskip(SKIP_1) | instid1(VALU_DEP_2)
	v_pk_fma_f32 v[110:111], v[106:107], v[104:105], v[108:109] op_sel_hi:[1,0,1]
	v_pk_fma_f32 v[104:105], v[106:107], v[104:105], v[108:109] neg_lo:[0,0,1] neg_hi:[0,0,1]
	v_mov_b32_e32 v105, v111
	s_delay_alu instid0(VALU_DEP_1)
	v_pk_add_f32 v[100:101], v[100:101], v[104:105]
	s_and_not1_b32 exec_lo, exec_lo, s1
	s_cbranch_execnz .LBB111_272
; %bb.273:
	s_or_b32 exec_lo, exec_lo, s1
.LBB111_274:
	s_delay_alu instid0(SALU_CYCLE_1) | instskip(SKIP_4) | instid1(VALU_DEP_1)
	s_or_b32 exec_lo, exec_lo, s27
	v_mov_b32_e32 v102, 0
	ds_load_b64 v[102:103], v102 offset:160
	s_wait_dscnt 0x0
	v_pk_mul_f32 v[104:105], v[100:101], v[102:103] op_sel:[1,1] op_sel_hi:[0,1]
	v_pk_fma_f32 v[106:107], v[100:101], v[102:103], v[104:105] op_sel_hi:[1,0,1]
	v_pk_fma_f32 v[100:101], v[100:101], v[102:103], v[104:105] neg_lo:[0,0,1] neg_hi:[0,0,1]
	s_delay_alu instid0(VALU_DEP_2)
	v_mov_b32_e32 v101, v107
	scratch_store_b64 off, v[100:101], off offset:160
.LBB111_275:
	s_wait_xcnt 0x0
	s_or_b32 exec_lo, exec_lo, s26
	scratch_load_b64 v[100:101], off, off offset:152
	v_cmp_lt_u32_e64 s1, 19, v0
	s_wait_loadcnt 0x0
	ds_store_b64 v1, v[100:101]
	s_wait_storecnt_dscnt 0x0
	s_barrier_signal -1
	s_barrier_wait -1
	s_wait_xcnt 0x0
	s_and_saveexec_b32 s25, s1
	s_cbranch_execz .LBB111_285
; %bb.276:
	s_and_not1_b32 vcc_lo, exec_lo, s3
	s_cbranch_vccnz .LBB111_278
; %bb.277:
	scratch_load_b64 v[100:101], v59, off
	ds_load_b64 v[102:103], v1
	s_wait_loadcnt_dscnt 0x0
	v_pk_mul_f32 v[104:105], v[102:103], v[100:101] op_sel:[1,1] op_sel_hi:[0,1]
	s_delay_alu instid0(VALU_DEP_1) | instskip(SKIP_1) | instid1(VALU_DEP_2)
	v_pk_fma_f32 v[106:107], v[102:103], v[100:101], v[104:105] op_sel_hi:[1,0,1]
	v_pk_fma_f32 v[100:101], v[102:103], v[100:101], v[104:105] neg_lo:[0,0,1] neg_hi:[0,0,1]
	v_mov_b32_e32 v101, v107
	s_cbranch_execz .LBB111_279
	s_branch .LBB111_280
.LBB111_278:
                                        ; implicit-def: $vgpr100_vgpr101
.LBB111_279:
	ds_load_b64 v[100:101], v1
.LBB111_280:
	s_and_saveexec_b32 s26, s0
	s_cbranch_execz .LBB111_284
; %bb.281:
	v_subrev_nc_u32_e32 v102, 20, v0
	s_movk_i32 s27, 0x220
	s_mov_b32 s0, 0
.LBB111_282:                            ; =>This Inner Loop Header: Depth=1
	scratch_load_b64 v[104:105], off, s24
	v_dual_mov_b32 v103, s27 :: v_dual_add_nc_u32 v102, -1, v102
	s_add_co_i32 s27, s27, 8
	s_wait_xcnt 0x0
	s_add_co_i32 s24, s24, 8
	ds_load_b64 v[106:107], v103
	v_cmp_eq_u32_e32 vcc_lo, 0, v102
	s_or_b32 s0, vcc_lo, s0
	s_wait_loadcnt_dscnt 0x0
	v_pk_mul_f32 v[108:109], v[106:107], v[104:105] op_sel:[1,1] op_sel_hi:[0,1]
	s_delay_alu instid0(VALU_DEP_1) | instskip(SKIP_1) | instid1(VALU_DEP_2)
	v_pk_fma_f32 v[110:111], v[106:107], v[104:105], v[108:109] op_sel_hi:[1,0,1]
	v_pk_fma_f32 v[104:105], v[106:107], v[104:105], v[108:109] neg_lo:[0,0,1] neg_hi:[0,0,1]
	v_mov_b32_e32 v105, v111
	s_delay_alu instid0(VALU_DEP_1)
	v_pk_add_f32 v[100:101], v[100:101], v[104:105]
	s_and_not1_b32 exec_lo, exec_lo, s0
	s_cbranch_execnz .LBB111_282
; %bb.283:
	s_or_b32 exec_lo, exec_lo, s0
.LBB111_284:
	s_delay_alu instid0(SALU_CYCLE_1) | instskip(SKIP_4) | instid1(VALU_DEP_1)
	s_or_b32 exec_lo, exec_lo, s26
	v_mov_b32_e32 v102, 0
	ds_load_b64 v[102:103], v102 offset:152
	s_wait_dscnt 0x0
	v_pk_mul_f32 v[104:105], v[100:101], v[102:103] op_sel:[1,1] op_sel_hi:[0,1]
	v_pk_fma_f32 v[106:107], v[100:101], v[102:103], v[104:105] op_sel_hi:[1,0,1]
	v_pk_fma_f32 v[100:101], v[100:101], v[102:103], v[104:105] neg_lo:[0,0,1] neg_hi:[0,0,1]
	s_delay_alu instid0(VALU_DEP_2)
	v_mov_b32_e32 v101, v107
	scratch_store_b64 off, v[100:101], off offset:152
.LBB111_285:
	s_wait_xcnt 0x0
	s_or_b32 exec_lo, exec_lo, s25
	scratch_load_b64 v[100:101], off, off offset:144
	v_cmp_lt_u32_e64 s0, 18, v0
	s_wait_loadcnt 0x0
	ds_store_b64 v1, v[100:101]
	s_wait_storecnt_dscnt 0x0
	s_barrier_signal -1
	s_barrier_wait -1
	s_wait_xcnt 0x0
	s_and_saveexec_b32 s24, s0
	s_cbranch_execz .LBB111_295
; %bb.286:
	s_and_not1_b32 vcc_lo, exec_lo, s3
	s_cbranch_vccnz .LBB111_288
; %bb.287:
	scratch_load_b64 v[100:101], v59, off
	ds_load_b64 v[102:103], v1
	s_wait_loadcnt_dscnt 0x0
	v_pk_mul_f32 v[104:105], v[102:103], v[100:101] op_sel:[1,1] op_sel_hi:[0,1]
	s_delay_alu instid0(VALU_DEP_1) | instskip(SKIP_1) | instid1(VALU_DEP_2)
	v_pk_fma_f32 v[106:107], v[102:103], v[100:101], v[104:105] op_sel_hi:[1,0,1]
	v_pk_fma_f32 v[100:101], v[102:103], v[100:101], v[104:105] neg_lo:[0,0,1] neg_hi:[0,0,1]
	v_mov_b32_e32 v101, v107
	s_cbranch_execz .LBB111_289
	s_branch .LBB111_290
.LBB111_288:
                                        ; implicit-def: $vgpr100_vgpr101
.LBB111_289:
	ds_load_b64 v[100:101], v1
.LBB111_290:
	s_and_saveexec_b32 s25, s1
	s_cbranch_execz .LBB111_294
; %bb.291:
	v_subrev_nc_u32_e32 v102, 19, v0
	s_movk_i32 s26, 0x218
	s_mov_b32 s1, 0
.LBB111_292:                            ; =>This Inner Loop Header: Depth=1
	scratch_load_b64 v[104:105], off, s23
	v_dual_mov_b32 v103, s26 :: v_dual_add_nc_u32 v102, -1, v102
	s_add_co_i32 s26, s26, 8
	s_wait_xcnt 0x0
	s_add_co_i32 s23, s23, 8
	ds_load_b64 v[106:107], v103
	v_cmp_eq_u32_e32 vcc_lo, 0, v102
	s_or_b32 s1, vcc_lo, s1
	s_wait_loadcnt_dscnt 0x0
	v_pk_mul_f32 v[108:109], v[106:107], v[104:105] op_sel:[1,1] op_sel_hi:[0,1]
	s_delay_alu instid0(VALU_DEP_1) | instskip(SKIP_1) | instid1(VALU_DEP_2)
	v_pk_fma_f32 v[110:111], v[106:107], v[104:105], v[108:109] op_sel_hi:[1,0,1]
	v_pk_fma_f32 v[104:105], v[106:107], v[104:105], v[108:109] neg_lo:[0,0,1] neg_hi:[0,0,1]
	v_mov_b32_e32 v105, v111
	s_delay_alu instid0(VALU_DEP_1)
	v_pk_add_f32 v[100:101], v[100:101], v[104:105]
	s_and_not1_b32 exec_lo, exec_lo, s1
	s_cbranch_execnz .LBB111_292
; %bb.293:
	s_or_b32 exec_lo, exec_lo, s1
.LBB111_294:
	s_delay_alu instid0(SALU_CYCLE_1) | instskip(SKIP_4) | instid1(VALU_DEP_1)
	s_or_b32 exec_lo, exec_lo, s25
	v_mov_b32_e32 v102, 0
	ds_load_b64 v[102:103], v102 offset:144
	s_wait_dscnt 0x0
	v_pk_mul_f32 v[104:105], v[100:101], v[102:103] op_sel:[1,1] op_sel_hi:[0,1]
	v_pk_fma_f32 v[106:107], v[100:101], v[102:103], v[104:105] op_sel_hi:[1,0,1]
	v_pk_fma_f32 v[100:101], v[100:101], v[102:103], v[104:105] neg_lo:[0,0,1] neg_hi:[0,0,1]
	s_delay_alu instid0(VALU_DEP_2)
	v_mov_b32_e32 v101, v107
	scratch_store_b64 off, v[100:101], off offset:144
.LBB111_295:
	s_wait_xcnt 0x0
	s_or_b32 exec_lo, exec_lo, s24
	scratch_load_b64 v[100:101], off, off offset:136
	v_cmp_lt_u32_e64 s1, 17, v0
	s_wait_loadcnt 0x0
	ds_store_b64 v1, v[100:101]
	s_wait_storecnt_dscnt 0x0
	s_barrier_signal -1
	s_barrier_wait -1
	s_wait_xcnt 0x0
	s_and_saveexec_b32 s23, s1
	s_cbranch_execz .LBB111_305
; %bb.296:
	s_and_not1_b32 vcc_lo, exec_lo, s3
	s_cbranch_vccnz .LBB111_298
; %bb.297:
	scratch_load_b64 v[100:101], v59, off
	ds_load_b64 v[102:103], v1
	s_wait_loadcnt_dscnt 0x0
	v_pk_mul_f32 v[104:105], v[102:103], v[100:101] op_sel:[1,1] op_sel_hi:[0,1]
	s_delay_alu instid0(VALU_DEP_1) | instskip(SKIP_1) | instid1(VALU_DEP_2)
	v_pk_fma_f32 v[106:107], v[102:103], v[100:101], v[104:105] op_sel_hi:[1,0,1]
	v_pk_fma_f32 v[100:101], v[102:103], v[100:101], v[104:105] neg_lo:[0,0,1] neg_hi:[0,0,1]
	v_mov_b32_e32 v101, v107
	s_cbranch_execz .LBB111_299
	s_branch .LBB111_300
.LBB111_298:
                                        ; implicit-def: $vgpr100_vgpr101
.LBB111_299:
	ds_load_b64 v[100:101], v1
.LBB111_300:
	s_and_saveexec_b32 s24, s0
	s_cbranch_execz .LBB111_304
; %bb.301:
	v_subrev_nc_u32_e32 v102, 18, v0
	s_movk_i32 s25, 0x210
	s_mov_b32 s0, 0
.LBB111_302:                            ; =>This Inner Loop Header: Depth=1
	scratch_load_b64 v[104:105], off, s22
	v_dual_mov_b32 v103, s25 :: v_dual_add_nc_u32 v102, -1, v102
	s_add_co_i32 s25, s25, 8
	s_wait_xcnt 0x0
	s_add_co_i32 s22, s22, 8
	ds_load_b64 v[106:107], v103
	v_cmp_eq_u32_e32 vcc_lo, 0, v102
	s_or_b32 s0, vcc_lo, s0
	s_wait_loadcnt_dscnt 0x0
	v_pk_mul_f32 v[108:109], v[106:107], v[104:105] op_sel:[1,1] op_sel_hi:[0,1]
	s_delay_alu instid0(VALU_DEP_1) | instskip(SKIP_1) | instid1(VALU_DEP_2)
	v_pk_fma_f32 v[110:111], v[106:107], v[104:105], v[108:109] op_sel_hi:[1,0,1]
	v_pk_fma_f32 v[104:105], v[106:107], v[104:105], v[108:109] neg_lo:[0,0,1] neg_hi:[0,0,1]
	v_mov_b32_e32 v105, v111
	s_delay_alu instid0(VALU_DEP_1)
	v_pk_add_f32 v[100:101], v[100:101], v[104:105]
	s_and_not1_b32 exec_lo, exec_lo, s0
	s_cbranch_execnz .LBB111_302
; %bb.303:
	s_or_b32 exec_lo, exec_lo, s0
.LBB111_304:
	s_delay_alu instid0(SALU_CYCLE_1) | instskip(SKIP_4) | instid1(VALU_DEP_1)
	s_or_b32 exec_lo, exec_lo, s24
	v_mov_b32_e32 v102, 0
	ds_load_b64 v[102:103], v102 offset:136
	s_wait_dscnt 0x0
	v_pk_mul_f32 v[104:105], v[100:101], v[102:103] op_sel:[1,1] op_sel_hi:[0,1]
	v_pk_fma_f32 v[106:107], v[100:101], v[102:103], v[104:105] op_sel_hi:[1,0,1]
	v_pk_fma_f32 v[100:101], v[100:101], v[102:103], v[104:105] neg_lo:[0,0,1] neg_hi:[0,0,1]
	s_delay_alu instid0(VALU_DEP_2)
	v_mov_b32_e32 v101, v107
	scratch_store_b64 off, v[100:101], off offset:136
.LBB111_305:
	s_wait_xcnt 0x0
	s_or_b32 exec_lo, exec_lo, s23
	scratch_load_b64 v[100:101], off, off offset:128
	v_cmp_lt_u32_e64 s0, 16, v0
	s_wait_loadcnt 0x0
	ds_store_b64 v1, v[100:101]
	s_wait_storecnt_dscnt 0x0
	s_barrier_signal -1
	s_barrier_wait -1
	s_wait_xcnt 0x0
	s_and_saveexec_b32 s22, s0
	s_cbranch_execz .LBB111_315
; %bb.306:
	s_and_not1_b32 vcc_lo, exec_lo, s3
	s_cbranch_vccnz .LBB111_308
; %bb.307:
	scratch_load_b64 v[100:101], v59, off
	ds_load_b64 v[102:103], v1
	s_wait_loadcnt_dscnt 0x0
	v_pk_mul_f32 v[104:105], v[102:103], v[100:101] op_sel:[1,1] op_sel_hi:[0,1]
	s_delay_alu instid0(VALU_DEP_1) | instskip(SKIP_1) | instid1(VALU_DEP_2)
	v_pk_fma_f32 v[106:107], v[102:103], v[100:101], v[104:105] op_sel_hi:[1,0,1]
	v_pk_fma_f32 v[100:101], v[102:103], v[100:101], v[104:105] neg_lo:[0,0,1] neg_hi:[0,0,1]
	v_mov_b32_e32 v101, v107
	s_cbranch_execz .LBB111_309
	s_branch .LBB111_310
.LBB111_308:
                                        ; implicit-def: $vgpr100_vgpr101
.LBB111_309:
	ds_load_b64 v[100:101], v1
.LBB111_310:
	s_and_saveexec_b32 s23, s1
	s_cbranch_execz .LBB111_314
; %bb.311:
	v_subrev_nc_u32_e32 v102, 17, v0
	s_movk_i32 s24, 0x208
	s_mov_b32 s1, 0
.LBB111_312:                            ; =>This Inner Loop Header: Depth=1
	scratch_load_b64 v[104:105], off, s21
	v_dual_mov_b32 v103, s24 :: v_dual_add_nc_u32 v102, -1, v102
	s_add_co_i32 s24, s24, 8
	s_wait_xcnt 0x0
	s_add_co_i32 s21, s21, 8
	ds_load_b64 v[106:107], v103
	v_cmp_eq_u32_e32 vcc_lo, 0, v102
	s_or_b32 s1, vcc_lo, s1
	s_wait_loadcnt_dscnt 0x0
	v_pk_mul_f32 v[108:109], v[106:107], v[104:105] op_sel:[1,1] op_sel_hi:[0,1]
	s_delay_alu instid0(VALU_DEP_1) | instskip(SKIP_1) | instid1(VALU_DEP_2)
	v_pk_fma_f32 v[110:111], v[106:107], v[104:105], v[108:109] op_sel_hi:[1,0,1]
	v_pk_fma_f32 v[104:105], v[106:107], v[104:105], v[108:109] neg_lo:[0,0,1] neg_hi:[0,0,1]
	v_mov_b32_e32 v105, v111
	s_delay_alu instid0(VALU_DEP_1)
	v_pk_add_f32 v[100:101], v[100:101], v[104:105]
	s_and_not1_b32 exec_lo, exec_lo, s1
	s_cbranch_execnz .LBB111_312
; %bb.313:
	s_or_b32 exec_lo, exec_lo, s1
.LBB111_314:
	s_delay_alu instid0(SALU_CYCLE_1) | instskip(SKIP_4) | instid1(VALU_DEP_1)
	s_or_b32 exec_lo, exec_lo, s23
	v_mov_b32_e32 v102, 0
	ds_load_b64 v[102:103], v102 offset:128
	s_wait_dscnt 0x0
	v_pk_mul_f32 v[104:105], v[100:101], v[102:103] op_sel:[1,1] op_sel_hi:[0,1]
	v_pk_fma_f32 v[106:107], v[100:101], v[102:103], v[104:105] op_sel_hi:[1,0,1]
	v_pk_fma_f32 v[100:101], v[100:101], v[102:103], v[104:105] neg_lo:[0,0,1] neg_hi:[0,0,1]
	s_delay_alu instid0(VALU_DEP_2)
	v_mov_b32_e32 v101, v107
	scratch_store_b64 off, v[100:101], off offset:128
.LBB111_315:
	s_wait_xcnt 0x0
	s_or_b32 exec_lo, exec_lo, s22
	scratch_load_b64 v[100:101], off, off offset:120
	v_cmp_lt_u32_e64 s1, 15, v0
	s_wait_loadcnt 0x0
	ds_store_b64 v1, v[100:101]
	s_wait_storecnt_dscnt 0x0
	s_barrier_signal -1
	s_barrier_wait -1
	s_wait_xcnt 0x0
	s_and_saveexec_b32 s21, s1
	s_cbranch_execz .LBB111_325
; %bb.316:
	s_and_not1_b32 vcc_lo, exec_lo, s3
	s_cbranch_vccnz .LBB111_318
; %bb.317:
	scratch_load_b64 v[100:101], v59, off
	ds_load_b64 v[102:103], v1
	s_wait_loadcnt_dscnt 0x0
	v_pk_mul_f32 v[104:105], v[102:103], v[100:101] op_sel:[1,1] op_sel_hi:[0,1]
	s_delay_alu instid0(VALU_DEP_1) | instskip(SKIP_1) | instid1(VALU_DEP_2)
	v_pk_fma_f32 v[106:107], v[102:103], v[100:101], v[104:105] op_sel_hi:[1,0,1]
	v_pk_fma_f32 v[100:101], v[102:103], v[100:101], v[104:105] neg_lo:[0,0,1] neg_hi:[0,0,1]
	v_mov_b32_e32 v101, v107
	s_cbranch_execz .LBB111_319
	s_branch .LBB111_320
.LBB111_318:
                                        ; implicit-def: $vgpr100_vgpr101
.LBB111_319:
	ds_load_b64 v[100:101], v1
.LBB111_320:
	s_and_saveexec_b32 s22, s0
	s_cbranch_execz .LBB111_324
; %bb.321:
	v_add_nc_u32_e32 v102, -16, v0
	s_movk_i32 s23, 0x200
	s_mov_b32 s0, 0
.LBB111_322:                            ; =>This Inner Loop Header: Depth=1
	scratch_load_b64 v[104:105], off, s20
	v_dual_mov_b32 v103, s23 :: v_dual_add_nc_u32 v102, -1, v102
	s_add_co_i32 s23, s23, 8
	s_wait_xcnt 0x0
	s_add_co_i32 s20, s20, 8
	ds_load_b64 v[106:107], v103
	v_cmp_eq_u32_e32 vcc_lo, 0, v102
	s_or_b32 s0, vcc_lo, s0
	s_wait_loadcnt_dscnt 0x0
	v_pk_mul_f32 v[108:109], v[106:107], v[104:105] op_sel:[1,1] op_sel_hi:[0,1]
	s_delay_alu instid0(VALU_DEP_1) | instskip(SKIP_1) | instid1(VALU_DEP_2)
	v_pk_fma_f32 v[110:111], v[106:107], v[104:105], v[108:109] op_sel_hi:[1,0,1]
	v_pk_fma_f32 v[104:105], v[106:107], v[104:105], v[108:109] neg_lo:[0,0,1] neg_hi:[0,0,1]
	v_mov_b32_e32 v105, v111
	s_delay_alu instid0(VALU_DEP_1)
	v_pk_add_f32 v[100:101], v[100:101], v[104:105]
	s_and_not1_b32 exec_lo, exec_lo, s0
	s_cbranch_execnz .LBB111_322
; %bb.323:
	s_or_b32 exec_lo, exec_lo, s0
.LBB111_324:
	s_delay_alu instid0(SALU_CYCLE_1) | instskip(SKIP_4) | instid1(VALU_DEP_1)
	s_or_b32 exec_lo, exec_lo, s22
	v_mov_b32_e32 v102, 0
	ds_load_b64 v[102:103], v102 offset:120
	s_wait_dscnt 0x0
	v_pk_mul_f32 v[104:105], v[100:101], v[102:103] op_sel:[1,1] op_sel_hi:[0,1]
	v_pk_fma_f32 v[106:107], v[100:101], v[102:103], v[104:105] op_sel_hi:[1,0,1]
	v_pk_fma_f32 v[100:101], v[100:101], v[102:103], v[104:105] neg_lo:[0,0,1] neg_hi:[0,0,1]
	s_delay_alu instid0(VALU_DEP_2)
	v_mov_b32_e32 v101, v107
	scratch_store_b64 off, v[100:101], off offset:120
.LBB111_325:
	s_wait_xcnt 0x0
	s_or_b32 exec_lo, exec_lo, s21
	scratch_load_b64 v[100:101], off, off offset:112
	v_cmp_lt_u32_e64 s0, 14, v0
	s_wait_loadcnt 0x0
	ds_store_b64 v1, v[100:101]
	s_wait_storecnt_dscnt 0x0
	s_barrier_signal -1
	s_barrier_wait -1
	s_wait_xcnt 0x0
	s_and_saveexec_b32 s20, s0
	s_cbranch_execz .LBB111_335
; %bb.326:
	s_and_not1_b32 vcc_lo, exec_lo, s3
	s_cbranch_vccnz .LBB111_328
; %bb.327:
	scratch_load_b64 v[100:101], v59, off
	ds_load_b64 v[102:103], v1
	s_wait_loadcnt_dscnt 0x0
	v_pk_mul_f32 v[104:105], v[102:103], v[100:101] op_sel:[1,1] op_sel_hi:[0,1]
	s_delay_alu instid0(VALU_DEP_1) | instskip(SKIP_1) | instid1(VALU_DEP_2)
	v_pk_fma_f32 v[106:107], v[102:103], v[100:101], v[104:105] op_sel_hi:[1,0,1]
	v_pk_fma_f32 v[100:101], v[102:103], v[100:101], v[104:105] neg_lo:[0,0,1] neg_hi:[0,0,1]
	v_mov_b32_e32 v101, v107
	s_cbranch_execz .LBB111_329
	s_branch .LBB111_330
.LBB111_328:
                                        ; implicit-def: $vgpr100_vgpr101
.LBB111_329:
	ds_load_b64 v[100:101], v1
.LBB111_330:
	s_and_saveexec_b32 s21, s1
	s_cbranch_execz .LBB111_334
; %bb.331:
	v_add_nc_u32_e32 v102, -15, v0
	s_movk_i32 s22, 0x1f8
	s_mov_b32 s1, 0
.LBB111_332:                            ; =>This Inner Loop Header: Depth=1
	scratch_load_b64 v[104:105], off, s19
	v_dual_mov_b32 v103, s22 :: v_dual_add_nc_u32 v102, -1, v102
	s_add_co_i32 s22, s22, 8
	s_wait_xcnt 0x0
	s_add_co_i32 s19, s19, 8
	ds_load_b64 v[106:107], v103
	v_cmp_eq_u32_e32 vcc_lo, 0, v102
	s_or_b32 s1, vcc_lo, s1
	s_wait_loadcnt_dscnt 0x0
	v_pk_mul_f32 v[108:109], v[106:107], v[104:105] op_sel:[1,1] op_sel_hi:[0,1]
	s_delay_alu instid0(VALU_DEP_1) | instskip(SKIP_1) | instid1(VALU_DEP_2)
	v_pk_fma_f32 v[110:111], v[106:107], v[104:105], v[108:109] op_sel_hi:[1,0,1]
	v_pk_fma_f32 v[104:105], v[106:107], v[104:105], v[108:109] neg_lo:[0,0,1] neg_hi:[0,0,1]
	v_mov_b32_e32 v105, v111
	s_delay_alu instid0(VALU_DEP_1)
	v_pk_add_f32 v[100:101], v[100:101], v[104:105]
	s_and_not1_b32 exec_lo, exec_lo, s1
	s_cbranch_execnz .LBB111_332
; %bb.333:
	s_or_b32 exec_lo, exec_lo, s1
.LBB111_334:
	s_delay_alu instid0(SALU_CYCLE_1) | instskip(SKIP_4) | instid1(VALU_DEP_1)
	s_or_b32 exec_lo, exec_lo, s21
	v_mov_b32_e32 v102, 0
	ds_load_b64 v[102:103], v102 offset:112
	s_wait_dscnt 0x0
	v_pk_mul_f32 v[104:105], v[100:101], v[102:103] op_sel:[1,1] op_sel_hi:[0,1]
	v_pk_fma_f32 v[106:107], v[100:101], v[102:103], v[104:105] op_sel_hi:[1,0,1]
	v_pk_fma_f32 v[100:101], v[100:101], v[102:103], v[104:105] neg_lo:[0,0,1] neg_hi:[0,0,1]
	s_delay_alu instid0(VALU_DEP_2)
	v_mov_b32_e32 v101, v107
	scratch_store_b64 off, v[100:101], off offset:112
.LBB111_335:
	s_wait_xcnt 0x0
	s_or_b32 exec_lo, exec_lo, s20
	scratch_load_b64 v[100:101], off, off offset:104
	v_cmp_lt_u32_e64 s1, 13, v0
	s_wait_loadcnt 0x0
	ds_store_b64 v1, v[100:101]
	s_wait_storecnt_dscnt 0x0
	s_barrier_signal -1
	s_barrier_wait -1
	s_wait_xcnt 0x0
	s_and_saveexec_b32 s19, s1
	s_cbranch_execz .LBB111_345
; %bb.336:
	s_and_not1_b32 vcc_lo, exec_lo, s3
	s_cbranch_vccnz .LBB111_338
; %bb.337:
	scratch_load_b64 v[100:101], v59, off
	ds_load_b64 v[102:103], v1
	s_wait_loadcnt_dscnt 0x0
	v_pk_mul_f32 v[104:105], v[102:103], v[100:101] op_sel:[1,1] op_sel_hi:[0,1]
	s_delay_alu instid0(VALU_DEP_1) | instskip(SKIP_1) | instid1(VALU_DEP_2)
	v_pk_fma_f32 v[106:107], v[102:103], v[100:101], v[104:105] op_sel_hi:[1,0,1]
	v_pk_fma_f32 v[100:101], v[102:103], v[100:101], v[104:105] neg_lo:[0,0,1] neg_hi:[0,0,1]
	v_mov_b32_e32 v101, v107
	s_cbranch_execz .LBB111_339
	s_branch .LBB111_340
.LBB111_338:
                                        ; implicit-def: $vgpr100_vgpr101
.LBB111_339:
	ds_load_b64 v[100:101], v1
.LBB111_340:
	s_and_saveexec_b32 s20, s0
	s_cbranch_execz .LBB111_344
; %bb.341:
	v_add_nc_u32_e32 v102, -14, v0
	s_movk_i32 s21, 0x1f0
	s_mov_b32 s0, 0
.LBB111_342:                            ; =>This Inner Loop Header: Depth=1
	scratch_load_b64 v[104:105], off, s18
	v_dual_mov_b32 v103, s21 :: v_dual_add_nc_u32 v102, -1, v102
	s_add_co_i32 s21, s21, 8
	s_wait_xcnt 0x0
	s_add_co_i32 s18, s18, 8
	ds_load_b64 v[106:107], v103
	v_cmp_eq_u32_e32 vcc_lo, 0, v102
	s_or_b32 s0, vcc_lo, s0
	s_wait_loadcnt_dscnt 0x0
	v_pk_mul_f32 v[108:109], v[106:107], v[104:105] op_sel:[1,1] op_sel_hi:[0,1]
	s_delay_alu instid0(VALU_DEP_1) | instskip(SKIP_1) | instid1(VALU_DEP_2)
	v_pk_fma_f32 v[110:111], v[106:107], v[104:105], v[108:109] op_sel_hi:[1,0,1]
	v_pk_fma_f32 v[104:105], v[106:107], v[104:105], v[108:109] neg_lo:[0,0,1] neg_hi:[0,0,1]
	v_mov_b32_e32 v105, v111
	s_delay_alu instid0(VALU_DEP_1)
	v_pk_add_f32 v[100:101], v[100:101], v[104:105]
	s_and_not1_b32 exec_lo, exec_lo, s0
	s_cbranch_execnz .LBB111_342
; %bb.343:
	s_or_b32 exec_lo, exec_lo, s0
.LBB111_344:
	s_delay_alu instid0(SALU_CYCLE_1) | instskip(SKIP_4) | instid1(VALU_DEP_1)
	s_or_b32 exec_lo, exec_lo, s20
	v_mov_b32_e32 v102, 0
	ds_load_b64 v[102:103], v102 offset:104
	s_wait_dscnt 0x0
	v_pk_mul_f32 v[104:105], v[100:101], v[102:103] op_sel:[1,1] op_sel_hi:[0,1]
	v_pk_fma_f32 v[106:107], v[100:101], v[102:103], v[104:105] op_sel_hi:[1,0,1]
	v_pk_fma_f32 v[100:101], v[100:101], v[102:103], v[104:105] neg_lo:[0,0,1] neg_hi:[0,0,1]
	s_delay_alu instid0(VALU_DEP_2)
	v_mov_b32_e32 v101, v107
	scratch_store_b64 off, v[100:101], off offset:104
.LBB111_345:
	s_wait_xcnt 0x0
	s_or_b32 exec_lo, exec_lo, s19
	scratch_load_b64 v[100:101], off, off offset:96
	v_cmp_lt_u32_e64 s0, 12, v0
	s_wait_loadcnt 0x0
	ds_store_b64 v1, v[100:101]
	s_wait_storecnt_dscnt 0x0
	s_barrier_signal -1
	s_barrier_wait -1
	s_wait_xcnt 0x0
	s_and_saveexec_b32 s18, s0
	s_cbranch_execz .LBB111_355
; %bb.346:
	s_and_not1_b32 vcc_lo, exec_lo, s3
	s_cbranch_vccnz .LBB111_348
; %bb.347:
	scratch_load_b64 v[100:101], v59, off
	ds_load_b64 v[102:103], v1
	s_wait_loadcnt_dscnt 0x0
	v_pk_mul_f32 v[104:105], v[102:103], v[100:101] op_sel:[1,1] op_sel_hi:[0,1]
	s_delay_alu instid0(VALU_DEP_1) | instskip(SKIP_1) | instid1(VALU_DEP_2)
	v_pk_fma_f32 v[106:107], v[102:103], v[100:101], v[104:105] op_sel_hi:[1,0,1]
	v_pk_fma_f32 v[100:101], v[102:103], v[100:101], v[104:105] neg_lo:[0,0,1] neg_hi:[0,0,1]
	v_mov_b32_e32 v101, v107
	s_cbranch_execz .LBB111_349
	s_branch .LBB111_350
.LBB111_348:
                                        ; implicit-def: $vgpr100_vgpr101
.LBB111_349:
	ds_load_b64 v[100:101], v1
.LBB111_350:
	s_and_saveexec_b32 s19, s1
	s_cbranch_execz .LBB111_354
; %bb.351:
	v_add_nc_u32_e32 v102, -13, v0
	s_movk_i32 s20, 0x1e8
	s_mov_b32 s1, 0
.LBB111_352:                            ; =>This Inner Loop Header: Depth=1
	scratch_load_b64 v[104:105], off, s17
	v_dual_mov_b32 v103, s20 :: v_dual_add_nc_u32 v102, -1, v102
	s_add_co_i32 s20, s20, 8
	s_wait_xcnt 0x0
	s_add_co_i32 s17, s17, 8
	ds_load_b64 v[106:107], v103
	v_cmp_eq_u32_e32 vcc_lo, 0, v102
	s_or_b32 s1, vcc_lo, s1
	s_wait_loadcnt_dscnt 0x0
	v_pk_mul_f32 v[108:109], v[106:107], v[104:105] op_sel:[1,1] op_sel_hi:[0,1]
	s_delay_alu instid0(VALU_DEP_1) | instskip(SKIP_1) | instid1(VALU_DEP_2)
	v_pk_fma_f32 v[110:111], v[106:107], v[104:105], v[108:109] op_sel_hi:[1,0,1]
	v_pk_fma_f32 v[104:105], v[106:107], v[104:105], v[108:109] neg_lo:[0,0,1] neg_hi:[0,0,1]
	v_mov_b32_e32 v105, v111
	s_delay_alu instid0(VALU_DEP_1)
	v_pk_add_f32 v[100:101], v[100:101], v[104:105]
	s_and_not1_b32 exec_lo, exec_lo, s1
	s_cbranch_execnz .LBB111_352
; %bb.353:
	s_or_b32 exec_lo, exec_lo, s1
.LBB111_354:
	s_delay_alu instid0(SALU_CYCLE_1) | instskip(SKIP_4) | instid1(VALU_DEP_1)
	s_or_b32 exec_lo, exec_lo, s19
	v_mov_b32_e32 v102, 0
	ds_load_b64 v[102:103], v102 offset:96
	s_wait_dscnt 0x0
	v_pk_mul_f32 v[104:105], v[100:101], v[102:103] op_sel:[1,1] op_sel_hi:[0,1]
	v_pk_fma_f32 v[106:107], v[100:101], v[102:103], v[104:105] op_sel_hi:[1,0,1]
	v_pk_fma_f32 v[100:101], v[100:101], v[102:103], v[104:105] neg_lo:[0,0,1] neg_hi:[0,0,1]
	s_delay_alu instid0(VALU_DEP_2)
	v_mov_b32_e32 v101, v107
	scratch_store_b64 off, v[100:101], off offset:96
.LBB111_355:
	s_wait_xcnt 0x0
	s_or_b32 exec_lo, exec_lo, s18
	scratch_load_b64 v[100:101], off, off offset:88
	v_cmp_lt_u32_e64 s1, 11, v0
	s_wait_loadcnt 0x0
	ds_store_b64 v1, v[100:101]
	s_wait_storecnt_dscnt 0x0
	s_barrier_signal -1
	s_barrier_wait -1
	s_wait_xcnt 0x0
	s_and_saveexec_b32 s17, s1
	s_cbranch_execz .LBB111_365
; %bb.356:
	s_and_not1_b32 vcc_lo, exec_lo, s3
	s_cbranch_vccnz .LBB111_358
; %bb.357:
	scratch_load_b64 v[100:101], v59, off
	ds_load_b64 v[102:103], v1
	s_wait_loadcnt_dscnt 0x0
	v_pk_mul_f32 v[104:105], v[102:103], v[100:101] op_sel:[1,1] op_sel_hi:[0,1]
	s_delay_alu instid0(VALU_DEP_1) | instskip(SKIP_1) | instid1(VALU_DEP_2)
	v_pk_fma_f32 v[106:107], v[102:103], v[100:101], v[104:105] op_sel_hi:[1,0,1]
	v_pk_fma_f32 v[100:101], v[102:103], v[100:101], v[104:105] neg_lo:[0,0,1] neg_hi:[0,0,1]
	v_mov_b32_e32 v101, v107
	s_cbranch_execz .LBB111_359
	s_branch .LBB111_360
.LBB111_358:
                                        ; implicit-def: $vgpr100_vgpr101
.LBB111_359:
	ds_load_b64 v[100:101], v1
.LBB111_360:
	s_and_saveexec_b32 s18, s0
	s_cbranch_execz .LBB111_364
; %bb.361:
	v_add_nc_u32_e32 v102, -12, v0
	s_movk_i32 s19, 0x1e0
	s_mov_b32 s0, 0
.LBB111_362:                            ; =>This Inner Loop Header: Depth=1
	scratch_load_b64 v[104:105], off, s16
	v_dual_mov_b32 v103, s19 :: v_dual_add_nc_u32 v102, -1, v102
	s_add_co_i32 s19, s19, 8
	s_wait_xcnt 0x0
	s_add_co_i32 s16, s16, 8
	ds_load_b64 v[106:107], v103
	v_cmp_eq_u32_e32 vcc_lo, 0, v102
	s_or_b32 s0, vcc_lo, s0
	s_wait_loadcnt_dscnt 0x0
	v_pk_mul_f32 v[108:109], v[106:107], v[104:105] op_sel:[1,1] op_sel_hi:[0,1]
	s_delay_alu instid0(VALU_DEP_1) | instskip(SKIP_1) | instid1(VALU_DEP_2)
	v_pk_fma_f32 v[110:111], v[106:107], v[104:105], v[108:109] op_sel_hi:[1,0,1]
	v_pk_fma_f32 v[104:105], v[106:107], v[104:105], v[108:109] neg_lo:[0,0,1] neg_hi:[0,0,1]
	v_mov_b32_e32 v105, v111
	s_delay_alu instid0(VALU_DEP_1)
	v_pk_add_f32 v[100:101], v[100:101], v[104:105]
	s_and_not1_b32 exec_lo, exec_lo, s0
	s_cbranch_execnz .LBB111_362
; %bb.363:
	s_or_b32 exec_lo, exec_lo, s0
.LBB111_364:
	s_delay_alu instid0(SALU_CYCLE_1) | instskip(SKIP_4) | instid1(VALU_DEP_1)
	s_or_b32 exec_lo, exec_lo, s18
	v_mov_b32_e32 v102, 0
	ds_load_b64 v[102:103], v102 offset:88
	s_wait_dscnt 0x0
	v_pk_mul_f32 v[104:105], v[100:101], v[102:103] op_sel:[1,1] op_sel_hi:[0,1]
	v_pk_fma_f32 v[106:107], v[100:101], v[102:103], v[104:105] op_sel_hi:[1,0,1]
	v_pk_fma_f32 v[100:101], v[100:101], v[102:103], v[104:105] neg_lo:[0,0,1] neg_hi:[0,0,1]
	s_delay_alu instid0(VALU_DEP_2)
	v_mov_b32_e32 v101, v107
	scratch_store_b64 off, v[100:101], off offset:88
.LBB111_365:
	s_wait_xcnt 0x0
	s_or_b32 exec_lo, exec_lo, s17
	scratch_load_b64 v[100:101], off, off offset:80
	v_cmp_lt_u32_e64 s0, 10, v0
	s_wait_loadcnt 0x0
	ds_store_b64 v1, v[100:101]
	s_wait_storecnt_dscnt 0x0
	s_barrier_signal -1
	s_barrier_wait -1
	s_wait_xcnt 0x0
	s_and_saveexec_b32 s16, s0
	s_cbranch_execz .LBB111_375
; %bb.366:
	s_and_not1_b32 vcc_lo, exec_lo, s3
	s_cbranch_vccnz .LBB111_368
; %bb.367:
	scratch_load_b64 v[100:101], v59, off
	ds_load_b64 v[102:103], v1
	s_wait_loadcnt_dscnt 0x0
	v_pk_mul_f32 v[104:105], v[102:103], v[100:101] op_sel:[1,1] op_sel_hi:[0,1]
	s_delay_alu instid0(VALU_DEP_1) | instskip(SKIP_1) | instid1(VALU_DEP_2)
	v_pk_fma_f32 v[106:107], v[102:103], v[100:101], v[104:105] op_sel_hi:[1,0,1]
	v_pk_fma_f32 v[100:101], v[102:103], v[100:101], v[104:105] neg_lo:[0,0,1] neg_hi:[0,0,1]
	v_mov_b32_e32 v101, v107
	s_cbranch_execz .LBB111_369
	s_branch .LBB111_370
.LBB111_368:
                                        ; implicit-def: $vgpr100_vgpr101
.LBB111_369:
	ds_load_b64 v[100:101], v1
.LBB111_370:
	s_and_saveexec_b32 s17, s1
	s_cbranch_execz .LBB111_374
; %bb.371:
	v_add_nc_u32_e32 v102, -11, v0
	s_movk_i32 s18, 0x1d8
	s_mov_b32 s1, 0
.LBB111_372:                            ; =>This Inner Loop Header: Depth=1
	scratch_load_b64 v[104:105], off, s15
	v_dual_mov_b32 v103, s18 :: v_dual_add_nc_u32 v102, -1, v102
	s_add_co_i32 s18, s18, 8
	s_wait_xcnt 0x0
	s_add_co_i32 s15, s15, 8
	ds_load_b64 v[106:107], v103
	v_cmp_eq_u32_e32 vcc_lo, 0, v102
	s_or_b32 s1, vcc_lo, s1
	s_wait_loadcnt_dscnt 0x0
	v_pk_mul_f32 v[108:109], v[106:107], v[104:105] op_sel:[1,1] op_sel_hi:[0,1]
	s_delay_alu instid0(VALU_DEP_1) | instskip(SKIP_1) | instid1(VALU_DEP_2)
	v_pk_fma_f32 v[110:111], v[106:107], v[104:105], v[108:109] op_sel_hi:[1,0,1]
	v_pk_fma_f32 v[104:105], v[106:107], v[104:105], v[108:109] neg_lo:[0,0,1] neg_hi:[0,0,1]
	v_mov_b32_e32 v105, v111
	s_delay_alu instid0(VALU_DEP_1)
	v_pk_add_f32 v[100:101], v[100:101], v[104:105]
	s_and_not1_b32 exec_lo, exec_lo, s1
	s_cbranch_execnz .LBB111_372
; %bb.373:
	s_or_b32 exec_lo, exec_lo, s1
.LBB111_374:
	s_delay_alu instid0(SALU_CYCLE_1) | instskip(SKIP_4) | instid1(VALU_DEP_1)
	s_or_b32 exec_lo, exec_lo, s17
	v_mov_b32_e32 v102, 0
	ds_load_b64 v[102:103], v102 offset:80
	s_wait_dscnt 0x0
	v_pk_mul_f32 v[104:105], v[100:101], v[102:103] op_sel:[1,1] op_sel_hi:[0,1]
	v_pk_fma_f32 v[106:107], v[100:101], v[102:103], v[104:105] op_sel_hi:[1,0,1]
	v_pk_fma_f32 v[100:101], v[100:101], v[102:103], v[104:105] neg_lo:[0,0,1] neg_hi:[0,0,1]
	s_delay_alu instid0(VALU_DEP_2)
	v_mov_b32_e32 v101, v107
	scratch_store_b64 off, v[100:101], off offset:80
.LBB111_375:
	s_wait_xcnt 0x0
	s_or_b32 exec_lo, exec_lo, s16
	scratch_load_b64 v[100:101], off, off offset:72
	v_cmp_lt_u32_e64 s1, 9, v0
	s_wait_loadcnt 0x0
	ds_store_b64 v1, v[100:101]
	s_wait_storecnt_dscnt 0x0
	s_barrier_signal -1
	s_barrier_wait -1
	s_wait_xcnt 0x0
	s_and_saveexec_b32 s15, s1
	s_cbranch_execz .LBB111_385
; %bb.376:
	s_and_not1_b32 vcc_lo, exec_lo, s3
	s_cbranch_vccnz .LBB111_378
; %bb.377:
	scratch_load_b64 v[100:101], v59, off
	ds_load_b64 v[102:103], v1
	s_wait_loadcnt_dscnt 0x0
	v_pk_mul_f32 v[104:105], v[102:103], v[100:101] op_sel:[1,1] op_sel_hi:[0,1]
	s_delay_alu instid0(VALU_DEP_1) | instskip(SKIP_1) | instid1(VALU_DEP_2)
	v_pk_fma_f32 v[106:107], v[102:103], v[100:101], v[104:105] op_sel_hi:[1,0,1]
	v_pk_fma_f32 v[100:101], v[102:103], v[100:101], v[104:105] neg_lo:[0,0,1] neg_hi:[0,0,1]
	v_mov_b32_e32 v101, v107
	s_cbranch_execz .LBB111_379
	s_branch .LBB111_380
.LBB111_378:
                                        ; implicit-def: $vgpr100_vgpr101
.LBB111_379:
	ds_load_b64 v[100:101], v1
.LBB111_380:
	s_and_saveexec_b32 s16, s0
	s_cbranch_execz .LBB111_384
; %bb.381:
	v_add_nc_u32_e32 v102, -10, v0
	s_movk_i32 s17, 0x1d0
	s_mov_b32 s0, 0
.LBB111_382:                            ; =>This Inner Loop Header: Depth=1
	scratch_load_b64 v[104:105], off, s14
	v_dual_mov_b32 v103, s17 :: v_dual_add_nc_u32 v102, -1, v102
	s_add_co_i32 s17, s17, 8
	s_wait_xcnt 0x0
	s_add_co_i32 s14, s14, 8
	ds_load_b64 v[106:107], v103
	v_cmp_eq_u32_e32 vcc_lo, 0, v102
	s_or_b32 s0, vcc_lo, s0
	s_wait_loadcnt_dscnt 0x0
	v_pk_mul_f32 v[108:109], v[106:107], v[104:105] op_sel:[1,1] op_sel_hi:[0,1]
	s_delay_alu instid0(VALU_DEP_1) | instskip(SKIP_1) | instid1(VALU_DEP_2)
	v_pk_fma_f32 v[110:111], v[106:107], v[104:105], v[108:109] op_sel_hi:[1,0,1]
	v_pk_fma_f32 v[104:105], v[106:107], v[104:105], v[108:109] neg_lo:[0,0,1] neg_hi:[0,0,1]
	v_mov_b32_e32 v105, v111
	s_delay_alu instid0(VALU_DEP_1)
	v_pk_add_f32 v[100:101], v[100:101], v[104:105]
	s_and_not1_b32 exec_lo, exec_lo, s0
	s_cbranch_execnz .LBB111_382
; %bb.383:
	s_or_b32 exec_lo, exec_lo, s0
.LBB111_384:
	s_delay_alu instid0(SALU_CYCLE_1) | instskip(SKIP_4) | instid1(VALU_DEP_1)
	s_or_b32 exec_lo, exec_lo, s16
	v_mov_b32_e32 v102, 0
	ds_load_b64 v[102:103], v102 offset:72
	s_wait_dscnt 0x0
	v_pk_mul_f32 v[104:105], v[100:101], v[102:103] op_sel:[1,1] op_sel_hi:[0,1]
	v_pk_fma_f32 v[106:107], v[100:101], v[102:103], v[104:105] op_sel_hi:[1,0,1]
	v_pk_fma_f32 v[100:101], v[100:101], v[102:103], v[104:105] neg_lo:[0,0,1] neg_hi:[0,0,1]
	s_delay_alu instid0(VALU_DEP_2)
	v_mov_b32_e32 v101, v107
	scratch_store_b64 off, v[100:101], off offset:72
.LBB111_385:
	s_wait_xcnt 0x0
	s_or_b32 exec_lo, exec_lo, s15
	scratch_load_b64 v[100:101], off, off offset:64
	v_cmp_lt_u32_e64 s0, 8, v0
	s_wait_loadcnt 0x0
	ds_store_b64 v1, v[100:101]
	s_wait_storecnt_dscnt 0x0
	s_barrier_signal -1
	s_barrier_wait -1
	s_wait_xcnt 0x0
	s_and_saveexec_b32 s14, s0
	s_cbranch_execz .LBB111_395
; %bb.386:
	s_and_not1_b32 vcc_lo, exec_lo, s3
	s_cbranch_vccnz .LBB111_388
; %bb.387:
	scratch_load_b64 v[100:101], v59, off
	ds_load_b64 v[102:103], v1
	s_wait_loadcnt_dscnt 0x0
	v_pk_mul_f32 v[104:105], v[102:103], v[100:101] op_sel:[1,1] op_sel_hi:[0,1]
	s_delay_alu instid0(VALU_DEP_1) | instskip(SKIP_1) | instid1(VALU_DEP_2)
	v_pk_fma_f32 v[106:107], v[102:103], v[100:101], v[104:105] op_sel_hi:[1,0,1]
	v_pk_fma_f32 v[100:101], v[102:103], v[100:101], v[104:105] neg_lo:[0,0,1] neg_hi:[0,0,1]
	v_mov_b32_e32 v101, v107
	s_cbranch_execz .LBB111_389
	s_branch .LBB111_390
.LBB111_388:
                                        ; implicit-def: $vgpr100_vgpr101
.LBB111_389:
	ds_load_b64 v[100:101], v1
.LBB111_390:
	s_and_saveexec_b32 s15, s1
	s_cbranch_execz .LBB111_394
; %bb.391:
	v_add_nc_u32_e32 v102, -9, v0
	s_movk_i32 s16, 0x1c8
	s_mov_b32 s1, 0
.LBB111_392:                            ; =>This Inner Loop Header: Depth=1
	scratch_load_b64 v[104:105], off, s13
	v_dual_mov_b32 v103, s16 :: v_dual_add_nc_u32 v102, -1, v102
	s_add_co_i32 s16, s16, 8
	s_wait_xcnt 0x0
	s_add_co_i32 s13, s13, 8
	ds_load_b64 v[106:107], v103
	v_cmp_eq_u32_e32 vcc_lo, 0, v102
	s_or_b32 s1, vcc_lo, s1
	s_wait_loadcnt_dscnt 0x0
	v_pk_mul_f32 v[108:109], v[106:107], v[104:105] op_sel:[1,1] op_sel_hi:[0,1]
	s_delay_alu instid0(VALU_DEP_1) | instskip(SKIP_1) | instid1(VALU_DEP_2)
	v_pk_fma_f32 v[110:111], v[106:107], v[104:105], v[108:109] op_sel_hi:[1,0,1]
	v_pk_fma_f32 v[104:105], v[106:107], v[104:105], v[108:109] neg_lo:[0,0,1] neg_hi:[0,0,1]
	v_mov_b32_e32 v105, v111
	s_delay_alu instid0(VALU_DEP_1)
	v_pk_add_f32 v[100:101], v[100:101], v[104:105]
	s_and_not1_b32 exec_lo, exec_lo, s1
	s_cbranch_execnz .LBB111_392
; %bb.393:
	s_or_b32 exec_lo, exec_lo, s1
.LBB111_394:
	s_delay_alu instid0(SALU_CYCLE_1) | instskip(SKIP_4) | instid1(VALU_DEP_1)
	s_or_b32 exec_lo, exec_lo, s15
	v_mov_b32_e32 v102, 0
	ds_load_b64 v[102:103], v102 offset:64
	s_wait_dscnt 0x0
	v_pk_mul_f32 v[104:105], v[100:101], v[102:103] op_sel:[1,1] op_sel_hi:[0,1]
	v_pk_fma_f32 v[106:107], v[100:101], v[102:103], v[104:105] op_sel_hi:[1,0,1]
	v_pk_fma_f32 v[100:101], v[100:101], v[102:103], v[104:105] neg_lo:[0,0,1] neg_hi:[0,0,1]
	s_delay_alu instid0(VALU_DEP_2)
	v_mov_b32_e32 v101, v107
	scratch_store_b64 off, v[100:101], off offset:64
.LBB111_395:
	s_wait_xcnt 0x0
	s_or_b32 exec_lo, exec_lo, s14
	scratch_load_b64 v[100:101], off, off offset:56
	v_cmp_lt_u32_e64 s1, 7, v0
	s_wait_loadcnt 0x0
	ds_store_b64 v1, v[100:101]
	s_wait_storecnt_dscnt 0x0
	s_barrier_signal -1
	s_barrier_wait -1
	s_wait_xcnt 0x0
	s_and_saveexec_b32 s13, s1
	s_cbranch_execz .LBB111_405
; %bb.396:
	s_and_not1_b32 vcc_lo, exec_lo, s3
	s_cbranch_vccnz .LBB111_398
; %bb.397:
	scratch_load_b64 v[100:101], v59, off
	ds_load_b64 v[102:103], v1
	s_wait_loadcnt_dscnt 0x0
	v_pk_mul_f32 v[104:105], v[102:103], v[100:101] op_sel:[1,1] op_sel_hi:[0,1]
	s_delay_alu instid0(VALU_DEP_1) | instskip(SKIP_1) | instid1(VALU_DEP_2)
	v_pk_fma_f32 v[106:107], v[102:103], v[100:101], v[104:105] op_sel_hi:[1,0,1]
	v_pk_fma_f32 v[100:101], v[102:103], v[100:101], v[104:105] neg_lo:[0,0,1] neg_hi:[0,0,1]
	v_mov_b32_e32 v101, v107
	s_cbranch_execz .LBB111_399
	s_branch .LBB111_400
.LBB111_398:
                                        ; implicit-def: $vgpr100_vgpr101
.LBB111_399:
	ds_load_b64 v[100:101], v1
.LBB111_400:
	s_and_saveexec_b32 s14, s0
	s_cbranch_execz .LBB111_404
; %bb.401:
	v_add_nc_u32_e32 v102, -8, v0
	s_movk_i32 s15, 0x1c0
	s_mov_b32 s0, 0
.LBB111_402:                            ; =>This Inner Loop Header: Depth=1
	scratch_load_b64 v[104:105], off, s12
	v_dual_mov_b32 v103, s15 :: v_dual_add_nc_u32 v102, -1, v102
	s_add_co_i32 s15, s15, 8
	s_wait_xcnt 0x0
	s_add_co_i32 s12, s12, 8
	ds_load_b64 v[106:107], v103
	v_cmp_eq_u32_e32 vcc_lo, 0, v102
	s_or_b32 s0, vcc_lo, s0
	s_wait_loadcnt_dscnt 0x0
	v_pk_mul_f32 v[108:109], v[106:107], v[104:105] op_sel:[1,1] op_sel_hi:[0,1]
	s_delay_alu instid0(VALU_DEP_1) | instskip(SKIP_1) | instid1(VALU_DEP_2)
	v_pk_fma_f32 v[110:111], v[106:107], v[104:105], v[108:109] op_sel_hi:[1,0,1]
	v_pk_fma_f32 v[104:105], v[106:107], v[104:105], v[108:109] neg_lo:[0,0,1] neg_hi:[0,0,1]
	v_mov_b32_e32 v105, v111
	s_delay_alu instid0(VALU_DEP_1)
	v_pk_add_f32 v[100:101], v[100:101], v[104:105]
	s_and_not1_b32 exec_lo, exec_lo, s0
	s_cbranch_execnz .LBB111_402
; %bb.403:
	s_or_b32 exec_lo, exec_lo, s0
.LBB111_404:
	s_delay_alu instid0(SALU_CYCLE_1) | instskip(SKIP_4) | instid1(VALU_DEP_1)
	s_or_b32 exec_lo, exec_lo, s14
	v_mov_b32_e32 v102, 0
	ds_load_b64 v[102:103], v102 offset:56
	s_wait_dscnt 0x0
	v_pk_mul_f32 v[104:105], v[100:101], v[102:103] op_sel:[1,1] op_sel_hi:[0,1]
	v_pk_fma_f32 v[106:107], v[100:101], v[102:103], v[104:105] op_sel_hi:[1,0,1]
	v_pk_fma_f32 v[100:101], v[100:101], v[102:103], v[104:105] neg_lo:[0,0,1] neg_hi:[0,0,1]
	s_delay_alu instid0(VALU_DEP_2)
	v_mov_b32_e32 v101, v107
	scratch_store_b64 off, v[100:101], off offset:56
.LBB111_405:
	s_wait_xcnt 0x0
	s_or_b32 exec_lo, exec_lo, s13
	scratch_load_b64 v[100:101], off, off offset:48
	v_cmp_lt_u32_e64 s0, 6, v0
	s_wait_loadcnt 0x0
	ds_store_b64 v1, v[100:101]
	s_wait_storecnt_dscnt 0x0
	s_barrier_signal -1
	s_barrier_wait -1
	s_wait_xcnt 0x0
	s_and_saveexec_b32 s12, s0
	s_cbranch_execz .LBB111_415
; %bb.406:
	s_and_not1_b32 vcc_lo, exec_lo, s3
	s_cbranch_vccnz .LBB111_408
; %bb.407:
	scratch_load_b64 v[100:101], v59, off
	ds_load_b64 v[102:103], v1
	s_wait_loadcnt_dscnt 0x0
	v_pk_mul_f32 v[104:105], v[102:103], v[100:101] op_sel:[1,1] op_sel_hi:[0,1]
	s_delay_alu instid0(VALU_DEP_1) | instskip(SKIP_1) | instid1(VALU_DEP_2)
	v_pk_fma_f32 v[106:107], v[102:103], v[100:101], v[104:105] op_sel_hi:[1,0,1]
	v_pk_fma_f32 v[100:101], v[102:103], v[100:101], v[104:105] neg_lo:[0,0,1] neg_hi:[0,0,1]
	v_mov_b32_e32 v101, v107
	s_cbranch_execz .LBB111_409
	s_branch .LBB111_410
.LBB111_408:
                                        ; implicit-def: $vgpr100_vgpr101
.LBB111_409:
	ds_load_b64 v[100:101], v1
.LBB111_410:
	s_and_saveexec_b32 s13, s1
	s_cbranch_execz .LBB111_414
; %bb.411:
	v_add_nc_u32_e32 v102, -7, v0
	s_movk_i32 s14, 0x1b8
	s_mov_b32 s1, 0
.LBB111_412:                            ; =>This Inner Loop Header: Depth=1
	scratch_load_b64 v[104:105], off, s11
	v_dual_mov_b32 v103, s14 :: v_dual_add_nc_u32 v102, -1, v102
	s_add_co_i32 s14, s14, 8
	s_wait_xcnt 0x0
	s_add_co_i32 s11, s11, 8
	ds_load_b64 v[106:107], v103
	v_cmp_eq_u32_e32 vcc_lo, 0, v102
	s_or_b32 s1, vcc_lo, s1
	s_wait_loadcnt_dscnt 0x0
	v_pk_mul_f32 v[108:109], v[106:107], v[104:105] op_sel:[1,1] op_sel_hi:[0,1]
	s_delay_alu instid0(VALU_DEP_1) | instskip(SKIP_1) | instid1(VALU_DEP_2)
	v_pk_fma_f32 v[110:111], v[106:107], v[104:105], v[108:109] op_sel_hi:[1,0,1]
	v_pk_fma_f32 v[104:105], v[106:107], v[104:105], v[108:109] neg_lo:[0,0,1] neg_hi:[0,0,1]
	v_mov_b32_e32 v105, v111
	s_delay_alu instid0(VALU_DEP_1)
	v_pk_add_f32 v[100:101], v[100:101], v[104:105]
	s_and_not1_b32 exec_lo, exec_lo, s1
	s_cbranch_execnz .LBB111_412
; %bb.413:
	s_or_b32 exec_lo, exec_lo, s1
.LBB111_414:
	s_delay_alu instid0(SALU_CYCLE_1) | instskip(SKIP_4) | instid1(VALU_DEP_1)
	s_or_b32 exec_lo, exec_lo, s13
	v_mov_b32_e32 v102, 0
	ds_load_b64 v[102:103], v102 offset:48
	s_wait_dscnt 0x0
	v_pk_mul_f32 v[104:105], v[100:101], v[102:103] op_sel:[1,1] op_sel_hi:[0,1]
	v_pk_fma_f32 v[106:107], v[100:101], v[102:103], v[104:105] op_sel_hi:[1,0,1]
	v_pk_fma_f32 v[100:101], v[100:101], v[102:103], v[104:105] neg_lo:[0,0,1] neg_hi:[0,0,1]
	s_delay_alu instid0(VALU_DEP_2)
	v_mov_b32_e32 v101, v107
	scratch_store_b64 off, v[100:101], off offset:48
.LBB111_415:
	s_wait_xcnt 0x0
	s_or_b32 exec_lo, exec_lo, s12
	scratch_load_b64 v[100:101], off, off offset:40
	v_cmp_lt_u32_e64 s1, 5, v0
	s_wait_loadcnt 0x0
	ds_store_b64 v1, v[100:101]
	s_wait_storecnt_dscnt 0x0
	s_barrier_signal -1
	s_barrier_wait -1
	s_wait_xcnt 0x0
	s_and_saveexec_b32 s11, s1
	s_cbranch_execz .LBB111_425
; %bb.416:
	s_and_not1_b32 vcc_lo, exec_lo, s3
	s_cbranch_vccnz .LBB111_418
; %bb.417:
	scratch_load_b64 v[100:101], v59, off
	ds_load_b64 v[102:103], v1
	s_wait_loadcnt_dscnt 0x0
	v_pk_mul_f32 v[104:105], v[102:103], v[100:101] op_sel:[1,1] op_sel_hi:[0,1]
	s_delay_alu instid0(VALU_DEP_1) | instskip(SKIP_1) | instid1(VALU_DEP_2)
	v_pk_fma_f32 v[106:107], v[102:103], v[100:101], v[104:105] op_sel_hi:[1,0,1]
	v_pk_fma_f32 v[100:101], v[102:103], v[100:101], v[104:105] neg_lo:[0,0,1] neg_hi:[0,0,1]
	v_mov_b32_e32 v101, v107
	s_cbranch_execz .LBB111_419
	s_branch .LBB111_420
.LBB111_418:
                                        ; implicit-def: $vgpr100_vgpr101
.LBB111_419:
	ds_load_b64 v[100:101], v1
.LBB111_420:
	s_and_saveexec_b32 s12, s0
	s_cbranch_execz .LBB111_424
; %bb.421:
	v_add_nc_u32_e32 v102, -6, v0
	s_movk_i32 s13, 0x1b0
	s_mov_b32 s0, 0
.LBB111_422:                            ; =>This Inner Loop Header: Depth=1
	scratch_load_b64 v[104:105], off, s10
	v_dual_mov_b32 v103, s13 :: v_dual_add_nc_u32 v102, -1, v102
	s_add_co_i32 s13, s13, 8
	s_wait_xcnt 0x0
	s_add_co_i32 s10, s10, 8
	ds_load_b64 v[106:107], v103
	v_cmp_eq_u32_e32 vcc_lo, 0, v102
	s_or_b32 s0, vcc_lo, s0
	s_wait_loadcnt_dscnt 0x0
	v_pk_mul_f32 v[108:109], v[106:107], v[104:105] op_sel:[1,1] op_sel_hi:[0,1]
	s_delay_alu instid0(VALU_DEP_1) | instskip(SKIP_1) | instid1(VALU_DEP_2)
	v_pk_fma_f32 v[110:111], v[106:107], v[104:105], v[108:109] op_sel_hi:[1,0,1]
	v_pk_fma_f32 v[104:105], v[106:107], v[104:105], v[108:109] neg_lo:[0,0,1] neg_hi:[0,0,1]
	v_mov_b32_e32 v105, v111
	s_delay_alu instid0(VALU_DEP_1)
	v_pk_add_f32 v[100:101], v[100:101], v[104:105]
	s_and_not1_b32 exec_lo, exec_lo, s0
	s_cbranch_execnz .LBB111_422
; %bb.423:
	s_or_b32 exec_lo, exec_lo, s0
.LBB111_424:
	s_delay_alu instid0(SALU_CYCLE_1) | instskip(SKIP_4) | instid1(VALU_DEP_1)
	s_or_b32 exec_lo, exec_lo, s12
	v_mov_b32_e32 v102, 0
	ds_load_b64 v[102:103], v102 offset:40
	s_wait_dscnt 0x0
	v_pk_mul_f32 v[104:105], v[100:101], v[102:103] op_sel:[1,1] op_sel_hi:[0,1]
	v_pk_fma_f32 v[106:107], v[100:101], v[102:103], v[104:105] op_sel_hi:[1,0,1]
	v_pk_fma_f32 v[100:101], v[100:101], v[102:103], v[104:105] neg_lo:[0,0,1] neg_hi:[0,0,1]
	s_delay_alu instid0(VALU_DEP_2)
	v_mov_b32_e32 v101, v107
	scratch_store_b64 off, v[100:101], off offset:40
.LBB111_425:
	s_wait_xcnt 0x0
	s_or_b32 exec_lo, exec_lo, s11
	scratch_load_b64 v[100:101], off, off offset:32
	v_cmp_lt_u32_e64 s0, 4, v0
	s_wait_loadcnt 0x0
	ds_store_b64 v1, v[100:101]
	s_wait_storecnt_dscnt 0x0
	s_barrier_signal -1
	s_barrier_wait -1
	s_wait_xcnt 0x0
	s_and_saveexec_b32 s10, s0
	s_cbranch_execz .LBB111_435
; %bb.426:
	s_and_not1_b32 vcc_lo, exec_lo, s3
	s_cbranch_vccnz .LBB111_428
; %bb.427:
	scratch_load_b64 v[100:101], v59, off
	ds_load_b64 v[102:103], v1
	s_wait_loadcnt_dscnt 0x0
	v_pk_mul_f32 v[104:105], v[102:103], v[100:101] op_sel:[1,1] op_sel_hi:[0,1]
	s_delay_alu instid0(VALU_DEP_1) | instskip(SKIP_1) | instid1(VALU_DEP_2)
	v_pk_fma_f32 v[106:107], v[102:103], v[100:101], v[104:105] op_sel_hi:[1,0,1]
	v_pk_fma_f32 v[100:101], v[102:103], v[100:101], v[104:105] neg_lo:[0,0,1] neg_hi:[0,0,1]
	v_mov_b32_e32 v101, v107
	s_cbranch_execz .LBB111_429
	s_branch .LBB111_430
.LBB111_428:
                                        ; implicit-def: $vgpr100_vgpr101
.LBB111_429:
	ds_load_b64 v[100:101], v1
.LBB111_430:
	s_and_saveexec_b32 s11, s1
	s_cbranch_execz .LBB111_434
; %bb.431:
	v_add_nc_u32_e32 v102, -5, v0
	s_movk_i32 s12, 0x1a8
	s_mov_b32 s1, 0
.LBB111_432:                            ; =>This Inner Loop Header: Depth=1
	scratch_load_b64 v[104:105], off, s9
	v_dual_mov_b32 v103, s12 :: v_dual_add_nc_u32 v102, -1, v102
	s_add_co_i32 s12, s12, 8
	s_wait_xcnt 0x0
	s_add_co_i32 s9, s9, 8
	ds_load_b64 v[106:107], v103
	v_cmp_eq_u32_e32 vcc_lo, 0, v102
	s_or_b32 s1, vcc_lo, s1
	s_wait_loadcnt_dscnt 0x0
	v_pk_mul_f32 v[108:109], v[106:107], v[104:105] op_sel:[1,1] op_sel_hi:[0,1]
	s_delay_alu instid0(VALU_DEP_1) | instskip(SKIP_1) | instid1(VALU_DEP_2)
	v_pk_fma_f32 v[110:111], v[106:107], v[104:105], v[108:109] op_sel_hi:[1,0,1]
	v_pk_fma_f32 v[104:105], v[106:107], v[104:105], v[108:109] neg_lo:[0,0,1] neg_hi:[0,0,1]
	v_mov_b32_e32 v105, v111
	s_delay_alu instid0(VALU_DEP_1)
	v_pk_add_f32 v[100:101], v[100:101], v[104:105]
	s_and_not1_b32 exec_lo, exec_lo, s1
	s_cbranch_execnz .LBB111_432
; %bb.433:
	s_or_b32 exec_lo, exec_lo, s1
.LBB111_434:
	s_delay_alu instid0(SALU_CYCLE_1) | instskip(SKIP_4) | instid1(VALU_DEP_1)
	s_or_b32 exec_lo, exec_lo, s11
	v_mov_b32_e32 v102, 0
	ds_load_b64 v[102:103], v102 offset:32
	s_wait_dscnt 0x0
	v_pk_mul_f32 v[104:105], v[100:101], v[102:103] op_sel:[1,1] op_sel_hi:[0,1]
	v_pk_fma_f32 v[106:107], v[100:101], v[102:103], v[104:105] op_sel_hi:[1,0,1]
	v_pk_fma_f32 v[100:101], v[100:101], v[102:103], v[104:105] neg_lo:[0,0,1] neg_hi:[0,0,1]
	s_delay_alu instid0(VALU_DEP_2)
	v_mov_b32_e32 v101, v107
	scratch_store_b64 off, v[100:101], off offset:32
.LBB111_435:
	s_wait_xcnt 0x0
	s_or_b32 exec_lo, exec_lo, s10
	scratch_load_b64 v[100:101], off, off offset:24
	v_cmp_lt_u32_e64 s1, 3, v0
	s_wait_loadcnt 0x0
	ds_store_b64 v1, v[100:101]
	s_wait_storecnt_dscnt 0x0
	s_barrier_signal -1
	s_barrier_wait -1
	s_wait_xcnt 0x0
	s_and_saveexec_b32 s9, s1
	s_cbranch_execz .LBB111_445
; %bb.436:
	s_and_not1_b32 vcc_lo, exec_lo, s3
	s_cbranch_vccnz .LBB111_438
; %bb.437:
	scratch_load_b64 v[100:101], v59, off
	ds_load_b64 v[102:103], v1
	s_wait_loadcnt_dscnt 0x0
	v_pk_mul_f32 v[104:105], v[102:103], v[100:101] op_sel:[1,1] op_sel_hi:[0,1]
	s_delay_alu instid0(VALU_DEP_1) | instskip(SKIP_1) | instid1(VALU_DEP_2)
	v_pk_fma_f32 v[106:107], v[102:103], v[100:101], v[104:105] op_sel_hi:[1,0,1]
	v_pk_fma_f32 v[100:101], v[102:103], v[100:101], v[104:105] neg_lo:[0,0,1] neg_hi:[0,0,1]
	v_mov_b32_e32 v101, v107
	s_cbranch_execz .LBB111_439
	s_branch .LBB111_440
.LBB111_438:
                                        ; implicit-def: $vgpr100_vgpr101
.LBB111_439:
	ds_load_b64 v[100:101], v1
.LBB111_440:
	s_and_saveexec_b32 s10, s0
	s_cbranch_execz .LBB111_444
; %bb.441:
	v_add_nc_u32_e32 v102, -4, v0
	s_movk_i32 s11, 0x1a0
	s_mov_b32 s0, 0
.LBB111_442:                            ; =>This Inner Loop Header: Depth=1
	scratch_load_b64 v[104:105], off, s2
	v_dual_mov_b32 v103, s11 :: v_dual_add_nc_u32 v102, -1, v102
	s_add_co_i32 s11, s11, 8
	s_wait_xcnt 0x0
	s_add_co_i32 s2, s2, 8
	ds_load_b64 v[106:107], v103
	v_cmp_eq_u32_e32 vcc_lo, 0, v102
	s_or_b32 s0, vcc_lo, s0
	s_wait_loadcnt_dscnt 0x0
	v_pk_mul_f32 v[108:109], v[106:107], v[104:105] op_sel:[1,1] op_sel_hi:[0,1]
	s_delay_alu instid0(VALU_DEP_1) | instskip(SKIP_1) | instid1(VALU_DEP_2)
	v_pk_fma_f32 v[110:111], v[106:107], v[104:105], v[108:109] op_sel_hi:[1,0,1]
	v_pk_fma_f32 v[104:105], v[106:107], v[104:105], v[108:109] neg_lo:[0,0,1] neg_hi:[0,0,1]
	v_mov_b32_e32 v105, v111
	s_delay_alu instid0(VALU_DEP_1)
	v_pk_add_f32 v[100:101], v[100:101], v[104:105]
	s_and_not1_b32 exec_lo, exec_lo, s0
	s_cbranch_execnz .LBB111_442
; %bb.443:
	s_or_b32 exec_lo, exec_lo, s0
.LBB111_444:
	s_delay_alu instid0(SALU_CYCLE_1) | instskip(SKIP_4) | instid1(VALU_DEP_1)
	s_or_b32 exec_lo, exec_lo, s10
	v_mov_b32_e32 v102, 0
	ds_load_b64 v[102:103], v102 offset:24
	s_wait_dscnt 0x0
	v_pk_mul_f32 v[104:105], v[100:101], v[102:103] op_sel:[1,1] op_sel_hi:[0,1]
	v_pk_fma_f32 v[106:107], v[100:101], v[102:103], v[104:105] op_sel_hi:[1,0,1]
	v_pk_fma_f32 v[100:101], v[100:101], v[102:103], v[104:105] neg_lo:[0,0,1] neg_hi:[0,0,1]
	s_delay_alu instid0(VALU_DEP_2)
	v_mov_b32_e32 v101, v107
	scratch_store_b64 off, v[100:101], off offset:24
.LBB111_445:
	s_wait_xcnt 0x0
	s_or_b32 exec_lo, exec_lo, s9
	scratch_load_b64 v[100:101], off, off offset:16
	v_cmp_lt_u32_e64 s2, 2, v0
	s_wait_loadcnt 0x0
	ds_store_b64 v1, v[100:101]
	s_wait_storecnt_dscnt 0x0
	s_barrier_signal -1
	s_barrier_wait -1
	s_wait_xcnt 0x0
	s_and_saveexec_b32 s0, s2
	s_cbranch_execz .LBB111_455
; %bb.446:
	s_and_not1_b32 vcc_lo, exec_lo, s3
	s_cbranch_vccnz .LBB111_448
; %bb.447:
	scratch_load_b64 v[100:101], v59, off
	ds_load_b64 v[102:103], v1
	s_wait_loadcnt_dscnt 0x0
	v_pk_mul_f32 v[104:105], v[102:103], v[100:101] op_sel:[1,1] op_sel_hi:[0,1]
	s_delay_alu instid0(VALU_DEP_1) | instskip(SKIP_1) | instid1(VALU_DEP_2)
	v_pk_fma_f32 v[106:107], v[102:103], v[100:101], v[104:105] op_sel_hi:[1,0,1]
	v_pk_fma_f32 v[100:101], v[102:103], v[100:101], v[104:105] neg_lo:[0,0,1] neg_hi:[0,0,1]
	v_mov_b32_e32 v101, v107
	s_cbranch_execz .LBB111_449
	s_branch .LBB111_450
.LBB111_448:
                                        ; implicit-def: $vgpr100_vgpr101
.LBB111_449:
	ds_load_b64 v[100:101], v1
.LBB111_450:
	s_and_saveexec_b32 s9, s1
	s_cbranch_execz .LBB111_454
; %bb.451:
	v_add_nc_u32_e32 v102, -3, v0
	s_movk_i32 s10, 0x198
	s_mov_b32 s1, 0
.LBB111_452:                            ; =>This Inner Loop Header: Depth=1
	scratch_load_b64 v[104:105], off, s8
	v_dual_mov_b32 v103, s10 :: v_dual_add_nc_u32 v102, -1, v102
	s_add_co_i32 s10, s10, 8
	s_wait_xcnt 0x0
	s_add_co_i32 s8, s8, 8
	ds_load_b64 v[106:107], v103
	v_cmp_eq_u32_e32 vcc_lo, 0, v102
	s_or_b32 s1, vcc_lo, s1
	s_wait_loadcnt_dscnt 0x0
	v_pk_mul_f32 v[108:109], v[106:107], v[104:105] op_sel:[1,1] op_sel_hi:[0,1]
	s_delay_alu instid0(VALU_DEP_1) | instskip(SKIP_1) | instid1(VALU_DEP_2)
	v_pk_fma_f32 v[110:111], v[106:107], v[104:105], v[108:109] op_sel_hi:[1,0,1]
	v_pk_fma_f32 v[104:105], v[106:107], v[104:105], v[108:109] neg_lo:[0,0,1] neg_hi:[0,0,1]
	v_mov_b32_e32 v105, v111
	s_delay_alu instid0(VALU_DEP_1)
	v_pk_add_f32 v[100:101], v[100:101], v[104:105]
	s_and_not1_b32 exec_lo, exec_lo, s1
	s_cbranch_execnz .LBB111_452
; %bb.453:
	s_or_b32 exec_lo, exec_lo, s1
.LBB111_454:
	s_delay_alu instid0(SALU_CYCLE_1) | instskip(SKIP_4) | instid1(VALU_DEP_1)
	s_or_b32 exec_lo, exec_lo, s9
	v_mov_b32_e32 v102, 0
	ds_load_b64 v[102:103], v102 offset:16
	s_wait_dscnt 0x0
	v_pk_mul_f32 v[104:105], v[100:101], v[102:103] op_sel:[1,1] op_sel_hi:[0,1]
	v_pk_fma_f32 v[106:107], v[100:101], v[102:103], v[104:105] op_sel_hi:[1,0,1]
	v_pk_fma_f32 v[100:101], v[100:101], v[102:103], v[104:105] neg_lo:[0,0,1] neg_hi:[0,0,1]
	s_delay_alu instid0(VALU_DEP_2)
	v_mov_b32_e32 v101, v107
	scratch_store_b64 off, v[100:101], off offset:16
.LBB111_455:
	s_wait_xcnt 0x0
	s_or_b32 exec_lo, exec_lo, s0
	scratch_load_b64 v[100:101], off, off offset:8
	v_cmp_lt_u32_e64 s0, 1, v0
	s_wait_loadcnt 0x0
	ds_store_b64 v1, v[100:101]
	s_wait_storecnt_dscnt 0x0
	s_barrier_signal -1
	s_barrier_wait -1
	s_wait_xcnt 0x0
	s_and_saveexec_b32 s1, s0
	s_cbranch_execz .LBB111_465
; %bb.456:
	s_and_not1_b32 vcc_lo, exec_lo, s3
	s_cbranch_vccnz .LBB111_458
; %bb.457:
	scratch_load_b64 v[100:101], v59, off
	ds_load_b64 v[102:103], v1
	s_wait_loadcnt_dscnt 0x0
	v_pk_mul_f32 v[104:105], v[102:103], v[100:101] op_sel:[1,1] op_sel_hi:[0,1]
	s_delay_alu instid0(VALU_DEP_1) | instskip(SKIP_1) | instid1(VALU_DEP_2)
	v_pk_fma_f32 v[106:107], v[102:103], v[100:101], v[104:105] op_sel_hi:[1,0,1]
	v_pk_fma_f32 v[100:101], v[102:103], v[100:101], v[104:105] neg_lo:[0,0,1] neg_hi:[0,0,1]
	v_mov_b32_e32 v101, v107
	s_cbranch_execz .LBB111_459
	s_branch .LBB111_460
.LBB111_458:
                                        ; implicit-def: $vgpr100_vgpr101
.LBB111_459:
	ds_load_b64 v[100:101], v1
.LBB111_460:
	s_and_saveexec_b32 s8, s2
	s_cbranch_execz .LBB111_464
; %bb.461:
	v_add_nc_u32_e32 v102, -2, v0
	s_movk_i32 s9, 0x190
	s_mov_b32 s2, 0
.LBB111_462:                            ; =>This Inner Loop Header: Depth=1
	scratch_load_b64 v[104:105], off, s5
	v_dual_mov_b32 v103, s9 :: v_dual_add_nc_u32 v102, -1, v102
	s_add_co_i32 s9, s9, 8
	s_wait_xcnt 0x0
	s_add_co_i32 s5, s5, 8
	ds_load_b64 v[106:107], v103
	v_cmp_eq_u32_e32 vcc_lo, 0, v102
	s_or_b32 s2, vcc_lo, s2
	s_wait_loadcnt_dscnt 0x0
	v_pk_mul_f32 v[108:109], v[106:107], v[104:105] op_sel:[1,1] op_sel_hi:[0,1]
	s_delay_alu instid0(VALU_DEP_1) | instskip(SKIP_1) | instid1(VALU_DEP_2)
	v_pk_fma_f32 v[110:111], v[106:107], v[104:105], v[108:109] op_sel_hi:[1,0,1]
	v_pk_fma_f32 v[104:105], v[106:107], v[104:105], v[108:109] neg_lo:[0,0,1] neg_hi:[0,0,1]
	v_mov_b32_e32 v105, v111
	s_delay_alu instid0(VALU_DEP_1)
	v_pk_add_f32 v[100:101], v[100:101], v[104:105]
	s_and_not1_b32 exec_lo, exec_lo, s2
	s_cbranch_execnz .LBB111_462
; %bb.463:
	s_or_b32 exec_lo, exec_lo, s2
.LBB111_464:
	s_delay_alu instid0(SALU_CYCLE_1) | instskip(SKIP_4) | instid1(VALU_DEP_1)
	s_or_b32 exec_lo, exec_lo, s8
	v_mov_b32_e32 v102, 0
	ds_load_b64 v[102:103], v102 offset:8
	s_wait_dscnt 0x0
	v_pk_mul_f32 v[104:105], v[100:101], v[102:103] op_sel:[1,1] op_sel_hi:[0,1]
	v_pk_fma_f32 v[106:107], v[100:101], v[102:103], v[104:105] op_sel_hi:[1,0,1]
	v_pk_fma_f32 v[100:101], v[100:101], v[102:103], v[104:105] neg_lo:[0,0,1] neg_hi:[0,0,1]
	s_delay_alu instid0(VALU_DEP_2)
	v_mov_b32_e32 v101, v107
	scratch_store_b64 off, v[100:101], off offset:8
.LBB111_465:
	s_wait_xcnt 0x0
	s_or_b32 exec_lo, exec_lo, s1
	scratch_load_b64 v[100:101], off, off
	s_mov_b32 s2, 0
	s_mov_b32 s1, 0
	s_mov_b32 s8, exec_lo
                                        ; implicit-def: $vgpr142
                                        ; implicit-def: $sgpr5
	s_wait_loadcnt 0x0
	ds_store_b64 v1, v[100:101]
	s_wait_storecnt_dscnt 0x0
	s_barrier_signal -1
	s_barrier_wait -1
	s_wait_xcnt 0x0
	v_cmpx_ne_u32_e32 0, v0
	s_cbranch_execz .LBB111_475
; %bb.466:
	s_and_not1_b32 vcc_lo, exec_lo, s3
	s_cbranch_vccnz .LBB111_468
; %bb.467:
	scratch_load_b64 v[102:103], v59, off
	ds_load_b64 v[104:105], v1
	s_wait_loadcnt_dscnt 0x0
	v_dual_mul_f32 v100, v105, v103 :: v_dual_mul_f32 v101, v104, v103
	s_delay_alu instid0(VALU_DEP_1)
	v_dual_fma_f32 v100, v104, v102, -v100 :: v_dual_fmac_f32 v101, v105, v102
	s_and_not1_b32 vcc_lo, exec_lo, s1
	s_cbranch_vccz .LBB111_469
	s_branch .LBB111_470
.LBB111_468:
                                        ; implicit-def: $vgpr100
.LBB111_469:
	ds_load_b64 v[100:101], v1
.LBB111_470:
	s_and_saveexec_b32 s1, s0
	s_cbranch_execz .LBB111_474
; %bb.471:
	v_add_nc_u32_e32 v102, -1, v0
	s_movk_i32 s5, 0x188
	s_mov_b32 s0, 0
.LBB111_472:                            ; =>This Inner Loop Header: Depth=1
	scratch_load_b64 v[104:105], off, s4
	v_mov_b32_e32 v103, s5
	s_add_co_i32 s5, s5, 8
	s_wait_xcnt 0x0
	s_add_co_i32 s4, s4, 8
	v_add_nc_u32_e32 v102, -1, v102
	ds_load_b64 v[106:107], v103
	v_cmp_eq_u32_e32 vcc_lo, 0, v102
	s_or_b32 s0, vcc_lo, s0
	s_wait_loadcnt_dscnt 0x0
	v_dual_mul_f32 v103, v107, v105 :: v_dual_mul_f32 v105, v106, v105
	s_delay_alu instid0(VALU_DEP_1) | instskip(NEXT) | instid1(VALU_DEP_1)
	v_dual_fma_f32 v103, v106, v104, -v103 :: v_dual_fmac_f32 v105, v107, v104
	v_dual_add_f32 v100, v100, v103 :: v_dual_add_f32 v101, v101, v105
	s_and_not1_b32 exec_lo, exec_lo, s0
	s_cbranch_execnz .LBB111_472
; %bb.473:
	s_or_b32 exec_lo, exec_lo, s0
.LBB111_474:
	s_delay_alu instid0(SALU_CYCLE_1)
	s_or_b32 exec_lo, exec_lo, s1
	v_mov_b32_e32 v102, 0
	s_mov_b32 s1, exec_lo
	s_or_b32 s5, 0, 4
	ds_load_b64 v[102:103], v102
	s_wait_dscnt 0x0
	v_dual_mul_f32 v104, v101, v103 :: v_dual_mul_f32 v142, v100, v103
	s_delay_alu instid0(VALU_DEP_1)
	v_dual_fma_f32 v100, v100, v102, -v104 :: v_dual_fmac_f32 v142, v101, v102
	scratch_store_b32 off, v100, off
.LBB111_475:
	s_wait_xcnt 0x0
	s_or_b32 exec_lo, exec_lo, s8
	s_delay_alu instid0(SALU_CYCLE_1)
	s_and_b32 vcc_lo, exec_lo, s2
	s_cbranch_vccz .LBB111_941
.LBB111_476:
	scratch_load_b64 v[100:101], off, off offset:8
	v_cmp_eq_u32_e64 s0, 0, v0
	s_wait_loadcnt 0x0
	ds_store_b64 v1, v[100:101]
	s_wait_storecnt_dscnt 0x0
	s_barrier_signal -1
	s_barrier_wait -1
	s_wait_xcnt 0x0
	s_and_saveexec_b32 s2, s0
	s_cbranch_execz .LBB111_482
; %bb.477:
	s_and_b32 vcc_lo, exec_lo, s3
	s_cbranch_vccz .LBB111_479
; %bb.478:
	scratch_load_b64 v[100:101], v59, off
	ds_load_b64 v[102:103], v1
	s_wait_loadcnt_dscnt 0x0
	v_pk_mul_f32 v[104:105], v[102:103], v[100:101] op_sel:[1,1] op_sel_hi:[0,1]
	v_pk_mul_f32 v[106:107], v[102:103], v[100:101] op_sel_hi:[1,0]
	s_delay_alu instid0(VALU_DEP_2) | instskip(NEXT) | instid1(VALU_DEP_2)
	v_pk_fma_f32 v[100:101], v[102:103], v[100:101], v[104:105] op_sel_hi:[1,0,1]
	v_sub_f32_e32 v100, v106, v104
	s_cbranch_execz .LBB111_480
	s_branch .LBB111_481
.LBB111_479:
                                        ; implicit-def: $vgpr101
.LBB111_480:
	ds_load_b64 v[100:101], v1
.LBB111_481:
	s_wait_dscnt 0x0
	v_dual_mov_b32 v102, 0 :: v_dual_mov_b32 v104, v101
	v_mov_b32_e32 v105, v100
	ds_load_b64 v[102:103], v102 offset:8
	s_wait_dscnt 0x0
	v_pk_mul_f32 v[104:105], v[104:105], v[102:103] op_sel:[0,1]
	s_delay_alu instid0(VALU_DEP_1) | instskip(SKIP_1) | instid1(VALU_DEP_2)
	v_pk_fma_f32 v[106:107], v[100:101], v[102:103], v[104:105] op_sel_hi:[1,0,1]
	v_pk_fma_f32 v[100:101], v[100:101], v[102:103], v[104:105] neg_lo:[0,0,1] neg_hi:[0,0,1]
	v_mov_b32_e32 v101, v107
	scratch_store_b64 off, v[100:101], off offset:8
.LBB111_482:
	s_wait_xcnt 0x0
	s_or_b32 exec_lo, exec_lo, s2
	scratch_load_b64 v[100:101], off, off offset:16
	v_cndmask_b32_e64 v102, 0, 1, s3
	s_mov_b32 s2, exec_lo
	s_wait_loadcnt 0x0
	ds_store_b64 v1, v[100:101]
	s_wait_storecnt_dscnt 0x0
	s_barrier_signal -1
	s_barrier_wait -1
	s_wait_xcnt 0x0
	v_cmpx_gt_u32_e32 2, v0
	s_cbranch_execz .LBB111_490
; %bb.483:
	s_and_not1_b32 vcc_lo, exec_lo, s3
	s_cbranch_vccnz .LBB111_485
; %bb.484:
	scratch_load_b64 v[100:101], v59, off
	ds_load_b64 v[104:105], v1
	s_wait_loadcnt_dscnt 0x0
	v_pk_mul_f32 v[106:107], v[104:105], v[100:101] op_sel:[1,1] op_sel_hi:[0,1]
	s_delay_alu instid0(VALU_DEP_1) | instskip(SKIP_1) | instid1(VALU_DEP_2)
	v_pk_fma_f32 v[108:109], v[104:105], v[100:101], v[106:107] op_sel_hi:[1,0,1]
	v_pk_fma_f32 v[100:101], v[104:105], v[100:101], v[106:107] neg_lo:[0,0,1] neg_hi:[0,0,1]
	v_mov_b32_e32 v101, v109
	s_cbranch_execz .LBB111_486
	s_branch .LBB111_487
.LBB111_485:
                                        ; implicit-def: $vgpr100_vgpr101
.LBB111_486:
	ds_load_b64 v[100:101], v1
.LBB111_487:
	s_and_saveexec_b32 s3, s0
	s_cbranch_execz .LBB111_489
; %bb.488:
	scratch_load_b64 v[104:105], off, off offset:8
	v_mov_b32_e32 v103, 0
	ds_load_b64 v[106:107], v103 offset:392
	s_wait_loadcnt_dscnt 0x0
	v_pk_mul_f32 v[108:109], v[106:107], v[104:105] op_sel:[1,1] op_sel_hi:[0,1]
	s_delay_alu instid0(VALU_DEP_1) | instskip(SKIP_1) | instid1(VALU_DEP_2)
	v_pk_fma_f32 v[110:111], v[106:107], v[104:105], v[108:109] op_sel_hi:[1,0,1]
	v_pk_fma_f32 v[104:105], v[106:107], v[104:105], v[108:109] neg_lo:[0,0,1] neg_hi:[0,0,1]
	v_mov_b32_e32 v105, v111
	s_delay_alu instid0(VALU_DEP_1)
	v_pk_add_f32 v[100:101], v[100:101], v[104:105]
.LBB111_489:
	s_or_b32 exec_lo, exec_lo, s3
	v_mov_b32_e32 v103, 0
	ds_load_b64 v[104:105], v103 offset:16
	s_wait_dscnt 0x0
	v_pk_mul_f32 v[106:107], v[100:101], v[104:105] op_sel:[1,1] op_sel_hi:[0,1]
	s_delay_alu instid0(VALU_DEP_1) | instskip(SKIP_1) | instid1(VALU_DEP_2)
	v_pk_fma_f32 v[108:109], v[100:101], v[104:105], v[106:107] op_sel_hi:[1,0,1]
	v_pk_fma_f32 v[100:101], v[100:101], v[104:105], v[106:107] neg_lo:[0,0,1] neg_hi:[0,0,1]
	v_mov_b32_e32 v101, v109
	scratch_store_b64 off, v[100:101], off offset:16
.LBB111_490:
	s_wait_xcnt 0x0
	s_or_b32 exec_lo, exec_lo, s2
	scratch_load_b64 v[100:101], off, off offset:24
	s_mov_b32 s2, exec_lo
	s_wait_loadcnt 0x0
	ds_store_b64 v1, v[100:101]
	s_wait_storecnt_dscnt 0x0
	s_barrier_signal -1
	s_barrier_wait -1
	s_wait_xcnt 0x0
	v_cmpx_gt_u32_e32 3, v0
	s_cbranch_execz .LBB111_500
; %bb.491:
	v_cmp_ne_u32_e32 vcc_lo, 1, v102
	s_cbranch_vccnz .LBB111_493
; %bb.492:
	scratch_load_b64 v[100:101], v59, off
	ds_load_b64 v[104:105], v1
	s_wait_loadcnt_dscnt 0x0
	v_pk_mul_f32 v[106:107], v[104:105], v[100:101] op_sel:[1,1] op_sel_hi:[0,1]
	s_delay_alu instid0(VALU_DEP_1) | instskip(SKIP_1) | instid1(VALU_DEP_2)
	v_pk_fma_f32 v[108:109], v[104:105], v[100:101], v[106:107] op_sel_hi:[1,0,1]
	v_pk_fma_f32 v[100:101], v[104:105], v[100:101], v[106:107] neg_lo:[0,0,1] neg_hi:[0,0,1]
	v_mov_b32_e32 v101, v109
	s_cbranch_execz .LBB111_494
	s_branch .LBB111_495
.LBB111_493:
                                        ; implicit-def: $vgpr100_vgpr101
.LBB111_494:
	ds_load_b64 v[100:101], v1
.LBB111_495:
	s_mov_b32 s3, exec_lo
	v_cmpx_ne_u32_e32 2, v0
	s_cbranch_execz .LBB111_499
; %bb.496:
	scratch_load_b64 v[104:105], v59, off offset:8
	ds_load_b64 v[106:107], v1 offset:8
	s_wait_loadcnt_dscnt 0x0
	v_pk_mul_f32 v[108:109], v[106:107], v[104:105] op_sel:[1,1] op_sel_hi:[0,1]
	s_delay_alu instid0(VALU_DEP_1) | instskip(SKIP_1) | instid1(VALU_DEP_2)
	v_pk_fma_f32 v[110:111], v[106:107], v[104:105], v[108:109] op_sel_hi:[1,0,1]
	v_pk_fma_f32 v[104:105], v[106:107], v[104:105], v[108:109] neg_lo:[0,0,1] neg_hi:[0,0,1]
	v_mov_b32_e32 v105, v111
	s_delay_alu instid0(VALU_DEP_1)
	v_pk_add_f32 v[100:101], v[100:101], v[104:105]
	s_and_saveexec_b32 s4, s0
	s_cbranch_execz .LBB111_498
; %bb.497:
	scratch_load_b64 v[104:105], off, off offset:16
	v_mov_b32_e32 v103, 0
	ds_load_b64 v[106:107], v103 offset:400
	s_wait_loadcnt_dscnt 0x0
	v_pk_mul_f32 v[108:109], v[106:107], v[104:105] op_sel:[1,1] op_sel_hi:[0,1]
	s_delay_alu instid0(VALU_DEP_1) | instskip(SKIP_1) | instid1(VALU_DEP_2)
	v_pk_fma_f32 v[110:111], v[106:107], v[104:105], v[108:109] op_sel_hi:[1,0,1]
	v_pk_fma_f32 v[104:105], v[106:107], v[104:105], v[108:109] neg_lo:[0,0,1] neg_hi:[0,0,1]
	v_mov_b32_e32 v105, v111
	s_delay_alu instid0(VALU_DEP_1)
	v_pk_add_f32 v[100:101], v[100:101], v[104:105]
.LBB111_498:
	s_or_b32 exec_lo, exec_lo, s4
.LBB111_499:
	s_delay_alu instid0(SALU_CYCLE_1) | instskip(SKIP_4) | instid1(VALU_DEP_1)
	s_or_b32 exec_lo, exec_lo, s3
	v_mov_b32_e32 v103, 0
	ds_load_b64 v[104:105], v103 offset:24
	s_wait_dscnt 0x0
	v_pk_mul_f32 v[106:107], v[100:101], v[104:105] op_sel:[1,1] op_sel_hi:[0,1]
	v_pk_fma_f32 v[108:109], v[100:101], v[104:105], v[106:107] op_sel_hi:[1,0,1]
	v_pk_fma_f32 v[100:101], v[100:101], v[104:105], v[106:107] neg_lo:[0,0,1] neg_hi:[0,0,1]
	s_delay_alu instid0(VALU_DEP_2)
	v_mov_b32_e32 v101, v109
	scratch_store_b64 off, v[100:101], off offset:24
.LBB111_500:
	s_wait_xcnt 0x0
	s_or_b32 exec_lo, exec_lo, s2
	scratch_load_b64 v[100:101], off, off offset:32
	s_mov_b32 s0, exec_lo
	s_wait_loadcnt 0x0
	ds_store_b64 v1, v[100:101]
	s_wait_storecnt_dscnt 0x0
	s_barrier_signal -1
	s_barrier_wait -1
	s_wait_xcnt 0x0
	v_cmpx_gt_u32_e32 4, v0
	s_cbranch_execz .LBB111_510
; %bb.501:
	v_cmp_ne_u32_e32 vcc_lo, 1, v102
	s_cbranch_vccnz .LBB111_503
; %bb.502:
	scratch_load_b64 v[100:101], v59, off
	ds_load_b64 v[104:105], v1
	s_wait_loadcnt_dscnt 0x0
	v_pk_mul_f32 v[106:107], v[104:105], v[100:101] op_sel:[1,1] op_sel_hi:[0,1]
	s_delay_alu instid0(VALU_DEP_1) | instskip(SKIP_1) | instid1(VALU_DEP_2)
	v_pk_fma_f32 v[108:109], v[104:105], v[100:101], v[106:107] op_sel_hi:[1,0,1]
	v_pk_fma_f32 v[100:101], v[104:105], v[100:101], v[106:107] neg_lo:[0,0,1] neg_hi:[0,0,1]
	v_mov_b32_e32 v101, v109
	s_cbranch_execz .LBB111_504
	s_branch .LBB111_505
.LBB111_503:
                                        ; implicit-def: $vgpr100_vgpr101
.LBB111_504:
	ds_load_b64 v[100:101], v1
.LBB111_505:
	s_mov_b32 s2, exec_lo
	v_cmpx_ne_u32_e32 3, v0
	s_cbranch_execz .LBB111_509
; %bb.506:
	v_add_nc_u32_e32 v103, 0x188, v58
	v_add3_u32 v104, 0, v58, 8
	v_mov_b32_e32 v105, v0
	s_mov_b32 s3, 0
.LBB111_507:                            ; =>This Inner Loop Header: Depth=1
	scratch_load_b64 v[106:107], v104, off
	ds_load_b64 v[108:109], v103
	s_wait_xcnt 0x0
	v_dual_add_nc_u32 v103, 8, v103 :: v_dual_add_nc_u32 v104, 8, v104
	s_wait_loadcnt_dscnt 0x0
	v_pk_mul_f32 v[110:111], v[108:109], v[106:107] op_sel:[1,1] op_sel_hi:[0,1]
	s_delay_alu instid0(VALU_DEP_1) | instskip(SKIP_2) | instid1(VALU_DEP_3)
	v_pk_fma_f32 v[112:113], v[108:109], v[106:107], v[110:111] op_sel_hi:[1,0,1]
	v_add_nc_u32_e32 v105, 1, v105
	v_pk_fma_f32 v[106:107], v[108:109], v[106:107], v[110:111] neg_lo:[0,0,1] neg_hi:[0,0,1]
	v_mov_b32_e32 v107, v113
	s_delay_alu instid0(VALU_DEP_3) | instskip(NEXT) | instid1(VALU_DEP_2)
	v_cmp_lt_u32_e32 vcc_lo, 2, v105
	v_pk_add_f32 v[100:101], v[100:101], v[106:107]
	s_or_b32 s3, vcc_lo, s3
	s_delay_alu instid0(SALU_CYCLE_1)
	s_and_not1_b32 exec_lo, exec_lo, s3
	s_cbranch_execnz .LBB111_507
; %bb.508:
	s_or_b32 exec_lo, exec_lo, s3
.LBB111_509:
	s_delay_alu instid0(SALU_CYCLE_1) | instskip(SKIP_4) | instid1(VALU_DEP_1)
	s_or_b32 exec_lo, exec_lo, s2
	v_mov_b32_e32 v103, 0
	ds_load_b64 v[104:105], v103 offset:32
	s_wait_dscnt 0x0
	v_pk_mul_f32 v[106:107], v[100:101], v[104:105] op_sel:[1,1] op_sel_hi:[0,1]
	v_pk_fma_f32 v[108:109], v[100:101], v[104:105], v[106:107] op_sel_hi:[1,0,1]
	v_pk_fma_f32 v[100:101], v[100:101], v[104:105], v[106:107] neg_lo:[0,0,1] neg_hi:[0,0,1]
	s_delay_alu instid0(VALU_DEP_2)
	v_mov_b32_e32 v101, v109
	scratch_store_b64 off, v[100:101], off offset:32
.LBB111_510:
	s_wait_xcnt 0x0
	s_or_b32 exec_lo, exec_lo, s0
	scratch_load_b64 v[100:101], off, off offset:40
	s_mov_b32 s0, exec_lo
	s_wait_loadcnt 0x0
	ds_store_b64 v1, v[100:101]
	s_wait_storecnt_dscnt 0x0
	s_barrier_signal -1
	s_barrier_wait -1
	s_wait_xcnt 0x0
	v_cmpx_gt_u32_e32 5, v0
	s_cbranch_execz .LBB111_520
; %bb.511:
	v_cmp_ne_u32_e32 vcc_lo, 1, v102
	s_cbranch_vccnz .LBB111_513
; %bb.512:
	scratch_load_b64 v[100:101], v59, off
	ds_load_b64 v[104:105], v1
	s_wait_loadcnt_dscnt 0x0
	v_pk_mul_f32 v[106:107], v[104:105], v[100:101] op_sel:[1,1] op_sel_hi:[0,1]
	s_delay_alu instid0(VALU_DEP_1) | instskip(SKIP_1) | instid1(VALU_DEP_2)
	v_pk_fma_f32 v[108:109], v[104:105], v[100:101], v[106:107] op_sel_hi:[1,0,1]
	v_pk_fma_f32 v[100:101], v[104:105], v[100:101], v[106:107] neg_lo:[0,0,1] neg_hi:[0,0,1]
	v_mov_b32_e32 v101, v109
	s_cbranch_execz .LBB111_514
	s_branch .LBB111_515
.LBB111_513:
                                        ; implicit-def: $vgpr100_vgpr101
.LBB111_514:
	ds_load_b64 v[100:101], v1
.LBB111_515:
	s_mov_b32 s2, exec_lo
	v_cmpx_ne_u32_e32 4, v0
	s_cbranch_execz .LBB111_519
; %bb.516:
	v_add_nc_u32_e32 v103, 0x188, v58
	v_add3_u32 v104, 0, v58, 8
	v_mov_b32_e32 v105, v0
	s_mov_b32 s3, 0
.LBB111_517:                            ; =>This Inner Loop Header: Depth=1
	scratch_load_b64 v[106:107], v104, off
	ds_load_b64 v[108:109], v103
	s_wait_xcnt 0x0
	v_dual_add_nc_u32 v103, 8, v103 :: v_dual_add_nc_u32 v104, 8, v104
	s_wait_loadcnt_dscnt 0x0
	v_pk_mul_f32 v[110:111], v[108:109], v[106:107] op_sel:[1,1] op_sel_hi:[0,1]
	s_delay_alu instid0(VALU_DEP_1) | instskip(SKIP_2) | instid1(VALU_DEP_3)
	v_pk_fma_f32 v[112:113], v[108:109], v[106:107], v[110:111] op_sel_hi:[1,0,1]
	v_add_nc_u32_e32 v105, 1, v105
	v_pk_fma_f32 v[106:107], v[108:109], v[106:107], v[110:111] neg_lo:[0,0,1] neg_hi:[0,0,1]
	v_mov_b32_e32 v107, v113
	s_delay_alu instid0(VALU_DEP_3) | instskip(NEXT) | instid1(VALU_DEP_2)
	v_cmp_lt_u32_e32 vcc_lo, 3, v105
	v_pk_add_f32 v[100:101], v[100:101], v[106:107]
	s_or_b32 s3, vcc_lo, s3
	s_delay_alu instid0(SALU_CYCLE_1)
	s_and_not1_b32 exec_lo, exec_lo, s3
	s_cbranch_execnz .LBB111_517
; %bb.518:
	s_or_b32 exec_lo, exec_lo, s3
.LBB111_519:
	s_delay_alu instid0(SALU_CYCLE_1) | instskip(SKIP_4) | instid1(VALU_DEP_1)
	s_or_b32 exec_lo, exec_lo, s2
	v_mov_b32_e32 v103, 0
	ds_load_b64 v[104:105], v103 offset:40
	s_wait_dscnt 0x0
	v_pk_mul_f32 v[106:107], v[100:101], v[104:105] op_sel:[1,1] op_sel_hi:[0,1]
	v_pk_fma_f32 v[108:109], v[100:101], v[104:105], v[106:107] op_sel_hi:[1,0,1]
	v_pk_fma_f32 v[100:101], v[100:101], v[104:105], v[106:107] neg_lo:[0,0,1] neg_hi:[0,0,1]
	s_delay_alu instid0(VALU_DEP_2)
	v_mov_b32_e32 v101, v109
	scratch_store_b64 off, v[100:101], off offset:40
.LBB111_520:
	s_wait_xcnt 0x0
	s_or_b32 exec_lo, exec_lo, s0
	scratch_load_b64 v[100:101], off, off offset:48
	s_mov_b32 s0, exec_lo
	s_wait_loadcnt 0x0
	ds_store_b64 v1, v[100:101]
	s_wait_storecnt_dscnt 0x0
	s_barrier_signal -1
	s_barrier_wait -1
	s_wait_xcnt 0x0
	v_cmpx_gt_u32_e32 6, v0
	s_cbranch_execz .LBB111_530
; %bb.521:
	v_cmp_ne_u32_e32 vcc_lo, 1, v102
	s_cbranch_vccnz .LBB111_523
; %bb.522:
	scratch_load_b64 v[100:101], v59, off
	ds_load_b64 v[104:105], v1
	s_wait_loadcnt_dscnt 0x0
	v_pk_mul_f32 v[106:107], v[104:105], v[100:101] op_sel:[1,1] op_sel_hi:[0,1]
	s_delay_alu instid0(VALU_DEP_1) | instskip(SKIP_1) | instid1(VALU_DEP_2)
	v_pk_fma_f32 v[108:109], v[104:105], v[100:101], v[106:107] op_sel_hi:[1,0,1]
	v_pk_fma_f32 v[100:101], v[104:105], v[100:101], v[106:107] neg_lo:[0,0,1] neg_hi:[0,0,1]
	v_mov_b32_e32 v101, v109
	s_cbranch_execz .LBB111_524
	s_branch .LBB111_525
.LBB111_523:
                                        ; implicit-def: $vgpr100_vgpr101
.LBB111_524:
	ds_load_b64 v[100:101], v1
.LBB111_525:
	s_mov_b32 s2, exec_lo
	v_cmpx_ne_u32_e32 5, v0
	s_cbranch_execz .LBB111_529
; %bb.526:
	v_add_nc_u32_e32 v103, 0x188, v58
	v_add3_u32 v104, 0, v58, 8
	v_mov_b32_e32 v105, v0
	s_mov_b32 s3, 0
.LBB111_527:                            ; =>This Inner Loop Header: Depth=1
	scratch_load_b64 v[106:107], v104, off
	ds_load_b64 v[108:109], v103
	s_wait_xcnt 0x0
	v_dual_add_nc_u32 v103, 8, v103 :: v_dual_add_nc_u32 v104, 8, v104
	s_wait_loadcnt_dscnt 0x0
	v_pk_mul_f32 v[110:111], v[108:109], v[106:107] op_sel:[1,1] op_sel_hi:[0,1]
	s_delay_alu instid0(VALU_DEP_1) | instskip(SKIP_2) | instid1(VALU_DEP_3)
	v_pk_fma_f32 v[112:113], v[108:109], v[106:107], v[110:111] op_sel_hi:[1,0,1]
	v_add_nc_u32_e32 v105, 1, v105
	v_pk_fma_f32 v[106:107], v[108:109], v[106:107], v[110:111] neg_lo:[0,0,1] neg_hi:[0,0,1]
	v_mov_b32_e32 v107, v113
	s_delay_alu instid0(VALU_DEP_3) | instskip(NEXT) | instid1(VALU_DEP_2)
	v_cmp_lt_u32_e32 vcc_lo, 4, v105
	v_pk_add_f32 v[100:101], v[100:101], v[106:107]
	s_or_b32 s3, vcc_lo, s3
	s_delay_alu instid0(SALU_CYCLE_1)
	s_and_not1_b32 exec_lo, exec_lo, s3
	s_cbranch_execnz .LBB111_527
; %bb.528:
	s_or_b32 exec_lo, exec_lo, s3
.LBB111_529:
	s_delay_alu instid0(SALU_CYCLE_1) | instskip(SKIP_4) | instid1(VALU_DEP_1)
	s_or_b32 exec_lo, exec_lo, s2
	v_mov_b32_e32 v103, 0
	ds_load_b64 v[104:105], v103 offset:48
	s_wait_dscnt 0x0
	v_pk_mul_f32 v[106:107], v[100:101], v[104:105] op_sel:[1,1] op_sel_hi:[0,1]
	v_pk_fma_f32 v[108:109], v[100:101], v[104:105], v[106:107] op_sel_hi:[1,0,1]
	v_pk_fma_f32 v[100:101], v[100:101], v[104:105], v[106:107] neg_lo:[0,0,1] neg_hi:[0,0,1]
	s_delay_alu instid0(VALU_DEP_2)
	v_mov_b32_e32 v101, v109
	scratch_store_b64 off, v[100:101], off offset:48
.LBB111_530:
	s_wait_xcnt 0x0
	s_or_b32 exec_lo, exec_lo, s0
	scratch_load_b64 v[100:101], off, off offset:56
	s_mov_b32 s0, exec_lo
	s_wait_loadcnt 0x0
	ds_store_b64 v1, v[100:101]
	s_wait_storecnt_dscnt 0x0
	s_barrier_signal -1
	s_barrier_wait -1
	s_wait_xcnt 0x0
	v_cmpx_gt_u32_e32 7, v0
	s_cbranch_execz .LBB111_540
; %bb.531:
	v_cmp_ne_u32_e32 vcc_lo, 1, v102
	s_cbranch_vccnz .LBB111_533
; %bb.532:
	scratch_load_b64 v[100:101], v59, off
	ds_load_b64 v[104:105], v1
	s_wait_loadcnt_dscnt 0x0
	v_pk_mul_f32 v[106:107], v[104:105], v[100:101] op_sel:[1,1] op_sel_hi:[0,1]
	s_delay_alu instid0(VALU_DEP_1) | instskip(SKIP_1) | instid1(VALU_DEP_2)
	v_pk_fma_f32 v[108:109], v[104:105], v[100:101], v[106:107] op_sel_hi:[1,0,1]
	v_pk_fma_f32 v[100:101], v[104:105], v[100:101], v[106:107] neg_lo:[0,0,1] neg_hi:[0,0,1]
	v_mov_b32_e32 v101, v109
	s_cbranch_execz .LBB111_534
	s_branch .LBB111_535
.LBB111_533:
                                        ; implicit-def: $vgpr100_vgpr101
.LBB111_534:
	ds_load_b64 v[100:101], v1
.LBB111_535:
	s_mov_b32 s2, exec_lo
	v_cmpx_ne_u32_e32 6, v0
	s_cbranch_execz .LBB111_539
; %bb.536:
	v_add_nc_u32_e32 v103, 0x188, v58
	v_add3_u32 v104, 0, v58, 8
	v_mov_b32_e32 v105, v0
	s_mov_b32 s3, 0
.LBB111_537:                            ; =>This Inner Loop Header: Depth=1
	scratch_load_b64 v[106:107], v104, off
	ds_load_b64 v[108:109], v103
	s_wait_xcnt 0x0
	v_dual_add_nc_u32 v103, 8, v103 :: v_dual_add_nc_u32 v104, 8, v104
	s_wait_loadcnt_dscnt 0x0
	v_pk_mul_f32 v[110:111], v[108:109], v[106:107] op_sel:[1,1] op_sel_hi:[0,1]
	s_delay_alu instid0(VALU_DEP_1) | instskip(SKIP_2) | instid1(VALU_DEP_3)
	v_pk_fma_f32 v[112:113], v[108:109], v[106:107], v[110:111] op_sel_hi:[1,0,1]
	v_add_nc_u32_e32 v105, 1, v105
	v_pk_fma_f32 v[106:107], v[108:109], v[106:107], v[110:111] neg_lo:[0,0,1] neg_hi:[0,0,1]
	v_mov_b32_e32 v107, v113
	s_delay_alu instid0(VALU_DEP_3) | instskip(NEXT) | instid1(VALU_DEP_2)
	v_cmp_lt_u32_e32 vcc_lo, 5, v105
	v_pk_add_f32 v[100:101], v[100:101], v[106:107]
	s_or_b32 s3, vcc_lo, s3
	s_delay_alu instid0(SALU_CYCLE_1)
	s_and_not1_b32 exec_lo, exec_lo, s3
	s_cbranch_execnz .LBB111_537
; %bb.538:
	s_or_b32 exec_lo, exec_lo, s3
.LBB111_539:
	s_delay_alu instid0(SALU_CYCLE_1) | instskip(SKIP_4) | instid1(VALU_DEP_1)
	s_or_b32 exec_lo, exec_lo, s2
	v_mov_b32_e32 v103, 0
	ds_load_b64 v[104:105], v103 offset:56
	s_wait_dscnt 0x0
	v_pk_mul_f32 v[106:107], v[100:101], v[104:105] op_sel:[1,1] op_sel_hi:[0,1]
	v_pk_fma_f32 v[108:109], v[100:101], v[104:105], v[106:107] op_sel_hi:[1,0,1]
	v_pk_fma_f32 v[100:101], v[100:101], v[104:105], v[106:107] neg_lo:[0,0,1] neg_hi:[0,0,1]
	s_delay_alu instid0(VALU_DEP_2)
	v_mov_b32_e32 v101, v109
	scratch_store_b64 off, v[100:101], off offset:56
.LBB111_540:
	s_wait_xcnt 0x0
	s_or_b32 exec_lo, exec_lo, s0
	scratch_load_b64 v[100:101], off, off offset:64
	s_mov_b32 s0, exec_lo
	s_wait_loadcnt 0x0
	ds_store_b64 v1, v[100:101]
	s_wait_storecnt_dscnt 0x0
	s_barrier_signal -1
	s_barrier_wait -1
	s_wait_xcnt 0x0
	v_cmpx_gt_u32_e32 8, v0
	s_cbranch_execz .LBB111_550
; %bb.541:
	v_cmp_ne_u32_e32 vcc_lo, 1, v102
	s_cbranch_vccnz .LBB111_543
; %bb.542:
	scratch_load_b64 v[100:101], v59, off
	ds_load_b64 v[104:105], v1
	s_wait_loadcnt_dscnt 0x0
	v_pk_mul_f32 v[106:107], v[104:105], v[100:101] op_sel:[1,1] op_sel_hi:[0,1]
	s_delay_alu instid0(VALU_DEP_1) | instskip(SKIP_1) | instid1(VALU_DEP_2)
	v_pk_fma_f32 v[108:109], v[104:105], v[100:101], v[106:107] op_sel_hi:[1,0,1]
	v_pk_fma_f32 v[100:101], v[104:105], v[100:101], v[106:107] neg_lo:[0,0,1] neg_hi:[0,0,1]
	v_mov_b32_e32 v101, v109
	s_cbranch_execz .LBB111_544
	s_branch .LBB111_545
.LBB111_543:
                                        ; implicit-def: $vgpr100_vgpr101
.LBB111_544:
	ds_load_b64 v[100:101], v1
.LBB111_545:
	s_mov_b32 s2, exec_lo
	v_cmpx_ne_u32_e32 7, v0
	s_cbranch_execz .LBB111_549
; %bb.546:
	v_add_nc_u32_e32 v103, 0x188, v58
	v_add3_u32 v104, 0, v58, 8
	v_mov_b32_e32 v105, v0
	s_mov_b32 s3, 0
.LBB111_547:                            ; =>This Inner Loop Header: Depth=1
	scratch_load_b64 v[106:107], v104, off
	ds_load_b64 v[108:109], v103
	s_wait_xcnt 0x0
	v_dual_add_nc_u32 v103, 8, v103 :: v_dual_add_nc_u32 v104, 8, v104
	s_wait_loadcnt_dscnt 0x0
	v_pk_mul_f32 v[110:111], v[108:109], v[106:107] op_sel:[1,1] op_sel_hi:[0,1]
	s_delay_alu instid0(VALU_DEP_1) | instskip(SKIP_2) | instid1(VALU_DEP_3)
	v_pk_fma_f32 v[112:113], v[108:109], v[106:107], v[110:111] op_sel_hi:[1,0,1]
	v_add_nc_u32_e32 v105, 1, v105
	v_pk_fma_f32 v[106:107], v[108:109], v[106:107], v[110:111] neg_lo:[0,0,1] neg_hi:[0,0,1]
	v_mov_b32_e32 v107, v113
	s_delay_alu instid0(VALU_DEP_3) | instskip(NEXT) | instid1(VALU_DEP_2)
	v_cmp_lt_u32_e32 vcc_lo, 6, v105
	v_pk_add_f32 v[100:101], v[100:101], v[106:107]
	s_or_b32 s3, vcc_lo, s3
	s_delay_alu instid0(SALU_CYCLE_1)
	s_and_not1_b32 exec_lo, exec_lo, s3
	s_cbranch_execnz .LBB111_547
; %bb.548:
	s_or_b32 exec_lo, exec_lo, s3
.LBB111_549:
	s_delay_alu instid0(SALU_CYCLE_1) | instskip(SKIP_4) | instid1(VALU_DEP_1)
	s_or_b32 exec_lo, exec_lo, s2
	v_mov_b32_e32 v103, 0
	ds_load_b64 v[104:105], v103 offset:64
	s_wait_dscnt 0x0
	v_pk_mul_f32 v[106:107], v[100:101], v[104:105] op_sel:[1,1] op_sel_hi:[0,1]
	v_pk_fma_f32 v[108:109], v[100:101], v[104:105], v[106:107] op_sel_hi:[1,0,1]
	v_pk_fma_f32 v[100:101], v[100:101], v[104:105], v[106:107] neg_lo:[0,0,1] neg_hi:[0,0,1]
	s_delay_alu instid0(VALU_DEP_2)
	v_mov_b32_e32 v101, v109
	scratch_store_b64 off, v[100:101], off offset:64
.LBB111_550:
	s_wait_xcnt 0x0
	s_or_b32 exec_lo, exec_lo, s0
	scratch_load_b64 v[100:101], off, off offset:72
	s_mov_b32 s0, exec_lo
	s_wait_loadcnt 0x0
	ds_store_b64 v1, v[100:101]
	s_wait_storecnt_dscnt 0x0
	s_barrier_signal -1
	s_barrier_wait -1
	s_wait_xcnt 0x0
	v_cmpx_gt_u32_e32 9, v0
	s_cbranch_execz .LBB111_560
; %bb.551:
	v_cmp_ne_u32_e32 vcc_lo, 1, v102
	s_cbranch_vccnz .LBB111_553
; %bb.552:
	scratch_load_b64 v[100:101], v59, off
	ds_load_b64 v[104:105], v1
	s_wait_loadcnt_dscnt 0x0
	v_pk_mul_f32 v[106:107], v[104:105], v[100:101] op_sel:[1,1] op_sel_hi:[0,1]
	s_delay_alu instid0(VALU_DEP_1) | instskip(SKIP_1) | instid1(VALU_DEP_2)
	v_pk_fma_f32 v[108:109], v[104:105], v[100:101], v[106:107] op_sel_hi:[1,0,1]
	v_pk_fma_f32 v[100:101], v[104:105], v[100:101], v[106:107] neg_lo:[0,0,1] neg_hi:[0,0,1]
	v_mov_b32_e32 v101, v109
	s_cbranch_execz .LBB111_554
	s_branch .LBB111_555
.LBB111_553:
                                        ; implicit-def: $vgpr100_vgpr101
.LBB111_554:
	ds_load_b64 v[100:101], v1
.LBB111_555:
	s_mov_b32 s2, exec_lo
	v_cmpx_ne_u32_e32 8, v0
	s_cbranch_execz .LBB111_559
; %bb.556:
	v_add_nc_u32_e32 v103, 0x188, v58
	v_add3_u32 v104, 0, v58, 8
	v_mov_b32_e32 v105, v0
	s_mov_b32 s3, 0
.LBB111_557:                            ; =>This Inner Loop Header: Depth=1
	scratch_load_b64 v[106:107], v104, off
	ds_load_b64 v[108:109], v103
	s_wait_xcnt 0x0
	v_dual_add_nc_u32 v103, 8, v103 :: v_dual_add_nc_u32 v104, 8, v104
	s_wait_loadcnt_dscnt 0x0
	v_pk_mul_f32 v[110:111], v[108:109], v[106:107] op_sel:[1,1] op_sel_hi:[0,1]
	s_delay_alu instid0(VALU_DEP_1) | instskip(SKIP_2) | instid1(VALU_DEP_3)
	v_pk_fma_f32 v[112:113], v[108:109], v[106:107], v[110:111] op_sel_hi:[1,0,1]
	v_add_nc_u32_e32 v105, 1, v105
	v_pk_fma_f32 v[106:107], v[108:109], v[106:107], v[110:111] neg_lo:[0,0,1] neg_hi:[0,0,1]
	v_mov_b32_e32 v107, v113
	s_delay_alu instid0(VALU_DEP_3) | instskip(NEXT) | instid1(VALU_DEP_2)
	v_cmp_lt_u32_e32 vcc_lo, 7, v105
	v_pk_add_f32 v[100:101], v[100:101], v[106:107]
	s_or_b32 s3, vcc_lo, s3
	s_delay_alu instid0(SALU_CYCLE_1)
	s_and_not1_b32 exec_lo, exec_lo, s3
	s_cbranch_execnz .LBB111_557
; %bb.558:
	s_or_b32 exec_lo, exec_lo, s3
.LBB111_559:
	s_delay_alu instid0(SALU_CYCLE_1) | instskip(SKIP_4) | instid1(VALU_DEP_1)
	s_or_b32 exec_lo, exec_lo, s2
	v_mov_b32_e32 v103, 0
	ds_load_b64 v[104:105], v103 offset:72
	s_wait_dscnt 0x0
	v_pk_mul_f32 v[106:107], v[100:101], v[104:105] op_sel:[1,1] op_sel_hi:[0,1]
	v_pk_fma_f32 v[108:109], v[100:101], v[104:105], v[106:107] op_sel_hi:[1,0,1]
	v_pk_fma_f32 v[100:101], v[100:101], v[104:105], v[106:107] neg_lo:[0,0,1] neg_hi:[0,0,1]
	s_delay_alu instid0(VALU_DEP_2)
	v_mov_b32_e32 v101, v109
	scratch_store_b64 off, v[100:101], off offset:72
.LBB111_560:
	s_wait_xcnt 0x0
	s_or_b32 exec_lo, exec_lo, s0
	scratch_load_b64 v[100:101], off, off offset:80
	s_mov_b32 s0, exec_lo
	s_wait_loadcnt 0x0
	ds_store_b64 v1, v[100:101]
	s_wait_storecnt_dscnt 0x0
	s_barrier_signal -1
	s_barrier_wait -1
	s_wait_xcnt 0x0
	v_cmpx_gt_u32_e32 10, v0
	s_cbranch_execz .LBB111_570
; %bb.561:
	v_cmp_ne_u32_e32 vcc_lo, 1, v102
	s_cbranch_vccnz .LBB111_563
; %bb.562:
	scratch_load_b64 v[100:101], v59, off
	ds_load_b64 v[104:105], v1
	s_wait_loadcnt_dscnt 0x0
	v_pk_mul_f32 v[106:107], v[104:105], v[100:101] op_sel:[1,1] op_sel_hi:[0,1]
	s_delay_alu instid0(VALU_DEP_1) | instskip(SKIP_1) | instid1(VALU_DEP_2)
	v_pk_fma_f32 v[108:109], v[104:105], v[100:101], v[106:107] op_sel_hi:[1,0,1]
	v_pk_fma_f32 v[100:101], v[104:105], v[100:101], v[106:107] neg_lo:[0,0,1] neg_hi:[0,0,1]
	v_mov_b32_e32 v101, v109
	s_cbranch_execz .LBB111_564
	s_branch .LBB111_565
.LBB111_563:
                                        ; implicit-def: $vgpr100_vgpr101
.LBB111_564:
	ds_load_b64 v[100:101], v1
.LBB111_565:
	s_mov_b32 s2, exec_lo
	v_cmpx_ne_u32_e32 9, v0
	s_cbranch_execz .LBB111_569
; %bb.566:
	v_add_nc_u32_e32 v103, 0x188, v58
	v_add3_u32 v104, 0, v58, 8
	v_mov_b32_e32 v105, v0
	s_mov_b32 s3, 0
.LBB111_567:                            ; =>This Inner Loop Header: Depth=1
	scratch_load_b64 v[106:107], v104, off
	ds_load_b64 v[108:109], v103
	s_wait_xcnt 0x0
	v_dual_add_nc_u32 v103, 8, v103 :: v_dual_add_nc_u32 v104, 8, v104
	s_wait_loadcnt_dscnt 0x0
	v_pk_mul_f32 v[110:111], v[108:109], v[106:107] op_sel:[1,1] op_sel_hi:[0,1]
	s_delay_alu instid0(VALU_DEP_1) | instskip(SKIP_2) | instid1(VALU_DEP_3)
	v_pk_fma_f32 v[112:113], v[108:109], v[106:107], v[110:111] op_sel_hi:[1,0,1]
	v_add_nc_u32_e32 v105, 1, v105
	v_pk_fma_f32 v[106:107], v[108:109], v[106:107], v[110:111] neg_lo:[0,0,1] neg_hi:[0,0,1]
	v_mov_b32_e32 v107, v113
	s_delay_alu instid0(VALU_DEP_3) | instskip(NEXT) | instid1(VALU_DEP_2)
	v_cmp_lt_u32_e32 vcc_lo, 8, v105
	v_pk_add_f32 v[100:101], v[100:101], v[106:107]
	s_or_b32 s3, vcc_lo, s3
	s_delay_alu instid0(SALU_CYCLE_1)
	s_and_not1_b32 exec_lo, exec_lo, s3
	s_cbranch_execnz .LBB111_567
; %bb.568:
	s_or_b32 exec_lo, exec_lo, s3
.LBB111_569:
	s_delay_alu instid0(SALU_CYCLE_1) | instskip(SKIP_4) | instid1(VALU_DEP_1)
	s_or_b32 exec_lo, exec_lo, s2
	v_mov_b32_e32 v103, 0
	ds_load_b64 v[104:105], v103 offset:80
	s_wait_dscnt 0x0
	v_pk_mul_f32 v[106:107], v[100:101], v[104:105] op_sel:[1,1] op_sel_hi:[0,1]
	v_pk_fma_f32 v[108:109], v[100:101], v[104:105], v[106:107] op_sel_hi:[1,0,1]
	v_pk_fma_f32 v[100:101], v[100:101], v[104:105], v[106:107] neg_lo:[0,0,1] neg_hi:[0,0,1]
	s_delay_alu instid0(VALU_DEP_2)
	v_mov_b32_e32 v101, v109
	scratch_store_b64 off, v[100:101], off offset:80
.LBB111_570:
	s_wait_xcnt 0x0
	s_or_b32 exec_lo, exec_lo, s0
	scratch_load_b64 v[100:101], off, off offset:88
	s_mov_b32 s0, exec_lo
	s_wait_loadcnt 0x0
	ds_store_b64 v1, v[100:101]
	s_wait_storecnt_dscnt 0x0
	s_barrier_signal -1
	s_barrier_wait -1
	s_wait_xcnt 0x0
	v_cmpx_gt_u32_e32 11, v0
	s_cbranch_execz .LBB111_580
; %bb.571:
	v_cmp_ne_u32_e32 vcc_lo, 1, v102
	s_cbranch_vccnz .LBB111_573
; %bb.572:
	scratch_load_b64 v[100:101], v59, off
	ds_load_b64 v[104:105], v1
	s_wait_loadcnt_dscnt 0x0
	v_pk_mul_f32 v[106:107], v[104:105], v[100:101] op_sel:[1,1] op_sel_hi:[0,1]
	s_delay_alu instid0(VALU_DEP_1) | instskip(SKIP_1) | instid1(VALU_DEP_2)
	v_pk_fma_f32 v[108:109], v[104:105], v[100:101], v[106:107] op_sel_hi:[1,0,1]
	v_pk_fma_f32 v[100:101], v[104:105], v[100:101], v[106:107] neg_lo:[0,0,1] neg_hi:[0,0,1]
	v_mov_b32_e32 v101, v109
	s_cbranch_execz .LBB111_574
	s_branch .LBB111_575
.LBB111_573:
                                        ; implicit-def: $vgpr100_vgpr101
.LBB111_574:
	ds_load_b64 v[100:101], v1
.LBB111_575:
	s_mov_b32 s2, exec_lo
	v_cmpx_ne_u32_e32 10, v0
	s_cbranch_execz .LBB111_579
; %bb.576:
	v_add_nc_u32_e32 v103, 0x188, v58
	v_add3_u32 v104, 0, v58, 8
	v_mov_b32_e32 v105, v0
	s_mov_b32 s3, 0
.LBB111_577:                            ; =>This Inner Loop Header: Depth=1
	scratch_load_b64 v[106:107], v104, off
	ds_load_b64 v[108:109], v103
	s_wait_xcnt 0x0
	v_dual_add_nc_u32 v103, 8, v103 :: v_dual_add_nc_u32 v104, 8, v104
	s_wait_loadcnt_dscnt 0x0
	v_pk_mul_f32 v[110:111], v[108:109], v[106:107] op_sel:[1,1] op_sel_hi:[0,1]
	s_delay_alu instid0(VALU_DEP_1) | instskip(SKIP_2) | instid1(VALU_DEP_3)
	v_pk_fma_f32 v[112:113], v[108:109], v[106:107], v[110:111] op_sel_hi:[1,0,1]
	v_add_nc_u32_e32 v105, 1, v105
	v_pk_fma_f32 v[106:107], v[108:109], v[106:107], v[110:111] neg_lo:[0,0,1] neg_hi:[0,0,1]
	v_mov_b32_e32 v107, v113
	s_delay_alu instid0(VALU_DEP_3) | instskip(NEXT) | instid1(VALU_DEP_2)
	v_cmp_lt_u32_e32 vcc_lo, 9, v105
	v_pk_add_f32 v[100:101], v[100:101], v[106:107]
	s_or_b32 s3, vcc_lo, s3
	s_delay_alu instid0(SALU_CYCLE_1)
	s_and_not1_b32 exec_lo, exec_lo, s3
	s_cbranch_execnz .LBB111_577
; %bb.578:
	s_or_b32 exec_lo, exec_lo, s3
.LBB111_579:
	s_delay_alu instid0(SALU_CYCLE_1) | instskip(SKIP_4) | instid1(VALU_DEP_1)
	s_or_b32 exec_lo, exec_lo, s2
	v_mov_b32_e32 v103, 0
	ds_load_b64 v[104:105], v103 offset:88
	s_wait_dscnt 0x0
	v_pk_mul_f32 v[106:107], v[100:101], v[104:105] op_sel:[1,1] op_sel_hi:[0,1]
	v_pk_fma_f32 v[108:109], v[100:101], v[104:105], v[106:107] op_sel_hi:[1,0,1]
	v_pk_fma_f32 v[100:101], v[100:101], v[104:105], v[106:107] neg_lo:[0,0,1] neg_hi:[0,0,1]
	s_delay_alu instid0(VALU_DEP_2)
	v_mov_b32_e32 v101, v109
	scratch_store_b64 off, v[100:101], off offset:88
.LBB111_580:
	s_wait_xcnt 0x0
	s_or_b32 exec_lo, exec_lo, s0
	scratch_load_b64 v[100:101], off, off offset:96
	s_mov_b32 s0, exec_lo
	s_wait_loadcnt 0x0
	ds_store_b64 v1, v[100:101]
	s_wait_storecnt_dscnt 0x0
	s_barrier_signal -1
	s_barrier_wait -1
	s_wait_xcnt 0x0
	v_cmpx_gt_u32_e32 12, v0
	s_cbranch_execz .LBB111_590
; %bb.581:
	v_cmp_ne_u32_e32 vcc_lo, 1, v102
	s_cbranch_vccnz .LBB111_583
; %bb.582:
	scratch_load_b64 v[100:101], v59, off
	ds_load_b64 v[104:105], v1
	s_wait_loadcnt_dscnt 0x0
	v_pk_mul_f32 v[106:107], v[104:105], v[100:101] op_sel:[1,1] op_sel_hi:[0,1]
	s_delay_alu instid0(VALU_DEP_1) | instskip(SKIP_1) | instid1(VALU_DEP_2)
	v_pk_fma_f32 v[108:109], v[104:105], v[100:101], v[106:107] op_sel_hi:[1,0,1]
	v_pk_fma_f32 v[100:101], v[104:105], v[100:101], v[106:107] neg_lo:[0,0,1] neg_hi:[0,0,1]
	v_mov_b32_e32 v101, v109
	s_cbranch_execz .LBB111_584
	s_branch .LBB111_585
.LBB111_583:
                                        ; implicit-def: $vgpr100_vgpr101
.LBB111_584:
	ds_load_b64 v[100:101], v1
.LBB111_585:
	s_mov_b32 s2, exec_lo
	v_cmpx_ne_u32_e32 11, v0
	s_cbranch_execz .LBB111_589
; %bb.586:
	v_add_nc_u32_e32 v103, 0x188, v58
	v_add3_u32 v104, 0, v58, 8
	v_mov_b32_e32 v105, v0
	s_mov_b32 s3, 0
.LBB111_587:                            ; =>This Inner Loop Header: Depth=1
	scratch_load_b64 v[106:107], v104, off
	ds_load_b64 v[108:109], v103
	s_wait_xcnt 0x0
	v_dual_add_nc_u32 v103, 8, v103 :: v_dual_add_nc_u32 v104, 8, v104
	s_wait_loadcnt_dscnt 0x0
	v_pk_mul_f32 v[110:111], v[108:109], v[106:107] op_sel:[1,1] op_sel_hi:[0,1]
	s_delay_alu instid0(VALU_DEP_1) | instskip(SKIP_2) | instid1(VALU_DEP_3)
	v_pk_fma_f32 v[112:113], v[108:109], v[106:107], v[110:111] op_sel_hi:[1,0,1]
	v_add_nc_u32_e32 v105, 1, v105
	v_pk_fma_f32 v[106:107], v[108:109], v[106:107], v[110:111] neg_lo:[0,0,1] neg_hi:[0,0,1]
	v_mov_b32_e32 v107, v113
	s_delay_alu instid0(VALU_DEP_3) | instskip(NEXT) | instid1(VALU_DEP_2)
	v_cmp_lt_u32_e32 vcc_lo, 10, v105
	v_pk_add_f32 v[100:101], v[100:101], v[106:107]
	s_or_b32 s3, vcc_lo, s3
	s_delay_alu instid0(SALU_CYCLE_1)
	s_and_not1_b32 exec_lo, exec_lo, s3
	s_cbranch_execnz .LBB111_587
; %bb.588:
	s_or_b32 exec_lo, exec_lo, s3
.LBB111_589:
	s_delay_alu instid0(SALU_CYCLE_1) | instskip(SKIP_4) | instid1(VALU_DEP_1)
	s_or_b32 exec_lo, exec_lo, s2
	v_mov_b32_e32 v103, 0
	ds_load_b64 v[104:105], v103 offset:96
	s_wait_dscnt 0x0
	v_pk_mul_f32 v[106:107], v[100:101], v[104:105] op_sel:[1,1] op_sel_hi:[0,1]
	v_pk_fma_f32 v[108:109], v[100:101], v[104:105], v[106:107] op_sel_hi:[1,0,1]
	v_pk_fma_f32 v[100:101], v[100:101], v[104:105], v[106:107] neg_lo:[0,0,1] neg_hi:[0,0,1]
	s_delay_alu instid0(VALU_DEP_2)
	v_mov_b32_e32 v101, v109
	scratch_store_b64 off, v[100:101], off offset:96
.LBB111_590:
	s_wait_xcnt 0x0
	s_or_b32 exec_lo, exec_lo, s0
	scratch_load_b64 v[100:101], off, off offset:104
	s_mov_b32 s0, exec_lo
	s_wait_loadcnt 0x0
	ds_store_b64 v1, v[100:101]
	s_wait_storecnt_dscnt 0x0
	s_barrier_signal -1
	s_barrier_wait -1
	s_wait_xcnt 0x0
	v_cmpx_gt_u32_e32 13, v0
	s_cbranch_execz .LBB111_600
; %bb.591:
	v_cmp_ne_u32_e32 vcc_lo, 1, v102
	s_cbranch_vccnz .LBB111_593
; %bb.592:
	scratch_load_b64 v[100:101], v59, off
	ds_load_b64 v[104:105], v1
	s_wait_loadcnt_dscnt 0x0
	v_pk_mul_f32 v[106:107], v[104:105], v[100:101] op_sel:[1,1] op_sel_hi:[0,1]
	s_delay_alu instid0(VALU_DEP_1) | instskip(SKIP_1) | instid1(VALU_DEP_2)
	v_pk_fma_f32 v[108:109], v[104:105], v[100:101], v[106:107] op_sel_hi:[1,0,1]
	v_pk_fma_f32 v[100:101], v[104:105], v[100:101], v[106:107] neg_lo:[0,0,1] neg_hi:[0,0,1]
	v_mov_b32_e32 v101, v109
	s_cbranch_execz .LBB111_594
	s_branch .LBB111_595
.LBB111_593:
                                        ; implicit-def: $vgpr100_vgpr101
.LBB111_594:
	ds_load_b64 v[100:101], v1
.LBB111_595:
	s_mov_b32 s2, exec_lo
	v_cmpx_ne_u32_e32 12, v0
	s_cbranch_execz .LBB111_599
; %bb.596:
	v_add_nc_u32_e32 v103, 0x188, v58
	v_add3_u32 v104, 0, v58, 8
	v_mov_b32_e32 v105, v0
	s_mov_b32 s3, 0
.LBB111_597:                            ; =>This Inner Loop Header: Depth=1
	scratch_load_b64 v[106:107], v104, off
	ds_load_b64 v[108:109], v103
	s_wait_xcnt 0x0
	v_dual_add_nc_u32 v103, 8, v103 :: v_dual_add_nc_u32 v104, 8, v104
	s_wait_loadcnt_dscnt 0x0
	v_pk_mul_f32 v[110:111], v[108:109], v[106:107] op_sel:[1,1] op_sel_hi:[0,1]
	s_delay_alu instid0(VALU_DEP_1) | instskip(SKIP_2) | instid1(VALU_DEP_3)
	v_pk_fma_f32 v[112:113], v[108:109], v[106:107], v[110:111] op_sel_hi:[1,0,1]
	v_add_nc_u32_e32 v105, 1, v105
	v_pk_fma_f32 v[106:107], v[108:109], v[106:107], v[110:111] neg_lo:[0,0,1] neg_hi:[0,0,1]
	v_mov_b32_e32 v107, v113
	s_delay_alu instid0(VALU_DEP_3) | instskip(NEXT) | instid1(VALU_DEP_2)
	v_cmp_lt_u32_e32 vcc_lo, 11, v105
	v_pk_add_f32 v[100:101], v[100:101], v[106:107]
	s_or_b32 s3, vcc_lo, s3
	s_delay_alu instid0(SALU_CYCLE_1)
	s_and_not1_b32 exec_lo, exec_lo, s3
	s_cbranch_execnz .LBB111_597
; %bb.598:
	s_or_b32 exec_lo, exec_lo, s3
.LBB111_599:
	s_delay_alu instid0(SALU_CYCLE_1) | instskip(SKIP_4) | instid1(VALU_DEP_1)
	s_or_b32 exec_lo, exec_lo, s2
	v_mov_b32_e32 v103, 0
	ds_load_b64 v[104:105], v103 offset:104
	s_wait_dscnt 0x0
	v_pk_mul_f32 v[106:107], v[100:101], v[104:105] op_sel:[1,1] op_sel_hi:[0,1]
	v_pk_fma_f32 v[108:109], v[100:101], v[104:105], v[106:107] op_sel_hi:[1,0,1]
	v_pk_fma_f32 v[100:101], v[100:101], v[104:105], v[106:107] neg_lo:[0,0,1] neg_hi:[0,0,1]
	s_delay_alu instid0(VALU_DEP_2)
	v_mov_b32_e32 v101, v109
	scratch_store_b64 off, v[100:101], off offset:104
.LBB111_600:
	s_wait_xcnt 0x0
	s_or_b32 exec_lo, exec_lo, s0
	scratch_load_b64 v[100:101], off, off offset:112
	s_mov_b32 s0, exec_lo
	s_wait_loadcnt 0x0
	ds_store_b64 v1, v[100:101]
	s_wait_storecnt_dscnt 0x0
	s_barrier_signal -1
	s_barrier_wait -1
	s_wait_xcnt 0x0
	v_cmpx_gt_u32_e32 14, v0
	s_cbranch_execz .LBB111_610
; %bb.601:
	v_cmp_ne_u32_e32 vcc_lo, 1, v102
	s_cbranch_vccnz .LBB111_603
; %bb.602:
	scratch_load_b64 v[100:101], v59, off
	ds_load_b64 v[104:105], v1
	s_wait_loadcnt_dscnt 0x0
	v_pk_mul_f32 v[106:107], v[104:105], v[100:101] op_sel:[1,1] op_sel_hi:[0,1]
	s_delay_alu instid0(VALU_DEP_1) | instskip(SKIP_1) | instid1(VALU_DEP_2)
	v_pk_fma_f32 v[108:109], v[104:105], v[100:101], v[106:107] op_sel_hi:[1,0,1]
	v_pk_fma_f32 v[100:101], v[104:105], v[100:101], v[106:107] neg_lo:[0,0,1] neg_hi:[0,0,1]
	v_mov_b32_e32 v101, v109
	s_cbranch_execz .LBB111_604
	s_branch .LBB111_605
.LBB111_603:
                                        ; implicit-def: $vgpr100_vgpr101
.LBB111_604:
	ds_load_b64 v[100:101], v1
.LBB111_605:
	s_mov_b32 s2, exec_lo
	v_cmpx_ne_u32_e32 13, v0
	s_cbranch_execz .LBB111_609
; %bb.606:
	v_add_nc_u32_e32 v103, 0x188, v58
	v_add3_u32 v104, 0, v58, 8
	v_mov_b32_e32 v105, v0
	s_mov_b32 s3, 0
.LBB111_607:                            ; =>This Inner Loop Header: Depth=1
	scratch_load_b64 v[106:107], v104, off
	ds_load_b64 v[108:109], v103
	s_wait_xcnt 0x0
	v_dual_add_nc_u32 v103, 8, v103 :: v_dual_add_nc_u32 v104, 8, v104
	s_wait_loadcnt_dscnt 0x0
	v_pk_mul_f32 v[110:111], v[108:109], v[106:107] op_sel:[1,1] op_sel_hi:[0,1]
	s_delay_alu instid0(VALU_DEP_1) | instskip(SKIP_2) | instid1(VALU_DEP_3)
	v_pk_fma_f32 v[112:113], v[108:109], v[106:107], v[110:111] op_sel_hi:[1,0,1]
	v_add_nc_u32_e32 v105, 1, v105
	v_pk_fma_f32 v[106:107], v[108:109], v[106:107], v[110:111] neg_lo:[0,0,1] neg_hi:[0,0,1]
	v_mov_b32_e32 v107, v113
	s_delay_alu instid0(VALU_DEP_3) | instskip(NEXT) | instid1(VALU_DEP_2)
	v_cmp_lt_u32_e32 vcc_lo, 12, v105
	v_pk_add_f32 v[100:101], v[100:101], v[106:107]
	s_or_b32 s3, vcc_lo, s3
	s_delay_alu instid0(SALU_CYCLE_1)
	s_and_not1_b32 exec_lo, exec_lo, s3
	s_cbranch_execnz .LBB111_607
; %bb.608:
	s_or_b32 exec_lo, exec_lo, s3
.LBB111_609:
	s_delay_alu instid0(SALU_CYCLE_1) | instskip(SKIP_4) | instid1(VALU_DEP_1)
	s_or_b32 exec_lo, exec_lo, s2
	v_mov_b32_e32 v103, 0
	ds_load_b64 v[104:105], v103 offset:112
	s_wait_dscnt 0x0
	v_pk_mul_f32 v[106:107], v[100:101], v[104:105] op_sel:[1,1] op_sel_hi:[0,1]
	v_pk_fma_f32 v[108:109], v[100:101], v[104:105], v[106:107] op_sel_hi:[1,0,1]
	v_pk_fma_f32 v[100:101], v[100:101], v[104:105], v[106:107] neg_lo:[0,0,1] neg_hi:[0,0,1]
	s_delay_alu instid0(VALU_DEP_2)
	v_mov_b32_e32 v101, v109
	scratch_store_b64 off, v[100:101], off offset:112
.LBB111_610:
	s_wait_xcnt 0x0
	s_or_b32 exec_lo, exec_lo, s0
	scratch_load_b64 v[100:101], off, off offset:120
	s_mov_b32 s0, exec_lo
	s_wait_loadcnt 0x0
	ds_store_b64 v1, v[100:101]
	s_wait_storecnt_dscnt 0x0
	s_barrier_signal -1
	s_barrier_wait -1
	s_wait_xcnt 0x0
	v_cmpx_gt_u32_e32 15, v0
	s_cbranch_execz .LBB111_620
; %bb.611:
	v_cmp_ne_u32_e32 vcc_lo, 1, v102
	s_cbranch_vccnz .LBB111_613
; %bb.612:
	scratch_load_b64 v[100:101], v59, off
	ds_load_b64 v[104:105], v1
	s_wait_loadcnt_dscnt 0x0
	v_pk_mul_f32 v[106:107], v[104:105], v[100:101] op_sel:[1,1] op_sel_hi:[0,1]
	s_delay_alu instid0(VALU_DEP_1) | instskip(SKIP_1) | instid1(VALU_DEP_2)
	v_pk_fma_f32 v[108:109], v[104:105], v[100:101], v[106:107] op_sel_hi:[1,0,1]
	v_pk_fma_f32 v[100:101], v[104:105], v[100:101], v[106:107] neg_lo:[0,0,1] neg_hi:[0,0,1]
	v_mov_b32_e32 v101, v109
	s_cbranch_execz .LBB111_614
	s_branch .LBB111_615
.LBB111_613:
                                        ; implicit-def: $vgpr100_vgpr101
.LBB111_614:
	ds_load_b64 v[100:101], v1
.LBB111_615:
	s_mov_b32 s2, exec_lo
	v_cmpx_ne_u32_e32 14, v0
	s_cbranch_execz .LBB111_619
; %bb.616:
	v_add_nc_u32_e32 v103, 0x188, v58
	v_add3_u32 v104, 0, v58, 8
	v_mov_b32_e32 v105, v0
	s_mov_b32 s3, 0
.LBB111_617:                            ; =>This Inner Loop Header: Depth=1
	scratch_load_b64 v[106:107], v104, off
	ds_load_b64 v[108:109], v103
	s_wait_xcnt 0x0
	v_dual_add_nc_u32 v103, 8, v103 :: v_dual_add_nc_u32 v104, 8, v104
	s_wait_loadcnt_dscnt 0x0
	v_pk_mul_f32 v[110:111], v[108:109], v[106:107] op_sel:[1,1] op_sel_hi:[0,1]
	s_delay_alu instid0(VALU_DEP_1) | instskip(SKIP_2) | instid1(VALU_DEP_3)
	v_pk_fma_f32 v[112:113], v[108:109], v[106:107], v[110:111] op_sel_hi:[1,0,1]
	v_add_nc_u32_e32 v105, 1, v105
	v_pk_fma_f32 v[106:107], v[108:109], v[106:107], v[110:111] neg_lo:[0,0,1] neg_hi:[0,0,1]
	v_mov_b32_e32 v107, v113
	s_delay_alu instid0(VALU_DEP_3) | instskip(NEXT) | instid1(VALU_DEP_2)
	v_cmp_lt_u32_e32 vcc_lo, 13, v105
	v_pk_add_f32 v[100:101], v[100:101], v[106:107]
	s_or_b32 s3, vcc_lo, s3
	s_delay_alu instid0(SALU_CYCLE_1)
	s_and_not1_b32 exec_lo, exec_lo, s3
	s_cbranch_execnz .LBB111_617
; %bb.618:
	s_or_b32 exec_lo, exec_lo, s3
.LBB111_619:
	s_delay_alu instid0(SALU_CYCLE_1) | instskip(SKIP_4) | instid1(VALU_DEP_1)
	s_or_b32 exec_lo, exec_lo, s2
	v_mov_b32_e32 v103, 0
	ds_load_b64 v[104:105], v103 offset:120
	s_wait_dscnt 0x0
	v_pk_mul_f32 v[106:107], v[100:101], v[104:105] op_sel:[1,1] op_sel_hi:[0,1]
	v_pk_fma_f32 v[108:109], v[100:101], v[104:105], v[106:107] op_sel_hi:[1,0,1]
	v_pk_fma_f32 v[100:101], v[100:101], v[104:105], v[106:107] neg_lo:[0,0,1] neg_hi:[0,0,1]
	s_delay_alu instid0(VALU_DEP_2)
	v_mov_b32_e32 v101, v109
	scratch_store_b64 off, v[100:101], off offset:120
.LBB111_620:
	s_wait_xcnt 0x0
	s_or_b32 exec_lo, exec_lo, s0
	scratch_load_b64 v[100:101], off, off offset:128
	s_mov_b32 s0, exec_lo
	s_wait_loadcnt 0x0
	ds_store_b64 v1, v[100:101]
	s_wait_storecnt_dscnt 0x0
	s_barrier_signal -1
	s_barrier_wait -1
	s_wait_xcnt 0x0
	v_cmpx_gt_u32_e32 16, v0
	s_cbranch_execz .LBB111_630
; %bb.621:
	v_cmp_ne_u32_e32 vcc_lo, 1, v102
	s_cbranch_vccnz .LBB111_623
; %bb.622:
	scratch_load_b64 v[100:101], v59, off
	ds_load_b64 v[104:105], v1
	s_wait_loadcnt_dscnt 0x0
	v_pk_mul_f32 v[106:107], v[104:105], v[100:101] op_sel:[1,1] op_sel_hi:[0,1]
	s_delay_alu instid0(VALU_DEP_1) | instskip(SKIP_1) | instid1(VALU_DEP_2)
	v_pk_fma_f32 v[108:109], v[104:105], v[100:101], v[106:107] op_sel_hi:[1,0,1]
	v_pk_fma_f32 v[100:101], v[104:105], v[100:101], v[106:107] neg_lo:[0,0,1] neg_hi:[0,0,1]
	v_mov_b32_e32 v101, v109
	s_cbranch_execz .LBB111_624
	s_branch .LBB111_625
.LBB111_623:
                                        ; implicit-def: $vgpr100_vgpr101
.LBB111_624:
	ds_load_b64 v[100:101], v1
.LBB111_625:
	s_mov_b32 s2, exec_lo
	v_cmpx_ne_u32_e32 15, v0
	s_cbranch_execz .LBB111_629
; %bb.626:
	v_add_nc_u32_e32 v103, 0x188, v58
	v_add3_u32 v104, 0, v58, 8
	v_mov_b32_e32 v105, v0
	s_mov_b32 s3, 0
.LBB111_627:                            ; =>This Inner Loop Header: Depth=1
	scratch_load_b64 v[106:107], v104, off
	ds_load_b64 v[108:109], v103
	s_wait_xcnt 0x0
	v_dual_add_nc_u32 v103, 8, v103 :: v_dual_add_nc_u32 v104, 8, v104
	s_wait_loadcnt_dscnt 0x0
	v_pk_mul_f32 v[110:111], v[108:109], v[106:107] op_sel:[1,1] op_sel_hi:[0,1]
	s_delay_alu instid0(VALU_DEP_1) | instskip(SKIP_2) | instid1(VALU_DEP_3)
	v_pk_fma_f32 v[112:113], v[108:109], v[106:107], v[110:111] op_sel_hi:[1,0,1]
	v_add_nc_u32_e32 v105, 1, v105
	v_pk_fma_f32 v[106:107], v[108:109], v[106:107], v[110:111] neg_lo:[0,0,1] neg_hi:[0,0,1]
	v_mov_b32_e32 v107, v113
	s_delay_alu instid0(VALU_DEP_3) | instskip(NEXT) | instid1(VALU_DEP_2)
	v_cmp_lt_u32_e32 vcc_lo, 14, v105
	v_pk_add_f32 v[100:101], v[100:101], v[106:107]
	s_or_b32 s3, vcc_lo, s3
	s_delay_alu instid0(SALU_CYCLE_1)
	s_and_not1_b32 exec_lo, exec_lo, s3
	s_cbranch_execnz .LBB111_627
; %bb.628:
	s_or_b32 exec_lo, exec_lo, s3
.LBB111_629:
	s_delay_alu instid0(SALU_CYCLE_1) | instskip(SKIP_4) | instid1(VALU_DEP_1)
	s_or_b32 exec_lo, exec_lo, s2
	v_mov_b32_e32 v103, 0
	ds_load_b64 v[104:105], v103 offset:128
	s_wait_dscnt 0x0
	v_pk_mul_f32 v[106:107], v[100:101], v[104:105] op_sel:[1,1] op_sel_hi:[0,1]
	v_pk_fma_f32 v[108:109], v[100:101], v[104:105], v[106:107] op_sel_hi:[1,0,1]
	v_pk_fma_f32 v[100:101], v[100:101], v[104:105], v[106:107] neg_lo:[0,0,1] neg_hi:[0,0,1]
	s_delay_alu instid0(VALU_DEP_2)
	v_mov_b32_e32 v101, v109
	scratch_store_b64 off, v[100:101], off offset:128
.LBB111_630:
	s_wait_xcnt 0x0
	s_or_b32 exec_lo, exec_lo, s0
	scratch_load_b64 v[100:101], off, off offset:136
	s_mov_b32 s0, exec_lo
	s_wait_loadcnt 0x0
	ds_store_b64 v1, v[100:101]
	s_wait_storecnt_dscnt 0x0
	s_barrier_signal -1
	s_barrier_wait -1
	s_wait_xcnt 0x0
	v_cmpx_gt_u32_e32 17, v0
	s_cbranch_execz .LBB111_640
; %bb.631:
	v_cmp_ne_u32_e32 vcc_lo, 1, v102
	s_cbranch_vccnz .LBB111_633
; %bb.632:
	scratch_load_b64 v[100:101], v59, off
	ds_load_b64 v[104:105], v1
	s_wait_loadcnt_dscnt 0x0
	v_pk_mul_f32 v[106:107], v[104:105], v[100:101] op_sel:[1,1] op_sel_hi:[0,1]
	s_delay_alu instid0(VALU_DEP_1) | instskip(SKIP_1) | instid1(VALU_DEP_2)
	v_pk_fma_f32 v[108:109], v[104:105], v[100:101], v[106:107] op_sel_hi:[1,0,1]
	v_pk_fma_f32 v[100:101], v[104:105], v[100:101], v[106:107] neg_lo:[0,0,1] neg_hi:[0,0,1]
	v_mov_b32_e32 v101, v109
	s_cbranch_execz .LBB111_634
	s_branch .LBB111_635
.LBB111_633:
                                        ; implicit-def: $vgpr100_vgpr101
.LBB111_634:
	ds_load_b64 v[100:101], v1
.LBB111_635:
	s_mov_b32 s2, exec_lo
	v_cmpx_ne_u32_e32 16, v0
	s_cbranch_execz .LBB111_639
; %bb.636:
	v_add_nc_u32_e32 v103, 0x188, v58
	v_add3_u32 v104, 0, v58, 8
	v_mov_b32_e32 v105, v0
	s_mov_b32 s3, 0
.LBB111_637:                            ; =>This Inner Loop Header: Depth=1
	scratch_load_b64 v[106:107], v104, off
	ds_load_b64 v[108:109], v103
	s_wait_xcnt 0x0
	v_dual_add_nc_u32 v103, 8, v103 :: v_dual_add_nc_u32 v104, 8, v104
	s_wait_loadcnt_dscnt 0x0
	v_pk_mul_f32 v[110:111], v[108:109], v[106:107] op_sel:[1,1] op_sel_hi:[0,1]
	s_delay_alu instid0(VALU_DEP_1) | instskip(SKIP_2) | instid1(VALU_DEP_3)
	v_pk_fma_f32 v[112:113], v[108:109], v[106:107], v[110:111] op_sel_hi:[1,0,1]
	v_add_nc_u32_e32 v105, 1, v105
	v_pk_fma_f32 v[106:107], v[108:109], v[106:107], v[110:111] neg_lo:[0,0,1] neg_hi:[0,0,1]
	v_mov_b32_e32 v107, v113
	s_delay_alu instid0(VALU_DEP_3) | instskip(NEXT) | instid1(VALU_DEP_2)
	v_cmp_lt_u32_e32 vcc_lo, 15, v105
	v_pk_add_f32 v[100:101], v[100:101], v[106:107]
	s_or_b32 s3, vcc_lo, s3
	s_delay_alu instid0(SALU_CYCLE_1)
	s_and_not1_b32 exec_lo, exec_lo, s3
	s_cbranch_execnz .LBB111_637
; %bb.638:
	s_or_b32 exec_lo, exec_lo, s3
.LBB111_639:
	s_delay_alu instid0(SALU_CYCLE_1) | instskip(SKIP_4) | instid1(VALU_DEP_1)
	s_or_b32 exec_lo, exec_lo, s2
	v_mov_b32_e32 v103, 0
	ds_load_b64 v[104:105], v103 offset:136
	s_wait_dscnt 0x0
	v_pk_mul_f32 v[106:107], v[100:101], v[104:105] op_sel:[1,1] op_sel_hi:[0,1]
	v_pk_fma_f32 v[108:109], v[100:101], v[104:105], v[106:107] op_sel_hi:[1,0,1]
	v_pk_fma_f32 v[100:101], v[100:101], v[104:105], v[106:107] neg_lo:[0,0,1] neg_hi:[0,0,1]
	s_delay_alu instid0(VALU_DEP_2)
	v_mov_b32_e32 v101, v109
	scratch_store_b64 off, v[100:101], off offset:136
.LBB111_640:
	s_wait_xcnt 0x0
	s_or_b32 exec_lo, exec_lo, s0
	scratch_load_b64 v[100:101], off, off offset:144
	s_mov_b32 s0, exec_lo
	s_wait_loadcnt 0x0
	ds_store_b64 v1, v[100:101]
	s_wait_storecnt_dscnt 0x0
	s_barrier_signal -1
	s_barrier_wait -1
	s_wait_xcnt 0x0
	v_cmpx_gt_u32_e32 18, v0
	s_cbranch_execz .LBB111_650
; %bb.641:
	v_cmp_ne_u32_e32 vcc_lo, 1, v102
	s_cbranch_vccnz .LBB111_643
; %bb.642:
	scratch_load_b64 v[100:101], v59, off
	ds_load_b64 v[104:105], v1
	s_wait_loadcnt_dscnt 0x0
	v_pk_mul_f32 v[106:107], v[104:105], v[100:101] op_sel:[1,1] op_sel_hi:[0,1]
	s_delay_alu instid0(VALU_DEP_1) | instskip(SKIP_1) | instid1(VALU_DEP_2)
	v_pk_fma_f32 v[108:109], v[104:105], v[100:101], v[106:107] op_sel_hi:[1,0,1]
	v_pk_fma_f32 v[100:101], v[104:105], v[100:101], v[106:107] neg_lo:[0,0,1] neg_hi:[0,0,1]
	v_mov_b32_e32 v101, v109
	s_cbranch_execz .LBB111_644
	s_branch .LBB111_645
.LBB111_643:
                                        ; implicit-def: $vgpr100_vgpr101
.LBB111_644:
	ds_load_b64 v[100:101], v1
.LBB111_645:
	s_mov_b32 s2, exec_lo
	v_cmpx_ne_u32_e32 17, v0
	s_cbranch_execz .LBB111_649
; %bb.646:
	v_add_nc_u32_e32 v103, 0x188, v58
	v_add3_u32 v104, 0, v58, 8
	v_mov_b32_e32 v105, v0
	s_mov_b32 s3, 0
.LBB111_647:                            ; =>This Inner Loop Header: Depth=1
	scratch_load_b64 v[106:107], v104, off
	ds_load_b64 v[108:109], v103
	s_wait_xcnt 0x0
	v_dual_add_nc_u32 v103, 8, v103 :: v_dual_add_nc_u32 v104, 8, v104
	s_wait_loadcnt_dscnt 0x0
	v_pk_mul_f32 v[110:111], v[108:109], v[106:107] op_sel:[1,1] op_sel_hi:[0,1]
	s_delay_alu instid0(VALU_DEP_1) | instskip(SKIP_2) | instid1(VALU_DEP_3)
	v_pk_fma_f32 v[112:113], v[108:109], v[106:107], v[110:111] op_sel_hi:[1,0,1]
	v_add_nc_u32_e32 v105, 1, v105
	v_pk_fma_f32 v[106:107], v[108:109], v[106:107], v[110:111] neg_lo:[0,0,1] neg_hi:[0,0,1]
	v_mov_b32_e32 v107, v113
	s_delay_alu instid0(VALU_DEP_3) | instskip(NEXT) | instid1(VALU_DEP_2)
	v_cmp_lt_u32_e32 vcc_lo, 16, v105
	v_pk_add_f32 v[100:101], v[100:101], v[106:107]
	s_or_b32 s3, vcc_lo, s3
	s_delay_alu instid0(SALU_CYCLE_1)
	s_and_not1_b32 exec_lo, exec_lo, s3
	s_cbranch_execnz .LBB111_647
; %bb.648:
	s_or_b32 exec_lo, exec_lo, s3
.LBB111_649:
	s_delay_alu instid0(SALU_CYCLE_1) | instskip(SKIP_4) | instid1(VALU_DEP_1)
	s_or_b32 exec_lo, exec_lo, s2
	v_mov_b32_e32 v103, 0
	ds_load_b64 v[104:105], v103 offset:144
	s_wait_dscnt 0x0
	v_pk_mul_f32 v[106:107], v[100:101], v[104:105] op_sel:[1,1] op_sel_hi:[0,1]
	v_pk_fma_f32 v[108:109], v[100:101], v[104:105], v[106:107] op_sel_hi:[1,0,1]
	v_pk_fma_f32 v[100:101], v[100:101], v[104:105], v[106:107] neg_lo:[0,0,1] neg_hi:[0,0,1]
	s_delay_alu instid0(VALU_DEP_2)
	v_mov_b32_e32 v101, v109
	scratch_store_b64 off, v[100:101], off offset:144
.LBB111_650:
	s_wait_xcnt 0x0
	s_or_b32 exec_lo, exec_lo, s0
	scratch_load_b64 v[100:101], off, off offset:152
	s_mov_b32 s0, exec_lo
	s_wait_loadcnt 0x0
	ds_store_b64 v1, v[100:101]
	s_wait_storecnt_dscnt 0x0
	s_barrier_signal -1
	s_barrier_wait -1
	s_wait_xcnt 0x0
	v_cmpx_gt_u32_e32 19, v0
	s_cbranch_execz .LBB111_660
; %bb.651:
	v_cmp_ne_u32_e32 vcc_lo, 1, v102
	s_cbranch_vccnz .LBB111_653
; %bb.652:
	scratch_load_b64 v[100:101], v59, off
	ds_load_b64 v[104:105], v1
	s_wait_loadcnt_dscnt 0x0
	v_pk_mul_f32 v[106:107], v[104:105], v[100:101] op_sel:[1,1] op_sel_hi:[0,1]
	s_delay_alu instid0(VALU_DEP_1) | instskip(SKIP_1) | instid1(VALU_DEP_2)
	v_pk_fma_f32 v[108:109], v[104:105], v[100:101], v[106:107] op_sel_hi:[1,0,1]
	v_pk_fma_f32 v[100:101], v[104:105], v[100:101], v[106:107] neg_lo:[0,0,1] neg_hi:[0,0,1]
	v_mov_b32_e32 v101, v109
	s_cbranch_execz .LBB111_654
	s_branch .LBB111_655
.LBB111_653:
                                        ; implicit-def: $vgpr100_vgpr101
.LBB111_654:
	ds_load_b64 v[100:101], v1
.LBB111_655:
	s_mov_b32 s2, exec_lo
	v_cmpx_ne_u32_e32 18, v0
	s_cbranch_execz .LBB111_659
; %bb.656:
	v_add_nc_u32_e32 v103, 0x188, v58
	v_add3_u32 v104, 0, v58, 8
	v_mov_b32_e32 v105, v0
	s_mov_b32 s3, 0
.LBB111_657:                            ; =>This Inner Loop Header: Depth=1
	scratch_load_b64 v[106:107], v104, off
	ds_load_b64 v[108:109], v103
	s_wait_xcnt 0x0
	v_dual_add_nc_u32 v103, 8, v103 :: v_dual_add_nc_u32 v104, 8, v104
	s_wait_loadcnt_dscnt 0x0
	v_pk_mul_f32 v[110:111], v[108:109], v[106:107] op_sel:[1,1] op_sel_hi:[0,1]
	s_delay_alu instid0(VALU_DEP_1) | instskip(SKIP_2) | instid1(VALU_DEP_3)
	v_pk_fma_f32 v[112:113], v[108:109], v[106:107], v[110:111] op_sel_hi:[1,0,1]
	v_add_nc_u32_e32 v105, 1, v105
	v_pk_fma_f32 v[106:107], v[108:109], v[106:107], v[110:111] neg_lo:[0,0,1] neg_hi:[0,0,1]
	v_mov_b32_e32 v107, v113
	s_delay_alu instid0(VALU_DEP_3) | instskip(NEXT) | instid1(VALU_DEP_2)
	v_cmp_lt_u32_e32 vcc_lo, 17, v105
	v_pk_add_f32 v[100:101], v[100:101], v[106:107]
	s_or_b32 s3, vcc_lo, s3
	s_delay_alu instid0(SALU_CYCLE_1)
	s_and_not1_b32 exec_lo, exec_lo, s3
	s_cbranch_execnz .LBB111_657
; %bb.658:
	s_or_b32 exec_lo, exec_lo, s3
.LBB111_659:
	s_delay_alu instid0(SALU_CYCLE_1) | instskip(SKIP_4) | instid1(VALU_DEP_1)
	s_or_b32 exec_lo, exec_lo, s2
	v_mov_b32_e32 v103, 0
	ds_load_b64 v[104:105], v103 offset:152
	s_wait_dscnt 0x0
	v_pk_mul_f32 v[106:107], v[100:101], v[104:105] op_sel:[1,1] op_sel_hi:[0,1]
	v_pk_fma_f32 v[108:109], v[100:101], v[104:105], v[106:107] op_sel_hi:[1,0,1]
	v_pk_fma_f32 v[100:101], v[100:101], v[104:105], v[106:107] neg_lo:[0,0,1] neg_hi:[0,0,1]
	s_delay_alu instid0(VALU_DEP_2)
	v_mov_b32_e32 v101, v109
	scratch_store_b64 off, v[100:101], off offset:152
.LBB111_660:
	s_wait_xcnt 0x0
	s_or_b32 exec_lo, exec_lo, s0
	scratch_load_b64 v[100:101], off, off offset:160
	s_mov_b32 s0, exec_lo
	s_wait_loadcnt 0x0
	ds_store_b64 v1, v[100:101]
	s_wait_storecnt_dscnt 0x0
	s_barrier_signal -1
	s_barrier_wait -1
	s_wait_xcnt 0x0
	v_cmpx_gt_u32_e32 20, v0
	s_cbranch_execz .LBB111_670
; %bb.661:
	v_cmp_ne_u32_e32 vcc_lo, 1, v102
	s_cbranch_vccnz .LBB111_663
; %bb.662:
	scratch_load_b64 v[100:101], v59, off
	ds_load_b64 v[104:105], v1
	s_wait_loadcnt_dscnt 0x0
	v_pk_mul_f32 v[106:107], v[104:105], v[100:101] op_sel:[1,1] op_sel_hi:[0,1]
	s_delay_alu instid0(VALU_DEP_1) | instskip(SKIP_1) | instid1(VALU_DEP_2)
	v_pk_fma_f32 v[108:109], v[104:105], v[100:101], v[106:107] op_sel_hi:[1,0,1]
	v_pk_fma_f32 v[100:101], v[104:105], v[100:101], v[106:107] neg_lo:[0,0,1] neg_hi:[0,0,1]
	v_mov_b32_e32 v101, v109
	s_cbranch_execz .LBB111_664
	s_branch .LBB111_665
.LBB111_663:
                                        ; implicit-def: $vgpr100_vgpr101
.LBB111_664:
	ds_load_b64 v[100:101], v1
.LBB111_665:
	s_mov_b32 s2, exec_lo
	v_cmpx_ne_u32_e32 19, v0
	s_cbranch_execz .LBB111_669
; %bb.666:
	v_add_nc_u32_e32 v103, 0x188, v58
	v_add3_u32 v104, 0, v58, 8
	v_mov_b32_e32 v105, v0
	s_mov_b32 s3, 0
.LBB111_667:                            ; =>This Inner Loop Header: Depth=1
	scratch_load_b64 v[106:107], v104, off
	ds_load_b64 v[108:109], v103
	s_wait_xcnt 0x0
	v_dual_add_nc_u32 v103, 8, v103 :: v_dual_add_nc_u32 v104, 8, v104
	s_wait_loadcnt_dscnt 0x0
	v_pk_mul_f32 v[110:111], v[108:109], v[106:107] op_sel:[1,1] op_sel_hi:[0,1]
	s_delay_alu instid0(VALU_DEP_1) | instskip(SKIP_2) | instid1(VALU_DEP_3)
	v_pk_fma_f32 v[112:113], v[108:109], v[106:107], v[110:111] op_sel_hi:[1,0,1]
	v_add_nc_u32_e32 v105, 1, v105
	v_pk_fma_f32 v[106:107], v[108:109], v[106:107], v[110:111] neg_lo:[0,0,1] neg_hi:[0,0,1]
	v_mov_b32_e32 v107, v113
	s_delay_alu instid0(VALU_DEP_3) | instskip(NEXT) | instid1(VALU_DEP_2)
	v_cmp_lt_u32_e32 vcc_lo, 18, v105
	v_pk_add_f32 v[100:101], v[100:101], v[106:107]
	s_or_b32 s3, vcc_lo, s3
	s_delay_alu instid0(SALU_CYCLE_1)
	s_and_not1_b32 exec_lo, exec_lo, s3
	s_cbranch_execnz .LBB111_667
; %bb.668:
	s_or_b32 exec_lo, exec_lo, s3
.LBB111_669:
	s_delay_alu instid0(SALU_CYCLE_1) | instskip(SKIP_4) | instid1(VALU_DEP_1)
	s_or_b32 exec_lo, exec_lo, s2
	v_mov_b32_e32 v103, 0
	ds_load_b64 v[104:105], v103 offset:160
	s_wait_dscnt 0x0
	v_pk_mul_f32 v[106:107], v[100:101], v[104:105] op_sel:[1,1] op_sel_hi:[0,1]
	v_pk_fma_f32 v[108:109], v[100:101], v[104:105], v[106:107] op_sel_hi:[1,0,1]
	v_pk_fma_f32 v[100:101], v[100:101], v[104:105], v[106:107] neg_lo:[0,0,1] neg_hi:[0,0,1]
	s_delay_alu instid0(VALU_DEP_2)
	v_mov_b32_e32 v101, v109
	scratch_store_b64 off, v[100:101], off offset:160
.LBB111_670:
	s_wait_xcnt 0x0
	s_or_b32 exec_lo, exec_lo, s0
	scratch_load_b64 v[100:101], off, off offset:168
	s_mov_b32 s0, exec_lo
	s_wait_loadcnt 0x0
	ds_store_b64 v1, v[100:101]
	s_wait_storecnt_dscnt 0x0
	s_barrier_signal -1
	s_barrier_wait -1
	s_wait_xcnt 0x0
	v_cmpx_gt_u32_e32 21, v0
	s_cbranch_execz .LBB111_680
; %bb.671:
	v_cmp_ne_u32_e32 vcc_lo, 1, v102
	s_cbranch_vccnz .LBB111_673
; %bb.672:
	scratch_load_b64 v[100:101], v59, off
	ds_load_b64 v[104:105], v1
	s_wait_loadcnt_dscnt 0x0
	v_pk_mul_f32 v[106:107], v[104:105], v[100:101] op_sel:[1,1] op_sel_hi:[0,1]
	s_delay_alu instid0(VALU_DEP_1) | instskip(SKIP_1) | instid1(VALU_DEP_2)
	v_pk_fma_f32 v[108:109], v[104:105], v[100:101], v[106:107] op_sel_hi:[1,0,1]
	v_pk_fma_f32 v[100:101], v[104:105], v[100:101], v[106:107] neg_lo:[0,0,1] neg_hi:[0,0,1]
	v_mov_b32_e32 v101, v109
	s_cbranch_execz .LBB111_674
	s_branch .LBB111_675
.LBB111_673:
                                        ; implicit-def: $vgpr100_vgpr101
.LBB111_674:
	ds_load_b64 v[100:101], v1
.LBB111_675:
	s_mov_b32 s2, exec_lo
	v_cmpx_ne_u32_e32 20, v0
	s_cbranch_execz .LBB111_679
; %bb.676:
	v_add_nc_u32_e32 v103, 0x188, v58
	v_add3_u32 v104, 0, v58, 8
	v_mov_b32_e32 v105, v0
	s_mov_b32 s3, 0
.LBB111_677:                            ; =>This Inner Loop Header: Depth=1
	scratch_load_b64 v[106:107], v104, off
	ds_load_b64 v[108:109], v103
	s_wait_xcnt 0x0
	v_dual_add_nc_u32 v103, 8, v103 :: v_dual_add_nc_u32 v104, 8, v104
	s_wait_loadcnt_dscnt 0x0
	v_pk_mul_f32 v[110:111], v[108:109], v[106:107] op_sel:[1,1] op_sel_hi:[0,1]
	s_delay_alu instid0(VALU_DEP_1) | instskip(SKIP_2) | instid1(VALU_DEP_3)
	v_pk_fma_f32 v[112:113], v[108:109], v[106:107], v[110:111] op_sel_hi:[1,0,1]
	v_add_nc_u32_e32 v105, 1, v105
	v_pk_fma_f32 v[106:107], v[108:109], v[106:107], v[110:111] neg_lo:[0,0,1] neg_hi:[0,0,1]
	v_mov_b32_e32 v107, v113
	s_delay_alu instid0(VALU_DEP_3) | instskip(NEXT) | instid1(VALU_DEP_2)
	v_cmp_lt_u32_e32 vcc_lo, 19, v105
	v_pk_add_f32 v[100:101], v[100:101], v[106:107]
	s_or_b32 s3, vcc_lo, s3
	s_delay_alu instid0(SALU_CYCLE_1)
	s_and_not1_b32 exec_lo, exec_lo, s3
	s_cbranch_execnz .LBB111_677
; %bb.678:
	s_or_b32 exec_lo, exec_lo, s3
.LBB111_679:
	s_delay_alu instid0(SALU_CYCLE_1) | instskip(SKIP_4) | instid1(VALU_DEP_1)
	s_or_b32 exec_lo, exec_lo, s2
	v_mov_b32_e32 v103, 0
	ds_load_b64 v[104:105], v103 offset:168
	s_wait_dscnt 0x0
	v_pk_mul_f32 v[106:107], v[100:101], v[104:105] op_sel:[1,1] op_sel_hi:[0,1]
	v_pk_fma_f32 v[108:109], v[100:101], v[104:105], v[106:107] op_sel_hi:[1,0,1]
	v_pk_fma_f32 v[100:101], v[100:101], v[104:105], v[106:107] neg_lo:[0,0,1] neg_hi:[0,0,1]
	s_delay_alu instid0(VALU_DEP_2)
	v_mov_b32_e32 v101, v109
	scratch_store_b64 off, v[100:101], off offset:168
.LBB111_680:
	s_wait_xcnt 0x0
	s_or_b32 exec_lo, exec_lo, s0
	scratch_load_b64 v[100:101], off, off offset:176
	s_mov_b32 s0, exec_lo
	s_wait_loadcnt 0x0
	ds_store_b64 v1, v[100:101]
	s_wait_storecnt_dscnt 0x0
	s_barrier_signal -1
	s_barrier_wait -1
	s_wait_xcnt 0x0
	v_cmpx_gt_u32_e32 22, v0
	s_cbranch_execz .LBB111_690
; %bb.681:
	v_cmp_ne_u32_e32 vcc_lo, 1, v102
	s_cbranch_vccnz .LBB111_683
; %bb.682:
	scratch_load_b64 v[100:101], v59, off
	ds_load_b64 v[104:105], v1
	s_wait_loadcnt_dscnt 0x0
	v_pk_mul_f32 v[106:107], v[104:105], v[100:101] op_sel:[1,1] op_sel_hi:[0,1]
	s_delay_alu instid0(VALU_DEP_1) | instskip(SKIP_1) | instid1(VALU_DEP_2)
	v_pk_fma_f32 v[108:109], v[104:105], v[100:101], v[106:107] op_sel_hi:[1,0,1]
	v_pk_fma_f32 v[100:101], v[104:105], v[100:101], v[106:107] neg_lo:[0,0,1] neg_hi:[0,0,1]
	v_mov_b32_e32 v101, v109
	s_cbranch_execz .LBB111_684
	s_branch .LBB111_685
.LBB111_683:
                                        ; implicit-def: $vgpr100_vgpr101
.LBB111_684:
	ds_load_b64 v[100:101], v1
.LBB111_685:
	s_mov_b32 s2, exec_lo
	v_cmpx_ne_u32_e32 21, v0
	s_cbranch_execz .LBB111_689
; %bb.686:
	v_add_nc_u32_e32 v103, 0x188, v58
	v_add3_u32 v104, 0, v58, 8
	v_mov_b32_e32 v105, v0
	s_mov_b32 s3, 0
.LBB111_687:                            ; =>This Inner Loop Header: Depth=1
	scratch_load_b64 v[106:107], v104, off
	ds_load_b64 v[108:109], v103
	s_wait_xcnt 0x0
	v_dual_add_nc_u32 v103, 8, v103 :: v_dual_add_nc_u32 v104, 8, v104
	s_wait_loadcnt_dscnt 0x0
	v_pk_mul_f32 v[110:111], v[108:109], v[106:107] op_sel:[1,1] op_sel_hi:[0,1]
	s_delay_alu instid0(VALU_DEP_1) | instskip(SKIP_2) | instid1(VALU_DEP_3)
	v_pk_fma_f32 v[112:113], v[108:109], v[106:107], v[110:111] op_sel_hi:[1,0,1]
	v_add_nc_u32_e32 v105, 1, v105
	v_pk_fma_f32 v[106:107], v[108:109], v[106:107], v[110:111] neg_lo:[0,0,1] neg_hi:[0,0,1]
	v_mov_b32_e32 v107, v113
	s_delay_alu instid0(VALU_DEP_3) | instskip(NEXT) | instid1(VALU_DEP_2)
	v_cmp_lt_u32_e32 vcc_lo, 20, v105
	v_pk_add_f32 v[100:101], v[100:101], v[106:107]
	s_or_b32 s3, vcc_lo, s3
	s_delay_alu instid0(SALU_CYCLE_1)
	s_and_not1_b32 exec_lo, exec_lo, s3
	s_cbranch_execnz .LBB111_687
; %bb.688:
	s_or_b32 exec_lo, exec_lo, s3
.LBB111_689:
	s_delay_alu instid0(SALU_CYCLE_1) | instskip(SKIP_4) | instid1(VALU_DEP_1)
	s_or_b32 exec_lo, exec_lo, s2
	v_mov_b32_e32 v103, 0
	ds_load_b64 v[104:105], v103 offset:176
	s_wait_dscnt 0x0
	v_pk_mul_f32 v[106:107], v[100:101], v[104:105] op_sel:[1,1] op_sel_hi:[0,1]
	v_pk_fma_f32 v[108:109], v[100:101], v[104:105], v[106:107] op_sel_hi:[1,0,1]
	v_pk_fma_f32 v[100:101], v[100:101], v[104:105], v[106:107] neg_lo:[0,0,1] neg_hi:[0,0,1]
	s_delay_alu instid0(VALU_DEP_2)
	v_mov_b32_e32 v101, v109
	scratch_store_b64 off, v[100:101], off offset:176
.LBB111_690:
	s_wait_xcnt 0x0
	s_or_b32 exec_lo, exec_lo, s0
	scratch_load_b64 v[100:101], off, off offset:184
	s_mov_b32 s0, exec_lo
	s_wait_loadcnt 0x0
	ds_store_b64 v1, v[100:101]
	s_wait_storecnt_dscnt 0x0
	s_barrier_signal -1
	s_barrier_wait -1
	s_wait_xcnt 0x0
	v_cmpx_gt_u32_e32 23, v0
	s_cbranch_execz .LBB111_700
; %bb.691:
	v_cmp_ne_u32_e32 vcc_lo, 1, v102
	s_cbranch_vccnz .LBB111_693
; %bb.692:
	scratch_load_b64 v[100:101], v59, off
	ds_load_b64 v[104:105], v1
	s_wait_loadcnt_dscnt 0x0
	v_pk_mul_f32 v[106:107], v[104:105], v[100:101] op_sel:[1,1] op_sel_hi:[0,1]
	s_delay_alu instid0(VALU_DEP_1) | instskip(SKIP_1) | instid1(VALU_DEP_2)
	v_pk_fma_f32 v[108:109], v[104:105], v[100:101], v[106:107] op_sel_hi:[1,0,1]
	v_pk_fma_f32 v[100:101], v[104:105], v[100:101], v[106:107] neg_lo:[0,0,1] neg_hi:[0,0,1]
	v_mov_b32_e32 v101, v109
	s_cbranch_execz .LBB111_694
	s_branch .LBB111_695
.LBB111_693:
                                        ; implicit-def: $vgpr100_vgpr101
.LBB111_694:
	ds_load_b64 v[100:101], v1
.LBB111_695:
	s_mov_b32 s2, exec_lo
	v_cmpx_ne_u32_e32 22, v0
	s_cbranch_execz .LBB111_699
; %bb.696:
	v_add_nc_u32_e32 v103, 0x188, v58
	v_add3_u32 v104, 0, v58, 8
	v_mov_b32_e32 v105, v0
	s_mov_b32 s3, 0
.LBB111_697:                            ; =>This Inner Loop Header: Depth=1
	scratch_load_b64 v[106:107], v104, off
	ds_load_b64 v[108:109], v103
	s_wait_xcnt 0x0
	v_dual_add_nc_u32 v103, 8, v103 :: v_dual_add_nc_u32 v104, 8, v104
	s_wait_loadcnt_dscnt 0x0
	v_pk_mul_f32 v[110:111], v[108:109], v[106:107] op_sel:[1,1] op_sel_hi:[0,1]
	s_delay_alu instid0(VALU_DEP_1) | instskip(SKIP_2) | instid1(VALU_DEP_3)
	v_pk_fma_f32 v[112:113], v[108:109], v[106:107], v[110:111] op_sel_hi:[1,0,1]
	v_add_nc_u32_e32 v105, 1, v105
	v_pk_fma_f32 v[106:107], v[108:109], v[106:107], v[110:111] neg_lo:[0,0,1] neg_hi:[0,0,1]
	v_mov_b32_e32 v107, v113
	s_delay_alu instid0(VALU_DEP_3) | instskip(NEXT) | instid1(VALU_DEP_2)
	v_cmp_lt_u32_e32 vcc_lo, 21, v105
	v_pk_add_f32 v[100:101], v[100:101], v[106:107]
	s_or_b32 s3, vcc_lo, s3
	s_delay_alu instid0(SALU_CYCLE_1)
	s_and_not1_b32 exec_lo, exec_lo, s3
	s_cbranch_execnz .LBB111_697
; %bb.698:
	s_or_b32 exec_lo, exec_lo, s3
.LBB111_699:
	s_delay_alu instid0(SALU_CYCLE_1) | instskip(SKIP_4) | instid1(VALU_DEP_1)
	s_or_b32 exec_lo, exec_lo, s2
	v_mov_b32_e32 v103, 0
	ds_load_b64 v[104:105], v103 offset:184
	s_wait_dscnt 0x0
	v_pk_mul_f32 v[106:107], v[100:101], v[104:105] op_sel:[1,1] op_sel_hi:[0,1]
	v_pk_fma_f32 v[108:109], v[100:101], v[104:105], v[106:107] op_sel_hi:[1,0,1]
	v_pk_fma_f32 v[100:101], v[100:101], v[104:105], v[106:107] neg_lo:[0,0,1] neg_hi:[0,0,1]
	s_delay_alu instid0(VALU_DEP_2)
	v_mov_b32_e32 v101, v109
	scratch_store_b64 off, v[100:101], off offset:184
.LBB111_700:
	s_wait_xcnt 0x0
	s_or_b32 exec_lo, exec_lo, s0
	scratch_load_b64 v[100:101], off, off offset:192
	s_mov_b32 s0, exec_lo
	s_wait_loadcnt 0x0
	ds_store_b64 v1, v[100:101]
	s_wait_storecnt_dscnt 0x0
	s_barrier_signal -1
	s_barrier_wait -1
	s_wait_xcnt 0x0
	v_cmpx_gt_u32_e32 24, v0
	s_cbranch_execz .LBB111_710
; %bb.701:
	v_cmp_ne_u32_e32 vcc_lo, 1, v102
	s_cbranch_vccnz .LBB111_703
; %bb.702:
	scratch_load_b64 v[100:101], v59, off
	ds_load_b64 v[104:105], v1
	s_wait_loadcnt_dscnt 0x0
	v_pk_mul_f32 v[106:107], v[104:105], v[100:101] op_sel:[1,1] op_sel_hi:[0,1]
	s_delay_alu instid0(VALU_DEP_1) | instskip(SKIP_1) | instid1(VALU_DEP_2)
	v_pk_fma_f32 v[108:109], v[104:105], v[100:101], v[106:107] op_sel_hi:[1,0,1]
	v_pk_fma_f32 v[100:101], v[104:105], v[100:101], v[106:107] neg_lo:[0,0,1] neg_hi:[0,0,1]
	v_mov_b32_e32 v101, v109
	s_cbranch_execz .LBB111_704
	s_branch .LBB111_705
.LBB111_703:
                                        ; implicit-def: $vgpr100_vgpr101
.LBB111_704:
	ds_load_b64 v[100:101], v1
.LBB111_705:
	s_mov_b32 s2, exec_lo
	v_cmpx_ne_u32_e32 23, v0
	s_cbranch_execz .LBB111_709
; %bb.706:
	v_add_nc_u32_e32 v103, 0x188, v58
	v_add3_u32 v104, 0, v58, 8
	v_mov_b32_e32 v105, v0
	s_mov_b32 s3, 0
.LBB111_707:                            ; =>This Inner Loop Header: Depth=1
	scratch_load_b64 v[106:107], v104, off
	ds_load_b64 v[108:109], v103
	s_wait_xcnt 0x0
	v_dual_add_nc_u32 v103, 8, v103 :: v_dual_add_nc_u32 v104, 8, v104
	s_wait_loadcnt_dscnt 0x0
	v_pk_mul_f32 v[110:111], v[108:109], v[106:107] op_sel:[1,1] op_sel_hi:[0,1]
	s_delay_alu instid0(VALU_DEP_1) | instskip(SKIP_2) | instid1(VALU_DEP_3)
	v_pk_fma_f32 v[112:113], v[108:109], v[106:107], v[110:111] op_sel_hi:[1,0,1]
	v_add_nc_u32_e32 v105, 1, v105
	v_pk_fma_f32 v[106:107], v[108:109], v[106:107], v[110:111] neg_lo:[0,0,1] neg_hi:[0,0,1]
	v_mov_b32_e32 v107, v113
	s_delay_alu instid0(VALU_DEP_3) | instskip(NEXT) | instid1(VALU_DEP_2)
	v_cmp_lt_u32_e32 vcc_lo, 22, v105
	v_pk_add_f32 v[100:101], v[100:101], v[106:107]
	s_or_b32 s3, vcc_lo, s3
	s_delay_alu instid0(SALU_CYCLE_1)
	s_and_not1_b32 exec_lo, exec_lo, s3
	s_cbranch_execnz .LBB111_707
; %bb.708:
	s_or_b32 exec_lo, exec_lo, s3
.LBB111_709:
	s_delay_alu instid0(SALU_CYCLE_1) | instskip(SKIP_4) | instid1(VALU_DEP_1)
	s_or_b32 exec_lo, exec_lo, s2
	v_mov_b32_e32 v103, 0
	ds_load_b64 v[104:105], v103 offset:192
	s_wait_dscnt 0x0
	v_pk_mul_f32 v[106:107], v[100:101], v[104:105] op_sel:[1,1] op_sel_hi:[0,1]
	v_pk_fma_f32 v[108:109], v[100:101], v[104:105], v[106:107] op_sel_hi:[1,0,1]
	v_pk_fma_f32 v[100:101], v[100:101], v[104:105], v[106:107] neg_lo:[0,0,1] neg_hi:[0,0,1]
	s_delay_alu instid0(VALU_DEP_2)
	v_mov_b32_e32 v101, v109
	scratch_store_b64 off, v[100:101], off offset:192
.LBB111_710:
	s_wait_xcnt 0x0
	s_or_b32 exec_lo, exec_lo, s0
	scratch_load_b64 v[100:101], off, off offset:200
	s_mov_b32 s0, exec_lo
	s_wait_loadcnt 0x0
	ds_store_b64 v1, v[100:101]
	s_wait_storecnt_dscnt 0x0
	s_barrier_signal -1
	s_barrier_wait -1
	s_wait_xcnt 0x0
	v_cmpx_gt_u32_e32 25, v0
	s_cbranch_execz .LBB111_720
; %bb.711:
	v_cmp_ne_u32_e32 vcc_lo, 1, v102
	s_cbranch_vccnz .LBB111_713
; %bb.712:
	scratch_load_b64 v[100:101], v59, off
	ds_load_b64 v[104:105], v1
	s_wait_loadcnt_dscnt 0x0
	v_pk_mul_f32 v[106:107], v[104:105], v[100:101] op_sel:[1,1] op_sel_hi:[0,1]
	s_delay_alu instid0(VALU_DEP_1) | instskip(SKIP_1) | instid1(VALU_DEP_2)
	v_pk_fma_f32 v[108:109], v[104:105], v[100:101], v[106:107] op_sel_hi:[1,0,1]
	v_pk_fma_f32 v[100:101], v[104:105], v[100:101], v[106:107] neg_lo:[0,0,1] neg_hi:[0,0,1]
	v_mov_b32_e32 v101, v109
	s_cbranch_execz .LBB111_714
	s_branch .LBB111_715
.LBB111_713:
                                        ; implicit-def: $vgpr100_vgpr101
.LBB111_714:
	ds_load_b64 v[100:101], v1
.LBB111_715:
	s_mov_b32 s2, exec_lo
	v_cmpx_ne_u32_e32 24, v0
	s_cbranch_execz .LBB111_719
; %bb.716:
	v_add_nc_u32_e32 v103, 0x188, v58
	v_add3_u32 v104, 0, v58, 8
	v_mov_b32_e32 v105, v0
	s_mov_b32 s3, 0
.LBB111_717:                            ; =>This Inner Loop Header: Depth=1
	scratch_load_b64 v[106:107], v104, off
	ds_load_b64 v[108:109], v103
	s_wait_xcnt 0x0
	v_dual_add_nc_u32 v103, 8, v103 :: v_dual_add_nc_u32 v104, 8, v104
	s_wait_loadcnt_dscnt 0x0
	v_pk_mul_f32 v[110:111], v[108:109], v[106:107] op_sel:[1,1] op_sel_hi:[0,1]
	s_delay_alu instid0(VALU_DEP_1) | instskip(SKIP_2) | instid1(VALU_DEP_3)
	v_pk_fma_f32 v[112:113], v[108:109], v[106:107], v[110:111] op_sel_hi:[1,0,1]
	v_add_nc_u32_e32 v105, 1, v105
	v_pk_fma_f32 v[106:107], v[108:109], v[106:107], v[110:111] neg_lo:[0,0,1] neg_hi:[0,0,1]
	v_mov_b32_e32 v107, v113
	s_delay_alu instid0(VALU_DEP_3) | instskip(NEXT) | instid1(VALU_DEP_2)
	v_cmp_lt_u32_e32 vcc_lo, 23, v105
	v_pk_add_f32 v[100:101], v[100:101], v[106:107]
	s_or_b32 s3, vcc_lo, s3
	s_delay_alu instid0(SALU_CYCLE_1)
	s_and_not1_b32 exec_lo, exec_lo, s3
	s_cbranch_execnz .LBB111_717
; %bb.718:
	s_or_b32 exec_lo, exec_lo, s3
.LBB111_719:
	s_delay_alu instid0(SALU_CYCLE_1) | instskip(SKIP_4) | instid1(VALU_DEP_1)
	s_or_b32 exec_lo, exec_lo, s2
	v_mov_b32_e32 v103, 0
	ds_load_b64 v[104:105], v103 offset:200
	s_wait_dscnt 0x0
	v_pk_mul_f32 v[106:107], v[100:101], v[104:105] op_sel:[1,1] op_sel_hi:[0,1]
	v_pk_fma_f32 v[108:109], v[100:101], v[104:105], v[106:107] op_sel_hi:[1,0,1]
	v_pk_fma_f32 v[100:101], v[100:101], v[104:105], v[106:107] neg_lo:[0,0,1] neg_hi:[0,0,1]
	s_delay_alu instid0(VALU_DEP_2)
	v_mov_b32_e32 v101, v109
	scratch_store_b64 off, v[100:101], off offset:200
.LBB111_720:
	s_wait_xcnt 0x0
	s_or_b32 exec_lo, exec_lo, s0
	scratch_load_b64 v[100:101], off, off offset:208
	s_mov_b32 s0, exec_lo
	s_wait_loadcnt 0x0
	ds_store_b64 v1, v[100:101]
	s_wait_storecnt_dscnt 0x0
	s_barrier_signal -1
	s_barrier_wait -1
	s_wait_xcnt 0x0
	v_cmpx_gt_u32_e32 26, v0
	s_cbranch_execz .LBB111_730
; %bb.721:
	v_cmp_ne_u32_e32 vcc_lo, 1, v102
	s_cbranch_vccnz .LBB111_723
; %bb.722:
	scratch_load_b64 v[100:101], v59, off
	ds_load_b64 v[104:105], v1
	s_wait_loadcnt_dscnt 0x0
	v_pk_mul_f32 v[106:107], v[104:105], v[100:101] op_sel:[1,1] op_sel_hi:[0,1]
	s_delay_alu instid0(VALU_DEP_1) | instskip(SKIP_1) | instid1(VALU_DEP_2)
	v_pk_fma_f32 v[108:109], v[104:105], v[100:101], v[106:107] op_sel_hi:[1,0,1]
	v_pk_fma_f32 v[100:101], v[104:105], v[100:101], v[106:107] neg_lo:[0,0,1] neg_hi:[0,0,1]
	v_mov_b32_e32 v101, v109
	s_cbranch_execz .LBB111_724
	s_branch .LBB111_725
.LBB111_723:
                                        ; implicit-def: $vgpr100_vgpr101
.LBB111_724:
	ds_load_b64 v[100:101], v1
.LBB111_725:
	s_mov_b32 s2, exec_lo
	v_cmpx_ne_u32_e32 25, v0
	s_cbranch_execz .LBB111_729
; %bb.726:
	v_add_nc_u32_e32 v103, 0x188, v58
	v_add3_u32 v104, 0, v58, 8
	v_mov_b32_e32 v105, v0
	s_mov_b32 s3, 0
.LBB111_727:                            ; =>This Inner Loop Header: Depth=1
	scratch_load_b64 v[106:107], v104, off
	ds_load_b64 v[108:109], v103
	s_wait_xcnt 0x0
	v_dual_add_nc_u32 v103, 8, v103 :: v_dual_add_nc_u32 v104, 8, v104
	s_wait_loadcnt_dscnt 0x0
	v_pk_mul_f32 v[110:111], v[108:109], v[106:107] op_sel:[1,1] op_sel_hi:[0,1]
	s_delay_alu instid0(VALU_DEP_1) | instskip(SKIP_2) | instid1(VALU_DEP_3)
	v_pk_fma_f32 v[112:113], v[108:109], v[106:107], v[110:111] op_sel_hi:[1,0,1]
	v_add_nc_u32_e32 v105, 1, v105
	v_pk_fma_f32 v[106:107], v[108:109], v[106:107], v[110:111] neg_lo:[0,0,1] neg_hi:[0,0,1]
	v_mov_b32_e32 v107, v113
	s_delay_alu instid0(VALU_DEP_3) | instskip(NEXT) | instid1(VALU_DEP_2)
	v_cmp_lt_u32_e32 vcc_lo, 24, v105
	v_pk_add_f32 v[100:101], v[100:101], v[106:107]
	s_or_b32 s3, vcc_lo, s3
	s_delay_alu instid0(SALU_CYCLE_1)
	s_and_not1_b32 exec_lo, exec_lo, s3
	s_cbranch_execnz .LBB111_727
; %bb.728:
	s_or_b32 exec_lo, exec_lo, s3
.LBB111_729:
	s_delay_alu instid0(SALU_CYCLE_1) | instskip(SKIP_4) | instid1(VALU_DEP_1)
	s_or_b32 exec_lo, exec_lo, s2
	v_mov_b32_e32 v103, 0
	ds_load_b64 v[104:105], v103 offset:208
	s_wait_dscnt 0x0
	v_pk_mul_f32 v[106:107], v[100:101], v[104:105] op_sel:[1,1] op_sel_hi:[0,1]
	v_pk_fma_f32 v[108:109], v[100:101], v[104:105], v[106:107] op_sel_hi:[1,0,1]
	v_pk_fma_f32 v[100:101], v[100:101], v[104:105], v[106:107] neg_lo:[0,0,1] neg_hi:[0,0,1]
	s_delay_alu instid0(VALU_DEP_2)
	v_mov_b32_e32 v101, v109
	scratch_store_b64 off, v[100:101], off offset:208
.LBB111_730:
	s_wait_xcnt 0x0
	s_or_b32 exec_lo, exec_lo, s0
	scratch_load_b64 v[100:101], off, off offset:216
	s_mov_b32 s0, exec_lo
	s_wait_loadcnt 0x0
	ds_store_b64 v1, v[100:101]
	s_wait_storecnt_dscnt 0x0
	s_barrier_signal -1
	s_barrier_wait -1
	s_wait_xcnt 0x0
	v_cmpx_gt_u32_e32 27, v0
	s_cbranch_execz .LBB111_740
; %bb.731:
	v_cmp_ne_u32_e32 vcc_lo, 1, v102
	s_cbranch_vccnz .LBB111_733
; %bb.732:
	scratch_load_b64 v[100:101], v59, off
	ds_load_b64 v[104:105], v1
	s_wait_loadcnt_dscnt 0x0
	v_pk_mul_f32 v[106:107], v[104:105], v[100:101] op_sel:[1,1] op_sel_hi:[0,1]
	s_delay_alu instid0(VALU_DEP_1) | instskip(SKIP_1) | instid1(VALU_DEP_2)
	v_pk_fma_f32 v[108:109], v[104:105], v[100:101], v[106:107] op_sel_hi:[1,0,1]
	v_pk_fma_f32 v[100:101], v[104:105], v[100:101], v[106:107] neg_lo:[0,0,1] neg_hi:[0,0,1]
	v_mov_b32_e32 v101, v109
	s_cbranch_execz .LBB111_734
	s_branch .LBB111_735
.LBB111_733:
                                        ; implicit-def: $vgpr100_vgpr101
.LBB111_734:
	ds_load_b64 v[100:101], v1
.LBB111_735:
	s_mov_b32 s2, exec_lo
	v_cmpx_ne_u32_e32 26, v0
	s_cbranch_execz .LBB111_739
; %bb.736:
	v_add_nc_u32_e32 v103, 0x188, v58
	v_add3_u32 v104, 0, v58, 8
	v_mov_b32_e32 v105, v0
	s_mov_b32 s3, 0
.LBB111_737:                            ; =>This Inner Loop Header: Depth=1
	scratch_load_b64 v[106:107], v104, off
	ds_load_b64 v[108:109], v103
	s_wait_xcnt 0x0
	v_dual_add_nc_u32 v103, 8, v103 :: v_dual_add_nc_u32 v104, 8, v104
	s_wait_loadcnt_dscnt 0x0
	v_pk_mul_f32 v[110:111], v[108:109], v[106:107] op_sel:[1,1] op_sel_hi:[0,1]
	s_delay_alu instid0(VALU_DEP_1) | instskip(SKIP_2) | instid1(VALU_DEP_3)
	v_pk_fma_f32 v[112:113], v[108:109], v[106:107], v[110:111] op_sel_hi:[1,0,1]
	v_add_nc_u32_e32 v105, 1, v105
	v_pk_fma_f32 v[106:107], v[108:109], v[106:107], v[110:111] neg_lo:[0,0,1] neg_hi:[0,0,1]
	v_mov_b32_e32 v107, v113
	s_delay_alu instid0(VALU_DEP_3) | instskip(NEXT) | instid1(VALU_DEP_2)
	v_cmp_lt_u32_e32 vcc_lo, 25, v105
	v_pk_add_f32 v[100:101], v[100:101], v[106:107]
	s_or_b32 s3, vcc_lo, s3
	s_delay_alu instid0(SALU_CYCLE_1)
	s_and_not1_b32 exec_lo, exec_lo, s3
	s_cbranch_execnz .LBB111_737
; %bb.738:
	s_or_b32 exec_lo, exec_lo, s3
.LBB111_739:
	s_delay_alu instid0(SALU_CYCLE_1) | instskip(SKIP_4) | instid1(VALU_DEP_1)
	s_or_b32 exec_lo, exec_lo, s2
	v_mov_b32_e32 v103, 0
	ds_load_b64 v[104:105], v103 offset:216
	s_wait_dscnt 0x0
	v_pk_mul_f32 v[106:107], v[100:101], v[104:105] op_sel:[1,1] op_sel_hi:[0,1]
	v_pk_fma_f32 v[108:109], v[100:101], v[104:105], v[106:107] op_sel_hi:[1,0,1]
	v_pk_fma_f32 v[100:101], v[100:101], v[104:105], v[106:107] neg_lo:[0,0,1] neg_hi:[0,0,1]
	s_delay_alu instid0(VALU_DEP_2)
	v_mov_b32_e32 v101, v109
	scratch_store_b64 off, v[100:101], off offset:216
.LBB111_740:
	s_wait_xcnt 0x0
	s_or_b32 exec_lo, exec_lo, s0
	scratch_load_b64 v[100:101], off, off offset:224
	s_mov_b32 s0, exec_lo
	s_wait_loadcnt 0x0
	ds_store_b64 v1, v[100:101]
	s_wait_storecnt_dscnt 0x0
	s_barrier_signal -1
	s_barrier_wait -1
	s_wait_xcnt 0x0
	v_cmpx_gt_u32_e32 28, v0
	s_cbranch_execz .LBB111_750
; %bb.741:
	v_cmp_ne_u32_e32 vcc_lo, 1, v102
	s_cbranch_vccnz .LBB111_743
; %bb.742:
	scratch_load_b64 v[100:101], v59, off
	ds_load_b64 v[104:105], v1
	s_wait_loadcnt_dscnt 0x0
	v_pk_mul_f32 v[106:107], v[104:105], v[100:101] op_sel:[1,1] op_sel_hi:[0,1]
	s_delay_alu instid0(VALU_DEP_1) | instskip(SKIP_1) | instid1(VALU_DEP_2)
	v_pk_fma_f32 v[108:109], v[104:105], v[100:101], v[106:107] op_sel_hi:[1,0,1]
	v_pk_fma_f32 v[100:101], v[104:105], v[100:101], v[106:107] neg_lo:[0,0,1] neg_hi:[0,0,1]
	v_mov_b32_e32 v101, v109
	s_cbranch_execz .LBB111_744
	s_branch .LBB111_745
.LBB111_743:
                                        ; implicit-def: $vgpr100_vgpr101
.LBB111_744:
	ds_load_b64 v[100:101], v1
.LBB111_745:
	s_mov_b32 s2, exec_lo
	v_cmpx_ne_u32_e32 27, v0
	s_cbranch_execz .LBB111_749
; %bb.746:
	v_add_nc_u32_e32 v103, 0x188, v58
	v_add3_u32 v104, 0, v58, 8
	v_mov_b32_e32 v105, v0
	s_mov_b32 s3, 0
.LBB111_747:                            ; =>This Inner Loop Header: Depth=1
	scratch_load_b64 v[106:107], v104, off
	ds_load_b64 v[108:109], v103
	s_wait_xcnt 0x0
	v_dual_add_nc_u32 v103, 8, v103 :: v_dual_add_nc_u32 v104, 8, v104
	s_wait_loadcnt_dscnt 0x0
	v_pk_mul_f32 v[110:111], v[108:109], v[106:107] op_sel:[1,1] op_sel_hi:[0,1]
	s_delay_alu instid0(VALU_DEP_1) | instskip(SKIP_2) | instid1(VALU_DEP_3)
	v_pk_fma_f32 v[112:113], v[108:109], v[106:107], v[110:111] op_sel_hi:[1,0,1]
	v_add_nc_u32_e32 v105, 1, v105
	v_pk_fma_f32 v[106:107], v[108:109], v[106:107], v[110:111] neg_lo:[0,0,1] neg_hi:[0,0,1]
	v_mov_b32_e32 v107, v113
	s_delay_alu instid0(VALU_DEP_3) | instskip(NEXT) | instid1(VALU_DEP_2)
	v_cmp_lt_u32_e32 vcc_lo, 26, v105
	v_pk_add_f32 v[100:101], v[100:101], v[106:107]
	s_or_b32 s3, vcc_lo, s3
	s_delay_alu instid0(SALU_CYCLE_1)
	s_and_not1_b32 exec_lo, exec_lo, s3
	s_cbranch_execnz .LBB111_747
; %bb.748:
	s_or_b32 exec_lo, exec_lo, s3
.LBB111_749:
	s_delay_alu instid0(SALU_CYCLE_1) | instskip(SKIP_4) | instid1(VALU_DEP_1)
	s_or_b32 exec_lo, exec_lo, s2
	v_mov_b32_e32 v103, 0
	ds_load_b64 v[104:105], v103 offset:224
	s_wait_dscnt 0x0
	v_pk_mul_f32 v[106:107], v[100:101], v[104:105] op_sel:[1,1] op_sel_hi:[0,1]
	v_pk_fma_f32 v[108:109], v[100:101], v[104:105], v[106:107] op_sel_hi:[1,0,1]
	v_pk_fma_f32 v[100:101], v[100:101], v[104:105], v[106:107] neg_lo:[0,0,1] neg_hi:[0,0,1]
	s_delay_alu instid0(VALU_DEP_2)
	v_mov_b32_e32 v101, v109
	scratch_store_b64 off, v[100:101], off offset:224
.LBB111_750:
	s_wait_xcnt 0x0
	s_or_b32 exec_lo, exec_lo, s0
	scratch_load_b64 v[100:101], off, off offset:232
	s_mov_b32 s0, exec_lo
	s_wait_loadcnt 0x0
	ds_store_b64 v1, v[100:101]
	s_wait_storecnt_dscnt 0x0
	s_barrier_signal -1
	s_barrier_wait -1
	s_wait_xcnt 0x0
	v_cmpx_gt_u32_e32 29, v0
	s_cbranch_execz .LBB111_760
; %bb.751:
	v_cmp_ne_u32_e32 vcc_lo, 1, v102
	s_cbranch_vccnz .LBB111_753
; %bb.752:
	scratch_load_b64 v[100:101], v59, off
	ds_load_b64 v[104:105], v1
	s_wait_loadcnt_dscnt 0x0
	v_pk_mul_f32 v[106:107], v[104:105], v[100:101] op_sel:[1,1] op_sel_hi:[0,1]
	s_delay_alu instid0(VALU_DEP_1) | instskip(SKIP_1) | instid1(VALU_DEP_2)
	v_pk_fma_f32 v[108:109], v[104:105], v[100:101], v[106:107] op_sel_hi:[1,0,1]
	v_pk_fma_f32 v[100:101], v[104:105], v[100:101], v[106:107] neg_lo:[0,0,1] neg_hi:[0,0,1]
	v_mov_b32_e32 v101, v109
	s_cbranch_execz .LBB111_754
	s_branch .LBB111_755
.LBB111_753:
                                        ; implicit-def: $vgpr100_vgpr101
.LBB111_754:
	ds_load_b64 v[100:101], v1
.LBB111_755:
	s_mov_b32 s2, exec_lo
	v_cmpx_ne_u32_e32 28, v0
	s_cbranch_execz .LBB111_759
; %bb.756:
	v_add_nc_u32_e32 v103, 0x188, v58
	v_add3_u32 v104, 0, v58, 8
	v_mov_b32_e32 v105, v0
	s_mov_b32 s3, 0
.LBB111_757:                            ; =>This Inner Loop Header: Depth=1
	scratch_load_b64 v[106:107], v104, off
	ds_load_b64 v[108:109], v103
	s_wait_xcnt 0x0
	v_dual_add_nc_u32 v103, 8, v103 :: v_dual_add_nc_u32 v104, 8, v104
	s_wait_loadcnt_dscnt 0x0
	v_pk_mul_f32 v[110:111], v[108:109], v[106:107] op_sel:[1,1] op_sel_hi:[0,1]
	s_delay_alu instid0(VALU_DEP_1) | instskip(SKIP_2) | instid1(VALU_DEP_3)
	v_pk_fma_f32 v[112:113], v[108:109], v[106:107], v[110:111] op_sel_hi:[1,0,1]
	v_add_nc_u32_e32 v105, 1, v105
	v_pk_fma_f32 v[106:107], v[108:109], v[106:107], v[110:111] neg_lo:[0,0,1] neg_hi:[0,0,1]
	v_mov_b32_e32 v107, v113
	s_delay_alu instid0(VALU_DEP_3) | instskip(NEXT) | instid1(VALU_DEP_2)
	v_cmp_lt_u32_e32 vcc_lo, 27, v105
	v_pk_add_f32 v[100:101], v[100:101], v[106:107]
	s_or_b32 s3, vcc_lo, s3
	s_delay_alu instid0(SALU_CYCLE_1)
	s_and_not1_b32 exec_lo, exec_lo, s3
	s_cbranch_execnz .LBB111_757
; %bb.758:
	s_or_b32 exec_lo, exec_lo, s3
.LBB111_759:
	s_delay_alu instid0(SALU_CYCLE_1) | instskip(SKIP_4) | instid1(VALU_DEP_1)
	s_or_b32 exec_lo, exec_lo, s2
	v_mov_b32_e32 v103, 0
	ds_load_b64 v[104:105], v103 offset:232
	s_wait_dscnt 0x0
	v_pk_mul_f32 v[106:107], v[100:101], v[104:105] op_sel:[1,1] op_sel_hi:[0,1]
	v_pk_fma_f32 v[108:109], v[100:101], v[104:105], v[106:107] op_sel_hi:[1,0,1]
	v_pk_fma_f32 v[100:101], v[100:101], v[104:105], v[106:107] neg_lo:[0,0,1] neg_hi:[0,0,1]
	s_delay_alu instid0(VALU_DEP_2)
	v_mov_b32_e32 v101, v109
	scratch_store_b64 off, v[100:101], off offset:232
.LBB111_760:
	s_wait_xcnt 0x0
	s_or_b32 exec_lo, exec_lo, s0
	scratch_load_b64 v[100:101], off, off offset:240
	s_mov_b32 s0, exec_lo
	s_wait_loadcnt 0x0
	ds_store_b64 v1, v[100:101]
	s_wait_storecnt_dscnt 0x0
	s_barrier_signal -1
	s_barrier_wait -1
	s_wait_xcnt 0x0
	v_cmpx_gt_u32_e32 30, v0
	s_cbranch_execz .LBB111_770
; %bb.761:
	v_cmp_ne_u32_e32 vcc_lo, 1, v102
	s_cbranch_vccnz .LBB111_763
; %bb.762:
	scratch_load_b64 v[100:101], v59, off
	ds_load_b64 v[104:105], v1
	s_wait_loadcnt_dscnt 0x0
	v_pk_mul_f32 v[106:107], v[104:105], v[100:101] op_sel:[1,1] op_sel_hi:[0,1]
	s_delay_alu instid0(VALU_DEP_1) | instskip(SKIP_1) | instid1(VALU_DEP_2)
	v_pk_fma_f32 v[108:109], v[104:105], v[100:101], v[106:107] op_sel_hi:[1,0,1]
	v_pk_fma_f32 v[100:101], v[104:105], v[100:101], v[106:107] neg_lo:[0,0,1] neg_hi:[0,0,1]
	v_mov_b32_e32 v101, v109
	s_cbranch_execz .LBB111_764
	s_branch .LBB111_765
.LBB111_763:
                                        ; implicit-def: $vgpr100_vgpr101
.LBB111_764:
	ds_load_b64 v[100:101], v1
.LBB111_765:
	s_mov_b32 s2, exec_lo
	v_cmpx_ne_u32_e32 29, v0
	s_cbranch_execz .LBB111_769
; %bb.766:
	v_add_nc_u32_e32 v103, 0x188, v58
	v_add3_u32 v104, 0, v58, 8
	v_mov_b32_e32 v105, v0
	s_mov_b32 s3, 0
.LBB111_767:                            ; =>This Inner Loop Header: Depth=1
	scratch_load_b64 v[106:107], v104, off
	ds_load_b64 v[108:109], v103
	s_wait_xcnt 0x0
	v_dual_add_nc_u32 v103, 8, v103 :: v_dual_add_nc_u32 v104, 8, v104
	s_wait_loadcnt_dscnt 0x0
	v_pk_mul_f32 v[110:111], v[108:109], v[106:107] op_sel:[1,1] op_sel_hi:[0,1]
	s_delay_alu instid0(VALU_DEP_1) | instskip(SKIP_2) | instid1(VALU_DEP_3)
	v_pk_fma_f32 v[112:113], v[108:109], v[106:107], v[110:111] op_sel_hi:[1,0,1]
	v_add_nc_u32_e32 v105, 1, v105
	v_pk_fma_f32 v[106:107], v[108:109], v[106:107], v[110:111] neg_lo:[0,0,1] neg_hi:[0,0,1]
	v_mov_b32_e32 v107, v113
	s_delay_alu instid0(VALU_DEP_3) | instskip(NEXT) | instid1(VALU_DEP_2)
	v_cmp_lt_u32_e32 vcc_lo, 28, v105
	v_pk_add_f32 v[100:101], v[100:101], v[106:107]
	s_or_b32 s3, vcc_lo, s3
	s_delay_alu instid0(SALU_CYCLE_1)
	s_and_not1_b32 exec_lo, exec_lo, s3
	s_cbranch_execnz .LBB111_767
; %bb.768:
	s_or_b32 exec_lo, exec_lo, s3
.LBB111_769:
	s_delay_alu instid0(SALU_CYCLE_1) | instskip(SKIP_4) | instid1(VALU_DEP_1)
	s_or_b32 exec_lo, exec_lo, s2
	v_mov_b32_e32 v103, 0
	ds_load_b64 v[104:105], v103 offset:240
	s_wait_dscnt 0x0
	v_pk_mul_f32 v[106:107], v[100:101], v[104:105] op_sel:[1,1] op_sel_hi:[0,1]
	v_pk_fma_f32 v[108:109], v[100:101], v[104:105], v[106:107] op_sel_hi:[1,0,1]
	v_pk_fma_f32 v[100:101], v[100:101], v[104:105], v[106:107] neg_lo:[0,0,1] neg_hi:[0,0,1]
	s_delay_alu instid0(VALU_DEP_2)
	v_mov_b32_e32 v101, v109
	scratch_store_b64 off, v[100:101], off offset:240
.LBB111_770:
	s_wait_xcnt 0x0
	s_or_b32 exec_lo, exec_lo, s0
	scratch_load_b64 v[100:101], off, off offset:248
	s_mov_b32 s0, exec_lo
	s_wait_loadcnt 0x0
	ds_store_b64 v1, v[100:101]
	s_wait_storecnt_dscnt 0x0
	s_barrier_signal -1
	s_barrier_wait -1
	s_wait_xcnt 0x0
	v_cmpx_gt_u32_e32 31, v0
	s_cbranch_execz .LBB111_780
; %bb.771:
	v_cmp_ne_u32_e32 vcc_lo, 1, v102
	s_cbranch_vccnz .LBB111_773
; %bb.772:
	scratch_load_b64 v[100:101], v59, off
	ds_load_b64 v[104:105], v1
	s_wait_loadcnt_dscnt 0x0
	v_pk_mul_f32 v[106:107], v[104:105], v[100:101] op_sel:[1,1] op_sel_hi:[0,1]
	s_delay_alu instid0(VALU_DEP_1) | instskip(SKIP_1) | instid1(VALU_DEP_2)
	v_pk_fma_f32 v[108:109], v[104:105], v[100:101], v[106:107] op_sel_hi:[1,0,1]
	v_pk_fma_f32 v[100:101], v[104:105], v[100:101], v[106:107] neg_lo:[0,0,1] neg_hi:[0,0,1]
	v_mov_b32_e32 v101, v109
	s_cbranch_execz .LBB111_774
	s_branch .LBB111_775
.LBB111_773:
                                        ; implicit-def: $vgpr100_vgpr101
.LBB111_774:
	ds_load_b64 v[100:101], v1
.LBB111_775:
	s_mov_b32 s2, exec_lo
	v_cmpx_ne_u32_e32 30, v0
	s_cbranch_execz .LBB111_779
; %bb.776:
	v_add_nc_u32_e32 v103, 0x188, v58
	v_add3_u32 v104, 0, v58, 8
	v_mov_b32_e32 v105, v0
	s_mov_b32 s3, 0
.LBB111_777:                            ; =>This Inner Loop Header: Depth=1
	scratch_load_b64 v[106:107], v104, off
	ds_load_b64 v[108:109], v103
	s_wait_xcnt 0x0
	v_dual_add_nc_u32 v103, 8, v103 :: v_dual_add_nc_u32 v104, 8, v104
	s_wait_loadcnt_dscnt 0x0
	v_pk_mul_f32 v[110:111], v[108:109], v[106:107] op_sel:[1,1] op_sel_hi:[0,1]
	s_delay_alu instid0(VALU_DEP_1) | instskip(SKIP_2) | instid1(VALU_DEP_3)
	v_pk_fma_f32 v[112:113], v[108:109], v[106:107], v[110:111] op_sel_hi:[1,0,1]
	v_add_nc_u32_e32 v105, 1, v105
	v_pk_fma_f32 v[106:107], v[108:109], v[106:107], v[110:111] neg_lo:[0,0,1] neg_hi:[0,0,1]
	v_mov_b32_e32 v107, v113
	s_delay_alu instid0(VALU_DEP_3) | instskip(NEXT) | instid1(VALU_DEP_2)
	v_cmp_lt_u32_e32 vcc_lo, 29, v105
	v_pk_add_f32 v[100:101], v[100:101], v[106:107]
	s_or_b32 s3, vcc_lo, s3
	s_delay_alu instid0(SALU_CYCLE_1)
	s_and_not1_b32 exec_lo, exec_lo, s3
	s_cbranch_execnz .LBB111_777
; %bb.778:
	s_or_b32 exec_lo, exec_lo, s3
.LBB111_779:
	s_delay_alu instid0(SALU_CYCLE_1) | instskip(SKIP_4) | instid1(VALU_DEP_1)
	s_or_b32 exec_lo, exec_lo, s2
	v_mov_b32_e32 v103, 0
	ds_load_b64 v[104:105], v103 offset:248
	s_wait_dscnt 0x0
	v_pk_mul_f32 v[106:107], v[100:101], v[104:105] op_sel:[1,1] op_sel_hi:[0,1]
	v_pk_fma_f32 v[108:109], v[100:101], v[104:105], v[106:107] op_sel_hi:[1,0,1]
	v_pk_fma_f32 v[100:101], v[100:101], v[104:105], v[106:107] neg_lo:[0,0,1] neg_hi:[0,0,1]
	s_delay_alu instid0(VALU_DEP_2)
	v_mov_b32_e32 v101, v109
	scratch_store_b64 off, v[100:101], off offset:248
.LBB111_780:
	s_wait_xcnt 0x0
	s_or_b32 exec_lo, exec_lo, s0
	scratch_load_b64 v[100:101], off, off offset:256
	s_mov_b32 s0, exec_lo
	s_wait_loadcnt 0x0
	ds_store_b64 v1, v[100:101]
	s_wait_storecnt_dscnt 0x0
	s_barrier_signal -1
	s_barrier_wait -1
	s_wait_xcnt 0x0
	v_cmpx_gt_u32_e32 32, v0
	s_cbranch_execz .LBB111_790
; %bb.781:
	v_cmp_ne_u32_e32 vcc_lo, 1, v102
	s_cbranch_vccnz .LBB111_783
; %bb.782:
	scratch_load_b64 v[100:101], v59, off
	ds_load_b64 v[104:105], v1
	s_wait_loadcnt_dscnt 0x0
	v_pk_mul_f32 v[106:107], v[104:105], v[100:101] op_sel:[1,1] op_sel_hi:[0,1]
	s_delay_alu instid0(VALU_DEP_1) | instskip(SKIP_1) | instid1(VALU_DEP_2)
	v_pk_fma_f32 v[108:109], v[104:105], v[100:101], v[106:107] op_sel_hi:[1,0,1]
	v_pk_fma_f32 v[100:101], v[104:105], v[100:101], v[106:107] neg_lo:[0,0,1] neg_hi:[0,0,1]
	v_mov_b32_e32 v101, v109
	s_cbranch_execz .LBB111_784
	s_branch .LBB111_785
.LBB111_783:
                                        ; implicit-def: $vgpr100_vgpr101
.LBB111_784:
	ds_load_b64 v[100:101], v1
.LBB111_785:
	s_mov_b32 s2, exec_lo
	v_cmpx_ne_u32_e32 31, v0
	s_cbranch_execz .LBB111_789
; %bb.786:
	v_add_nc_u32_e32 v103, 0x188, v58
	v_add3_u32 v104, 0, v58, 8
	v_mov_b32_e32 v105, v0
	s_mov_b32 s3, 0
.LBB111_787:                            ; =>This Inner Loop Header: Depth=1
	scratch_load_b64 v[106:107], v104, off
	ds_load_b64 v[108:109], v103
	s_wait_xcnt 0x0
	v_dual_add_nc_u32 v103, 8, v103 :: v_dual_add_nc_u32 v104, 8, v104
	s_wait_loadcnt_dscnt 0x0
	v_pk_mul_f32 v[110:111], v[108:109], v[106:107] op_sel:[1,1] op_sel_hi:[0,1]
	s_delay_alu instid0(VALU_DEP_1) | instskip(SKIP_2) | instid1(VALU_DEP_3)
	v_pk_fma_f32 v[112:113], v[108:109], v[106:107], v[110:111] op_sel_hi:[1,0,1]
	v_add_nc_u32_e32 v105, 1, v105
	v_pk_fma_f32 v[106:107], v[108:109], v[106:107], v[110:111] neg_lo:[0,0,1] neg_hi:[0,0,1]
	v_mov_b32_e32 v107, v113
	s_delay_alu instid0(VALU_DEP_3) | instskip(NEXT) | instid1(VALU_DEP_2)
	v_cmp_lt_u32_e32 vcc_lo, 30, v105
	v_pk_add_f32 v[100:101], v[100:101], v[106:107]
	s_or_b32 s3, vcc_lo, s3
	s_delay_alu instid0(SALU_CYCLE_1)
	s_and_not1_b32 exec_lo, exec_lo, s3
	s_cbranch_execnz .LBB111_787
; %bb.788:
	s_or_b32 exec_lo, exec_lo, s3
.LBB111_789:
	s_delay_alu instid0(SALU_CYCLE_1) | instskip(SKIP_4) | instid1(VALU_DEP_1)
	s_or_b32 exec_lo, exec_lo, s2
	v_mov_b32_e32 v103, 0
	ds_load_b64 v[104:105], v103 offset:256
	s_wait_dscnt 0x0
	v_pk_mul_f32 v[106:107], v[100:101], v[104:105] op_sel:[1,1] op_sel_hi:[0,1]
	v_pk_fma_f32 v[108:109], v[100:101], v[104:105], v[106:107] op_sel_hi:[1,0,1]
	v_pk_fma_f32 v[100:101], v[100:101], v[104:105], v[106:107] neg_lo:[0,0,1] neg_hi:[0,0,1]
	s_delay_alu instid0(VALU_DEP_2)
	v_mov_b32_e32 v101, v109
	scratch_store_b64 off, v[100:101], off offset:256
.LBB111_790:
	s_wait_xcnt 0x0
	s_or_b32 exec_lo, exec_lo, s0
	scratch_load_b64 v[100:101], off, off offset:264
	s_mov_b32 s0, exec_lo
	s_wait_loadcnt 0x0
	ds_store_b64 v1, v[100:101]
	s_wait_storecnt_dscnt 0x0
	s_barrier_signal -1
	s_barrier_wait -1
	s_wait_xcnt 0x0
	v_cmpx_gt_u32_e32 33, v0
	s_cbranch_execz .LBB111_800
; %bb.791:
	v_cmp_ne_u32_e32 vcc_lo, 1, v102
	s_cbranch_vccnz .LBB111_793
; %bb.792:
	scratch_load_b64 v[100:101], v59, off
	ds_load_b64 v[104:105], v1
	s_wait_loadcnt_dscnt 0x0
	v_pk_mul_f32 v[106:107], v[104:105], v[100:101] op_sel:[1,1] op_sel_hi:[0,1]
	s_delay_alu instid0(VALU_DEP_1) | instskip(SKIP_1) | instid1(VALU_DEP_2)
	v_pk_fma_f32 v[108:109], v[104:105], v[100:101], v[106:107] op_sel_hi:[1,0,1]
	v_pk_fma_f32 v[100:101], v[104:105], v[100:101], v[106:107] neg_lo:[0,0,1] neg_hi:[0,0,1]
	v_mov_b32_e32 v101, v109
	s_cbranch_execz .LBB111_794
	s_branch .LBB111_795
.LBB111_793:
                                        ; implicit-def: $vgpr100_vgpr101
.LBB111_794:
	ds_load_b64 v[100:101], v1
.LBB111_795:
	s_mov_b32 s2, exec_lo
	v_cmpx_ne_u32_e32 32, v0
	s_cbranch_execz .LBB111_799
; %bb.796:
	v_add_nc_u32_e32 v103, 0x188, v58
	v_add3_u32 v104, 0, v58, 8
	v_mov_b32_e32 v105, v0
	s_mov_b32 s3, 0
.LBB111_797:                            ; =>This Inner Loop Header: Depth=1
	scratch_load_b64 v[106:107], v104, off
	ds_load_b64 v[108:109], v103
	s_wait_xcnt 0x0
	v_dual_add_nc_u32 v103, 8, v103 :: v_dual_add_nc_u32 v104, 8, v104
	s_wait_loadcnt_dscnt 0x0
	v_pk_mul_f32 v[110:111], v[108:109], v[106:107] op_sel:[1,1] op_sel_hi:[0,1]
	s_delay_alu instid0(VALU_DEP_1) | instskip(SKIP_2) | instid1(VALU_DEP_3)
	v_pk_fma_f32 v[112:113], v[108:109], v[106:107], v[110:111] op_sel_hi:[1,0,1]
	v_add_nc_u32_e32 v105, 1, v105
	v_pk_fma_f32 v[106:107], v[108:109], v[106:107], v[110:111] neg_lo:[0,0,1] neg_hi:[0,0,1]
	v_mov_b32_e32 v107, v113
	s_delay_alu instid0(VALU_DEP_3) | instskip(NEXT) | instid1(VALU_DEP_2)
	v_cmp_lt_u32_e32 vcc_lo, 31, v105
	v_pk_add_f32 v[100:101], v[100:101], v[106:107]
	s_or_b32 s3, vcc_lo, s3
	s_delay_alu instid0(SALU_CYCLE_1)
	s_and_not1_b32 exec_lo, exec_lo, s3
	s_cbranch_execnz .LBB111_797
; %bb.798:
	s_or_b32 exec_lo, exec_lo, s3
.LBB111_799:
	s_delay_alu instid0(SALU_CYCLE_1) | instskip(SKIP_4) | instid1(VALU_DEP_1)
	s_or_b32 exec_lo, exec_lo, s2
	v_mov_b32_e32 v103, 0
	ds_load_b64 v[104:105], v103 offset:264
	s_wait_dscnt 0x0
	v_pk_mul_f32 v[106:107], v[100:101], v[104:105] op_sel:[1,1] op_sel_hi:[0,1]
	v_pk_fma_f32 v[108:109], v[100:101], v[104:105], v[106:107] op_sel_hi:[1,0,1]
	v_pk_fma_f32 v[100:101], v[100:101], v[104:105], v[106:107] neg_lo:[0,0,1] neg_hi:[0,0,1]
	s_delay_alu instid0(VALU_DEP_2)
	v_mov_b32_e32 v101, v109
	scratch_store_b64 off, v[100:101], off offset:264
.LBB111_800:
	s_wait_xcnt 0x0
	s_or_b32 exec_lo, exec_lo, s0
	scratch_load_b64 v[100:101], off, off offset:272
	s_mov_b32 s0, exec_lo
	s_wait_loadcnt 0x0
	ds_store_b64 v1, v[100:101]
	s_wait_storecnt_dscnt 0x0
	s_barrier_signal -1
	s_barrier_wait -1
	s_wait_xcnt 0x0
	v_cmpx_gt_u32_e32 34, v0
	s_cbranch_execz .LBB111_810
; %bb.801:
	v_cmp_ne_u32_e32 vcc_lo, 1, v102
	s_cbranch_vccnz .LBB111_803
; %bb.802:
	scratch_load_b64 v[100:101], v59, off
	ds_load_b64 v[104:105], v1
	s_wait_loadcnt_dscnt 0x0
	v_pk_mul_f32 v[106:107], v[104:105], v[100:101] op_sel:[1,1] op_sel_hi:[0,1]
	s_delay_alu instid0(VALU_DEP_1) | instskip(SKIP_1) | instid1(VALU_DEP_2)
	v_pk_fma_f32 v[108:109], v[104:105], v[100:101], v[106:107] op_sel_hi:[1,0,1]
	v_pk_fma_f32 v[100:101], v[104:105], v[100:101], v[106:107] neg_lo:[0,0,1] neg_hi:[0,0,1]
	v_mov_b32_e32 v101, v109
	s_cbranch_execz .LBB111_804
	s_branch .LBB111_805
.LBB111_803:
                                        ; implicit-def: $vgpr100_vgpr101
.LBB111_804:
	ds_load_b64 v[100:101], v1
.LBB111_805:
	s_mov_b32 s2, exec_lo
	v_cmpx_ne_u32_e32 33, v0
	s_cbranch_execz .LBB111_809
; %bb.806:
	v_add_nc_u32_e32 v103, 0x188, v58
	v_add3_u32 v104, 0, v58, 8
	v_mov_b32_e32 v105, v0
	s_mov_b32 s3, 0
.LBB111_807:                            ; =>This Inner Loop Header: Depth=1
	scratch_load_b64 v[106:107], v104, off
	ds_load_b64 v[108:109], v103
	s_wait_xcnt 0x0
	v_dual_add_nc_u32 v103, 8, v103 :: v_dual_add_nc_u32 v104, 8, v104
	s_wait_loadcnt_dscnt 0x0
	v_pk_mul_f32 v[110:111], v[108:109], v[106:107] op_sel:[1,1] op_sel_hi:[0,1]
	s_delay_alu instid0(VALU_DEP_1) | instskip(SKIP_2) | instid1(VALU_DEP_3)
	v_pk_fma_f32 v[112:113], v[108:109], v[106:107], v[110:111] op_sel_hi:[1,0,1]
	v_add_nc_u32_e32 v105, 1, v105
	v_pk_fma_f32 v[106:107], v[108:109], v[106:107], v[110:111] neg_lo:[0,0,1] neg_hi:[0,0,1]
	v_mov_b32_e32 v107, v113
	s_delay_alu instid0(VALU_DEP_3) | instskip(NEXT) | instid1(VALU_DEP_2)
	v_cmp_lt_u32_e32 vcc_lo, 32, v105
	v_pk_add_f32 v[100:101], v[100:101], v[106:107]
	s_or_b32 s3, vcc_lo, s3
	s_delay_alu instid0(SALU_CYCLE_1)
	s_and_not1_b32 exec_lo, exec_lo, s3
	s_cbranch_execnz .LBB111_807
; %bb.808:
	s_or_b32 exec_lo, exec_lo, s3
.LBB111_809:
	s_delay_alu instid0(SALU_CYCLE_1) | instskip(SKIP_4) | instid1(VALU_DEP_1)
	s_or_b32 exec_lo, exec_lo, s2
	v_mov_b32_e32 v103, 0
	ds_load_b64 v[104:105], v103 offset:272
	s_wait_dscnt 0x0
	v_pk_mul_f32 v[106:107], v[100:101], v[104:105] op_sel:[1,1] op_sel_hi:[0,1]
	v_pk_fma_f32 v[108:109], v[100:101], v[104:105], v[106:107] op_sel_hi:[1,0,1]
	v_pk_fma_f32 v[100:101], v[100:101], v[104:105], v[106:107] neg_lo:[0,0,1] neg_hi:[0,0,1]
	s_delay_alu instid0(VALU_DEP_2)
	v_mov_b32_e32 v101, v109
	scratch_store_b64 off, v[100:101], off offset:272
.LBB111_810:
	s_wait_xcnt 0x0
	s_or_b32 exec_lo, exec_lo, s0
	scratch_load_b64 v[100:101], off, off offset:280
	s_mov_b32 s0, exec_lo
	s_wait_loadcnt 0x0
	ds_store_b64 v1, v[100:101]
	s_wait_storecnt_dscnt 0x0
	s_barrier_signal -1
	s_barrier_wait -1
	s_wait_xcnt 0x0
	v_cmpx_gt_u32_e32 35, v0
	s_cbranch_execz .LBB111_820
; %bb.811:
	v_cmp_ne_u32_e32 vcc_lo, 1, v102
	s_cbranch_vccnz .LBB111_813
; %bb.812:
	scratch_load_b64 v[100:101], v59, off
	ds_load_b64 v[104:105], v1
	s_wait_loadcnt_dscnt 0x0
	v_pk_mul_f32 v[106:107], v[104:105], v[100:101] op_sel:[1,1] op_sel_hi:[0,1]
	s_delay_alu instid0(VALU_DEP_1) | instskip(SKIP_1) | instid1(VALU_DEP_2)
	v_pk_fma_f32 v[108:109], v[104:105], v[100:101], v[106:107] op_sel_hi:[1,0,1]
	v_pk_fma_f32 v[100:101], v[104:105], v[100:101], v[106:107] neg_lo:[0,0,1] neg_hi:[0,0,1]
	v_mov_b32_e32 v101, v109
	s_cbranch_execz .LBB111_814
	s_branch .LBB111_815
.LBB111_813:
                                        ; implicit-def: $vgpr100_vgpr101
.LBB111_814:
	ds_load_b64 v[100:101], v1
.LBB111_815:
	s_mov_b32 s2, exec_lo
	v_cmpx_ne_u32_e32 34, v0
	s_cbranch_execz .LBB111_819
; %bb.816:
	v_add_nc_u32_e32 v103, 0x188, v58
	v_add3_u32 v104, 0, v58, 8
	v_mov_b32_e32 v105, v0
	s_mov_b32 s3, 0
.LBB111_817:                            ; =>This Inner Loop Header: Depth=1
	scratch_load_b64 v[106:107], v104, off
	ds_load_b64 v[108:109], v103
	s_wait_xcnt 0x0
	v_dual_add_nc_u32 v103, 8, v103 :: v_dual_add_nc_u32 v104, 8, v104
	s_wait_loadcnt_dscnt 0x0
	v_pk_mul_f32 v[110:111], v[108:109], v[106:107] op_sel:[1,1] op_sel_hi:[0,1]
	s_delay_alu instid0(VALU_DEP_1) | instskip(SKIP_2) | instid1(VALU_DEP_3)
	v_pk_fma_f32 v[112:113], v[108:109], v[106:107], v[110:111] op_sel_hi:[1,0,1]
	v_add_nc_u32_e32 v105, 1, v105
	v_pk_fma_f32 v[106:107], v[108:109], v[106:107], v[110:111] neg_lo:[0,0,1] neg_hi:[0,0,1]
	v_mov_b32_e32 v107, v113
	s_delay_alu instid0(VALU_DEP_3) | instskip(NEXT) | instid1(VALU_DEP_2)
	v_cmp_lt_u32_e32 vcc_lo, 33, v105
	v_pk_add_f32 v[100:101], v[100:101], v[106:107]
	s_or_b32 s3, vcc_lo, s3
	s_delay_alu instid0(SALU_CYCLE_1)
	s_and_not1_b32 exec_lo, exec_lo, s3
	s_cbranch_execnz .LBB111_817
; %bb.818:
	s_or_b32 exec_lo, exec_lo, s3
.LBB111_819:
	s_delay_alu instid0(SALU_CYCLE_1) | instskip(SKIP_4) | instid1(VALU_DEP_1)
	s_or_b32 exec_lo, exec_lo, s2
	v_mov_b32_e32 v103, 0
	ds_load_b64 v[104:105], v103 offset:280
	s_wait_dscnt 0x0
	v_pk_mul_f32 v[106:107], v[100:101], v[104:105] op_sel:[1,1] op_sel_hi:[0,1]
	v_pk_fma_f32 v[108:109], v[100:101], v[104:105], v[106:107] op_sel_hi:[1,0,1]
	v_pk_fma_f32 v[100:101], v[100:101], v[104:105], v[106:107] neg_lo:[0,0,1] neg_hi:[0,0,1]
	s_delay_alu instid0(VALU_DEP_2)
	v_mov_b32_e32 v101, v109
	scratch_store_b64 off, v[100:101], off offset:280
.LBB111_820:
	s_wait_xcnt 0x0
	s_or_b32 exec_lo, exec_lo, s0
	scratch_load_b64 v[100:101], off, off offset:288
	s_mov_b32 s0, exec_lo
	s_wait_loadcnt 0x0
	ds_store_b64 v1, v[100:101]
	s_wait_storecnt_dscnt 0x0
	s_barrier_signal -1
	s_barrier_wait -1
	s_wait_xcnt 0x0
	v_cmpx_gt_u32_e32 36, v0
	s_cbranch_execz .LBB111_830
; %bb.821:
	v_cmp_ne_u32_e32 vcc_lo, 1, v102
	s_cbranch_vccnz .LBB111_823
; %bb.822:
	scratch_load_b64 v[100:101], v59, off
	ds_load_b64 v[104:105], v1
	s_wait_loadcnt_dscnt 0x0
	v_pk_mul_f32 v[106:107], v[104:105], v[100:101] op_sel:[1,1] op_sel_hi:[0,1]
	s_delay_alu instid0(VALU_DEP_1) | instskip(SKIP_1) | instid1(VALU_DEP_2)
	v_pk_fma_f32 v[108:109], v[104:105], v[100:101], v[106:107] op_sel_hi:[1,0,1]
	v_pk_fma_f32 v[100:101], v[104:105], v[100:101], v[106:107] neg_lo:[0,0,1] neg_hi:[0,0,1]
	v_mov_b32_e32 v101, v109
	s_cbranch_execz .LBB111_824
	s_branch .LBB111_825
.LBB111_823:
                                        ; implicit-def: $vgpr100_vgpr101
.LBB111_824:
	ds_load_b64 v[100:101], v1
.LBB111_825:
	s_mov_b32 s2, exec_lo
	v_cmpx_ne_u32_e32 35, v0
	s_cbranch_execz .LBB111_829
; %bb.826:
	v_add_nc_u32_e32 v103, 0x188, v58
	v_add3_u32 v104, 0, v58, 8
	v_mov_b32_e32 v105, v0
	s_mov_b32 s3, 0
.LBB111_827:                            ; =>This Inner Loop Header: Depth=1
	scratch_load_b64 v[106:107], v104, off
	ds_load_b64 v[108:109], v103
	s_wait_xcnt 0x0
	v_dual_add_nc_u32 v103, 8, v103 :: v_dual_add_nc_u32 v104, 8, v104
	s_wait_loadcnt_dscnt 0x0
	v_pk_mul_f32 v[110:111], v[108:109], v[106:107] op_sel:[1,1] op_sel_hi:[0,1]
	s_delay_alu instid0(VALU_DEP_1) | instskip(SKIP_2) | instid1(VALU_DEP_3)
	v_pk_fma_f32 v[112:113], v[108:109], v[106:107], v[110:111] op_sel_hi:[1,0,1]
	v_add_nc_u32_e32 v105, 1, v105
	v_pk_fma_f32 v[106:107], v[108:109], v[106:107], v[110:111] neg_lo:[0,0,1] neg_hi:[0,0,1]
	v_mov_b32_e32 v107, v113
	s_delay_alu instid0(VALU_DEP_3) | instskip(NEXT) | instid1(VALU_DEP_2)
	v_cmp_lt_u32_e32 vcc_lo, 34, v105
	v_pk_add_f32 v[100:101], v[100:101], v[106:107]
	s_or_b32 s3, vcc_lo, s3
	s_delay_alu instid0(SALU_CYCLE_1)
	s_and_not1_b32 exec_lo, exec_lo, s3
	s_cbranch_execnz .LBB111_827
; %bb.828:
	s_or_b32 exec_lo, exec_lo, s3
.LBB111_829:
	s_delay_alu instid0(SALU_CYCLE_1) | instskip(SKIP_4) | instid1(VALU_DEP_1)
	s_or_b32 exec_lo, exec_lo, s2
	v_mov_b32_e32 v103, 0
	ds_load_b64 v[104:105], v103 offset:288
	s_wait_dscnt 0x0
	v_pk_mul_f32 v[106:107], v[100:101], v[104:105] op_sel:[1,1] op_sel_hi:[0,1]
	v_pk_fma_f32 v[108:109], v[100:101], v[104:105], v[106:107] op_sel_hi:[1,0,1]
	v_pk_fma_f32 v[100:101], v[100:101], v[104:105], v[106:107] neg_lo:[0,0,1] neg_hi:[0,0,1]
	s_delay_alu instid0(VALU_DEP_2)
	v_mov_b32_e32 v101, v109
	scratch_store_b64 off, v[100:101], off offset:288
.LBB111_830:
	s_wait_xcnt 0x0
	s_or_b32 exec_lo, exec_lo, s0
	scratch_load_b64 v[100:101], off, off offset:296
	s_mov_b32 s0, exec_lo
	s_wait_loadcnt 0x0
	ds_store_b64 v1, v[100:101]
	s_wait_storecnt_dscnt 0x0
	s_barrier_signal -1
	s_barrier_wait -1
	s_wait_xcnt 0x0
	v_cmpx_gt_u32_e32 37, v0
	s_cbranch_execz .LBB111_840
; %bb.831:
	v_cmp_ne_u32_e32 vcc_lo, 1, v102
	s_cbranch_vccnz .LBB111_833
; %bb.832:
	scratch_load_b64 v[100:101], v59, off
	ds_load_b64 v[104:105], v1
	s_wait_loadcnt_dscnt 0x0
	v_pk_mul_f32 v[106:107], v[104:105], v[100:101] op_sel:[1,1] op_sel_hi:[0,1]
	s_delay_alu instid0(VALU_DEP_1) | instskip(SKIP_1) | instid1(VALU_DEP_2)
	v_pk_fma_f32 v[108:109], v[104:105], v[100:101], v[106:107] op_sel_hi:[1,0,1]
	v_pk_fma_f32 v[100:101], v[104:105], v[100:101], v[106:107] neg_lo:[0,0,1] neg_hi:[0,0,1]
	v_mov_b32_e32 v101, v109
	s_cbranch_execz .LBB111_834
	s_branch .LBB111_835
.LBB111_833:
                                        ; implicit-def: $vgpr100_vgpr101
.LBB111_834:
	ds_load_b64 v[100:101], v1
.LBB111_835:
	s_mov_b32 s2, exec_lo
	v_cmpx_ne_u32_e32 36, v0
	s_cbranch_execz .LBB111_839
; %bb.836:
	v_add_nc_u32_e32 v103, 0x188, v58
	v_add3_u32 v104, 0, v58, 8
	v_mov_b32_e32 v105, v0
	s_mov_b32 s3, 0
.LBB111_837:                            ; =>This Inner Loop Header: Depth=1
	scratch_load_b64 v[106:107], v104, off
	ds_load_b64 v[108:109], v103
	s_wait_xcnt 0x0
	v_dual_add_nc_u32 v103, 8, v103 :: v_dual_add_nc_u32 v104, 8, v104
	s_wait_loadcnt_dscnt 0x0
	v_pk_mul_f32 v[110:111], v[108:109], v[106:107] op_sel:[1,1] op_sel_hi:[0,1]
	s_delay_alu instid0(VALU_DEP_1) | instskip(SKIP_2) | instid1(VALU_DEP_3)
	v_pk_fma_f32 v[112:113], v[108:109], v[106:107], v[110:111] op_sel_hi:[1,0,1]
	v_add_nc_u32_e32 v105, 1, v105
	v_pk_fma_f32 v[106:107], v[108:109], v[106:107], v[110:111] neg_lo:[0,0,1] neg_hi:[0,0,1]
	v_mov_b32_e32 v107, v113
	s_delay_alu instid0(VALU_DEP_3) | instskip(NEXT) | instid1(VALU_DEP_2)
	v_cmp_lt_u32_e32 vcc_lo, 35, v105
	v_pk_add_f32 v[100:101], v[100:101], v[106:107]
	s_or_b32 s3, vcc_lo, s3
	s_delay_alu instid0(SALU_CYCLE_1)
	s_and_not1_b32 exec_lo, exec_lo, s3
	s_cbranch_execnz .LBB111_837
; %bb.838:
	s_or_b32 exec_lo, exec_lo, s3
.LBB111_839:
	s_delay_alu instid0(SALU_CYCLE_1) | instskip(SKIP_4) | instid1(VALU_DEP_1)
	s_or_b32 exec_lo, exec_lo, s2
	v_mov_b32_e32 v103, 0
	ds_load_b64 v[104:105], v103 offset:296
	s_wait_dscnt 0x0
	v_pk_mul_f32 v[106:107], v[100:101], v[104:105] op_sel:[1,1] op_sel_hi:[0,1]
	v_pk_fma_f32 v[108:109], v[100:101], v[104:105], v[106:107] op_sel_hi:[1,0,1]
	v_pk_fma_f32 v[100:101], v[100:101], v[104:105], v[106:107] neg_lo:[0,0,1] neg_hi:[0,0,1]
	s_delay_alu instid0(VALU_DEP_2)
	v_mov_b32_e32 v101, v109
	scratch_store_b64 off, v[100:101], off offset:296
.LBB111_840:
	s_wait_xcnt 0x0
	s_or_b32 exec_lo, exec_lo, s0
	scratch_load_b64 v[100:101], off, off offset:304
	s_mov_b32 s0, exec_lo
	s_wait_loadcnt 0x0
	ds_store_b64 v1, v[100:101]
	s_wait_storecnt_dscnt 0x0
	s_barrier_signal -1
	s_barrier_wait -1
	s_wait_xcnt 0x0
	v_cmpx_gt_u32_e32 38, v0
	s_cbranch_execz .LBB111_850
; %bb.841:
	v_cmp_ne_u32_e32 vcc_lo, 1, v102
	s_cbranch_vccnz .LBB111_843
; %bb.842:
	scratch_load_b64 v[100:101], v59, off
	ds_load_b64 v[104:105], v1
	s_wait_loadcnt_dscnt 0x0
	v_pk_mul_f32 v[106:107], v[104:105], v[100:101] op_sel:[1,1] op_sel_hi:[0,1]
	s_delay_alu instid0(VALU_DEP_1) | instskip(SKIP_1) | instid1(VALU_DEP_2)
	v_pk_fma_f32 v[108:109], v[104:105], v[100:101], v[106:107] op_sel_hi:[1,0,1]
	v_pk_fma_f32 v[100:101], v[104:105], v[100:101], v[106:107] neg_lo:[0,0,1] neg_hi:[0,0,1]
	v_mov_b32_e32 v101, v109
	s_cbranch_execz .LBB111_844
	s_branch .LBB111_845
.LBB111_843:
                                        ; implicit-def: $vgpr100_vgpr101
.LBB111_844:
	ds_load_b64 v[100:101], v1
.LBB111_845:
	s_mov_b32 s2, exec_lo
	v_cmpx_ne_u32_e32 37, v0
	s_cbranch_execz .LBB111_849
; %bb.846:
	v_add_nc_u32_e32 v103, 0x188, v58
	v_add3_u32 v104, 0, v58, 8
	v_mov_b32_e32 v105, v0
	s_mov_b32 s3, 0
.LBB111_847:                            ; =>This Inner Loop Header: Depth=1
	scratch_load_b64 v[106:107], v104, off
	ds_load_b64 v[108:109], v103
	s_wait_xcnt 0x0
	v_dual_add_nc_u32 v103, 8, v103 :: v_dual_add_nc_u32 v104, 8, v104
	s_wait_loadcnt_dscnt 0x0
	v_pk_mul_f32 v[110:111], v[108:109], v[106:107] op_sel:[1,1] op_sel_hi:[0,1]
	s_delay_alu instid0(VALU_DEP_1) | instskip(SKIP_2) | instid1(VALU_DEP_3)
	v_pk_fma_f32 v[112:113], v[108:109], v[106:107], v[110:111] op_sel_hi:[1,0,1]
	v_add_nc_u32_e32 v105, 1, v105
	v_pk_fma_f32 v[106:107], v[108:109], v[106:107], v[110:111] neg_lo:[0,0,1] neg_hi:[0,0,1]
	v_mov_b32_e32 v107, v113
	s_delay_alu instid0(VALU_DEP_3) | instskip(NEXT) | instid1(VALU_DEP_2)
	v_cmp_lt_u32_e32 vcc_lo, 36, v105
	v_pk_add_f32 v[100:101], v[100:101], v[106:107]
	s_or_b32 s3, vcc_lo, s3
	s_delay_alu instid0(SALU_CYCLE_1)
	s_and_not1_b32 exec_lo, exec_lo, s3
	s_cbranch_execnz .LBB111_847
; %bb.848:
	s_or_b32 exec_lo, exec_lo, s3
.LBB111_849:
	s_delay_alu instid0(SALU_CYCLE_1) | instskip(SKIP_4) | instid1(VALU_DEP_1)
	s_or_b32 exec_lo, exec_lo, s2
	v_mov_b32_e32 v103, 0
	ds_load_b64 v[104:105], v103 offset:304
	s_wait_dscnt 0x0
	v_pk_mul_f32 v[106:107], v[100:101], v[104:105] op_sel:[1,1] op_sel_hi:[0,1]
	v_pk_fma_f32 v[108:109], v[100:101], v[104:105], v[106:107] op_sel_hi:[1,0,1]
	v_pk_fma_f32 v[100:101], v[100:101], v[104:105], v[106:107] neg_lo:[0,0,1] neg_hi:[0,0,1]
	s_delay_alu instid0(VALU_DEP_2)
	v_mov_b32_e32 v101, v109
	scratch_store_b64 off, v[100:101], off offset:304
.LBB111_850:
	s_wait_xcnt 0x0
	s_or_b32 exec_lo, exec_lo, s0
	scratch_load_b64 v[100:101], off, off offset:312
	s_mov_b32 s0, exec_lo
	s_wait_loadcnt 0x0
	ds_store_b64 v1, v[100:101]
	s_wait_storecnt_dscnt 0x0
	s_barrier_signal -1
	s_barrier_wait -1
	s_wait_xcnt 0x0
	v_cmpx_gt_u32_e32 39, v0
	s_cbranch_execz .LBB111_860
; %bb.851:
	v_cmp_ne_u32_e32 vcc_lo, 1, v102
	s_cbranch_vccnz .LBB111_853
; %bb.852:
	scratch_load_b64 v[100:101], v59, off
	ds_load_b64 v[104:105], v1
	s_wait_loadcnt_dscnt 0x0
	v_pk_mul_f32 v[106:107], v[104:105], v[100:101] op_sel:[1,1] op_sel_hi:[0,1]
	s_delay_alu instid0(VALU_DEP_1) | instskip(SKIP_1) | instid1(VALU_DEP_2)
	v_pk_fma_f32 v[108:109], v[104:105], v[100:101], v[106:107] op_sel_hi:[1,0,1]
	v_pk_fma_f32 v[100:101], v[104:105], v[100:101], v[106:107] neg_lo:[0,0,1] neg_hi:[0,0,1]
	v_mov_b32_e32 v101, v109
	s_cbranch_execz .LBB111_854
	s_branch .LBB111_855
.LBB111_853:
                                        ; implicit-def: $vgpr100_vgpr101
.LBB111_854:
	ds_load_b64 v[100:101], v1
.LBB111_855:
	s_mov_b32 s2, exec_lo
	v_cmpx_ne_u32_e32 38, v0
	s_cbranch_execz .LBB111_859
; %bb.856:
	v_add_nc_u32_e32 v103, 0x188, v58
	v_add3_u32 v104, 0, v58, 8
	v_mov_b32_e32 v105, v0
	s_mov_b32 s3, 0
.LBB111_857:                            ; =>This Inner Loop Header: Depth=1
	scratch_load_b64 v[106:107], v104, off
	ds_load_b64 v[108:109], v103
	s_wait_xcnt 0x0
	v_dual_add_nc_u32 v103, 8, v103 :: v_dual_add_nc_u32 v104, 8, v104
	s_wait_loadcnt_dscnt 0x0
	v_pk_mul_f32 v[110:111], v[108:109], v[106:107] op_sel:[1,1] op_sel_hi:[0,1]
	s_delay_alu instid0(VALU_DEP_1) | instskip(SKIP_2) | instid1(VALU_DEP_3)
	v_pk_fma_f32 v[112:113], v[108:109], v[106:107], v[110:111] op_sel_hi:[1,0,1]
	v_add_nc_u32_e32 v105, 1, v105
	v_pk_fma_f32 v[106:107], v[108:109], v[106:107], v[110:111] neg_lo:[0,0,1] neg_hi:[0,0,1]
	v_mov_b32_e32 v107, v113
	s_delay_alu instid0(VALU_DEP_3) | instskip(NEXT) | instid1(VALU_DEP_2)
	v_cmp_lt_u32_e32 vcc_lo, 37, v105
	v_pk_add_f32 v[100:101], v[100:101], v[106:107]
	s_or_b32 s3, vcc_lo, s3
	s_delay_alu instid0(SALU_CYCLE_1)
	s_and_not1_b32 exec_lo, exec_lo, s3
	s_cbranch_execnz .LBB111_857
; %bb.858:
	s_or_b32 exec_lo, exec_lo, s3
.LBB111_859:
	s_delay_alu instid0(SALU_CYCLE_1) | instskip(SKIP_4) | instid1(VALU_DEP_1)
	s_or_b32 exec_lo, exec_lo, s2
	v_mov_b32_e32 v103, 0
	ds_load_b64 v[104:105], v103 offset:312
	s_wait_dscnt 0x0
	v_pk_mul_f32 v[106:107], v[100:101], v[104:105] op_sel:[1,1] op_sel_hi:[0,1]
	v_pk_fma_f32 v[108:109], v[100:101], v[104:105], v[106:107] op_sel_hi:[1,0,1]
	v_pk_fma_f32 v[100:101], v[100:101], v[104:105], v[106:107] neg_lo:[0,0,1] neg_hi:[0,0,1]
	s_delay_alu instid0(VALU_DEP_2)
	v_mov_b32_e32 v101, v109
	scratch_store_b64 off, v[100:101], off offset:312
.LBB111_860:
	s_wait_xcnt 0x0
	s_or_b32 exec_lo, exec_lo, s0
	scratch_load_b64 v[100:101], off, off offset:320
	s_mov_b32 s0, exec_lo
	s_wait_loadcnt 0x0
	ds_store_b64 v1, v[100:101]
	s_wait_storecnt_dscnt 0x0
	s_barrier_signal -1
	s_barrier_wait -1
	s_wait_xcnt 0x0
	v_cmpx_gt_u32_e32 40, v0
	s_cbranch_execz .LBB111_870
; %bb.861:
	v_cmp_ne_u32_e32 vcc_lo, 1, v102
	s_cbranch_vccnz .LBB111_863
; %bb.862:
	scratch_load_b64 v[100:101], v59, off
	ds_load_b64 v[104:105], v1
	s_wait_loadcnt_dscnt 0x0
	v_pk_mul_f32 v[106:107], v[104:105], v[100:101] op_sel:[1,1] op_sel_hi:[0,1]
	s_delay_alu instid0(VALU_DEP_1) | instskip(SKIP_1) | instid1(VALU_DEP_2)
	v_pk_fma_f32 v[108:109], v[104:105], v[100:101], v[106:107] op_sel_hi:[1,0,1]
	v_pk_fma_f32 v[100:101], v[104:105], v[100:101], v[106:107] neg_lo:[0,0,1] neg_hi:[0,0,1]
	v_mov_b32_e32 v101, v109
	s_cbranch_execz .LBB111_864
	s_branch .LBB111_865
.LBB111_863:
                                        ; implicit-def: $vgpr100_vgpr101
.LBB111_864:
	ds_load_b64 v[100:101], v1
.LBB111_865:
	s_mov_b32 s2, exec_lo
	v_cmpx_ne_u32_e32 39, v0
	s_cbranch_execz .LBB111_869
; %bb.866:
	v_add_nc_u32_e32 v103, 0x188, v58
	v_add3_u32 v104, 0, v58, 8
	v_mov_b32_e32 v105, v0
	s_mov_b32 s3, 0
.LBB111_867:                            ; =>This Inner Loop Header: Depth=1
	scratch_load_b64 v[106:107], v104, off
	ds_load_b64 v[108:109], v103
	s_wait_xcnt 0x0
	v_dual_add_nc_u32 v103, 8, v103 :: v_dual_add_nc_u32 v104, 8, v104
	s_wait_loadcnt_dscnt 0x0
	v_pk_mul_f32 v[110:111], v[108:109], v[106:107] op_sel:[1,1] op_sel_hi:[0,1]
	s_delay_alu instid0(VALU_DEP_1) | instskip(SKIP_2) | instid1(VALU_DEP_3)
	v_pk_fma_f32 v[112:113], v[108:109], v[106:107], v[110:111] op_sel_hi:[1,0,1]
	v_add_nc_u32_e32 v105, 1, v105
	v_pk_fma_f32 v[106:107], v[108:109], v[106:107], v[110:111] neg_lo:[0,0,1] neg_hi:[0,0,1]
	v_mov_b32_e32 v107, v113
	s_delay_alu instid0(VALU_DEP_3) | instskip(NEXT) | instid1(VALU_DEP_2)
	v_cmp_lt_u32_e32 vcc_lo, 38, v105
	v_pk_add_f32 v[100:101], v[100:101], v[106:107]
	s_or_b32 s3, vcc_lo, s3
	s_delay_alu instid0(SALU_CYCLE_1)
	s_and_not1_b32 exec_lo, exec_lo, s3
	s_cbranch_execnz .LBB111_867
; %bb.868:
	s_or_b32 exec_lo, exec_lo, s3
.LBB111_869:
	s_delay_alu instid0(SALU_CYCLE_1) | instskip(SKIP_4) | instid1(VALU_DEP_1)
	s_or_b32 exec_lo, exec_lo, s2
	v_mov_b32_e32 v103, 0
	ds_load_b64 v[104:105], v103 offset:320
	s_wait_dscnt 0x0
	v_pk_mul_f32 v[106:107], v[100:101], v[104:105] op_sel:[1,1] op_sel_hi:[0,1]
	v_pk_fma_f32 v[108:109], v[100:101], v[104:105], v[106:107] op_sel_hi:[1,0,1]
	v_pk_fma_f32 v[100:101], v[100:101], v[104:105], v[106:107] neg_lo:[0,0,1] neg_hi:[0,0,1]
	s_delay_alu instid0(VALU_DEP_2)
	v_mov_b32_e32 v101, v109
	scratch_store_b64 off, v[100:101], off offset:320
.LBB111_870:
	s_wait_xcnt 0x0
	s_or_b32 exec_lo, exec_lo, s0
	scratch_load_b64 v[100:101], off, off offset:328
	s_mov_b32 s0, exec_lo
	s_wait_loadcnt 0x0
	ds_store_b64 v1, v[100:101]
	s_wait_storecnt_dscnt 0x0
	s_barrier_signal -1
	s_barrier_wait -1
	s_wait_xcnt 0x0
	v_cmpx_gt_u32_e32 41, v0
	s_cbranch_execz .LBB111_880
; %bb.871:
	v_cmp_ne_u32_e32 vcc_lo, 1, v102
	s_cbranch_vccnz .LBB111_873
; %bb.872:
	scratch_load_b64 v[100:101], v59, off
	ds_load_b64 v[104:105], v1
	s_wait_loadcnt_dscnt 0x0
	v_pk_mul_f32 v[106:107], v[104:105], v[100:101] op_sel:[1,1] op_sel_hi:[0,1]
	s_delay_alu instid0(VALU_DEP_1) | instskip(SKIP_1) | instid1(VALU_DEP_2)
	v_pk_fma_f32 v[108:109], v[104:105], v[100:101], v[106:107] op_sel_hi:[1,0,1]
	v_pk_fma_f32 v[100:101], v[104:105], v[100:101], v[106:107] neg_lo:[0,0,1] neg_hi:[0,0,1]
	v_mov_b32_e32 v101, v109
	s_cbranch_execz .LBB111_874
	s_branch .LBB111_875
.LBB111_873:
                                        ; implicit-def: $vgpr100_vgpr101
.LBB111_874:
	ds_load_b64 v[100:101], v1
.LBB111_875:
	s_mov_b32 s2, exec_lo
	v_cmpx_ne_u32_e32 40, v0
	s_cbranch_execz .LBB111_879
; %bb.876:
	v_add_nc_u32_e32 v103, 0x188, v58
	v_add3_u32 v104, 0, v58, 8
	v_mov_b32_e32 v105, v0
	s_mov_b32 s3, 0
.LBB111_877:                            ; =>This Inner Loop Header: Depth=1
	scratch_load_b64 v[106:107], v104, off
	ds_load_b64 v[108:109], v103
	s_wait_xcnt 0x0
	v_dual_add_nc_u32 v103, 8, v103 :: v_dual_add_nc_u32 v104, 8, v104
	s_wait_loadcnt_dscnt 0x0
	v_pk_mul_f32 v[110:111], v[108:109], v[106:107] op_sel:[1,1] op_sel_hi:[0,1]
	s_delay_alu instid0(VALU_DEP_1) | instskip(SKIP_2) | instid1(VALU_DEP_3)
	v_pk_fma_f32 v[112:113], v[108:109], v[106:107], v[110:111] op_sel_hi:[1,0,1]
	v_add_nc_u32_e32 v105, 1, v105
	v_pk_fma_f32 v[106:107], v[108:109], v[106:107], v[110:111] neg_lo:[0,0,1] neg_hi:[0,0,1]
	v_mov_b32_e32 v107, v113
	s_delay_alu instid0(VALU_DEP_3) | instskip(NEXT) | instid1(VALU_DEP_2)
	v_cmp_lt_u32_e32 vcc_lo, 39, v105
	v_pk_add_f32 v[100:101], v[100:101], v[106:107]
	s_or_b32 s3, vcc_lo, s3
	s_delay_alu instid0(SALU_CYCLE_1)
	s_and_not1_b32 exec_lo, exec_lo, s3
	s_cbranch_execnz .LBB111_877
; %bb.878:
	s_or_b32 exec_lo, exec_lo, s3
.LBB111_879:
	s_delay_alu instid0(SALU_CYCLE_1) | instskip(SKIP_4) | instid1(VALU_DEP_1)
	s_or_b32 exec_lo, exec_lo, s2
	v_mov_b32_e32 v103, 0
	ds_load_b64 v[104:105], v103 offset:328
	s_wait_dscnt 0x0
	v_pk_mul_f32 v[106:107], v[100:101], v[104:105] op_sel:[1,1] op_sel_hi:[0,1]
	v_pk_fma_f32 v[108:109], v[100:101], v[104:105], v[106:107] op_sel_hi:[1,0,1]
	v_pk_fma_f32 v[100:101], v[100:101], v[104:105], v[106:107] neg_lo:[0,0,1] neg_hi:[0,0,1]
	s_delay_alu instid0(VALU_DEP_2)
	v_mov_b32_e32 v101, v109
	scratch_store_b64 off, v[100:101], off offset:328
.LBB111_880:
	s_wait_xcnt 0x0
	s_or_b32 exec_lo, exec_lo, s0
	scratch_load_b64 v[100:101], off, off offset:336
	s_mov_b32 s0, exec_lo
	s_wait_loadcnt 0x0
	ds_store_b64 v1, v[100:101]
	s_wait_storecnt_dscnt 0x0
	s_barrier_signal -1
	s_barrier_wait -1
	s_wait_xcnt 0x0
	v_cmpx_gt_u32_e32 42, v0
	s_cbranch_execz .LBB111_890
; %bb.881:
	v_cmp_ne_u32_e32 vcc_lo, 1, v102
	s_cbranch_vccnz .LBB111_883
; %bb.882:
	scratch_load_b64 v[100:101], v59, off
	ds_load_b64 v[104:105], v1
	s_wait_loadcnt_dscnt 0x0
	v_pk_mul_f32 v[106:107], v[104:105], v[100:101] op_sel:[1,1] op_sel_hi:[0,1]
	s_delay_alu instid0(VALU_DEP_1) | instskip(SKIP_1) | instid1(VALU_DEP_2)
	v_pk_fma_f32 v[108:109], v[104:105], v[100:101], v[106:107] op_sel_hi:[1,0,1]
	v_pk_fma_f32 v[100:101], v[104:105], v[100:101], v[106:107] neg_lo:[0,0,1] neg_hi:[0,0,1]
	v_mov_b32_e32 v101, v109
	s_cbranch_execz .LBB111_884
	s_branch .LBB111_885
.LBB111_883:
                                        ; implicit-def: $vgpr100_vgpr101
.LBB111_884:
	ds_load_b64 v[100:101], v1
.LBB111_885:
	s_mov_b32 s2, exec_lo
	v_cmpx_ne_u32_e32 41, v0
	s_cbranch_execz .LBB111_889
; %bb.886:
	v_add_nc_u32_e32 v103, 0x188, v58
	v_add3_u32 v104, 0, v58, 8
	v_mov_b32_e32 v105, v0
	s_mov_b32 s3, 0
.LBB111_887:                            ; =>This Inner Loop Header: Depth=1
	scratch_load_b64 v[106:107], v104, off
	ds_load_b64 v[108:109], v103
	s_wait_xcnt 0x0
	v_dual_add_nc_u32 v103, 8, v103 :: v_dual_add_nc_u32 v104, 8, v104
	s_wait_loadcnt_dscnt 0x0
	v_pk_mul_f32 v[110:111], v[108:109], v[106:107] op_sel:[1,1] op_sel_hi:[0,1]
	s_delay_alu instid0(VALU_DEP_1) | instskip(SKIP_2) | instid1(VALU_DEP_3)
	v_pk_fma_f32 v[112:113], v[108:109], v[106:107], v[110:111] op_sel_hi:[1,0,1]
	v_add_nc_u32_e32 v105, 1, v105
	v_pk_fma_f32 v[106:107], v[108:109], v[106:107], v[110:111] neg_lo:[0,0,1] neg_hi:[0,0,1]
	v_mov_b32_e32 v107, v113
	s_delay_alu instid0(VALU_DEP_3) | instskip(NEXT) | instid1(VALU_DEP_2)
	v_cmp_lt_u32_e32 vcc_lo, 40, v105
	v_pk_add_f32 v[100:101], v[100:101], v[106:107]
	s_or_b32 s3, vcc_lo, s3
	s_delay_alu instid0(SALU_CYCLE_1)
	s_and_not1_b32 exec_lo, exec_lo, s3
	s_cbranch_execnz .LBB111_887
; %bb.888:
	s_or_b32 exec_lo, exec_lo, s3
.LBB111_889:
	s_delay_alu instid0(SALU_CYCLE_1) | instskip(SKIP_4) | instid1(VALU_DEP_1)
	s_or_b32 exec_lo, exec_lo, s2
	v_mov_b32_e32 v103, 0
	ds_load_b64 v[104:105], v103 offset:336
	s_wait_dscnt 0x0
	v_pk_mul_f32 v[106:107], v[100:101], v[104:105] op_sel:[1,1] op_sel_hi:[0,1]
	v_pk_fma_f32 v[108:109], v[100:101], v[104:105], v[106:107] op_sel_hi:[1,0,1]
	v_pk_fma_f32 v[100:101], v[100:101], v[104:105], v[106:107] neg_lo:[0,0,1] neg_hi:[0,0,1]
	s_delay_alu instid0(VALU_DEP_2)
	v_mov_b32_e32 v101, v109
	scratch_store_b64 off, v[100:101], off offset:336
.LBB111_890:
	s_wait_xcnt 0x0
	s_or_b32 exec_lo, exec_lo, s0
	scratch_load_b64 v[100:101], off, off offset:344
	s_mov_b32 s0, exec_lo
	s_wait_loadcnt 0x0
	ds_store_b64 v1, v[100:101]
	s_wait_storecnt_dscnt 0x0
	s_barrier_signal -1
	s_barrier_wait -1
	s_wait_xcnt 0x0
	v_cmpx_gt_u32_e32 43, v0
	s_cbranch_execz .LBB111_900
; %bb.891:
	v_cmp_ne_u32_e32 vcc_lo, 1, v102
	s_cbranch_vccnz .LBB111_893
; %bb.892:
	scratch_load_b64 v[100:101], v59, off
	ds_load_b64 v[104:105], v1
	s_wait_loadcnt_dscnt 0x0
	v_pk_mul_f32 v[106:107], v[104:105], v[100:101] op_sel:[1,1] op_sel_hi:[0,1]
	s_delay_alu instid0(VALU_DEP_1) | instskip(SKIP_1) | instid1(VALU_DEP_2)
	v_pk_fma_f32 v[108:109], v[104:105], v[100:101], v[106:107] op_sel_hi:[1,0,1]
	v_pk_fma_f32 v[100:101], v[104:105], v[100:101], v[106:107] neg_lo:[0,0,1] neg_hi:[0,0,1]
	v_mov_b32_e32 v101, v109
	s_cbranch_execz .LBB111_894
	s_branch .LBB111_895
.LBB111_893:
                                        ; implicit-def: $vgpr100_vgpr101
.LBB111_894:
	ds_load_b64 v[100:101], v1
.LBB111_895:
	s_mov_b32 s2, exec_lo
	v_cmpx_ne_u32_e32 42, v0
	s_cbranch_execz .LBB111_899
; %bb.896:
	v_add_nc_u32_e32 v103, 0x188, v58
	v_add3_u32 v104, 0, v58, 8
	v_mov_b32_e32 v105, v0
	s_mov_b32 s3, 0
.LBB111_897:                            ; =>This Inner Loop Header: Depth=1
	scratch_load_b64 v[106:107], v104, off
	ds_load_b64 v[108:109], v103
	s_wait_xcnt 0x0
	v_dual_add_nc_u32 v103, 8, v103 :: v_dual_add_nc_u32 v104, 8, v104
	s_wait_loadcnt_dscnt 0x0
	v_pk_mul_f32 v[110:111], v[108:109], v[106:107] op_sel:[1,1] op_sel_hi:[0,1]
	s_delay_alu instid0(VALU_DEP_1) | instskip(SKIP_2) | instid1(VALU_DEP_3)
	v_pk_fma_f32 v[112:113], v[108:109], v[106:107], v[110:111] op_sel_hi:[1,0,1]
	v_add_nc_u32_e32 v105, 1, v105
	v_pk_fma_f32 v[106:107], v[108:109], v[106:107], v[110:111] neg_lo:[0,0,1] neg_hi:[0,0,1]
	v_mov_b32_e32 v107, v113
	s_delay_alu instid0(VALU_DEP_3) | instskip(NEXT) | instid1(VALU_DEP_2)
	v_cmp_lt_u32_e32 vcc_lo, 41, v105
	v_pk_add_f32 v[100:101], v[100:101], v[106:107]
	s_or_b32 s3, vcc_lo, s3
	s_delay_alu instid0(SALU_CYCLE_1)
	s_and_not1_b32 exec_lo, exec_lo, s3
	s_cbranch_execnz .LBB111_897
; %bb.898:
	s_or_b32 exec_lo, exec_lo, s3
.LBB111_899:
	s_delay_alu instid0(SALU_CYCLE_1) | instskip(SKIP_4) | instid1(VALU_DEP_1)
	s_or_b32 exec_lo, exec_lo, s2
	v_mov_b32_e32 v103, 0
	ds_load_b64 v[104:105], v103 offset:344
	s_wait_dscnt 0x0
	v_pk_mul_f32 v[106:107], v[100:101], v[104:105] op_sel:[1,1] op_sel_hi:[0,1]
	v_pk_fma_f32 v[108:109], v[100:101], v[104:105], v[106:107] op_sel_hi:[1,0,1]
	v_pk_fma_f32 v[100:101], v[100:101], v[104:105], v[106:107] neg_lo:[0,0,1] neg_hi:[0,0,1]
	s_delay_alu instid0(VALU_DEP_2)
	v_mov_b32_e32 v101, v109
	scratch_store_b64 off, v[100:101], off offset:344
.LBB111_900:
	s_wait_xcnt 0x0
	s_or_b32 exec_lo, exec_lo, s0
	scratch_load_b64 v[100:101], off, off offset:352
	s_mov_b32 s0, exec_lo
	s_wait_loadcnt 0x0
	ds_store_b64 v1, v[100:101]
	s_wait_storecnt_dscnt 0x0
	s_barrier_signal -1
	s_barrier_wait -1
	s_wait_xcnt 0x0
	v_cmpx_gt_u32_e32 44, v0
	s_cbranch_execz .LBB111_910
; %bb.901:
	v_cmp_ne_u32_e32 vcc_lo, 1, v102
	s_cbranch_vccnz .LBB111_903
; %bb.902:
	scratch_load_b64 v[100:101], v59, off
	ds_load_b64 v[104:105], v1
	s_wait_loadcnt_dscnt 0x0
	v_pk_mul_f32 v[106:107], v[104:105], v[100:101] op_sel:[1,1] op_sel_hi:[0,1]
	s_delay_alu instid0(VALU_DEP_1) | instskip(SKIP_1) | instid1(VALU_DEP_2)
	v_pk_fma_f32 v[108:109], v[104:105], v[100:101], v[106:107] op_sel_hi:[1,0,1]
	v_pk_fma_f32 v[100:101], v[104:105], v[100:101], v[106:107] neg_lo:[0,0,1] neg_hi:[0,0,1]
	v_mov_b32_e32 v101, v109
	s_cbranch_execz .LBB111_904
	s_branch .LBB111_905
.LBB111_903:
                                        ; implicit-def: $vgpr100_vgpr101
.LBB111_904:
	ds_load_b64 v[100:101], v1
.LBB111_905:
	s_mov_b32 s2, exec_lo
	v_cmpx_ne_u32_e32 43, v0
	s_cbranch_execz .LBB111_909
; %bb.906:
	v_add_nc_u32_e32 v103, 0x188, v58
	v_add3_u32 v104, 0, v58, 8
	v_mov_b32_e32 v105, v0
	s_mov_b32 s3, 0
.LBB111_907:                            ; =>This Inner Loop Header: Depth=1
	scratch_load_b64 v[106:107], v104, off
	ds_load_b64 v[108:109], v103
	s_wait_xcnt 0x0
	v_dual_add_nc_u32 v103, 8, v103 :: v_dual_add_nc_u32 v104, 8, v104
	s_wait_loadcnt_dscnt 0x0
	v_pk_mul_f32 v[110:111], v[108:109], v[106:107] op_sel:[1,1] op_sel_hi:[0,1]
	s_delay_alu instid0(VALU_DEP_1) | instskip(SKIP_2) | instid1(VALU_DEP_3)
	v_pk_fma_f32 v[112:113], v[108:109], v[106:107], v[110:111] op_sel_hi:[1,0,1]
	v_add_nc_u32_e32 v105, 1, v105
	v_pk_fma_f32 v[106:107], v[108:109], v[106:107], v[110:111] neg_lo:[0,0,1] neg_hi:[0,0,1]
	v_mov_b32_e32 v107, v113
	s_delay_alu instid0(VALU_DEP_3) | instskip(NEXT) | instid1(VALU_DEP_2)
	v_cmp_lt_u32_e32 vcc_lo, 42, v105
	v_pk_add_f32 v[100:101], v[100:101], v[106:107]
	s_or_b32 s3, vcc_lo, s3
	s_delay_alu instid0(SALU_CYCLE_1)
	s_and_not1_b32 exec_lo, exec_lo, s3
	s_cbranch_execnz .LBB111_907
; %bb.908:
	s_or_b32 exec_lo, exec_lo, s3
.LBB111_909:
	s_delay_alu instid0(SALU_CYCLE_1) | instskip(SKIP_4) | instid1(VALU_DEP_1)
	s_or_b32 exec_lo, exec_lo, s2
	v_mov_b32_e32 v103, 0
	ds_load_b64 v[104:105], v103 offset:352
	s_wait_dscnt 0x0
	v_pk_mul_f32 v[106:107], v[100:101], v[104:105] op_sel:[1,1] op_sel_hi:[0,1]
	v_pk_fma_f32 v[108:109], v[100:101], v[104:105], v[106:107] op_sel_hi:[1,0,1]
	v_pk_fma_f32 v[100:101], v[100:101], v[104:105], v[106:107] neg_lo:[0,0,1] neg_hi:[0,0,1]
	s_delay_alu instid0(VALU_DEP_2)
	v_mov_b32_e32 v101, v109
	scratch_store_b64 off, v[100:101], off offset:352
.LBB111_910:
	s_wait_xcnt 0x0
	s_or_b32 exec_lo, exec_lo, s0
	scratch_load_b64 v[100:101], off, off offset:360
	s_mov_b32 s0, exec_lo
	s_wait_loadcnt 0x0
	ds_store_b64 v1, v[100:101]
	s_wait_storecnt_dscnt 0x0
	s_barrier_signal -1
	s_barrier_wait -1
	s_wait_xcnt 0x0
	v_cmpx_gt_u32_e32 45, v0
	s_cbranch_execz .LBB111_920
; %bb.911:
	v_cmp_ne_u32_e32 vcc_lo, 1, v102
	s_cbranch_vccnz .LBB111_913
; %bb.912:
	scratch_load_b64 v[100:101], v59, off
	ds_load_b64 v[104:105], v1
	s_wait_loadcnt_dscnt 0x0
	v_pk_mul_f32 v[106:107], v[104:105], v[100:101] op_sel:[1,1] op_sel_hi:[0,1]
	s_delay_alu instid0(VALU_DEP_1) | instskip(SKIP_1) | instid1(VALU_DEP_2)
	v_pk_fma_f32 v[108:109], v[104:105], v[100:101], v[106:107] op_sel_hi:[1,0,1]
	v_pk_fma_f32 v[100:101], v[104:105], v[100:101], v[106:107] neg_lo:[0,0,1] neg_hi:[0,0,1]
	v_mov_b32_e32 v101, v109
	s_cbranch_execz .LBB111_914
	s_branch .LBB111_915
.LBB111_913:
                                        ; implicit-def: $vgpr100_vgpr101
.LBB111_914:
	ds_load_b64 v[100:101], v1
.LBB111_915:
	s_mov_b32 s2, exec_lo
	v_cmpx_ne_u32_e32 44, v0
	s_cbranch_execz .LBB111_919
; %bb.916:
	v_add_nc_u32_e32 v103, 0x188, v58
	v_add3_u32 v104, 0, v58, 8
	v_mov_b32_e32 v105, v0
	s_mov_b32 s3, 0
.LBB111_917:                            ; =>This Inner Loop Header: Depth=1
	scratch_load_b64 v[106:107], v104, off
	ds_load_b64 v[108:109], v103
	s_wait_xcnt 0x0
	v_dual_add_nc_u32 v103, 8, v103 :: v_dual_add_nc_u32 v104, 8, v104
	s_wait_loadcnt_dscnt 0x0
	v_pk_mul_f32 v[110:111], v[108:109], v[106:107] op_sel:[1,1] op_sel_hi:[0,1]
	s_delay_alu instid0(VALU_DEP_1) | instskip(SKIP_2) | instid1(VALU_DEP_3)
	v_pk_fma_f32 v[112:113], v[108:109], v[106:107], v[110:111] op_sel_hi:[1,0,1]
	v_add_nc_u32_e32 v105, 1, v105
	v_pk_fma_f32 v[106:107], v[108:109], v[106:107], v[110:111] neg_lo:[0,0,1] neg_hi:[0,0,1]
	v_mov_b32_e32 v107, v113
	s_delay_alu instid0(VALU_DEP_3) | instskip(NEXT) | instid1(VALU_DEP_2)
	v_cmp_lt_u32_e32 vcc_lo, 43, v105
	v_pk_add_f32 v[100:101], v[100:101], v[106:107]
	s_or_b32 s3, vcc_lo, s3
	s_delay_alu instid0(SALU_CYCLE_1)
	s_and_not1_b32 exec_lo, exec_lo, s3
	s_cbranch_execnz .LBB111_917
; %bb.918:
	s_or_b32 exec_lo, exec_lo, s3
.LBB111_919:
	s_delay_alu instid0(SALU_CYCLE_1) | instskip(SKIP_4) | instid1(VALU_DEP_1)
	s_or_b32 exec_lo, exec_lo, s2
	v_mov_b32_e32 v103, 0
	ds_load_b64 v[104:105], v103 offset:360
	s_wait_dscnt 0x0
	v_pk_mul_f32 v[106:107], v[100:101], v[104:105] op_sel:[1,1] op_sel_hi:[0,1]
	v_pk_fma_f32 v[108:109], v[100:101], v[104:105], v[106:107] op_sel_hi:[1,0,1]
	v_pk_fma_f32 v[100:101], v[100:101], v[104:105], v[106:107] neg_lo:[0,0,1] neg_hi:[0,0,1]
	s_delay_alu instid0(VALU_DEP_2)
	v_mov_b32_e32 v101, v109
	scratch_store_b64 off, v[100:101], off offset:360
.LBB111_920:
	s_wait_xcnt 0x0
	s_or_b32 exec_lo, exec_lo, s0
	scratch_load_b64 v[100:101], off, off offset:368
	v_cmp_gt_u32_e64 s0, 46, v0
	s_wait_loadcnt 0x0
	ds_store_b64 v1, v[100:101]
	s_wait_storecnt_dscnt 0x0
	s_barrier_signal -1
	s_barrier_wait -1
	s_wait_xcnt 0x0
	s_and_saveexec_b32 s2, s0
	s_cbranch_execz .LBB111_930
; %bb.921:
	v_cmp_ne_u32_e32 vcc_lo, 1, v102
	s_cbranch_vccnz .LBB111_923
; %bb.922:
	scratch_load_b64 v[100:101], v59, off
	ds_load_b64 v[104:105], v1
	s_wait_loadcnt_dscnt 0x0
	v_pk_mul_f32 v[106:107], v[104:105], v[100:101] op_sel:[1,1] op_sel_hi:[0,1]
	s_delay_alu instid0(VALU_DEP_1) | instskip(SKIP_1) | instid1(VALU_DEP_2)
	v_pk_fma_f32 v[108:109], v[104:105], v[100:101], v[106:107] op_sel_hi:[1,0,1]
	v_pk_fma_f32 v[100:101], v[104:105], v[100:101], v[106:107] neg_lo:[0,0,1] neg_hi:[0,0,1]
	v_mov_b32_e32 v101, v109
	s_cbranch_execz .LBB111_924
	s_branch .LBB111_925
.LBB111_923:
                                        ; implicit-def: $vgpr100_vgpr101
.LBB111_924:
	ds_load_b64 v[100:101], v1
.LBB111_925:
	s_mov_b32 s3, exec_lo
	v_cmpx_ne_u32_e32 45, v0
	s_cbranch_execz .LBB111_929
; %bb.926:
	v_add_nc_u32_e32 v103, 0x188, v58
	v_add3_u32 v104, 0, v58, 8
	v_mov_b32_e32 v105, v0
	s_mov_b32 s4, 0
.LBB111_927:                            ; =>This Inner Loop Header: Depth=1
	scratch_load_b64 v[106:107], v104, off
	ds_load_b64 v[108:109], v103
	s_wait_xcnt 0x0
	v_dual_add_nc_u32 v103, 8, v103 :: v_dual_add_nc_u32 v104, 8, v104
	s_wait_loadcnt_dscnt 0x0
	v_pk_mul_f32 v[110:111], v[108:109], v[106:107] op_sel:[1,1] op_sel_hi:[0,1]
	s_delay_alu instid0(VALU_DEP_1) | instskip(SKIP_2) | instid1(VALU_DEP_3)
	v_pk_fma_f32 v[112:113], v[108:109], v[106:107], v[110:111] op_sel_hi:[1,0,1]
	v_add_nc_u32_e32 v105, 1, v105
	v_pk_fma_f32 v[106:107], v[108:109], v[106:107], v[110:111] neg_lo:[0,0,1] neg_hi:[0,0,1]
	v_mov_b32_e32 v107, v113
	s_delay_alu instid0(VALU_DEP_3) | instskip(NEXT) | instid1(VALU_DEP_2)
	v_cmp_lt_u32_e32 vcc_lo, 44, v105
	v_pk_add_f32 v[100:101], v[100:101], v[106:107]
	s_or_b32 s4, vcc_lo, s4
	s_delay_alu instid0(SALU_CYCLE_1)
	s_and_not1_b32 exec_lo, exec_lo, s4
	s_cbranch_execnz .LBB111_927
; %bb.928:
	s_or_b32 exec_lo, exec_lo, s4
.LBB111_929:
	s_delay_alu instid0(SALU_CYCLE_1) | instskip(SKIP_4) | instid1(VALU_DEP_1)
	s_or_b32 exec_lo, exec_lo, s3
	v_mov_b32_e32 v103, 0
	ds_load_b64 v[104:105], v103 offset:368
	s_wait_dscnt 0x0
	v_pk_mul_f32 v[106:107], v[100:101], v[104:105] op_sel:[1,1] op_sel_hi:[0,1]
	v_pk_fma_f32 v[108:109], v[100:101], v[104:105], v[106:107] op_sel_hi:[1,0,1]
	v_pk_fma_f32 v[100:101], v[100:101], v[104:105], v[106:107] neg_lo:[0,0,1] neg_hi:[0,0,1]
	s_delay_alu instid0(VALU_DEP_2)
	v_mov_b32_e32 v101, v109
	scratch_store_b64 off, v[100:101], off offset:368
.LBB111_930:
	s_wait_xcnt 0x0
	s_or_b32 exec_lo, exec_lo, s2
	scratch_load_b64 v[100:101], off, off offset:376
	s_mov_b32 s2, exec_lo
                                        ; implicit-def: $vgpr142
                                        ; implicit-def: $sgpr5
	s_wait_loadcnt 0x0
	ds_store_b64 v1, v[100:101]
	s_wait_storecnt_dscnt 0x0
	s_barrier_signal -1
	s_barrier_wait -1
	s_wait_xcnt 0x0
	v_cmpx_ne_u32_e32 47, v0
	s_cbranch_execz .LBB111_940
; %bb.931:
	v_cmp_ne_u32_e32 vcc_lo, 1, v102
	s_cbranch_vccnz .LBB111_933
; %bb.932:
	scratch_load_b64 v[102:103], v59, off
	ds_load_b64 v[104:105], v1
	s_wait_loadcnt_dscnt 0x0
	v_dual_mul_f32 v59, v105, v103 :: v_dual_mul_f32 v101, v104, v103
	s_delay_alu instid0(VALU_DEP_1)
	v_dual_fma_f32 v100, v104, v102, -v59 :: v_dual_fmac_f32 v101, v105, v102
	s_cbranch_execz .LBB111_934
	s_branch .LBB111_935
.LBB111_933:
                                        ; implicit-def: $vgpr101
.LBB111_934:
	ds_load_b64 v[100:101], v1
.LBB111_935:
	s_and_saveexec_b32 s3, s0
	s_cbranch_execz .LBB111_939
; %bb.936:
	v_add_nc_u32_e32 v1, 0x188, v58
	v_add3_u32 v58, 0, v58, 8
	s_mov_b32 s0, 0
.LBB111_937:                            ; =>This Inner Loop Header: Depth=1
	scratch_load_b64 v[102:103], v58, off
	ds_load_b64 v[104:105], v1
	s_wait_loadcnt_dscnt 0x0
	v_dual_add_nc_u32 v1, 8, v1 :: v_dual_mul_f32 v59, v105, v103
	v_dual_mul_f32 v103, v104, v103 :: v_dual_add_nc_u32 v0, 1, v0
	s_delay_alu instid0(VALU_DEP_2) | instskip(NEXT) | instid1(VALU_DEP_2)
	v_fma_f32 v59, v104, v102, -v59
	v_fmac_f32_e32 v103, v105, v102
	s_delay_alu instid0(VALU_DEP_3) | instskip(NEXT) | instid1(VALU_DEP_3)
	v_cmp_lt_u32_e32 vcc_lo, 45, v0
	v_dual_add_nc_u32 v58, 8, v58 :: v_dual_add_f32 v100, v100, v59
	s_delay_alu instid0(VALU_DEP_3) | instskip(SKIP_1) | instid1(SALU_CYCLE_1)
	v_add_f32_e32 v101, v101, v103
	s_or_b32 s0, vcc_lo, s0
	s_and_not1_b32 exec_lo, exec_lo, s0
	s_cbranch_execnz .LBB111_937
; %bb.938:
	s_or_b32 exec_lo, exec_lo, s0
.LBB111_939:
	s_delay_alu instid0(SALU_CYCLE_1)
	s_or_b32 exec_lo, exec_lo, s3
	v_mov_b32_e32 v0, 0
	s_movk_i32 s5, 0x17c
	s_or_b32 s1, s1, exec_lo
	ds_load_b64 v[0:1], v0 offset:376
	s_wait_dscnt 0x0
	v_dual_mul_f32 v58, v101, v1 :: v_dual_mul_f32 v142, v100, v1
	s_delay_alu instid0(VALU_DEP_1) | instskip(NEXT) | instid1(VALU_DEP_2)
	v_fma_f32 v1, v100, v0, -v58
	v_fmac_f32_e32 v142, v101, v0
	scratch_store_b32 off, v1, off offset:376
.LBB111_940:
	s_wait_xcnt 0x0
	s_or_b32 exec_lo, exec_lo, s2
.LBB111_941:
	v_lshl_add_u64 v[140:141], v[6:7], 3, s[6:7]
	v_lshl_add_u64 v[138:139], v[8:9], 3, s[6:7]
	;; [unrolled: 1-line block ×46, first 2 shown]
	s_and_saveexec_b32 s0, s1
	s_cbranch_execz .LBB111_943
; %bb.942:
	scratch_store_b32 off, v142, s5
.LBB111_943:
	s_wait_xcnt 0x0
	s_or_b32 exec_lo, exec_lo, s0
	scratch_load_b64 v[52:53], off, off
	s_wait_loadcnt 0x0
	flat_store_b64 v[2:3], v[52:53]
	scratch_load_b64 v[2:3], off, off offset:8
	s_wait_loadcnt 0x0
	flat_store_b64 v[4:5], v[2:3]
	scratch_load_b64 v[2:3], off, off offset:16
	;; [unrolled: 3-line block ×47, first 2 shown]
	s_wait_loadcnt 0x0
	flat_store_b64 v[0:1], v[2:3]
.LBB111_944:
	s_sendmsg sendmsg(MSG_DEALLOC_VGPRS)
	s_endpgm
	.section	.rodata,"a",@progbits
	.p2align	6, 0x0
	.amdhsa_kernel _ZN9rocsolver6v33100L18trti2_kernel_smallILi48E19rocblas_complex_numIfEPKPS3_EEv13rocblas_fill_17rocblas_diagonal_T1_iil
		.amdhsa_group_segment_fixed_size 768
		.amdhsa_private_segment_fixed_size 400
		.amdhsa_kernarg_size 32
		.amdhsa_user_sgpr_count 2
		.amdhsa_user_sgpr_dispatch_ptr 0
		.amdhsa_user_sgpr_queue_ptr 0
		.amdhsa_user_sgpr_kernarg_segment_ptr 1
		.amdhsa_user_sgpr_dispatch_id 0
		.amdhsa_user_sgpr_kernarg_preload_length 0
		.amdhsa_user_sgpr_kernarg_preload_offset 0
		.amdhsa_user_sgpr_private_segment_size 0
		.amdhsa_wavefront_size32 1
		.amdhsa_uses_dynamic_stack 0
		.amdhsa_enable_private_segment 1
		.amdhsa_system_sgpr_workgroup_id_x 1
		.amdhsa_system_sgpr_workgroup_id_y 0
		.amdhsa_system_sgpr_workgroup_id_z 0
		.amdhsa_system_sgpr_workgroup_info 0
		.amdhsa_system_vgpr_workitem_id 0
		.amdhsa_next_free_vgpr 143
		.amdhsa_next_free_sgpr 54
		.amdhsa_named_barrier_count 0
		.amdhsa_reserve_vcc 1
		.amdhsa_float_round_mode_32 0
		.amdhsa_float_round_mode_16_64 0
		.amdhsa_float_denorm_mode_32 3
		.amdhsa_float_denorm_mode_16_64 3
		.amdhsa_fp16_overflow 0
		.amdhsa_memory_ordered 1
		.amdhsa_forward_progress 1
		.amdhsa_inst_pref_size 255
		.amdhsa_round_robin_scheduling 0
		.amdhsa_exception_fp_ieee_invalid_op 0
		.amdhsa_exception_fp_denorm_src 0
		.amdhsa_exception_fp_ieee_div_zero 0
		.amdhsa_exception_fp_ieee_overflow 0
		.amdhsa_exception_fp_ieee_underflow 0
		.amdhsa_exception_fp_ieee_inexact 0
		.amdhsa_exception_int_div_zero 0
	.end_amdhsa_kernel
	.section	.text._ZN9rocsolver6v33100L18trti2_kernel_smallILi48E19rocblas_complex_numIfEPKPS3_EEv13rocblas_fill_17rocblas_diagonal_T1_iil,"axG",@progbits,_ZN9rocsolver6v33100L18trti2_kernel_smallILi48E19rocblas_complex_numIfEPKPS3_EEv13rocblas_fill_17rocblas_diagonal_T1_iil,comdat
.Lfunc_end111:
	.size	_ZN9rocsolver6v33100L18trti2_kernel_smallILi48E19rocblas_complex_numIfEPKPS3_EEv13rocblas_fill_17rocblas_diagonal_T1_iil, .Lfunc_end111-_ZN9rocsolver6v33100L18trti2_kernel_smallILi48E19rocblas_complex_numIfEPKPS3_EEv13rocblas_fill_17rocblas_diagonal_T1_iil
                                        ; -- End function
	.set _ZN9rocsolver6v33100L18trti2_kernel_smallILi48E19rocblas_complex_numIfEPKPS3_EEv13rocblas_fill_17rocblas_diagonal_T1_iil.num_vgpr, 143
	.set _ZN9rocsolver6v33100L18trti2_kernel_smallILi48E19rocblas_complex_numIfEPKPS3_EEv13rocblas_fill_17rocblas_diagonal_T1_iil.num_agpr, 0
	.set _ZN9rocsolver6v33100L18trti2_kernel_smallILi48E19rocblas_complex_numIfEPKPS3_EEv13rocblas_fill_17rocblas_diagonal_T1_iil.numbered_sgpr, 54
	.set _ZN9rocsolver6v33100L18trti2_kernel_smallILi48E19rocblas_complex_numIfEPKPS3_EEv13rocblas_fill_17rocblas_diagonal_T1_iil.num_named_barrier, 0
	.set _ZN9rocsolver6v33100L18trti2_kernel_smallILi48E19rocblas_complex_numIfEPKPS3_EEv13rocblas_fill_17rocblas_diagonal_T1_iil.private_seg_size, 400
	.set _ZN9rocsolver6v33100L18trti2_kernel_smallILi48E19rocblas_complex_numIfEPKPS3_EEv13rocblas_fill_17rocblas_diagonal_T1_iil.uses_vcc, 1
	.set _ZN9rocsolver6v33100L18trti2_kernel_smallILi48E19rocblas_complex_numIfEPKPS3_EEv13rocblas_fill_17rocblas_diagonal_T1_iil.uses_flat_scratch, 0
	.set _ZN9rocsolver6v33100L18trti2_kernel_smallILi48E19rocblas_complex_numIfEPKPS3_EEv13rocblas_fill_17rocblas_diagonal_T1_iil.has_dyn_sized_stack, 0
	.set _ZN9rocsolver6v33100L18trti2_kernel_smallILi48E19rocblas_complex_numIfEPKPS3_EEv13rocblas_fill_17rocblas_diagonal_T1_iil.has_recursion, 0
	.set _ZN9rocsolver6v33100L18trti2_kernel_smallILi48E19rocblas_complex_numIfEPKPS3_EEv13rocblas_fill_17rocblas_diagonal_T1_iil.has_indirect_call, 0
	.section	.AMDGPU.csdata,"",@progbits
; Kernel info:
; codeLenInByte = 37060
; TotalNumSgprs: 56
; NumVgprs: 143
; ScratchSize: 400
; MemoryBound: 0
; FloatMode: 240
; IeeeMode: 1
; LDSByteSize: 768 bytes/workgroup (compile time only)
; SGPRBlocks: 0
; VGPRBlocks: 8
; NumSGPRsForWavesPerEU: 56
; NumVGPRsForWavesPerEU: 143
; NamedBarCnt: 0
; Occupancy: 7
; WaveLimiterHint : 1
; COMPUTE_PGM_RSRC2:SCRATCH_EN: 1
; COMPUTE_PGM_RSRC2:USER_SGPR: 2
; COMPUTE_PGM_RSRC2:TRAP_HANDLER: 0
; COMPUTE_PGM_RSRC2:TGID_X_EN: 1
; COMPUTE_PGM_RSRC2:TGID_Y_EN: 0
; COMPUTE_PGM_RSRC2:TGID_Z_EN: 0
; COMPUTE_PGM_RSRC2:TIDIG_COMP_CNT: 0
	.section	.text._ZN9rocsolver6v33100L18trti2_kernel_smallILi49E19rocblas_complex_numIfEPKPS3_EEv13rocblas_fill_17rocblas_diagonal_T1_iil,"axG",@progbits,_ZN9rocsolver6v33100L18trti2_kernel_smallILi49E19rocblas_complex_numIfEPKPS3_EEv13rocblas_fill_17rocblas_diagonal_T1_iil,comdat
	.globl	_ZN9rocsolver6v33100L18trti2_kernel_smallILi49E19rocblas_complex_numIfEPKPS3_EEv13rocblas_fill_17rocblas_diagonal_T1_iil ; -- Begin function _ZN9rocsolver6v33100L18trti2_kernel_smallILi49E19rocblas_complex_numIfEPKPS3_EEv13rocblas_fill_17rocblas_diagonal_T1_iil
	.p2align	8
	.type	_ZN9rocsolver6v33100L18trti2_kernel_smallILi49E19rocblas_complex_numIfEPKPS3_EEv13rocblas_fill_17rocblas_diagonal_T1_iil,@function
_ZN9rocsolver6v33100L18trti2_kernel_smallILi49E19rocblas_complex_numIfEPKPS3_EEv13rocblas_fill_17rocblas_diagonal_T1_iil: ; @_ZN9rocsolver6v33100L18trti2_kernel_smallILi49E19rocblas_complex_numIfEPKPS3_EEv13rocblas_fill_17rocblas_diagonal_T1_iil
; %bb.0:
	s_mov_b32 s2, exec_lo
	v_cmpx_gt_u32_e32 49, v0
	s_cbranch_execz .LBB112_964
; %bb.1:
	s_clause 0x1
	s_load_b64 s[8:9], s[0:1], 0x10
	s_load_b128 s[4:7], s[0:1], 0x0
	s_wait_xcnt 0x0
	s_bfe_u32 s0, ttmp6, 0x4000c
	s_and_b32 s1, ttmp6, 15
	s_add_co_i32 s0, s0, 1
	s_getreg_b32 s2, hwreg(HW_REG_IB_STS2, 6, 4)
	s_mul_i32 s0, ttmp9, s0
	v_dual_mov_b32 v59, 0 :: v_dual_lshlrev_b32 v58, 3, v0
	s_add_co_i32 s0, s1, s0
	s_wait_kmcnt 0x0
	s_ashr_i32 s1, s8, 31
	s_cmp_eq_u32 s2, 0
	s_cselect_b32 s2, ttmp9, s0
	s_mov_b32 s0, s8
	s_ashr_i32 s3, s2, 31
	s_lshl_b64 s[0:1], s[0:1], 3
	s_lshl_b64 s[2:3], s[2:3], 3
	s_delay_alu instid0(SALU_CYCLE_1)
	s_add_nc_u64 s[2:3], s[6:7], s[2:3]
	s_load_b64 s[2:3], s[2:3], 0x0
	s_wait_kmcnt 0x0
	s_add_nc_u64 s[2:3], s[2:3], s[0:1]
	s_mov_b32 s0, s9
	flat_load_b64 v[6:7], v0, s[2:3] scale_offset
	v_add_nc_u64_e32 v[2:3], s[2:3], v[58:59]
	s_ashr_i32 s1, s9, 31
	s_cmp_lg_u32 s5, 0x84
	s_cselect_b32 s5, -1, 0
	s_delay_alu instid0(SALU_CYCLE_1) | instskip(NEXT) | instid1(VALU_DEP_1)
	s_and_b32 vcc_lo, exec_lo, s5
	v_lshl_add_u64 v[4:5], s[0:1], 3, v[2:3]
	s_mov_b32 s0, -1
	s_wait_loadcnt_dscnt 0x0
	scratch_store_b64 off, v[6:7], off
	flat_load_b64 v[8:9], v[4:5]
	s_wait_xcnt 0x1
	v_add3_u32 v6, s9, s9, v0
	s_wait_loadcnt_dscnt 0x0
	scratch_store_b64 off, v[8:9], off offset:8
	flat_load_b64 v[10:11], v6, s[2:3] scale_offset
	s_wait_xcnt 0x1
	v_add_nc_u32_e32 v8, s9, v6
	s_wait_loadcnt_dscnt 0x0
	scratch_store_b64 off, v[10:11], off offset:16
	flat_load_b64 v[12:13], v8, s[2:3] scale_offset
	s_wait_xcnt 0x1
	v_add_nc_u32_e32 v10, s9, v8
	;; [unrolled: 5-line block ×46, first 2 shown]
	s_wait_loadcnt_dscnt 0x0
	scratch_store_b64 off, v[102:103], off offset:376
	flat_load_b64 v[102:103], v100, s[2:3] scale_offset
	s_wait_loadcnt_dscnt 0x0
	scratch_store_b64 off, v[102:103], off offset:384
	s_cbranch_vccz .LBB112_7
; %bb.2:
	scratch_load_b64 v[102:103], v0, off scale_offset
                                        ; implicit-def: $vgpr107
                                        ; implicit-def: $vgpr104
	s_wait_loadcnt 0x0
	v_cmp_ngt_f32_e64 s0, |v102|, |v103|
	s_wait_xcnt 0x0
	s_and_saveexec_b32 s1, s0
	s_delay_alu instid0(SALU_CYCLE_1)
	s_xor_b32 s0, exec_lo, s1
	s_cbranch_execz .LBB112_4
; %bb.3:
	v_div_scale_f32 v1, null, v103, v103, v102
	v_div_scale_f32 v11, vcc_lo, v102, v103, v102
	s_delay_alu instid0(VALU_DEP_2) | instskip(SKIP_1) | instid1(TRANS32_DEP_1)
	v_rcp_f32_e32 v7, v1
	v_nop
	v_fma_f32 v9, -v1, v7, 1.0
	s_delay_alu instid0(VALU_DEP_1) | instskip(NEXT) | instid1(VALU_DEP_1)
	v_fmac_f32_e32 v7, v9, v7
	v_mul_f32_e32 v9, v11, v7
	s_delay_alu instid0(VALU_DEP_1) | instskip(NEXT) | instid1(VALU_DEP_1)
	v_fma_f32 v13, -v1, v9, v11
	v_fmac_f32_e32 v9, v13, v7
	s_delay_alu instid0(VALU_DEP_1) | instskip(NEXT) | instid1(VALU_DEP_1)
	v_fma_f32 v1, -v1, v9, v11
	v_div_fmas_f32 v1, v1, v7, v9
	s_delay_alu instid0(VALU_DEP_1) | instskip(NEXT) | instid1(VALU_DEP_1)
	v_div_fixup_f32 v1, v1, v103, v102
	v_fmac_f32_e32 v103, v102, v1
	s_delay_alu instid0(VALU_DEP_1) | instskip(NEXT) | instid1(VALU_DEP_1)
	v_div_scale_f32 v7, null, v103, v103, -1.0
	v_rcp_f32_e32 v9, v7
	v_nop
	s_delay_alu instid0(TRANS32_DEP_1) | instskip(NEXT) | instid1(VALU_DEP_1)
	v_fma_f32 v11, -v7, v9, 1.0
	v_fmac_f32_e32 v9, v11, v9
	v_div_scale_f32 v11, vcc_lo, -1.0, v103, -1.0
	s_delay_alu instid0(VALU_DEP_1) | instskip(NEXT) | instid1(VALU_DEP_1)
	v_mul_f32_e32 v13, v11, v9
	v_fma_f32 v15, -v7, v13, v11
	s_delay_alu instid0(VALU_DEP_1) | instskip(NEXT) | instid1(VALU_DEP_1)
	v_fmac_f32_e32 v13, v15, v9
	v_fma_f32 v7, -v7, v13, v11
	s_delay_alu instid0(VALU_DEP_1) | instskip(NEXT) | instid1(VALU_DEP_1)
	v_div_fmas_f32 v7, v7, v9, v13
	v_div_fixup_f32 v107, v7, v103, -1.0
                                        ; implicit-def: $vgpr102_vgpr103
	s_delay_alu instid0(VALU_DEP_1) | instskip(NEXT) | instid1(VALU_DEP_1)
	v_mul_f32_e32 v104, v1, v107
	v_xor_b32_e32 v106, 0x80000000, v104
.LBB112_4:
	s_or_saveexec_b32 s0, s0
	v_lshl_add_u32 v1, v0, 3, 0
	s_xor_b32 exec_lo, exec_lo, s0
	s_cbranch_execz .LBB112_6
; %bb.5:
	v_div_scale_f32 v7, null, v102, v102, v103
	v_div_scale_f32 v13, vcc_lo, v103, v102, v103
	s_delay_alu instid0(VALU_DEP_2) | instskip(SKIP_1) | instid1(TRANS32_DEP_1)
	v_rcp_f32_e32 v9, v7
	v_nop
	v_fma_f32 v11, -v7, v9, 1.0
	s_delay_alu instid0(VALU_DEP_1) | instskip(NEXT) | instid1(VALU_DEP_1)
	v_fmac_f32_e32 v9, v11, v9
	v_mul_f32_e32 v11, v13, v9
	s_delay_alu instid0(VALU_DEP_1) | instskip(NEXT) | instid1(VALU_DEP_1)
	v_fma_f32 v15, -v7, v11, v13
	v_fmac_f32_e32 v11, v15, v9
	s_delay_alu instid0(VALU_DEP_1) | instskip(NEXT) | instid1(VALU_DEP_1)
	v_fma_f32 v7, -v7, v11, v13
	v_div_fmas_f32 v7, v7, v9, v11
	s_delay_alu instid0(VALU_DEP_1) | instskip(NEXT) | instid1(VALU_DEP_1)
	v_div_fixup_f32 v7, v7, v102, v103
	v_fmac_f32_e32 v102, v103, v7
	s_delay_alu instid0(VALU_DEP_1) | instskip(SKIP_1) | instid1(VALU_DEP_2)
	v_div_scale_f32 v9, null, v102, v102, 1.0
	v_div_scale_f32 v15, vcc_lo, 1.0, v102, 1.0
	v_rcp_f32_e32 v11, v9
	v_nop
	s_delay_alu instid0(TRANS32_DEP_1) | instskip(NEXT) | instid1(VALU_DEP_1)
	v_fma_f32 v13, -v9, v11, 1.0
	v_fmac_f32_e32 v11, v13, v11
	s_delay_alu instid0(VALU_DEP_1) | instskip(NEXT) | instid1(VALU_DEP_1)
	v_mul_f32_e32 v13, v15, v11
	v_fma_f32 v17, -v9, v13, v15
	s_delay_alu instid0(VALU_DEP_1) | instskip(NEXT) | instid1(VALU_DEP_1)
	v_fmac_f32_e32 v13, v17, v11
	v_fma_f32 v9, -v9, v13, v15
	s_delay_alu instid0(VALU_DEP_1) | instskip(NEXT) | instid1(VALU_DEP_1)
	v_div_fmas_f32 v9, v9, v11, v13
	v_div_fixup_f32 v106, v9, v102, 1.0
	s_delay_alu instid0(VALU_DEP_1)
	v_xor_b32_e32 v104, 0x80000000, v106
	v_mul_f32_e64 v107, v7, -v106
.LBB112_6:
	s_or_b32 exec_lo, exec_lo, s0
	s_delay_alu instid0(VALU_DEP_1)
	v_xor_b32_e32 v105, 0x80000000, v107
	s_mov_b32 s0, 0
	scratch_store_b64 v1, v[106:107], off
	ds_store_b64 v58, v[104:105]
.LBB112_7:
	s_and_b32 vcc_lo, exec_lo, s0
	s_cbranch_vccz .LBB112_9
; %bb.8:
	s_mov_b64 s[0:1], 0xbf800000
	s_wait_xcnt 0x0
	v_mov_b64_e32 v[102:103], s[0:1]
	ds_store_b64 v58, v[102:103]
.LBB112_9:
	v_dual_ashrrev_i32 v7, 31, v6 :: v_dual_ashrrev_i32 v9, 31, v8
	v_dual_ashrrev_i32 v11, 31, v10 :: v_dual_ashrrev_i32 v13, 31, v12
	;; [unrolled: 1-line block ×23, first 2 shown]
	v_dual_ashrrev_i32 v101, 31, v100 :: v_dual_mov_b32 v59, v58
	s_wait_xcnt 0x0
	v_add_nc_u32_e32 v1, 0x190, v58
	s_cmp_eq_u32 s4, 0x79
	s_cbranch_scc1 .LBB112_13
; %bb.10:
	scratch_load_b64 v[102:103], off, off offset:376
	v_cmp_eq_u32_e64 s0, 48, v0
	s_movk_i32 s1, 0x48
	s_movk_i32 s14, 0x50
	;; [unrolled: 1-line block ×38, first 2 shown]
	s_wait_loadcnt 0x0
	ds_store_b64 v1, v[102:103]
	s_wait_storecnt_dscnt 0x0
	s_barrier_signal -1
	s_barrier_wait -1
	s_wait_xcnt 0x0
	s_and_saveexec_b32 s4, s0
	s_cbranch_execz .LBB112_17
; %bb.11:
	s_and_b32 vcc_lo, exec_lo, s5
	s_cbranch_vccz .LBB112_14
; %bb.12:
	scratch_load_b64 v[102:103], v59, off
	ds_load_b64 v[104:105], v1
	s_wait_loadcnt_dscnt 0x0
	v_pk_mul_f32 v[106:107], v[104:105], v[102:103] op_sel:[1,1] op_sel_hi:[0,1]
	v_pk_mul_f32 v[108:109], v[104:105], v[102:103] op_sel_hi:[1,0]
	s_delay_alu instid0(VALU_DEP_2) | instskip(NEXT) | instid1(VALU_DEP_2)
	v_pk_fma_f32 v[102:103], v[104:105], v[102:103], v[106:107] op_sel_hi:[1,0,1]
	v_sub_f32_e32 v102, v108, v106
	s_cbranch_execz .LBB112_15
	s_branch .LBB112_16
.LBB112_13:
	s_mov_b32 s1, 0
                                        ; implicit-def: $vgpr146
                                        ; implicit-def: $sgpr7
	s_cbranch_execnz .LBB112_486
	s_branch .LBB112_961
.LBB112_14:
                                        ; implicit-def: $vgpr103
.LBB112_15:
	ds_load_b64 v[102:103], v1
.LBB112_16:
	s_wait_dscnt 0x0
	v_dual_mov_b32 v104, 0 :: v_dual_mov_b32 v106, v103
	v_mov_b32_e32 v107, v102
	ds_load_b64 v[104:105], v104 offset:376
	s_wait_dscnt 0x0
	v_pk_mul_f32 v[106:107], v[106:107], v[104:105] op_sel:[0,1]
	s_delay_alu instid0(VALU_DEP_1) | instskip(SKIP_1) | instid1(VALU_DEP_2)
	v_pk_fma_f32 v[108:109], v[102:103], v[104:105], v[106:107] op_sel_hi:[1,0,1]
	v_pk_fma_f32 v[102:103], v[102:103], v[104:105], v[106:107] neg_lo:[0,0,1] neg_hi:[0,0,1]
	v_mov_b32_e32 v103, v109
	scratch_store_b64 off, v[102:103], off offset:376
.LBB112_17:
	s_wait_xcnt 0x0
	s_or_b32 exec_lo, exec_lo, s4
	scratch_load_b64 v[102:103], off, off offset:368
	s_mov_b32 s13, s1
	v_cmp_lt_u32_e64 s1, 46, v0
	s_or_b32 s4, 0, 8
	s_mov_b32 s6, 16
	s_mov_b32 s7, 24
	;; [unrolled: 1-line block ×7, first 2 shown]
	s_wait_loadcnt 0x0
	ds_store_b64 v1, v[102:103]
	s_wait_storecnt_dscnt 0x0
	s_barrier_signal -1
	s_barrier_wait -1
	s_wait_xcnt 0x0
	s_and_saveexec_b32 s52, s1
	s_cbranch_execz .LBB112_25
; %bb.18:
	s_and_not1_b32 vcc_lo, exec_lo, s5
	s_cbranch_vccnz .LBB112_20
; %bb.19:
	scratch_load_b64 v[102:103], v59, off
	ds_load_b64 v[104:105], v1
	s_wait_loadcnt_dscnt 0x0
	v_pk_mul_f32 v[106:107], v[104:105], v[102:103] op_sel:[1,1] op_sel_hi:[0,1]
	s_delay_alu instid0(VALU_DEP_1) | instskip(SKIP_1) | instid1(VALU_DEP_2)
	v_pk_fma_f32 v[108:109], v[104:105], v[102:103], v[106:107] op_sel_hi:[1,0,1]
	v_pk_fma_f32 v[102:103], v[104:105], v[102:103], v[106:107] neg_lo:[0,0,1] neg_hi:[0,0,1]
	v_mov_b32_e32 v103, v109
	s_cbranch_execz .LBB112_21
	s_branch .LBB112_22
.LBB112_20:
                                        ; implicit-def: $vgpr102_vgpr103
.LBB112_21:
	ds_load_b64 v[102:103], v1
.LBB112_22:
	s_and_saveexec_b32 s53, s0
	s_cbranch_execz .LBB112_24
; %bb.23:
	scratch_load_b64 v[104:105], off, off offset:376
	v_mov_b32_e32 v106, 0
	ds_load_b64 v[106:107], v106 offset:776
	s_wait_loadcnt_dscnt 0x0
	v_pk_mul_f32 v[108:109], v[106:107], v[104:105] op_sel:[1,1] op_sel_hi:[0,1]
	s_delay_alu instid0(VALU_DEP_1) | instskip(SKIP_1) | instid1(VALU_DEP_2)
	v_pk_fma_f32 v[110:111], v[106:107], v[104:105], v[108:109] op_sel_hi:[1,0,1]
	v_pk_fma_f32 v[104:105], v[106:107], v[104:105], v[108:109] neg_lo:[0,0,1] neg_hi:[0,0,1]
	v_mov_b32_e32 v105, v111
	s_delay_alu instid0(VALU_DEP_1)
	v_pk_add_f32 v[102:103], v[102:103], v[104:105]
.LBB112_24:
	s_or_b32 exec_lo, exec_lo, s53
	v_mov_b32_e32 v104, 0
	ds_load_b64 v[104:105], v104 offset:368
	s_wait_dscnt 0x0
	v_pk_mul_f32 v[106:107], v[102:103], v[104:105] op_sel:[1,1] op_sel_hi:[0,1]
	s_delay_alu instid0(VALU_DEP_1) | instskip(SKIP_1) | instid1(VALU_DEP_2)
	v_pk_fma_f32 v[108:109], v[102:103], v[104:105], v[106:107] op_sel_hi:[1,0,1]
	v_pk_fma_f32 v[102:103], v[102:103], v[104:105], v[106:107] neg_lo:[0,0,1] neg_hi:[0,0,1]
	v_mov_b32_e32 v103, v109
	scratch_store_b64 off, v[102:103], off offset:368
.LBB112_25:
	s_wait_xcnt 0x0
	s_or_b32 exec_lo, exec_lo, s52
	scratch_load_b64 v[102:103], off, off offset:360
	v_cmp_lt_u32_e64 s0, 45, v0
	s_wait_loadcnt 0x0
	ds_store_b64 v1, v[102:103]
	s_wait_storecnt_dscnt 0x0
	s_barrier_signal -1
	s_barrier_wait -1
	s_wait_xcnt 0x0
	s_and_saveexec_b32 s52, s0
	s_cbranch_execz .LBB112_35
; %bb.26:
	s_and_not1_b32 vcc_lo, exec_lo, s5
	s_cbranch_vccnz .LBB112_28
; %bb.27:
	scratch_load_b64 v[102:103], v59, off
	ds_load_b64 v[104:105], v1
	s_wait_loadcnt_dscnt 0x0
	v_pk_mul_f32 v[106:107], v[104:105], v[102:103] op_sel:[1,1] op_sel_hi:[0,1]
	s_delay_alu instid0(VALU_DEP_1) | instskip(SKIP_1) | instid1(VALU_DEP_2)
	v_pk_fma_f32 v[108:109], v[104:105], v[102:103], v[106:107] op_sel_hi:[1,0,1]
	v_pk_fma_f32 v[102:103], v[104:105], v[102:103], v[106:107] neg_lo:[0,0,1] neg_hi:[0,0,1]
	v_mov_b32_e32 v103, v109
	s_cbranch_execz .LBB112_29
	s_branch .LBB112_30
.LBB112_28:
                                        ; implicit-def: $vgpr102_vgpr103
.LBB112_29:
	ds_load_b64 v[102:103], v1
.LBB112_30:
	s_and_saveexec_b32 s53, s1
	s_cbranch_execz .LBB112_34
; %bb.31:
	v_subrev_nc_u32_e32 v104, 46, v0
	s_movk_i32 s54, 0x300
	s_mov_b32 s1, 0
.LBB112_32:                             ; =>This Inner Loop Header: Depth=1
	scratch_load_b64 v[106:107], off, s51
	v_dual_mov_b32 v105, s54 :: v_dual_add_nc_u32 v104, -1, v104
	s_add_co_i32 s54, s54, 8
	s_wait_xcnt 0x0
	s_add_co_i32 s51, s51, 8
	ds_load_b64 v[108:109], v105
	v_cmp_eq_u32_e32 vcc_lo, 0, v104
	s_or_b32 s1, vcc_lo, s1
	s_wait_loadcnt_dscnt 0x0
	v_pk_mul_f32 v[110:111], v[108:109], v[106:107] op_sel:[1,1] op_sel_hi:[0,1]
	s_delay_alu instid0(VALU_DEP_1) | instskip(SKIP_1) | instid1(VALU_DEP_2)
	v_pk_fma_f32 v[112:113], v[108:109], v[106:107], v[110:111] op_sel_hi:[1,0,1]
	v_pk_fma_f32 v[106:107], v[108:109], v[106:107], v[110:111] neg_lo:[0,0,1] neg_hi:[0,0,1]
	v_mov_b32_e32 v107, v113
	s_delay_alu instid0(VALU_DEP_1)
	v_pk_add_f32 v[102:103], v[102:103], v[106:107]
	s_and_not1_b32 exec_lo, exec_lo, s1
	s_cbranch_execnz .LBB112_32
; %bb.33:
	s_or_b32 exec_lo, exec_lo, s1
.LBB112_34:
	s_delay_alu instid0(SALU_CYCLE_1) | instskip(SKIP_4) | instid1(VALU_DEP_1)
	s_or_b32 exec_lo, exec_lo, s53
	v_mov_b32_e32 v104, 0
	ds_load_b64 v[104:105], v104 offset:360
	s_wait_dscnt 0x0
	v_pk_mul_f32 v[106:107], v[102:103], v[104:105] op_sel:[1,1] op_sel_hi:[0,1]
	v_pk_fma_f32 v[108:109], v[102:103], v[104:105], v[106:107] op_sel_hi:[1,0,1]
	v_pk_fma_f32 v[102:103], v[102:103], v[104:105], v[106:107] neg_lo:[0,0,1] neg_hi:[0,0,1]
	s_delay_alu instid0(VALU_DEP_2)
	v_mov_b32_e32 v103, v109
	scratch_store_b64 off, v[102:103], off offset:360
.LBB112_35:
	s_wait_xcnt 0x0
	s_or_b32 exec_lo, exec_lo, s52
	scratch_load_b64 v[102:103], off, off offset:352
	v_cmp_lt_u32_e64 s1, 44, v0
	s_wait_loadcnt 0x0
	ds_store_b64 v1, v[102:103]
	s_wait_storecnt_dscnt 0x0
	s_barrier_signal -1
	s_barrier_wait -1
	s_wait_xcnt 0x0
	s_and_saveexec_b32 s51, s1
	s_cbranch_execz .LBB112_45
; %bb.36:
	s_and_not1_b32 vcc_lo, exec_lo, s5
	s_cbranch_vccnz .LBB112_38
; %bb.37:
	scratch_load_b64 v[102:103], v59, off
	ds_load_b64 v[104:105], v1
	s_wait_loadcnt_dscnt 0x0
	v_pk_mul_f32 v[106:107], v[104:105], v[102:103] op_sel:[1,1] op_sel_hi:[0,1]
	s_delay_alu instid0(VALU_DEP_1) | instskip(SKIP_1) | instid1(VALU_DEP_2)
	v_pk_fma_f32 v[108:109], v[104:105], v[102:103], v[106:107] op_sel_hi:[1,0,1]
	v_pk_fma_f32 v[102:103], v[104:105], v[102:103], v[106:107] neg_lo:[0,0,1] neg_hi:[0,0,1]
	v_mov_b32_e32 v103, v109
	s_cbranch_execz .LBB112_39
	s_branch .LBB112_40
.LBB112_38:
                                        ; implicit-def: $vgpr102_vgpr103
.LBB112_39:
	ds_load_b64 v[102:103], v1
.LBB112_40:
	s_and_saveexec_b32 s52, s0
	s_cbranch_execz .LBB112_44
; %bb.41:
	v_subrev_nc_u32_e32 v104, 45, v0
	s_movk_i32 s53, 0x2f8
	s_mov_b32 s0, 0
.LBB112_42:                             ; =>This Inner Loop Header: Depth=1
	scratch_load_b64 v[106:107], off, s50
	v_dual_mov_b32 v105, s53 :: v_dual_add_nc_u32 v104, -1, v104
	s_add_co_i32 s53, s53, 8
	s_wait_xcnt 0x0
	s_add_co_i32 s50, s50, 8
	ds_load_b64 v[108:109], v105
	v_cmp_eq_u32_e32 vcc_lo, 0, v104
	s_or_b32 s0, vcc_lo, s0
	s_wait_loadcnt_dscnt 0x0
	v_pk_mul_f32 v[110:111], v[108:109], v[106:107] op_sel:[1,1] op_sel_hi:[0,1]
	s_delay_alu instid0(VALU_DEP_1) | instskip(SKIP_1) | instid1(VALU_DEP_2)
	v_pk_fma_f32 v[112:113], v[108:109], v[106:107], v[110:111] op_sel_hi:[1,0,1]
	v_pk_fma_f32 v[106:107], v[108:109], v[106:107], v[110:111] neg_lo:[0,0,1] neg_hi:[0,0,1]
	v_mov_b32_e32 v107, v113
	s_delay_alu instid0(VALU_DEP_1)
	v_pk_add_f32 v[102:103], v[102:103], v[106:107]
	s_and_not1_b32 exec_lo, exec_lo, s0
	s_cbranch_execnz .LBB112_42
; %bb.43:
	s_or_b32 exec_lo, exec_lo, s0
.LBB112_44:
	s_delay_alu instid0(SALU_CYCLE_1) | instskip(SKIP_4) | instid1(VALU_DEP_1)
	s_or_b32 exec_lo, exec_lo, s52
	v_mov_b32_e32 v104, 0
	ds_load_b64 v[104:105], v104 offset:352
	s_wait_dscnt 0x0
	v_pk_mul_f32 v[106:107], v[102:103], v[104:105] op_sel:[1,1] op_sel_hi:[0,1]
	v_pk_fma_f32 v[108:109], v[102:103], v[104:105], v[106:107] op_sel_hi:[1,0,1]
	v_pk_fma_f32 v[102:103], v[102:103], v[104:105], v[106:107] neg_lo:[0,0,1] neg_hi:[0,0,1]
	s_delay_alu instid0(VALU_DEP_2)
	v_mov_b32_e32 v103, v109
	scratch_store_b64 off, v[102:103], off offset:352
.LBB112_45:
	s_wait_xcnt 0x0
	s_or_b32 exec_lo, exec_lo, s51
	scratch_load_b64 v[102:103], off, off offset:344
	v_cmp_lt_u32_e64 s0, 43, v0
	s_wait_loadcnt 0x0
	ds_store_b64 v1, v[102:103]
	s_wait_storecnt_dscnt 0x0
	s_barrier_signal -1
	s_barrier_wait -1
	s_wait_xcnt 0x0
	s_and_saveexec_b32 s50, s0
	s_cbranch_execz .LBB112_55
; %bb.46:
	s_and_not1_b32 vcc_lo, exec_lo, s5
	s_cbranch_vccnz .LBB112_48
; %bb.47:
	scratch_load_b64 v[102:103], v59, off
	ds_load_b64 v[104:105], v1
	s_wait_loadcnt_dscnt 0x0
	v_pk_mul_f32 v[106:107], v[104:105], v[102:103] op_sel:[1,1] op_sel_hi:[0,1]
	s_delay_alu instid0(VALU_DEP_1) | instskip(SKIP_1) | instid1(VALU_DEP_2)
	v_pk_fma_f32 v[108:109], v[104:105], v[102:103], v[106:107] op_sel_hi:[1,0,1]
	v_pk_fma_f32 v[102:103], v[104:105], v[102:103], v[106:107] neg_lo:[0,0,1] neg_hi:[0,0,1]
	v_mov_b32_e32 v103, v109
	s_cbranch_execz .LBB112_49
	s_branch .LBB112_50
.LBB112_48:
                                        ; implicit-def: $vgpr102_vgpr103
.LBB112_49:
	ds_load_b64 v[102:103], v1
.LBB112_50:
	s_and_saveexec_b32 s51, s1
	s_cbranch_execz .LBB112_54
; %bb.51:
	v_subrev_nc_u32_e32 v104, 44, v0
	s_movk_i32 s52, 0x2f0
	s_mov_b32 s1, 0
.LBB112_52:                             ; =>This Inner Loop Header: Depth=1
	scratch_load_b64 v[106:107], off, s49
	v_dual_mov_b32 v105, s52 :: v_dual_add_nc_u32 v104, -1, v104
	s_add_co_i32 s52, s52, 8
	s_wait_xcnt 0x0
	s_add_co_i32 s49, s49, 8
	ds_load_b64 v[108:109], v105
	v_cmp_eq_u32_e32 vcc_lo, 0, v104
	s_or_b32 s1, vcc_lo, s1
	s_wait_loadcnt_dscnt 0x0
	v_pk_mul_f32 v[110:111], v[108:109], v[106:107] op_sel:[1,1] op_sel_hi:[0,1]
	s_delay_alu instid0(VALU_DEP_1) | instskip(SKIP_1) | instid1(VALU_DEP_2)
	v_pk_fma_f32 v[112:113], v[108:109], v[106:107], v[110:111] op_sel_hi:[1,0,1]
	v_pk_fma_f32 v[106:107], v[108:109], v[106:107], v[110:111] neg_lo:[0,0,1] neg_hi:[0,0,1]
	v_mov_b32_e32 v107, v113
	s_delay_alu instid0(VALU_DEP_1)
	v_pk_add_f32 v[102:103], v[102:103], v[106:107]
	s_and_not1_b32 exec_lo, exec_lo, s1
	s_cbranch_execnz .LBB112_52
; %bb.53:
	s_or_b32 exec_lo, exec_lo, s1
.LBB112_54:
	s_delay_alu instid0(SALU_CYCLE_1) | instskip(SKIP_4) | instid1(VALU_DEP_1)
	s_or_b32 exec_lo, exec_lo, s51
	v_mov_b32_e32 v104, 0
	ds_load_b64 v[104:105], v104 offset:344
	s_wait_dscnt 0x0
	v_pk_mul_f32 v[106:107], v[102:103], v[104:105] op_sel:[1,1] op_sel_hi:[0,1]
	v_pk_fma_f32 v[108:109], v[102:103], v[104:105], v[106:107] op_sel_hi:[1,0,1]
	v_pk_fma_f32 v[102:103], v[102:103], v[104:105], v[106:107] neg_lo:[0,0,1] neg_hi:[0,0,1]
	s_delay_alu instid0(VALU_DEP_2)
	v_mov_b32_e32 v103, v109
	scratch_store_b64 off, v[102:103], off offset:344
.LBB112_55:
	s_wait_xcnt 0x0
	s_or_b32 exec_lo, exec_lo, s50
	scratch_load_b64 v[102:103], off, off offset:336
	v_cmp_lt_u32_e64 s1, 42, v0
	s_wait_loadcnt 0x0
	ds_store_b64 v1, v[102:103]
	s_wait_storecnt_dscnt 0x0
	s_barrier_signal -1
	s_barrier_wait -1
	s_wait_xcnt 0x0
	s_and_saveexec_b32 s49, s1
	s_cbranch_execz .LBB112_65
; %bb.56:
	s_and_not1_b32 vcc_lo, exec_lo, s5
	s_cbranch_vccnz .LBB112_58
; %bb.57:
	scratch_load_b64 v[102:103], v59, off
	ds_load_b64 v[104:105], v1
	s_wait_loadcnt_dscnt 0x0
	v_pk_mul_f32 v[106:107], v[104:105], v[102:103] op_sel:[1,1] op_sel_hi:[0,1]
	s_delay_alu instid0(VALU_DEP_1) | instskip(SKIP_1) | instid1(VALU_DEP_2)
	v_pk_fma_f32 v[108:109], v[104:105], v[102:103], v[106:107] op_sel_hi:[1,0,1]
	v_pk_fma_f32 v[102:103], v[104:105], v[102:103], v[106:107] neg_lo:[0,0,1] neg_hi:[0,0,1]
	v_mov_b32_e32 v103, v109
	s_cbranch_execz .LBB112_59
	s_branch .LBB112_60
.LBB112_58:
                                        ; implicit-def: $vgpr102_vgpr103
.LBB112_59:
	ds_load_b64 v[102:103], v1
.LBB112_60:
	s_and_saveexec_b32 s50, s0
	s_cbranch_execz .LBB112_64
; %bb.61:
	v_subrev_nc_u32_e32 v104, 43, v0
	s_movk_i32 s51, 0x2e8
	s_mov_b32 s0, 0
.LBB112_62:                             ; =>This Inner Loop Header: Depth=1
	scratch_load_b64 v[106:107], off, s48
	v_dual_mov_b32 v105, s51 :: v_dual_add_nc_u32 v104, -1, v104
	s_add_co_i32 s51, s51, 8
	s_wait_xcnt 0x0
	s_add_co_i32 s48, s48, 8
	ds_load_b64 v[108:109], v105
	v_cmp_eq_u32_e32 vcc_lo, 0, v104
	s_or_b32 s0, vcc_lo, s0
	s_wait_loadcnt_dscnt 0x0
	v_pk_mul_f32 v[110:111], v[108:109], v[106:107] op_sel:[1,1] op_sel_hi:[0,1]
	s_delay_alu instid0(VALU_DEP_1) | instskip(SKIP_1) | instid1(VALU_DEP_2)
	v_pk_fma_f32 v[112:113], v[108:109], v[106:107], v[110:111] op_sel_hi:[1,0,1]
	v_pk_fma_f32 v[106:107], v[108:109], v[106:107], v[110:111] neg_lo:[0,0,1] neg_hi:[0,0,1]
	v_mov_b32_e32 v107, v113
	s_delay_alu instid0(VALU_DEP_1)
	v_pk_add_f32 v[102:103], v[102:103], v[106:107]
	s_and_not1_b32 exec_lo, exec_lo, s0
	s_cbranch_execnz .LBB112_62
; %bb.63:
	s_or_b32 exec_lo, exec_lo, s0
.LBB112_64:
	s_delay_alu instid0(SALU_CYCLE_1) | instskip(SKIP_4) | instid1(VALU_DEP_1)
	s_or_b32 exec_lo, exec_lo, s50
	v_mov_b32_e32 v104, 0
	ds_load_b64 v[104:105], v104 offset:336
	s_wait_dscnt 0x0
	v_pk_mul_f32 v[106:107], v[102:103], v[104:105] op_sel:[1,1] op_sel_hi:[0,1]
	v_pk_fma_f32 v[108:109], v[102:103], v[104:105], v[106:107] op_sel_hi:[1,0,1]
	v_pk_fma_f32 v[102:103], v[102:103], v[104:105], v[106:107] neg_lo:[0,0,1] neg_hi:[0,0,1]
	s_delay_alu instid0(VALU_DEP_2)
	v_mov_b32_e32 v103, v109
	scratch_store_b64 off, v[102:103], off offset:336
.LBB112_65:
	s_wait_xcnt 0x0
	s_or_b32 exec_lo, exec_lo, s49
	scratch_load_b64 v[102:103], off, off offset:328
	v_cmp_lt_u32_e64 s0, 41, v0
	s_wait_loadcnt 0x0
	ds_store_b64 v1, v[102:103]
	s_wait_storecnt_dscnt 0x0
	s_barrier_signal -1
	s_barrier_wait -1
	s_wait_xcnt 0x0
	s_and_saveexec_b32 s48, s0
	s_cbranch_execz .LBB112_75
; %bb.66:
	s_and_not1_b32 vcc_lo, exec_lo, s5
	s_cbranch_vccnz .LBB112_68
; %bb.67:
	scratch_load_b64 v[102:103], v59, off
	ds_load_b64 v[104:105], v1
	s_wait_loadcnt_dscnt 0x0
	v_pk_mul_f32 v[106:107], v[104:105], v[102:103] op_sel:[1,1] op_sel_hi:[0,1]
	s_delay_alu instid0(VALU_DEP_1) | instskip(SKIP_1) | instid1(VALU_DEP_2)
	v_pk_fma_f32 v[108:109], v[104:105], v[102:103], v[106:107] op_sel_hi:[1,0,1]
	v_pk_fma_f32 v[102:103], v[104:105], v[102:103], v[106:107] neg_lo:[0,0,1] neg_hi:[0,0,1]
	v_mov_b32_e32 v103, v109
	s_cbranch_execz .LBB112_69
	s_branch .LBB112_70
.LBB112_68:
                                        ; implicit-def: $vgpr102_vgpr103
.LBB112_69:
	ds_load_b64 v[102:103], v1
.LBB112_70:
	s_and_saveexec_b32 s49, s1
	s_cbranch_execz .LBB112_74
; %bb.71:
	v_subrev_nc_u32_e32 v104, 42, v0
	s_movk_i32 s50, 0x2e0
	s_mov_b32 s1, 0
.LBB112_72:                             ; =>This Inner Loop Header: Depth=1
	scratch_load_b64 v[106:107], off, s47
	v_dual_mov_b32 v105, s50 :: v_dual_add_nc_u32 v104, -1, v104
	s_add_co_i32 s50, s50, 8
	s_wait_xcnt 0x0
	s_add_co_i32 s47, s47, 8
	ds_load_b64 v[108:109], v105
	v_cmp_eq_u32_e32 vcc_lo, 0, v104
	s_or_b32 s1, vcc_lo, s1
	s_wait_loadcnt_dscnt 0x0
	v_pk_mul_f32 v[110:111], v[108:109], v[106:107] op_sel:[1,1] op_sel_hi:[0,1]
	s_delay_alu instid0(VALU_DEP_1) | instskip(SKIP_1) | instid1(VALU_DEP_2)
	v_pk_fma_f32 v[112:113], v[108:109], v[106:107], v[110:111] op_sel_hi:[1,0,1]
	v_pk_fma_f32 v[106:107], v[108:109], v[106:107], v[110:111] neg_lo:[0,0,1] neg_hi:[0,0,1]
	v_mov_b32_e32 v107, v113
	s_delay_alu instid0(VALU_DEP_1)
	v_pk_add_f32 v[102:103], v[102:103], v[106:107]
	s_and_not1_b32 exec_lo, exec_lo, s1
	s_cbranch_execnz .LBB112_72
; %bb.73:
	s_or_b32 exec_lo, exec_lo, s1
.LBB112_74:
	s_delay_alu instid0(SALU_CYCLE_1) | instskip(SKIP_4) | instid1(VALU_DEP_1)
	s_or_b32 exec_lo, exec_lo, s49
	v_mov_b32_e32 v104, 0
	ds_load_b64 v[104:105], v104 offset:328
	s_wait_dscnt 0x0
	v_pk_mul_f32 v[106:107], v[102:103], v[104:105] op_sel:[1,1] op_sel_hi:[0,1]
	v_pk_fma_f32 v[108:109], v[102:103], v[104:105], v[106:107] op_sel_hi:[1,0,1]
	v_pk_fma_f32 v[102:103], v[102:103], v[104:105], v[106:107] neg_lo:[0,0,1] neg_hi:[0,0,1]
	s_delay_alu instid0(VALU_DEP_2)
	v_mov_b32_e32 v103, v109
	scratch_store_b64 off, v[102:103], off offset:328
.LBB112_75:
	s_wait_xcnt 0x0
	s_or_b32 exec_lo, exec_lo, s48
	scratch_load_b64 v[102:103], off, off offset:320
	v_cmp_lt_u32_e64 s1, 40, v0
	s_wait_loadcnt 0x0
	ds_store_b64 v1, v[102:103]
	s_wait_storecnt_dscnt 0x0
	s_barrier_signal -1
	s_barrier_wait -1
	s_wait_xcnt 0x0
	s_and_saveexec_b32 s47, s1
	s_cbranch_execz .LBB112_85
; %bb.76:
	s_and_not1_b32 vcc_lo, exec_lo, s5
	s_cbranch_vccnz .LBB112_78
; %bb.77:
	scratch_load_b64 v[102:103], v59, off
	ds_load_b64 v[104:105], v1
	s_wait_loadcnt_dscnt 0x0
	v_pk_mul_f32 v[106:107], v[104:105], v[102:103] op_sel:[1,1] op_sel_hi:[0,1]
	s_delay_alu instid0(VALU_DEP_1) | instskip(SKIP_1) | instid1(VALU_DEP_2)
	v_pk_fma_f32 v[108:109], v[104:105], v[102:103], v[106:107] op_sel_hi:[1,0,1]
	v_pk_fma_f32 v[102:103], v[104:105], v[102:103], v[106:107] neg_lo:[0,0,1] neg_hi:[0,0,1]
	v_mov_b32_e32 v103, v109
	s_cbranch_execz .LBB112_79
	s_branch .LBB112_80
.LBB112_78:
                                        ; implicit-def: $vgpr102_vgpr103
.LBB112_79:
	ds_load_b64 v[102:103], v1
.LBB112_80:
	s_and_saveexec_b32 s48, s0
	s_cbranch_execz .LBB112_84
; %bb.81:
	v_subrev_nc_u32_e32 v104, 41, v0
	s_movk_i32 s49, 0x2d8
	s_mov_b32 s0, 0
.LBB112_82:                             ; =>This Inner Loop Header: Depth=1
	scratch_load_b64 v[106:107], off, s46
	v_dual_mov_b32 v105, s49 :: v_dual_add_nc_u32 v104, -1, v104
	s_add_co_i32 s49, s49, 8
	s_wait_xcnt 0x0
	s_add_co_i32 s46, s46, 8
	ds_load_b64 v[108:109], v105
	v_cmp_eq_u32_e32 vcc_lo, 0, v104
	s_or_b32 s0, vcc_lo, s0
	s_wait_loadcnt_dscnt 0x0
	v_pk_mul_f32 v[110:111], v[108:109], v[106:107] op_sel:[1,1] op_sel_hi:[0,1]
	s_delay_alu instid0(VALU_DEP_1) | instskip(SKIP_1) | instid1(VALU_DEP_2)
	v_pk_fma_f32 v[112:113], v[108:109], v[106:107], v[110:111] op_sel_hi:[1,0,1]
	v_pk_fma_f32 v[106:107], v[108:109], v[106:107], v[110:111] neg_lo:[0,0,1] neg_hi:[0,0,1]
	v_mov_b32_e32 v107, v113
	s_delay_alu instid0(VALU_DEP_1)
	v_pk_add_f32 v[102:103], v[102:103], v[106:107]
	s_and_not1_b32 exec_lo, exec_lo, s0
	s_cbranch_execnz .LBB112_82
; %bb.83:
	s_or_b32 exec_lo, exec_lo, s0
.LBB112_84:
	s_delay_alu instid0(SALU_CYCLE_1) | instskip(SKIP_4) | instid1(VALU_DEP_1)
	s_or_b32 exec_lo, exec_lo, s48
	v_mov_b32_e32 v104, 0
	ds_load_b64 v[104:105], v104 offset:320
	s_wait_dscnt 0x0
	v_pk_mul_f32 v[106:107], v[102:103], v[104:105] op_sel:[1,1] op_sel_hi:[0,1]
	v_pk_fma_f32 v[108:109], v[102:103], v[104:105], v[106:107] op_sel_hi:[1,0,1]
	v_pk_fma_f32 v[102:103], v[102:103], v[104:105], v[106:107] neg_lo:[0,0,1] neg_hi:[0,0,1]
	s_delay_alu instid0(VALU_DEP_2)
	v_mov_b32_e32 v103, v109
	scratch_store_b64 off, v[102:103], off offset:320
.LBB112_85:
	s_wait_xcnt 0x0
	s_or_b32 exec_lo, exec_lo, s47
	scratch_load_b64 v[102:103], off, off offset:312
	v_cmp_lt_u32_e64 s0, 39, v0
	s_wait_loadcnt 0x0
	ds_store_b64 v1, v[102:103]
	s_wait_storecnt_dscnt 0x0
	s_barrier_signal -1
	s_barrier_wait -1
	s_wait_xcnt 0x0
	s_and_saveexec_b32 s46, s0
	s_cbranch_execz .LBB112_95
; %bb.86:
	s_and_not1_b32 vcc_lo, exec_lo, s5
	s_cbranch_vccnz .LBB112_88
; %bb.87:
	scratch_load_b64 v[102:103], v59, off
	ds_load_b64 v[104:105], v1
	s_wait_loadcnt_dscnt 0x0
	v_pk_mul_f32 v[106:107], v[104:105], v[102:103] op_sel:[1,1] op_sel_hi:[0,1]
	s_delay_alu instid0(VALU_DEP_1) | instskip(SKIP_1) | instid1(VALU_DEP_2)
	v_pk_fma_f32 v[108:109], v[104:105], v[102:103], v[106:107] op_sel_hi:[1,0,1]
	v_pk_fma_f32 v[102:103], v[104:105], v[102:103], v[106:107] neg_lo:[0,0,1] neg_hi:[0,0,1]
	v_mov_b32_e32 v103, v109
	s_cbranch_execz .LBB112_89
	s_branch .LBB112_90
.LBB112_88:
                                        ; implicit-def: $vgpr102_vgpr103
.LBB112_89:
	ds_load_b64 v[102:103], v1
.LBB112_90:
	s_and_saveexec_b32 s47, s1
	s_cbranch_execz .LBB112_94
; %bb.91:
	v_subrev_nc_u32_e32 v104, 40, v0
	s_movk_i32 s48, 0x2d0
	s_mov_b32 s1, 0
.LBB112_92:                             ; =>This Inner Loop Header: Depth=1
	scratch_load_b64 v[106:107], off, s45
	v_dual_mov_b32 v105, s48 :: v_dual_add_nc_u32 v104, -1, v104
	s_add_co_i32 s48, s48, 8
	s_wait_xcnt 0x0
	s_add_co_i32 s45, s45, 8
	ds_load_b64 v[108:109], v105
	v_cmp_eq_u32_e32 vcc_lo, 0, v104
	s_or_b32 s1, vcc_lo, s1
	s_wait_loadcnt_dscnt 0x0
	v_pk_mul_f32 v[110:111], v[108:109], v[106:107] op_sel:[1,1] op_sel_hi:[0,1]
	s_delay_alu instid0(VALU_DEP_1) | instskip(SKIP_1) | instid1(VALU_DEP_2)
	v_pk_fma_f32 v[112:113], v[108:109], v[106:107], v[110:111] op_sel_hi:[1,0,1]
	v_pk_fma_f32 v[106:107], v[108:109], v[106:107], v[110:111] neg_lo:[0,0,1] neg_hi:[0,0,1]
	v_mov_b32_e32 v107, v113
	s_delay_alu instid0(VALU_DEP_1)
	v_pk_add_f32 v[102:103], v[102:103], v[106:107]
	s_and_not1_b32 exec_lo, exec_lo, s1
	s_cbranch_execnz .LBB112_92
; %bb.93:
	s_or_b32 exec_lo, exec_lo, s1
.LBB112_94:
	s_delay_alu instid0(SALU_CYCLE_1) | instskip(SKIP_4) | instid1(VALU_DEP_1)
	s_or_b32 exec_lo, exec_lo, s47
	v_mov_b32_e32 v104, 0
	ds_load_b64 v[104:105], v104 offset:312
	s_wait_dscnt 0x0
	v_pk_mul_f32 v[106:107], v[102:103], v[104:105] op_sel:[1,1] op_sel_hi:[0,1]
	v_pk_fma_f32 v[108:109], v[102:103], v[104:105], v[106:107] op_sel_hi:[1,0,1]
	v_pk_fma_f32 v[102:103], v[102:103], v[104:105], v[106:107] neg_lo:[0,0,1] neg_hi:[0,0,1]
	s_delay_alu instid0(VALU_DEP_2)
	v_mov_b32_e32 v103, v109
	scratch_store_b64 off, v[102:103], off offset:312
.LBB112_95:
	s_wait_xcnt 0x0
	s_or_b32 exec_lo, exec_lo, s46
	scratch_load_b64 v[102:103], off, off offset:304
	v_cmp_lt_u32_e64 s1, 38, v0
	s_wait_loadcnt 0x0
	ds_store_b64 v1, v[102:103]
	s_wait_storecnt_dscnt 0x0
	s_barrier_signal -1
	s_barrier_wait -1
	s_wait_xcnt 0x0
	s_and_saveexec_b32 s45, s1
	s_cbranch_execz .LBB112_105
; %bb.96:
	s_and_not1_b32 vcc_lo, exec_lo, s5
	s_cbranch_vccnz .LBB112_98
; %bb.97:
	scratch_load_b64 v[102:103], v59, off
	ds_load_b64 v[104:105], v1
	s_wait_loadcnt_dscnt 0x0
	v_pk_mul_f32 v[106:107], v[104:105], v[102:103] op_sel:[1,1] op_sel_hi:[0,1]
	s_delay_alu instid0(VALU_DEP_1) | instskip(SKIP_1) | instid1(VALU_DEP_2)
	v_pk_fma_f32 v[108:109], v[104:105], v[102:103], v[106:107] op_sel_hi:[1,0,1]
	v_pk_fma_f32 v[102:103], v[104:105], v[102:103], v[106:107] neg_lo:[0,0,1] neg_hi:[0,0,1]
	v_mov_b32_e32 v103, v109
	s_cbranch_execz .LBB112_99
	s_branch .LBB112_100
.LBB112_98:
                                        ; implicit-def: $vgpr102_vgpr103
.LBB112_99:
	ds_load_b64 v[102:103], v1
.LBB112_100:
	s_and_saveexec_b32 s46, s0
	s_cbranch_execz .LBB112_104
; %bb.101:
	v_subrev_nc_u32_e32 v104, 39, v0
	s_movk_i32 s47, 0x2c8
	s_mov_b32 s0, 0
.LBB112_102:                            ; =>This Inner Loop Header: Depth=1
	scratch_load_b64 v[106:107], off, s44
	v_dual_mov_b32 v105, s47 :: v_dual_add_nc_u32 v104, -1, v104
	s_add_co_i32 s47, s47, 8
	s_wait_xcnt 0x0
	s_add_co_i32 s44, s44, 8
	ds_load_b64 v[108:109], v105
	v_cmp_eq_u32_e32 vcc_lo, 0, v104
	s_or_b32 s0, vcc_lo, s0
	s_wait_loadcnt_dscnt 0x0
	v_pk_mul_f32 v[110:111], v[108:109], v[106:107] op_sel:[1,1] op_sel_hi:[0,1]
	s_delay_alu instid0(VALU_DEP_1) | instskip(SKIP_1) | instid1(VALU_DEP_2)
	v_pk_fma_f32 v[112:113], v[108:109], v[106:107], v[110:111] op_sel_hi:[1,0,1]
	v_pk_fma_f32 v[106:107], v[108:109], v[106:107], v[110:111] neg_lo:[0,0,1] neg_hi:[0,0,1]
	v_mov_b32_e32 v107, v113
	s_delay_alu instid0(VALU_DEP_1)
	v_pk_add_f32 v[102:103], v[102:103], v[106:107]
	s_and_not1_b32 exec_lo, exec_lo, s0
	s_cbranch_execnz .LBB112_102
; %bb.103:
	s_or_b32 exec_lo, exec_lo, s0
.LBB112_104:
	s_delay_alu instid0(SALU_CYCLE_1) | instskip(SKIP_4) | instid1(VALU_DEP_1)
	s_or_b32 exec_lo, exec_lo, s46
	v_mov_b32_e32 v104, 0
	ds_load_b64 v[104:105], v104 offset:304
	s_wait_dscnt 0x0
	v_pk_mul_f32 v[106:107], v[102:103], v[104:105] op_sel:[1,1] op_sel_hi:[0,1]
	v_pk_fma_f32 v[108:109], v[102:103], v[104:105], v[106:107] op_sel_hi:[1,0,1]
	v_pk_fma_f32 v[102:103], v[102:103], v[104:105], v[106:107] neg_lo:[0,0,1] neg_hi:[0,0,1]
	s_delay_alu instid0(VALU_DEP_2)
	v_mov_b32_e32 v103, v109
	scratch_store_b64 off, v[102:103], off offset:304
.LBB112_105:
	s_wait_xcnt 0x0
	s_or_b32 exec_lo, exec_lo, s45
	scratch_load_b64 v[102:103], off, off offset:296
	v_cmp_lt_u32_e64 s0, 37, v0
	s_wait_loadcnt 0x0
	ds_store_b64 v1, v[102:103]
	s_wait_storecnt_dscnt 0x0
	s_barrier_signal -1
	s_barrier_wait -1
	s_wait_xcnt 0x0
	s_and_saveexec_b32 s44, s0
	s_cbranch_execz .LBB112_115
; %bb.106:
	s_and_not1_b32 vcc_lo, exec_lo, s5
	s_cbranch_vccnz .LBB112_108
; %bb.107:
	scratch_load_b64 v[102:103], v59, off
	ds_load_b64 v[104:105], v1
	s_wait_loadcnt_dscnt 0x0
	v_pk_mul_f32 v[106:107], v[104:105], v[102:103] op_sel:[1,1] op_sel_hi:[0,1]
	s_delay_alu instid0(VALU_DEP_1) | instskip(SKIP_1) | instid1(VALU_DEP_2)
	v_pk_fma_f32 v[108:109], v[104:105], v[102:103], v[106:107] op_sel_hi:[1,0,1]
	v_pk_fma_f32 v[102:103], v[104:105], v[102:103], v[106:107] neg_lo:[0,0,1] neg_hi:[0,0,1]
	v_mov_b32_e32 v103, v109
	s_cbranch_execz .LBB112_109
	s_branch .LBB112_110
.LBB112_108:
                                        ; implicit-def: $vgpr102_vgpr103
.LBB112_109:
	ds_load_b64 v[102:103], v1
.LBB112_110:
	s_and_saveexec_b32 s45, s1
	s_cbranch_execz .LBB112_114
; %bb.111:
	v_subrev_nc_u32_e32 v104, 38, v0
	s_movk_i32 s46, 0x2c0
	s_mov_b32 s1, 0
.LBB112_112:                            ; =>This Inner Loop Header: Depth=1
	scratch_load_b64 v[106:107], off, s43
	v_dual_mov_b32 v105, s46 :: v_dual_add_nc_u32 v104, -1, v104
	s_add_co_i32 s46, s46, 8
	s_wait_xcnt 0x0
	s_add_co_i32 s43, s43, 8
	ds_load_b64 v[108:109], v105
	v_cmp_eq_u32_e32 vcc_lo, 0, v104
	s_or_b32 s1, vcc_lo, s1
	s_wait_loadcnt_dscnt 0x0
	v_pk_mul_f32 v[110:111], v[108:109], v[106:107] op_sel:[1,1] op_sel_hi:[0,1]
	s_delay_alu instid0(VALU_DEP_1) | instskip(SKIP_1) | instid1(VALU_DEP_2)
	v_pk_fma_f32 v[112:113], v[108:109], v[106:107], v[110:111] op_sel_hi:[1,0,1]
	v_pk_fma_f32 v[106:107], v[108:109], v[106:107], v[110:111] neg_lo:[0,0,1] neg_hi:[0,0,1]
	v_mov_b32_e32 v107, v113
	s_delay_alu instid0(VALU_DEP_1)
	v_pk_add_f32 v[102:103], v[102:103], v[106:107]
	s_and_not1_b32 exec_lo, exec_lo, s1
	s_cbranch_execnz .LBB112_112
; %bb.113:
	s_or_b32 exec_lo, exec_lo, s1
.LBB112_114:
	s_delay_alu instid0(SALU_CYCLE_1) | instskip(SKIP_4) | instid1(VALU_DEP_1)
	s_or_b32 exec_lo, exec_lo, s45
	v_mov_b32_e32 v104, 0
	ds_load_b64 v[104:105], v104 offset:296
	s_wait_dscnt 0x0
	v_pk_mul_f32 v[106:107], v[102:103], v[104:105] op_sel:[1,1] op_sel_hi:[0,1]
	v_pk_fma_f32 v[108:109], v[102:103], v[104:105], v[106:107] op_sel_hi:[1,0,1]
	v_pk_fma_f32 v[102:103], v[102:103], v[104:105], v[106:107] neg_lo:[0,0,1] neg_hi:[0,0,1]
	s_delay_alu instid0(VALU_DEP_2)
	v_mov_b32_e32 v103, v109
	scratch_store_b64 off, v[102:103], off offset:296
.LBB112_115:
	s_wait_xcnt 0x0
	s_or_b32 exec_lo, exec_lo, s44
	scratch_load_b64 v[102:103], off, off offset:288
	v_cmp_lt_u32_e64 s1, 36, v0
	s_wait_loadcnt 0x0
	ds_store_b64 v1, v[102:103]
	s_wait_storecnt_dscnt 0x0
	s_barrier_signal -1
	s_barrier_wait -1
	s_wait_xcnt 0x0
	s_and_saveexec_b32 s43, s1
	s_cbranch_execz .LBB112_125
; %bb.116:
	s_and_not1_b32 vcc_lo, exec_lo, s5
	s_cbranch_vccnz .LBB112_118
; %bb.117:
	scratch_load_b64 v[102:103], v59, off
	ds_load_b64 v[104:105], v1
	s_wait_loadcnt_dscnt 0x0
	v_pk_mul_f32 v[106:107], v[104:105], v[102:103] op_sel:[1,1] op_sel_hi:[0,1]
	s_delay_alu instid0(VALU_DEP_1) | instskip(SKIP_1) | instid1(VALU_DEP_2)
	v_pk_fma_f32 v[108:109], v[104:105], v[102:103], v[106:107] op_sel_hi:[1,0,1]
	v_pk_fma_f32 v[102:103], v[104:105], v[102:103], v[106:107] neg_lo:[0,0,1] neg_hi:[0,0,1]
	v_mov_b32_e32 v103, v109
	s_cbranch_execz .LBB112_119
	s_branch .LBB112_120
.LBB112_118:
                                        ; implicit-def: $vgpr102_vgpr103
.LBB112_119:
	ds_load_b64 v[102:103], v1
.LBB112_120:
	s_and_saveexec_b32 s44, s0
	s_cbranch_execz .LBB112_124
; %bb.121:
	v_subrev_nc_u32_e32 v104, 37, v0
	s_movk_i32 s45, 0x2b8
	s_mov_b32 s0, 0
.LBB112_122:                            ; =>This Inner Loop Header: Depth=1
	scratch_load_b64 v[106:107], off, s42
	v_dual_mov_b32 v105, s45 :: v_dual_add_nc_u32 v104, -1, v104
	s_add_co_i32 s45, s45, 8
	s_wait_xcnt 0x0
	s_add_co_i32 s42, s42, 8
	ds_load_b64 v[108:109], v105
	v_cmp_eq_u32_e32 vcc_lo, 0, v104
	s_or_b32 s0, vcc_lo, s0
	s_wait_loadcnt_dscnt 0x0
	v_pk_mul_f32 v[110:111], v[108:109], v[106:107] op_sel:[1,1] op_sel_hi:[0,1]
	s_delay_alu instid0(VALU_DEP_1) | instskip(SKIP_1) | instid1(VALU_DEP_2)
	v_pk_fma_f32 v[112:113], v[108:109], v[106:107], v[110:111] op_sel_hi:[1,0,1]
	v_pk_fma_f32 v[106:107], v[108:109], v[106:107], v[110:111] neg_lo:[0,0,1] neg_hi:[0,0,1]
	v_mov_b32_e32 v107, v113
	s_delay_alu instid0(VALU_DEP_1)
	v_pk_add_f32 v[102:103], v[102:103], v[106:107]
	s_and_not1_b32 exec_lo, exec_lo, s0
	s_cbranch_execnz .LBB112_122
; %bb.123:
	s_or_b32 exec_lo, exec_lo, s0
.LBB112_124:
	s_delay_alu instid0(SALU_CYCLE_1) | instskip(SKIP_4) | instid1(VALU_DEP_1)
	s_or_b32 exec_lo, exec_lo, s44
	v_mov_b32_e32 v104, 0
	ds_load_b64 v[104:105], v104 offset:288
	s_wait_dscnt 0x0
	v_pk_mul_f32 v[106:107], v[102:103], v[104:105] op_sel:[1,1] op_sel_hi:[0,1]
	v_pk_fma_f32 v[108:109], v[102:103], v[104:105], v[106:107] op_sel_hi:[1,0,1]
	v_pk_fma_f32 v[102:103], v[102:103], v[104:105], v[106:107] neg_lo:[0,0,1] neg_hi:[0,0,1]
	s_delay_alu instid0(VALU_DEP_2)
	v_mov_b32_e32 v103, v109
	scratch_store_b64 off, v[102:103], off offset:288
.LBB112_125:
	s_wait_xcnt 0x0
	s_or_b32 exec_lo, exec_lo, s43
	scratch_load_b64 v[102:103], off, off offset:280
	v_cmp_lt_u32_e64 s0, 35, v0
	s_wait_loadcnt 0x0
	ds_store_b64 v1, v[102:103]
	s_wait_storecnt_dscnt 0x0
	s_barrier_signal -1
	s_barrier_wait -1
	s_wait_xcnt 0x0
	s_and_saveexec_b32 s42, s0
	s_cbranch_execz .LBB112_135
; %bb.126:
	s_and_not1_b32 vcc_lo, exec_lo, s5
	s_cbranch_vccnz .LBB112_128
; %bb.127:
	scratch_load_b64 v[102:103], v59, off
	ds_load_b64 v[104:105], v1
	s_wait_loadcnt_dscnt 0x0
	v_pk_mul_f32 v[106:107], v[104:105], v[102:103] op_sel:[1,1] op_sel_hi:[0,1]
	s_delay_alu instid0(VALU_DEP_1) | instskip(SKIP_1) | instid1(VALU_DEP_2)
	v_pk_fma_f32 v[108:109], v[104:105], v[102:103], v[106:107] op_sel_hi:[1,0,1]
	v_pk_fma_f32 v[102:103], v[104:105], v[102:103], v[106:107] neg_lo:[0,0,1] neg_hi:[0,0,1]
	v_mov_b32_e32 v103, v109
	s_cbranch_execz .LBB112_129
	s_branch .LBB112_130
.LBB112_128:
                                        ; implicit-def: $vgpr102_vgpr103
.LBB112_129:
	ds_load_b64 v[102:103], v1
.LBB112_130:
	s_and_saveexec_b32 s43, s1
	s_cbranch_execz .LBB112_134
; %bb.131:
	v_subrev_nc_u32_e32 v104, 36, v0
	s_movk_i32 s44, 0x2b0
	s_mov_b32 s1, 0
.LBB112_132:                            ; =>This Inner Loop Header: Depth=1
	scratch_load_b64 v[106:107], off, s41
	v_dual_mov_b32 v105, s44 :: v_dual_add_nc_u32 v104, -1, v104
	s_add_co_i32 s44, s44, 8
	s_wait_xcnt 0x0
	s_add_co_i32 s41, s41, 8
	ds_load_b64 v[108:109], v105
	v_cmp_eq_u32_e32 vcc_lo, 0, v104
	s_or_b32 s1, vcc_lo, s1
	s_wait_loadcnt_dscnt 0x0
	v_pk_mul_f32 v[110:111], v[108:109], v[106:107] op_sel:[1,1] op_sel_hi:[0,1]
	s_delay_alu instid0(VALU_DEP_1) | instskip(SKIP_1) | instid1(VALU_DEP_2)
	v_pk_fma_f32 v[112:113], v[108:109], v[106:107], v[110:111] op_sel_hi:[1,0,1]
	v_pk_fma_f32 v[106:107], v[108:109], v[106:107], v[110:111] neg_lo:[0,0,1] neg_hi:[0,0,1]
	v_mov_b32_e32 v107, v113
	s_delay_alu instid0(VALU_DEP_1)
	v_pk_add_f32 v[102:103], v[102:103], v[106:107]
	s_and_not1_b32 exec_lo, exec_lo, s1
	s_cbranch_execnz .LBB112_132
; %bb.133:
	s_or_b32 exec_lo, exec_lo, s1
.LBB112_134:
	s_delay_alu instid0(SALU_CYCLE_1) | instskip(SKIP_4) | instid1(VALU_DEP_1)
	s_or_b32 exec_lo, exec_lo, s43
	v_mov_b32_e32 v104, 0
	ds_load_b64 v[104:105], v104 offset:280
	s_wait_dscnt 0x0
	v_pk_mul_f32 v[106:107], v[102:103], v[104:105] op_sel:[1,1] op_sel_hi:[0,1]
	v_pk_fma_f32 v[108:109], v[102:103], v[104:105], v[106:107] op_sel_hi:[1,0,1]
	v_pk_fma_f32 v[102:103], v[102:103], v[104:105], v[106:107] neg_lo:[0,0,1] neg_hi:[0,0,1]
	s_delay_alu instid0(VALU_DEP_2)
	v_mov_b32_e32 v103, v109
	scratch_store_b64 off, v[102:103], off offset:280
.LBB112_135:
	s_wait_xcnt 0x0
	s_or_b32 exec_lo, exec_lo, s42
	scratch_load_b64 v[102:103], off, off offset:272
	v_cmp_lt_u32_e64 s1, 34, v0
	s_wait_loadcnt 0x0
	ds_store_b64 v1, v[102:103]
	s_wait_storecnt_dscnt 0x0
	s_barrier_signal -1
	s_barrier_wait -1
	s_wait_xcnt 0x0
	s_and_saveexec_b32 s41, s1
	s_cbranch_execz .LBB112_145
; %bb.136:
	s_and_not1_b32 vcc_lo, exec_lo, s5
	s_cbranch_vccnz .LBB112_138
; %bb.137:
	scratch_load_b64 v[102:103], v59, off
	ds_load_b64 v[104:105], v1
	s_wait_loadcnt_dscnt 0x0
	v_pk_mul_f32 v[106:107], v[104:105], v[102:103] op_sel:[1,1] op_sel_hi:[0,1]
	s_delay_alu instid0(VALU_DEP_1) | instskip(SKIP_1) | instid1(VALU_DEP_2)
	v_pk_fma_f32 v[108:109], v[104:105], v[102:103], v[106:107] op_sel_hi:[1,0,1]
	v_pk_fma_f32 v[102:103], v[104:105], v[102:103], v[106:107] neg_lo:[0,0,1] neg_hi:[0,0,1]
	v_mov_b32_e32 v103, v109
	s_cbranch_execz .LBB112_139
	s_branch .LBB112_140
.LBB112_138:
                                        ; implicit-def: $vgpr102_vgpr103
.LBB112_139:
	ds_load_b64 v[102:103], v1
.LBB112_140:
	s_and_saveexec_b32 s42, s0
	s_cbranch_execz .LBB112_144
; %bb.141:
	v_subrev_nc_u32_e32 v104, 35, v0
	s_movk_i32 s43, 0x2a8
	s_mov_b32 s0, 0
.LBB112_142:                            ; =>This Inner Loop Header: Depth=1
	scratch_load_b64 v[106:107], off, s40
	v_dual_mov_b32 v105, s43 :: v_dual_add_nc_u32 v104, -1, v104
	s_add_co_i32 s43, s43, 8
	s_wait_xcnt 0x0
	s_add_co_i32 s40, s40, 8
	ds_load_b64 v[108:109], v105
	v_cmp_eq_u32_e32 vcc_lo, 0, v104
	s_or_b32 s0, vcc_lo, s0
	s_wait_loadcnt_dscnt 0x0
	v_pk_mul_f32 v[110:111], v[108:109], v[106:107] op_sel:[1,1] op_sel_hi:[0,1]
	s_delay_alu instid0(VALU_DEP_1) | instskip(SKIP_1) | instid1(VALU_DEP_2)
	v_pk_fma_f32 v[112:113], v[108:109], v[106:107], v[110:111] op_sel_hi:[1,0,1]
	v_pk_fma_f32 v[106:107], v[108:109], v[106:107], v[110:111] neg_lo:[0,0,1] neg_hi:[0,0,1]
	v_mov_b32_e32 v107, v113
	s_delay_alu instid0(VALU_DEP_1)
	v_pk_add_f32 v[102:103], v[102:103], v[106:107]
	s_and_not1_b32 exec_lo, exec_lo, s0
	s_cbranch_execnz .LBB112_142
; %bb.143:
	s_or_b32 exec_lo, exec_lo, s0
.LBB112_144:
	s_delay_alu instid0(SALU_CYCLE_1) | instskip(SKIP_4) | instid1(VALU_DEP_1)
	s_or_b32 exec_lo, exec_lo, s42
	v_mov_b32_e32 v104, 0
	ds_load_b64 v[104:105], v104 offset:272
	s_wait_dscnt 0x0
	v_pk_mul_f32 v[106:107], v[102:103], v[104:105] op_sel:[1,1] op_sel_hi:[0,1]
	v_pk_fma_f32 v[108:109], v[102:103], v[104:105], v[106:107] op_sel_hi:[1,0,1]
	v_pk_fma_f32 v[102:103], v[102:103], v[104:105], v[106:107] neg_lo:[0,0,1] neg_hi:[0,0,1]
	s_delay_alu instid0(VALU_DEP_2)
	v_mov_b32_e32 v103, v109
	scratch_store_b64 off, v[102:103], off offset:272
.LBB112_145:
	s_wait_xcnt 0x0
	s_or_b32 exec_lo, exec_lo, s41
	scratch_load_b64 v[102:103], off, off offset:264
	v_cmp_lt_u32_e64 s0, 33, v0
	s_wait_loadcnt 0x0
	ds_store_b64 v1, v[102:103]
	s_wait_storecnt_dscnt 0x0
	s_barrier_signal -1
	s_barrier_wait -1
	s_wait_xcnt 0x0
	s_and_saveexec_b32 s40, s0
	s_cbranch_execz .LBB112_155
; %bb.146:
	s_and_not1_b32 vcc_lo, exec_lo, s5
	s_cbranch_vccnz .LBB112_148
; %bb.147:
	scratch_load_b64 v[102:103], v59, off
	ds_load_b64 v[104:105], v1
	s_wait_loadcnt_dscnt 0x0
	v_pk_mul_f32 v[106:107], v[104:105], v[102:103] op_sel:[1,1] op_sel_hi:[0,1]
	s_delay_alu instid0(VALU_DEP_1) | instskip(SKIP_1) | instid1(VALU_DEP_2)
	v_pk_fma_f32 v[108:109], v[104:105], v[102:103], v[106:107] op_sel_hi:[1,0,1]
	v_pk_fma_f32 v[102:103], v[104:105], v[102:103], v[106:107] neg_lo:[0,0,1] neg_hi:[0,0,1]
	v_mov_b32_e32 v103, v109
	s_cbranch_execz .LBB112_149
	s_branch .LBB112_150
.LBB112_148:
                                        ; implicit-def: $vgpr102_vgpr103
.LBB112_149:
	ds_load_b64 v[102:103], v1
.LBB112_150:
	s_and_saveexec_b32 s41, s1
	s_cbranch_execz .LBB112_154
; %bb.151:
	v_subrev_nc_u32_e32 v104, 34, v0
	s_movk_i32 s42, 0x2a0
	s_mov_b32 s1, 0
.LBB112_152:                            ; =>This Inner Loop Header: Depth=1
	scratch_load_b64 v[106:107], off, s39
	v_dual_mov_b32 v105, s42 :: v_dual_add_nc_u32 v104, -1, v104
	s_add_co_i32 s42, s42, 8
	s_wait_xcnt 0x0
	s_add_co_i32 s39, s39, 8
	ds_load_b64 v[108:109], v105
	v_cmp_eq_u32_e32 vcc_lo, 0, v104
	s_or_b32 s1, vcc_lo, s1
	s_wait_loadcnt_dscnt 0x0
	v_pk_mul_f32 v[110:111], v[108:109], v[106:107] op_sel:[1,1] op_sel_hi:[0,1]
	s_delay_alu instid0(VALU_DEP_1) | instskip(SKIP_1) | instid1(VALU_DEP_2)
	v_pk_fma_f32 v[112:113], v[108:109], v[106:107], v[110:111] op_sel_hi:[1,0,1]
	v_pk_fma_f32 v[106:107], v[108:109], v[106:107], v[110:111] neg_lo:[0,0,1] neg_hi:[0,0,1]
	v_mov_b32_e32 v107, v113
	s_delay_alu instid0(VALU_DEP_1)
	v_pk_add_f32 v[102:103], v[102:103], v[106:107]
	s_and_not1_b32 exec_lo, exec_lo, s1
	s_cbranch_execnz .LBB112_152
; %bb.153:
	s_or_b32 exec_lo, exec_lo, s1
.LBB112_154:
	s_delay_alu instid0(SALU_CYCLE_1) | instskip(SKIP_4) | instid1(VALU_DEP_1)
	s_or_b32 exec_lo, exec_lo, s41
	v_mov_b32_e32 v104, 0
	ds_load_b64 v[104:105], v104 offset:264
	s_wait_dscnt 0x0
	v_pk_mul_f32 v[106:107], v[102:103], v[104:105] op_sel:[1,1] op_sel_hi:[0,1]
	v_pk_fma_f32 v[108:109], v[102:103], v[104:105], v[106:107] op_sel_hi:[1,0,1]
	v_pk_fma_f32 v[102:103], v[102:103], v[104:105], v[106:107] neg_lo:[0,0,1] neg_hi:[0,0,1]
	s_delay_alu instid0(VALU_DEP_2)
	v_mov_b32_e32 v103, v109
	scratch_store_b64 off, v[102:103], off offset:264
.LBB112_155:
	s_wait_xcnt 0x0
	s_or_b32 exec_lo, exec_lo, s40
	scratch_load_b64 v[102:103], off, off offset:256
	v_cmp_lt_u32_e64 s1, 32, v0
	s_wait_loadcnt 0x0
	ds_store_b64 v1, v[102:103]
	s_wait_storecnt_dscnt 0x0
	s_barrier_signal -1
	s_barrier_wait -1
	s_wait_xcnt 0x0
	s_and_saveexec_b32 s39, s1
	s_cbranch_execz .LBB112_165
; %bb.156:
	s_and_not1_b32 vcc_lo, exec_lo, s5
	s_cbranch_vccnz .LBB112_158
; %bb.157:
	scratch_load_b64 v[102:103], v59, off
	ds_load_b64 v[104:105], v1
	s_wait_loadcnt_dscnt 0x0
	v_pk_mul_f32 v[106:107], v[104:105], v[102:103] op_sel:[1,1] op_sel_hi:[0,1]
	s_delay_alu instid0(VALU_DEP_1) | instskip(SKIP_1) | instid1(VALU_DEP_2)
	v_pk_fma_f32 v[108:109], v[104:105], v[102:103], v[106:107] op_sel_hi:[1,0,1]
	v_pk_fma_f32 v[102:103], v[104:105], v[102:103], v[106:107] neg_lo:[0,0,1] neg_hi:[0,0,1]
	v_mov_b32_e32 v103, v109
	s_cbranch_execz .LBB112_159
	s_branch .LBB112_160
.LBB112_158:
                                        ; implicit-def: $vgpr102_vgpr103
.LBB112_159:
	ds_load_b64 v[102:103], v1
.LBB112_160:
	s_and_saveexec_b32 s40, s0
	s_cbranch_execz .LBB112_164
; %bb.161:
	v_subrev_nc_u32_e32 v104, 33, v0
	s_movk_i32 s41, 0x298
	s_mov_b32 s0, 0
.LBB112_162:                            ; =>This Inner Loop Header: Depth=1
	scratch_load_b64 v[106:107], off, s38
	v_dual_mov_b32 v105, s41 :: v_dual_add_nc_u32 v104, -1, v104
	s_add_co_i32 s41, s41, 8
	s_wait_xcnt 0x0
	s_add_co_i32 s38, s38, 8
	ds_load_b64 v[108:109], v105
	v_cmp_eq_u32_e32 vcc_lo, 0, v104
	s_or_b32 s0, vcc_lo, s0
	s_wait_loadcnt_dscnt 0x0
	v_pk_mul_f32 v[110:111], v[108:109], v[106:107] op_sel:[1,1] op_sel_hi:[0,1]
	s_delay_alu instid0(VALU_DEP_1) | instskip(SKIP_1) | instid1(VALU_DEP_2)
	v_pk_fma_f32 v[112:113], v[108:109], v[106:107], v[110:111] op_sel_hi:[1,0,1]
	v_pk_fma_f32 v[106:107], v[108:109], v[106:107], v[110:111] neg_lo:[0,0,1] neg_hi:[0,0,1]
	v_mov_b32_e32 v107, v113
	s_delay_alu instid0(VALU_DEP_1)
	v_pk_add_f32 v[102:103], v[102:103], v[106:107]
	s_and_not1_b32 exec_lo, exec_lo, s0
	s_cbranch_execnz .LBB112_162
; %bb.163:
	s_or_b32 exec_lo, exec_lo, s0
.LBB112_164:
	s_delay_alu instid0(SALU_CYCLE_1) | instskip(SKIP_4) | instid1(VALU_DEP_1)
	s_or_b32 exec_lo, exec_lo, s40
	v_mov_b32_e32 v104, 0
	ds_load_b64 v[104:105], v104 offset:256
	s_wait_dscnt 0x0
	v_pk_mul_f32 v[106:107], v[102:103], v[104:105] op_sel:[1,1] op_sel_hi:[0,1]
	v_pk_fma_f32 v[108:109], v[102:103], v[104:105], v[106:107] op_sel_hi:[1,0,1]
	v_pk_fma_f32 v[102:103], v[102:103], v[104:105], v[106:107] neg_lo:[0,0,1] neg_hi:[0,0,1]
	s_delay_alu instid0(VALU_DEP_2)
	v_mov_b32_e32 v103, v109
	scratch_store_b64 off, v[102:103], off offset:256
.LBB112_165:
	s_wait_xcnt 0x0
	s_or_b32 exec_lo, exec_lo, s39
	scratch_load_b64 v[102:103], off, off offset:248
	v_cmp_lt_u32_e64 s0, 31, v0
	s_wait_loadcnt 0x0
	ds_store_b64 v1, v[102:103]
	s_wait_storecnt_dscnt 0x0
	s_barrier_signal -1
	s_barrier_wait -1
	s_wait_xcnt 0x0
	s_and_saveexec_b32 s38, s0
	s_cbranch_execz .LBB112_175
; %bb.166:
	s_and_not1_b32 vcc_lo, exec_lo, s5
	s_cbranch_vccnz .LBB112_168
; %bb.167:
	scratch_load_b64 v[102:103], v59, off
	ds_load_b64 v[104:105], v1
	s_wait_loadcnt_dscnt 0x0
	v_pk_mul_f32 v[106:107], v[104:105], v[102:103] op_sel:[1,1] op_sel_hi:[0,1]
	s_delay_alu instid0(VALU_DEP_1) | instskip(SKIP_1) | instid1(VALU_DEP_2)
	v_pk_fma_f32 v[108:109], v[104:105], v[102:103], v[106:107] op_sel_hi:[1,0,1]
	v_pk_fma_f32 v[102:103], v[104:105], v[102:103], v[106:107] neg_lo:[0,0,1] neg_hi:[0,0,1]
	v_mov_b32_e32 v103, v109
	s_cbranch_execz .LBB112_169
	s_branch .LBB112_170
.LBB112_168:
                                        ; implicit-def: $vgpr102_vgpr103
.LBB112_169:
	ds_load_b64 v[102:103], v1
.LBB112_170:
	s_and_saveexec_b32 s39, s1
	s_cbranch_execz .LBB112_174
; %bb.171:
	v_subrev_nc_u32_e32 v104, 32, v0
	s_movk_i32 s40, 0x290
	s_mov_b32 s1, 0
.LBB112_172:                            ; =>This Inner Loop Header: Depth=1
	scratch_load_b64 v[106:107], off, s37
	v_dual_mov_b32 v105, s40 :: v_dual_add_nc_u32 v104, -1, v104
	s_add_co_i32 s40, s40, 8
	s_wait_xcnt 0x0
	s_add_co_i32 s37, s37, 8
	ds_load_b64 v[108:109], v105
	v_cmp_eq_u32_e32 vcc_lo, 0, v104
	s_or_b32 s1, vcc_lo, s1
	s_wait_loadcnt_dscnt 0x0
	v_pk_mul_f32 v[110:111], v[108:109], v[106:107] op_sel:[1,1] op_sel_hi:[0,1]
	s_delay_alu instid0(VALU_DEP_1) | instskip(SKIP_1) | instid1(VALU_DEP_2)
	v_pk_fma_f32 v[112:113], v[108:109], v[106:107], v[110:111] op_sel_hi:[1,0,1]
	v_pk_fma_f32 v[106:107], v[108:109], v[106:107], v[110:111] neg_lo:[0,0,1] neg_hi:[0,0,1]
	v_mov_b32_e32 v107, v113
	s_delay_alu instid0(VALU_DEP_1)
	v_pk_add_f32 v[102:103], v[102:103], v[106:107]
	s_and_not1_b32 exec_lo, exec_lo, s1
	s_cbranch_execnz .LBB112_172
; %bb.173:
	s_or_b32 exec_lo, exec_lo, s1
.LBB112_174:
	s_delay_alu instid0(SALU_CYCLE_1) | instskip(SKIP_4) | instid1(VALU_DEP_1)
	s_or_b32 exec_lo, exec_lo, s39
	v_mov_b32_e32 v104, 0
	ds_load_b64 v[104:105], v104 offset:248
	s_wait_dscnt 0x0
	v_pk_mul_f32 v[106:107], v[102:103], v[104:105] op_sel:[1,1] op_sel_hi:[0,1]
	v_pk_fma_f32 v[108:109], v[102:103], v[104:105], v[106:107] op_sel_hi:[1,0,1]
	v_pk_fma_f32 v[102:103], v[102:103], v[104:105], v[106:107] neg_lo:[0,0,1] neg_hi:[0,0,1]
	s_delay_alu instid0(VALU_DEP_2)
	v_mov_b32_e32 v103, v109
	scratch_store_b64 off, v[102:103], off offset:248
.LBB112_175:
	s_wait_xcnt 0x0
	s_or_b32 exec_lo, exec_lo, s38
	scratch_load_b64 v[102:103], off, off offset:240
	v_cmp_lt_u32_e64 s1, 30, v0
	s_wait_loadcnt 0x0
	ds_store_b64 v1, v[102:103]
	s_wait_storecnt_dscnt 0x0
	s_barrier_signal -1
	s_barrier_wait -1
	s_wait_xcnt 0x0
	s_and_saveexec_b32 s37, s1
	s_cbranch_execz .LBB112_185
; %bb.176:
	s_and_not1_b32 vcc_lo, exec_lo, s5
	s_cbranch_vccnz .LBB112_178
; %bb.177:
	scratch_load_b64 v[102:103], v59, off
	ds_load_b64 v[104:105], v1
	s_wait_loadcnt_dscnt 0x0
	v_pk_mul_f32 v[106:107], v[104:105], v[102:103] op_sel:[1,1] op_sel_hi:[0,1]
	s_delay_alu instid0(VALU_DEP_1) | instskip(SKIP_1) | instid1(VALU_DEP_2)
	v_pk_fma_f32 v[108:109], v[104:105], v[102:103], v[106:107] op_sel_hi:[1,0,1]
	v_pk_fma_f32 v[102:103], v[104:105], v[102:103], v[106:107] neg_lo:[0,0,1] neg_hi:[0,0,1]
	v_mov_b32_e32 v103, v109
	s_cbranch_execz .LBB112_179
	s_branch .LBB112_180
.LBB112_178:
                                        ; implicit-def: $vgpr102_vgpr103
.LBB112_179:
	ds_load_b64 v[102:103], v1
.LBB112_180:
	s_and_saveexec_b32 s38, s0
	s_cbranch_execz .LBB112_184
; %bb.181:
	v_subrev_nc_u32_e32 v104, 31, v0
	s_movk_i32 s39, 0x288
	s_mov_b32 s0, 0
.LBB112_182:                            ; =>This Inner Loop Header: Depth=1
	scratch_load_b64 v[106:107], off, s36
	v_dual_mov_b32 v105, s39 :: v_dual_add_nc_u32 v104, -1, v104
	s_add_co_i32 s39, s39, 8
	s_wait_xcnt 0x0
	s_add_co_i32 s36, s36, 8
	ds_load_b64 v[108:109], v105
	v_cmp_eq_u32_e32 vcc_lo, 0, v104
	s_or_b32 s0, vcc_lo, s0
	s_wait_loadcnt_dscnt 0x0
	v_pk_mul_f32 v[110:111], v[108:109], v[106:107] op_sel:[1,1] op_sel_hi:[0,1]
	s_delay_alu instid0(VALU_DEP_1) | instskip(SKIP_1) | instid1(VALU_DEP_2)
	v_pk_fma_f32 v[112:113], v[108:109], v[106:107], v[110:111] op_sel_hi:[1,0,1]
	v_pk_fma_f32 v[106:107], v[108:109], v[106:107], v[110:111] neg_lo:[0,0,1] neg_hi:[0,0,1]
	v_mov_b32_e32 v107, v113
	s_delay_alu instid0(VALU_DEP_1)
	v_pk_add_f32 v[102:103], v[102:103], v[106:107]
	s_and_not1_b32 exec_lo, exec_lo, s0
	s_cbranch_execnz .LBB112_182
; %bb.183:
	s_or_b32 exec_lo, exec_lo, s0
.LBB112_184:
	s_delay_alu instid0(SALU_CYCLE_1) | instskip(SKIP_4) | instid1(VALU_DEP_1)
	s_or_b32 exec_lo, exec_lo, s38
	v_mov_b32_e32 v104, 0
	ds_load_b64 v[104:105], v104 offset:240
	s_wait_dscnt 0x0
	v_pk_mul_f32 v[106:107], v[102:103], v[104:105] op_sel:[1,1] op_sel_hi:[0,1]
	v_pk_fma_f32 v[108:109], v[102:103], v[104:105], v[106:107] op_sel_hi:[1,0,1]
	v_pk_fma_f32 v[102:103], v[102:103], v[104:105], v[106:107] neg_lo:[0,0,1] neg_hi:[0,0,1]
	s_delay_alu instid0(VALU_DEP_2)
	v_mov_b32_e32 v103, v109
	scratch_store_b64 off, v[102:103], off offset:240
.LBB112_185:
	s_wait_xcnt 0x0
	s_or_b32 exec_lo, exec_lo, s37
	scratch_load_b64 v[102:103], off, off offset:232
	v_cmp_lt_u32_e64 s0, 29, v0
	s_wait_loadcnt 0x0
	ds_store_b64 v1, v[102:103]
	s_wait_storecnt_dscnt 0x0
	s_barrier_signal -1
	s_barrier_wait -1
	s_wait_xcnt 0x0
	s_and_saveexec_b32 s36, s0
	s_cbranch_execz .LBB112_195
; %bb.186:
	s_and_not1_b32 vcc_lo, exec_lo, s5
	s_cbranch_vccnz .LBB112_188
; %bb.187:
	scratch_load_b64 v[102:103], v59, off
	ds_load_b64 v[104:105], v1
	s_wait_loadcnt_dscnt 0x0
	v_pk_mul_f32 v[106:107], v[104:105], v[102:103] op_sel:[1,1] op_sel_hi:[0,1]
	s_delay_alu instid0(VALU_DEP_1) | instskip(SKIP_1) | instid1(VALU_DEP_2)
	v_pk_fma_f32 v[108:109], v[104:105], v[102:103], v[106:107] op_sel_hi:[1,0,1]
	v_pk_fma_f32 v[102:103], v[104:105], v[102:103], v[106:107] neg_lo:[0,0,1] neg_hi:[0,0,1]
	v_mov_b32_e32 v103, v109
	s_cbranch_execz .LBB112_189
	s_branch .LBB112_190
.LBB112_188:
                                        ; implicit-def: $vgpr102_vgpr103
.LBB112_189:
	ds_load_b64 v[102:103], v1
.LBB112_190:
	s_and_saveexec_b32 s37, s1
	s_cbranch_execz .LBB112_194
; %bb.191:
	v_subrev_nc_u32_e32 v104, 30, v0
	s_movk_i32 s38, 0x280
	s_mov_b32 s1, 0
.LBB112_192:                            ; =>This Inner Loop Header: Depth=1
	scratch_load_b64 v[106:107], off, s35
	v_dual_mov_b32 v105, s38 :: v_dual_add_nc_u32 v104, -1, v104
	s_add_co_i32 s38, s38, 8
	s_wait_xcnt 0x0
	s_add_co_i32 s35, s35, 8
	ds_load_b64 v[108:109], v105
	v_cmp_eq_u32_e32 vcc_lo, 0, v104
	s_or_b32 s1, vcc_lo, s1
	s_wait_loadcnt_dscnt 0x0
	v_pk_mul_f32 v[110:111], v[108:109], v[106:107] op_sel:[1,1] op_sel_hi:[0,1]
	s_delay_alu instid0(VALU_DEP_1) | instskip(SKIP_1) | instid1(VALU_DEP_2)
	v_pk_fma_f32 v[112:113], v[108:109], v[106:107], v[110:111] op_sel_hi:[1,0,1]
	v_pk_fma_f32 v[106:107], v[108:109], v[106:107], v[110:111] neg_lo:[0,0,1] neg_hi:[0,0,1]
	v_mov_b32_e32 v107, v113
	s_delay_alu instid0(VALU_DEP_1)
	v_pk_add_f32 v[102:103], v[102:103], v[106:107]
	s_and_not1_b32 exec_lo, exec_lo, s1
	s_cbranch_execnz .LBB112_192
; %bb.193:
	s_or_b32 exec_lo, exec_lo, s1
.LBB112_194:
	s_delay_alu instid0(SALU_CYCLE_1) | instskip(SKIP_4) | instid1(VALU_DEP_1)
	s_or_b32 exec_lo, exec_lo, s37
	v_mov_b32_e32 v104, 0
	ds_load_b64 v[104:105], v104 offset:232
	s_wait_dscnt 0x0
	v_pk_mul_f32 v[106:107], v[102:103], v[104:105] op_sel:[1,1] op_sel_hi:[0,1]
	v_pk_fma_f32 v[108:109], v[102:103], v[104:105], v[106:107] op_sel_hi:[1,0,1]
	v_pk_fma_f32 v[102:103], v[102:103], v[104:105], v[106:107] neg_lo:[0,0,1] neg_hi:[0,0,1]
	s_delay_alu instid0(VALU_DEP_2)
	v_mov_b32_e32 v103, v109
	scratch_store_b64 off, v[102:103], off offset:232
.LBB112_195:
	s_wait_xcnt 0x0
	s_or_b32 exec_lo, exec_lo, s36
	scratch_load_b64 v[102:103], off, off offset:224
	v_cmp_lt_u32_e64 s1, 28, v0
	s_wait_loadcnt 0x0
	ds_store_b64 v1, v[102:103]
	s_wait_storecnt_dscnt 0x0
	s_barrier_signal -1
	s_barrier_wait -1
	s_wait_xcnt 0x0
	s_and_saveexec_b32 s35, s1
	s_cbranch_execz .LBB112_205
; %bb.196:
	s_and_not1_b32 vcc_lo, exec_lo, s5
	s_cbranch_vccnz .LBB112_198
; %bb.197:
	scratch_load_b64 v[102:103], v59, off
	ds_load_b64 v[104:105], v1
	s_wait_loadcnt_dscnt 0x0
	v_pk_mul_f32 v[106:107], v[104:105], v[102:103] op_sel:[1,1] op_sel_hi:[0,1]
	s_delay_alu instid0(VALU_DEP_1) | instskip(SKIP_1) | instid1(VALU_DEP_2)
	v_pk_fma_f32 v[108:109], v[104:105], v[102:103], v[106:107] op_sel_hi:[1,0,1]
	v_pk_fma_f32 v[102:103], v[104:105], v[102:103], v[106:107] neg_lo:[0,0,1] neg_hi:[0,0,1]
	v_mov_b32_e32 v103, v109
	s_cbranch_execz .LBB112_199
	s_branch .LBB112_200
.LBB112_198:
                                        ; implicit-def: $vgpr102_vgpr103
.LBB112_199:
	ds_load_b64 v[102:103], v1
.LBB112_200:
	s_and_saveexec_b32 s36, s0
	s_cbranch_execz .LBB112_204
; %bb.201:
	v_subrev_nc_u32_e32 v104, 29, v0
	s_movk_i32 s37, 0x278
	s_mov_b32 s0, 0
.LBB112_202:                            ; =>This Inner Loop Header: Depth=1
	scratch_load_b64 v[106:107], off, s34
	v_dual_mov_b32 v105, s37 :: v_dual_add_nc_u32 v104, -1, v104
	s_add_co_i32 s37, s37, 8
	s_wait_xcnt 0x0
	s_add_co_i32 s34, s34, 8
	ds_load_b64 v[108:109], v105
	v_cmp_eq_u32_e32 vcc_lo, 0, v104
	s_or_b32 s0, vcc_lo, s0
	s_wait_loadcnt_dscnt 0x0
	v_pk_mul_f32 v[110:111], v[108:109], v[106:107] op_sel:[1,1] op_sel_hi:[0,1]
	s_delay_alu instid0(VALU_DEP_1) | instskip(SKIP_1) | instid1(VALU_DEP_2)
	v_pk_fma_f32 v[112:113], v[108:109], v[106:107], v[110:111] op_sel_hi:[1,0,1]
	v_pk_fma_f32 v[106:107], v[108:109], v[106:107], v[110:111] neg_lo:[0,0,1] neg_hi:[0,0,1]
	v_mov_b32_e32 v107, v113
	s_delay_alu instid0(VALU_DEP_1)
	v_pk_add_f32 v[102:103], v[102:103], v[106:107]
	s_and_not1_b32 exec_lo, exec_lo, s0
	s_cbranch_execnz .LBB112_202
; %bb.203:
	s_or_b32 exec_lo, exec_lo, s0
.LBB112_204:
	s_delay_alu instid0(SALU_CYCLE_1) | instskip(SKIP_4) | instid1(VALU_DEP_1)
	s_or_b32 exec_lo, exec_lo, s36
	v_mov_b32_e32 v104, 0
	ds_load_b64 v[104:105], v104 offset:224
	s_wait_dscnt 0x0
	v_pk_mul_f32 v[106:107], v[102:103], v[104:105] op_sel:[1,1] op_sel_hi:[0,1]
	v_pk_fma_f32 v[108:109], v[102:103], v[104:105], v[106:107] op_sel_hi:[1,0,1]
	v_pk_fma_f32 v[102:103], v[102:103], v[104:105], v[106:107] neg_lo:[0,0,1] neg_hi:[0,0,1]
	s_delay_alu instid0(VALU_DEP_2)
	v_mov_b32_e32 v103, v109
	scratch_store_b64 off, v[102:103], off offset:224
.LBB112_205:
	s_wait_xcnt 0x0
	s_or_b32 exec_lo, exec_lo, s35
	scratch_load_b64 v[102:103], off, off offset:216
	v_cmp_lt_u32_e64 s0, 27, v0
	s_wait_loadcnt 0x0
	ds_store_b64 v1, v[102:103]
	s_wait_storecnt_dscnt 0x0
	s_barrier_signal -1
	s_barrier_wait -1
	s_wait_xcnt 0x0
	s_and_saveexec_b32 s34, s0
	s_cbranch_execz .LBB112_215
; %bb.206:
	s_and_not1_b32 vcc_lo, exec_lo, s5
	s_cbranch_vccnz .LBB112_208
; %bb.207:
	scratch_load_b64 v[102:103], v59, off
	ds_load_b64 v[104:105], v1
	s_wait_loadcnt_dscnt 0x0
	v_pk_mul_f32 v[106:107], v[104:105], v[102:103] op_sel:[1,1] op_sel_hi:[0,1]
	s_delay_alu instid0(VALU_DEP_1) | instskip(SKIP_1) | instid1(VALU_DEP_2)
	v_pk_fma_f32 v[108:109], v[104:105], v[102:103], v[106:107] op_sel_hi:[1,0,1]
	v_pk_fma_f32 v[102:103], v[104:105], v[102:103], v[106:107] neg_lo:[0,0,1] neg_hi:[0,0,1]
	v_mov_b32_e32 v103, v109
	s_cbranch_execz .LBB112_209
	s_branch .LBB112_210
.LBB112_208:
                                        ; implicit-def: $vgpr102_vgpr103
.LBB112_209:
	ds_load_b64 v[102:103], v1
.LBB112_210:
	s_and_saveexec_b32 s35, s1
	s_cbranch_execz .LBB112_214
; %bb.211:
	v_subrev_nc_u32_e32 v104, 28, v0
	s_movk_i32 s36, 0x270
	s_mov_b32 s1, 0
.LBB112_212:                            ; =>This Inner Loop Header: Depth=1
	scratch_load_b64 v[106:107], off, s33
	v_dual_mov_b32 v105, s36 :: v_dual_add_nc_u32 v104, -1, v104
	s_add_co_i32 s36, s36, 8
	s_wait_xcnt 0x0
	s_add_co_i32 s33, s33, 8
	ds_load_b64 v[108:109], v105
	v_cmp_eq_u32_e32 vcc_lo, 0, v104
	s_or_b32 s1, vcc_lo, s1
	s_wait_loadcnt_dscnt 0x0
	v_pk_mul_f32 v[110:111], v[108:109], v[106:107] op_sel:[1,1] op_sel_hi:[0,1]
	s_delay_alu instid0(VALU_DEP_1) | instskip(SKIP_1) | instid1(VALU_DEP_2)
	v_pk_fma_f32 v[112:113], v[108:109], v[106:107], v[110:111] op_sel_hi:[1,0,1]
	v_pk_fma_f32 v[106:107], v[108:109], v[106:107], v[110:111] neg_lo:[0,0,1] neg_hi:[0,0,1]
	v_mov_b32_e32 v107, v113
	s_delay_alu instid0(VALU_DEP_1)
	v_pk_add_f32 v[102:103], v[102:103], v[106:107]
	s_and_not1_b32 exec_lo, exec_lo, s1
	s_cbranch_execnz .LBB112_212
; %bb.213:
	s_or_b32 exec_lo, exec_lo, s1
.LBB112_214:
	s_delay_alu instid0(SALU_CYCLE_1) | instskip(SKIP_4) | instid1(VALU_DEP_1)
	s_or_b32 exec_lo, exec_lo, s35
	v_mov_b32_e32 v104, 0
	ds_load_b64 v[104:105], v104 offset:216
	s_wait_dscnt 0x0
	v_pk_mul_f32 v[106:107], v[102:103], v[104:105] op_sel:[1,1] op_sel_hi:[0,1]
	v_pk_fma_f32 v[108:109], v[102:103], v[104:105], v[106:107] op_sel_hi:[1,0,1]
	v_pk_fma_f32 v[102:103], v[102:103], v[104:105], v[106:107] neg_lo:[0,0,1] neg_hi:[0,0,1]
	s_delay_alu instid0(VALU_DEP_2)
	v_mov_b32_e32 v103, v109
	scratch_store_b64 off, v[102:103], off offset:216
.LBB112_215:
	s_wait_xcnt 0x0
	s_or_b32 exec_lo, exec_lo, s34
	scratch_load_b64 v[102:103], off, off offset:208
	v_cmp_lt_u32_e64 s1, 26, v0
	s_wait_loadcnt 0x0
	ds_store_b64 v1, v[102:103]
	s_wait_storecnt_dscnt 0x0
	s_barrier_signal -1
	s_barrier_wait -1
	s_wait_xcnt 0x0
	s_and_saveexec_b32 s33, s1
	s_cbranch_execz .LBB112_225
; %bb.216:
	s_and_not1_b32 vcc_lo, exec_lo, s5
	s_cbranch_vccnz .LBB112_218
; %bb.217:
	scratch_load_b64 v[102:103], v59, off
	ds_load_b64 v[104:105], v1
	s_wait_loadcnt_dscnt 0x0
	v_pk_mul_f32 v[106:107], v[104:105], v[102:103] op_sel:[1,1] op_sel_hi:[0,1]
	s_delay_alu instid0(VALU_DEP_1) | instskip(SKIP_1) | instid1(VALU_DEP_2)
	v_pk_fma_f32 v[108:109], v[104:105], v[102:103], v[106:107] op_sel_hi:[1,0,1]
	v_pk_fma_f32 v[102:103], v[104:105], v[102:103], v[106:107] neg_lo:[0,0,1] neg_hi:[0,0,1]
	v_mov_b32_e32 v103, v109
	s_cbranch_execz .LBB112_219
	s_branch .LBB112_220
.LBB112_218:
                                        ; implicit-def: $vgpr102_vgpr103
.LBB112_219:
	ds_load_b64 v[102:103], v1
.LBB112_220:
	s_and_saveexec_b32 s34, s0
	s_cbranch_execz .LBB112_224
; %bb.221:
	v_subrev_nc_u32_e32 v104, 27, v0
	s_movk_i32 s35, 0x268
	s_mov_b32 s0, 0
.LBB112_222:                            ; =>This Inner Loop Header: Depth=1
	scratch_load_b64 v[106:107], off, s31
	v_dual_mov_b32 v105, s35 :: v_dual_add_nc_u32 v104, -1, v104
	s_add_co_i32 s35, s35, 8
	s_wait_xcnt 0x0
	s_add_co_i32 s31, s31, 8
	ds_load_b64 v[108:109], v105
	v_cmp_eq_u32_e32 vcc_lo, 0, v104
	s_or_b32 s0, vcc_lo, s0
	s_wait_loadcnt_dscnt 0x0
	v_pk_mul_f32 v[110:111], v[108:109], v[106:107] op_sel:[1,1] op_sel_hi:[0,1]
	s_delay_alu instid0(VALU_DEP_1) | instskip(SKIP_1) | instid1(VALU_DEP_2)
	v_pk_fma_f32 v[112:113], v[108:109], v[106:107], v[110:111] op_sel_hi:[1,0,1]
	v_pk_fma_f32 v[106:107], v[108:109], v[106:107], v[110:111] neg_lo:[0,0,1] neg_hi:[0,0,1]
	v_mov_b32_e32 v107, v113
	s_delay_alu instid0(VALU_DEP_1)
	v_pk_add_f32 v[102:103], v[102:103], v[106:107]
	s_and_not1_b32 exec_lo, exec_lo, s0
	s_cbranch_execnz .LBB112_222
; %bb.223:
	s_or_b32 exec_lo, exec_lo, s0
.LBB112_224:
	s_delay_alu instid0(SALU_CYCLE_1) | instskip(SKIP_4) | instid1(VALU_DEP_1)
	s_or_b32 exec_lo, exec_lo, s34
	v_mov_b32_e32 v104, 0
	ds_load_b64 v[104:105], v104 offset:208
	s_wait_dscnt 0x0
	v_pk_mul_f32 v[106:107], v[102:103], v[104:105] op_sel:[1,1] op_sel_hi:[0,1]
	v_pk_fma_f32 v[108:109], v[102:103], v[104:105], v[106:107] op_sel_hi:[1,0,1]
	v_pk_fma_f32 v[102:103], v[102:103], v[104:105], v[106:107] neg_lo:[0,0,1] neg_hi:[0,0,1]
	s_delay_alu instid0(VALU_DEP_2)
	v_mov_b32_e32 v103, v109
	scratch_store_b64 off, v[102:103], off offset:208
.LBB112_225:
	s_wait_xcnt 0x0
	s_or_b32 exec_lo, exec_lo, s33
	scratch_load_b64 v[102:103], off, off offset:200
	v_cmp_lt_u32_e64 s0, 25, v0
	s_wait_loadcnt 0x0
	ds_store_b64 v1, v[102:103]
	s_wait_storecnt_dscnt 0x0
	s_barrier_signal -1
	s_barrier_wait -1
	s_wait_xcnt 0x0
	s_and_saveexec_b32 s31, s0
	s_cbranch_execz .LBB112_235
; %bb.226:
	s_and_not1_b32 vcc_lo, exec_lo, s5
	s_cbranch_vccnz .LBB112_228
; %bb.227:
	scratch_load_b64 v[102:103], v59, off
	ds_load_b64 v[104:105], v1
	s_wait_loadcnt_dscnt 0x0
	v_pk_mul_f32 v[106:107], v[104:105], v[102:103] op_sel:[1,1] op_sel_hi:[0,1]
	s_delay_alu instid0(VALU_DEP_1) | instskip(SKIP_1) | instid1(VALU_DEP_2)
	v_pk_fma_f32 v[108:109], v[104:105], v[102:103], v[106:107] op_sel_hi:[1,0,1]
	v_pk_fma_f32 v[102:103], v[104:105], v[102:103], v[106:107] neg_lo:[0,0,1] neg_hi:[0,0,1]
	v_mov_b32_e32 v103, v109
	s_cbranch_execz .LBB112_229
	s_branch .LBB112_230
.LBB112_228:
                                        ; implicit-def: $vgpr102_vgpr103
.LBB112_229:
	ds_load_b64 v[102:103], v1
.LBB112_230:
	s_and_saveexec_b32 s33, s1
	s_cbranch_execz .LBB112_234
; %bb.231:
	v_subrev_nc_u32_e32 v104, 26, v0
	s_movk_i32 s34, 0x260
	s_mov_b32 s1, 0
.LBB112_232:                            ; =>This Inner Loop Header: Depth=1
	scratch_load_b64 v[106:107], off, s30
	v_dual_mov_b32 v105, s34 :: v_dual_add_nc_u32 v104, -1, v104
	s_add_co_i32 s34, s34, 8
	s_wait_xcnt 0x0
	s_add_co_i32 s30, s30, 8
	ds_load_b64 v[108:109], v105
	v_cmp_eq_u32_e32 vcc_lo, 0, v104
	s_or_b32 s1, vcc_lo, s1
	s_wait_loadcnt_dscnt 0x0
	v_pk_mul_f32 v[110:111], v[108:109], v[106:107] op_sel:[1,1] op_sel_hi:[0,1]
	s_delay_alu instid0(VALU_DEP_1) | instskip(SKIP_1) | instid1(VALU_DEP_2)
	v_pk_fma_f32 v[112:113], v[108:109], v[106:107], v[110:111] op_sel_hi:[1,0,1]
	v_pk_fma_f32 v[106:107], v[108:109], v[106:107], v[110:111] neg_lo:[0,0,1] neg_hi:[0,0,1]
	v_mov_b32_e32 v107, v113
	s_delay_alu instid0(VALU_DEP_1)
	v_pk_add_f32 v[102:103], v[102:103], v[106:107]
	s_and_not1_b32 exec_lo, exec_lo, s1
	s_cbranch_execnz .LBB112_232
; %bb.233:
	s_or_b32 exec_lo, exec_lo, s1
.LBB112_234:
	s_delay_alu instid0(SALU_CYCLE_1) | instskip(SKIP_4) | instid1(VALU_DEP_1)
	s_or_b32 exec_lo, exec_lo, s33
	v_mov_b32_e32 v104, 0
	ds_load_b64 v[104:105], v104 offset:200
	s_wait_dscnt 0x0
	v_pk_mul_f32 v[106:107], v[102:103], v[104:105] op_sel:[1,1] op_sel_hi:[0,1]
	v_pk_fma_f32 v[108:109], v[102:103], v[104:105], v[106:107] op_sel_hi:[1,0,1]
	v_pk_fma_f32 v[102:103], v[102:103], v[104:105], v[106:107] neg_lo:[0,0,1] neg_hi:[0,0,1]
	s_delay_alu instid0(VALU_DEP_2)
	v_mov_b32_e32 v103, v109
	scratch_store_b64 off, v[102:103], off offset:200
.LBB112_235:
	s_wait_xcnt 0x0
	s_or_b32 exec_lo, exec_lo, s31
	scratch_load_b64 v[102:103], off, off offset:192
	v_cmp_lt_u32_e64 s1, 24, v0
	s_wait_loadcnt 0x0
	ds_store_b64 v1, v[102:103]
	s_wait_storecnt_dscnt 0x0
	s_barrier_signal -1
	s_barrier_wait -1
	s_wait_xcnt 0x0
	s_and_saveexec_b32 s30, s1
	s_cbranch_execz .LBB112_245
; %bb.236:
	s_and_not1_b32 vcc_lo, exec_lo, s5
	s_cbranch_vccnz .LBB112_238
; %bb.237:
	scratch_load_b64 v[102:103], v59, off
	ds_load_b64 v[104:105], v1
	s_wait_loadcnt_dscnt 0x0
	v_pk_mul_f32 v[106:107], v[104:105], v[102:103] op_sel:[1,1] op_sel_hi:[0,1]
	s_delay_alu instid0(VALU_DEP_1) | instskip(SKIP_1) | instid1(VALU_DEP_2)
	v_pk_fma_f32 v[108:109], v[104:105], v[102:103], v[106:107] op_sel_hi:[1,0,1]
	v_pk_fma_f32 v[102:103], v[104:105], v[102:103], v[106:107] neg_lo:[0,0,1] neg_hi:[0,0,1]
	v_mov_b32_e32 v103, v109
	s_cbranch_execz .LBB112_239
	s_branch .LBB112_240
.LBB112_238:
                                        ; implicit-def: $vgpr102_vgpr103
.LBB112_239:
	ds_load_b64 v[102:103], v1
.LBB112_240:
	s_and_saveexec_b32 s31, s0
	s_cbranch_execz .LBB112_244
; %bb.241:
	v_subrev_nc_u32_e32 v104, 25, v0
	s_movk_i32 s33, 0x258
	s_mov_b32 s0, 0
.LBB112_242:                            ; =>This Inner Loop Header: Depth=1
	scratch_load_b64 v[106:107], off, s29
	v_dual_mov_b32 v105, s33 :: v_dual_add_nc_u32 v104, -1, v104
	s_add_co_i32 s33, s33, 8
	s_wait_xcnt 0x0
	s_add_co_i32 s29, s29, 8
	ds_load_b64 v[108:109], v105
	v_cmp_eq_u32_e32 vcc_lo, 0, v104
	s_or_b32 s0, vcc_lo, s0
	s_wait_loadcnt_dscnt 0x0
	v_pk_mul_f32 v[110:111], v[108:109], v[106:107] op_sel:[1,1] op_sel_hi:[0,1]
	s_delay_alu instid0(VALU_DEP_1) | instskip(SKIP_1) | instid1(VALU_DEP_2)
	v_pk_fma_f32 v[112:113], v[108:109], v[106:107], v[110:111] op_sel_hi:[1,0,1]
	v_pk_fma_f32 v[106:107], v[108:109], v[106:107], v[110:111] neg_lo:[0,0,1] neg_hi:[0,0,1]
	v_mov_b32_e32 v107, v113
	s_delay_alu instid0(VALU_DEP_1)
	v_pk_add_f32 v[102:103], v[102:103], v[106:107]
	s_and_not1_b32 exec_lo, exec_lo, s0
	s_cbranch_execnz .LBB112_242
; %bb.243:
	s_or_b32 exec_lo, exec_lo, s0
.LBB112_244:
	s_delay_alu instid0(SALU_CYCLE_1) | instskip(SKIP_4) | instid1(VALU_DEP_1)
	s_or_b32 exec_lo, exec_lo, s31
	v_mov_b32_e32 v104, 0
	ds_load_b64 v[104:105], v104 offset:192
	s_wait_dscnt 0x0
	v_pk_mul_f32 v[106:107], v[102:103], v[104:105] op_sel:[1,1] op_sel_hi:[0,1]
	v_pk_fma_f32 v[108:109], v[102:103], v[104:105], v[106:107] op_sel_hi:[1,0,1]
	v_pk_fma_f32 v[102:103], v[102:103], v[104:105], v[106:107] neg_lo:[0,0,1] neg_hi:[0,0,1]
	s_delay_alu instid0(VALU_DEP_2)
	v_mov_b32_e32 v103, v109
	scratch_store_b64 off, v[102:103], off offset:192
.LBB112_245:
	s_wait_xcnt 0x0
	s_or_b32 exec_lo, exec_lo, s30
	scratch_load_b64 v[102:103], off, off offset:184
	v_cmp_lt_u32_e64 s0, 23, v0
	s_wait_loadcnt 0x0
	ds_store_b64 v1, v[102:103]
	s_wait_storecnt_dscnt 0x0
	s_barrier_signal -1
	s_barrier_wait -1
	s_wait_xcnt 0x0
	s_and_saveexec_b32 s29, s0
	s_cbranch_execz .LBB112_255
; %bb.246:
	s_and_not1_b32 vcc_lo, exec_lo, s5
	s_cbranch_vccnz .LBB112_248
; %bb.247:
	scratch_load_b64 v[102:103], v59, off
	ds_load_b64 v[104:105], v1
	s_wait_loadcnt_dscnt 0x0
	v_pk_mul_f32 v[106:107], v[104:105], v[102:103] op_sel:[1,1] op_sel_hi:[0,1]
	s_delay_alu instid0(VALU_DEP_1) | instskip(SKIP_1) | instid1(VALU_DEP_2)
	v_pk_fma_f32 v[108:109], v[104:105], v[102:103], v[106:107] op_sel_hi:[1,0,1]
	v_pk_fma_f32 v[102:103], v[104:105], v[102:103], v[106:107] neg_lo:[0,0,1] neg_hi:[0,0,1]
	v_mov_b32_e32 v103, v109
	s_cbranch_execz .LBB112_249
	s_branch .LBB112_250
.LBB112_248:
                                        ; implicit-def: $vgpr102_vgpr103
.LBB112_249:
	ds_load_b64 v[102:103], v1
.LBB112_250:
	s_and_saveexec_b32 s30, s1
	s_cbranch_execz .LBB112_254
; %bb.251:
	v_subrev_nc_u32_e32 v104, 24, v0
	s_movk_i32 s31, 0x250
	s_mov_b32 s1, 0
.LBB112_252:                            ; =>This Inner Loop Header: Depth=1
	scratch_load_b64 v[106:107], off, s28
	v_dual_mov_b32 v105, s31 :: v_dual_add_nc_u32 v104, -1, v104
	s_add_co_i32 s31, s31, 8
	s_wait_xcnt 0x0
	s_add_co_i32 s28, s28, 8
	ds_load_b64 v[108:109], v105
	v_cmp_eq_u32_e32 vcc_lo, 0, v104
	s_or_b32 s1, vcc_lo, s1
	s_wait_loadcnt_dscnt 0x0
	v_pk_mul_f32 v[110:111], v[108:109], v[106:107] op_sel:[1,1] op_sel_hi:[0,1]
	s_delay_alu instid0(VALU_DEP_1) | instskip(SKIP_1) | instid1(VALU_DEP_2)
	v_pk_fma_f32 v[112:113], v[108:109], v[106:107], v[110:111] op_sel_hi:[1,0,1]
	v_pk_fma_f32 v[106:107], v[108:109], v[106:107], v[110:111] neg_lo:[0,0,1] neg_hi:[0,0,1]
	v_mov_b32_e32 v107, v113
	s_delay_alu instid0(VALU_DEP_1)
	v_pk_add_f32 v[102:103], v[102:103], v[106:107]
	s_and_not1_b32 exec_lo, exec_lo, s1
	s_cbranch_execnz .LBB112_252
; %bb.253:
	s_or_b32 exec_lo, exec_lo, s1
.LBB112_254:
	s_delay_alu instid0(SALU_CYCLE_1) | instskip(SKIP_4) | instid1(VALU_DEP_1)
	s_or_b32 exec_lo, exec_lo, s30
	v_mov_b32_e32 v104, 0
	ds_load_b64 v[104:105], v104 offset:184
	s_wait_dscnt 0x0
	v_pk_mul_f32 v[106:107], v[102:103], v[104:105] op_sel:[1,1] op_sel_hi:[0,1]
	v_pk_fma_f32 v[108:109], v[102:103], v[104:105], v[106:107] op_sel_hi:[1,0,1]
	v_pk_fma_f32 v[102:103], v[102:103], v[104:105], v[106:107] neg_lo:[0,0,1] neg_hi:[0,0,1]
	s_delay_alu instid0(VALU_DEP_2)
	v_mov_b32_e32 v103, v109
	scratch_store_b64 off, v[102:103], off offset:184
.LBB112_255:
	s_wait_xcnt 0x0
	s_or_b32 exec_lo, exec_lo, s29
	scratch_load_b64 v[102:103], off, off offset:176
	v_cmp_lt_u32_e64 s1, 22, v0
	s_wait_loadcnt 0x0
	ds_store_b64 v1, v[102:103]
	s_wait_storecnt_dscnt 0x0
	s_barrier_signal -1
	s_barrier_wait -1
	s_wait_xcnt 0x0
	s_and_saveexec_b32 s28, s1
	s_cbranch_execz .LBB112_265
; %bb.256:
	s_and_not1_b32 vcc_lo, exec_lo, s5
	s_cbranch_vccnz .LBB112_258
; %bb.257:
	scratch_load_b64 v[102:103], v59, off
	ds_load_b64 v[104:105], v1
	s_wait_loadcnt_dscnt 0x0
	v_pk_mul_f32 v[106:107], v[104:105], v[102:103] op_sel:[1,1] op_sel_hi:[0,1]
	s_delay_alu instid0(VALU_DEP_1) | instskip(SKIP_1) | instid1(VALU_DEP_2)
	v_pk_fma_f32 v[108:109], v[104:105], v[102:103], v[106:107] op_sel_hi:[1,0,1]
	v_pk_fma_f32 v[102:103], v[104:105], v[102:103], v[106:107] neg_lo:[0,0,1] neg_hi:[0,0,1]
	v_mov_b32_e32 v103, v109
	s_cbranch_execz .LBB112_259
	s_branch .LBB112_260
.LBB112_258:
                                        ; implicit-def: $vgpr102_vgpr103
.LBB112_259:
	ds_load_b64 v[102:103], v1
.LBB112_260:
	s_and_saveexec_b32 s29, s0
	s_cbranch_execz .LBB112_264
; %bb.261:
	v_subrev_nc_u32_e32 v104, 23, v0
	s_movk_i32 s30, 0x248
	s_mov_b32 s0, 0
.LBB112_262:                            ; =>This Inner Loop Header: Depth=1
	scratch_load_b64 v[106:107], off, s27
	v_dual_mov_b32 v105, s30 :: v_dual_add_nc_u32 v104, -1, v104
	s_add_co_i32 s30, s30, 8
	s_wait_xcnt 0x0
	s_add_co_i32 s27, s27, 8
	ds_load_b64 v[108:109], v105
	v_cmp_eq_u32_e32 vcc_lo, 0, v104
	s_or_b32 s0, vcc_lo, s0
	s_wait_loadcnt_dscnt 0x0
	v_pk_mul_f32 v[110:111], v[108:109], v[106:107] op_sel:[1,1] op_sel_hi:[0,1]
	s_delay_alu instid0(VALU_DEP_1) | instskip(SKIP_1) | instid1(VALU_DEP_2)
	v_pk_fma_f32 v[112:113], v[108:109], v[106:107], v[110:111] op_sel_hi:[1,0,1]
	v_pk_fma_f32 v[106:107], v[108:109], v[106:107], v[110:111] neg_lo:[0,0,1] neg_hi:[0,0,1]
	v_mov_b32_e32 v107, v113
	s_delay_alu instid0(VALU_DEP_1)
	v_pk_add_f32 v[102:103], v[102:103], v[106:107]
	s_and_not1_b32 exec_lo, exec_lo, s0
	s_cbranch_execnz .LBB112_262
; %bb.263:
	s_or_b32 exec_lo, exec_lo, s0
.LBB112_264:
	s_delay_alu instid0(SALU_CYCLE_1) | instskip(SKIP_4) | instid1(VALU_DEP_1)
	s_or_b32 exec_lo, exec_lo, s29
	v_mov_b32_e32 v104, 0
	ds_load_b64 v[104:105], v104 offset:176
	s_wait_dscnt 0x0
	v_pk_mul_f32 v[106:107], v[102:103], v[104:105] op_sel:[1,1] op_sel_hi:[0,1]
	v_pk_fma_f32 v[108:109], v[102:103], v[104:105], v[106:107] op_sel_hi:[1,0,1]
	v_pk_fma_f32 v[102:103], v[102:103], v[104:105], v[106:107] neg_lo:[0,0,1] neg_hi:[0,0,1]
	s_delay_alu instid0(VALU_DEP_2)
	v_mov_b32_e32 v103, v109
	scratch_store_b64 off, v[102:103], off offset:176
.LBB112_265:
	s_wait_xcnt 0x0
	s_or_b32 exec_lo, exec_lo, s28
	scratch_load_b64 v[102:103], off, off offset:168
	v_cmp_lt_u32_e64 s0, 21, v0
	s_wait_loadcnt 0x0
	ds_store_b64 v1, v[102:103]
	s_wait_storecnt_dscnt 0x0
	s_barrier_signal -1
	s_barrier_wait -1
	s_wait_xcnt 0x0
	s_and_saveexec_b32 s27, s0
	s_cbranch_execz .LBB112_275
; %bb.266:
	s_and_not1_b32 vcc_lo, exec_lo, s5
	s_cbranch_vccnz .LBB112_268
; %bb.267:
	scratch_load_b64 v[102:103], v59, off
	ds_load_b64 v[104:105], v1
	s_wait_loadcnt_dscnt 0x0
	v_pk_mul_f32 v[106:107], v[104:105], v[102:103] op_sel:[1,1] op_sel_hi:[0,1]
	s_delay_alu instid0(VALU_DEP_1) | instskip(SKIP_1) | instid1(VALU_DEP_2)
	v_pk_fma_f32 v[108:109], v[104:105], v[102:103], v[106:107] op_sel_hi:[1,0,1]
	v_pk_fma_f32 v[102:103], v[104:105], v[102:103], v[106:107] neg_lo:[0,0,1] neg_hi:[0,0,1]
	v_mov_b32_e32 v103, v109
	s_cbranch_execz .LBB112_269
	s_branch .LBB112_270
.LBB112_268:
                                        ; implicit-def: $vgpr102_vgpr103
.LBB112_269:
	ds_load_b64 v[102:103], v1
.LBB112_270:
	s_and_saveexec_b32 s28, s1
	s_cbranch_execz .LBB112_274
; %bb.271:
	v_subrev_nc_u32_e32 v104, 22, v0
	s_movk_i32 s29, 0x240
	s_mov_b32 s1, 0
.LBB112_272:                            ; =>This Inner Loop Header: Depth=1
	scratch_load_b64 v[106:107], off, s26
	v_dual_mov_b32 v105, s29 :: v_dual_add_nc_u32 v104, -1, v104
	s_add_co_i32 s29, s29, 8
	s_wait_xcnt 0x0
	s_add_co_i32 s26, s26, 8
	ds_load_b64 v[108:109], v105
	v_cmp_eq_u32_e32 vcc_lo, 0, v104
	s_or_b32 s1, vcc_lo, s1
	s_wait_loadcnt_dscnt 0x0
	v_pk_mul_f32 v[110:111], v[108:109], v[106:107] op_sel:[1,1] op_sel_hi:[0,1]
	s_delay_alu instid0(VALU_DEP_1) | instskip(SKIP_1) | instid1(VALU_DEP_2)
	v_pk_fma_f32 v[112:113], v[108:109], v[106:107], v[110:111] op_sel_hi:[1,0,1]
	v_pk_fma_f32 v[106:107], v[108:109], v[106:107], v[110:111] neg_lo:[0,0,1] neg_hi:[0,0,1]
	v_mov_b32_e32 v107, v113
	s_delay_alu instid0(VALU_DEP_1)
	v_pk_add_f32 v[102:103], v[102:103], v[106:107]
	s_and_not1_b32 exec_lo, exec_lo, s1
	s_cbranch_execnz .LBB112_272
; %bb.273:
	s_or_b32 exec_lo, exec_lo, s1
.LBB112_274:
	s_delay_alu instid0(SALU_CYCLE_1) | instskip(SKIP_4) | instid1(VALU_DEP_1)
	s_or_b32 exec_lo, exec_lo, s28
	v_mov_b32_e32 v104, 0
	ds_load_b64 v[104:105], v104 offset:168
	s_wait_dscnt 0x0
	v_pk_mul_f32 v[106:107], v[102:103], v[104:105] op_sel:[1,1] op_sel_hi:[0,1]
	v_pk_fma_f32 v[108:109], v[102:103], v[104:105], v[106:107] op_sel_hi:[1,0,1]
	v_pk_fma_f32 v[102:103], v[102:103], v[104:105], v[106:107] neg_lo:[0,0,1] neg_hi:[0,0,1]
	s_delay_alu instid0(VALU_DEP_2)
	v_mov_b32_e32 v103, v109
	scratch_store_b64 off, v[102:103], off offset:168
.LBB112_275:
	s_wait_xcnt 0x0
	s_or_b32 exec_lo, exec_lo, s27
	scratch_load_b64 v[102:103], off, off offset:160
	v_cmp_lt_u32_e64 s1, 20, v0
	s_wait_loadcnt 0x0
	ds_store_b64 v1, v[102:103]
	s_wait_storecnt_dscnt 0x0
	s_barrier_signal -1
	s_barrier_wait -1
	s_wait_xcnt 0x0
	s_and_saveexec_b32 s26, s1
	s_cbranch_execz .LBB112_285
; %bb.276:
	s_and_not1_b32 vcc_lo, exec_lo, s5
	s_cbranch_vccnz .LBB112_278
; %bb.277:
	scratch_load_b64 v[102:103], v59, off
	ds_load_b64 v[104:105], v1
	s_wait_loadcnt_dscnt 0x0
	v_pk_mul_f32 v[106:107], v[104:105], v[102:103] op_sel:[1,1] op_sel_hi:[0,1]
	s_delay_alu instid0(VALU_DEP_1) | instskip(SKIP_1) | instid1(VALU_DEP_2)
	v_pk_fma_f32 v[108:109], v[104:105], v[102:103], v[106:107] op_sel_hi:[1,0,1]
	v_pk_fma_f32 v[102:103], v[104:105], v[102:103], v[106:107] neg_lo:[0,0,1] neg_hi:[0,0,1]
	v_mov_b32_e32 v103, v109
	s_cbranch_execz .LBB112_279
	s_branch .LBB112_280
.LBB112_278:
                                        ; implicit-def: $vgpr102_vgpr103
.LBB112_279:
	ds_load_b64 v[102:103], v1
.LBB112_280:
	s_and_saveexec_b32 s27, s0
	s_cbranch_execz .LBB112_284
; %bb.281:
	v_subrev_nc_u32_e32 v104, 21, v0
	s_movk_i32 s28, 0x238
	s_mov_b32 s0, 0
.LBB112_282:                            ; =>This Inner Loop Header: Depth=1
	scratch_load_b64 v[106:107], off, s25
	v_dual_mov_b32 v105, s28 :: v_dual_add_nc_u32 v104, -1, v104
	s_add_co_i32 s28, s28, 8
	s_wait_xcnt 0x0
	s_add_co_i32 s25, s25, 8
	ds_load_b64 v[108:109], v105
	v_cmp_eq_u32_e32 vcc_lo, 0, v104
	s_or_b32 s0, vcc_lo, s0
	s_wait_loadcnt_dscnt 0x0
	v_pk_mul_f32 v[110:111], v[108:109], v[106:107] op_sel:[1,1] op_sel_hi:[0,1]
	s_delay_alu instid0(VALU_DEP_1) | instskip(SKIP_1) | instid1(VALU_DEP_2)
	v_pk_fma_f32 v[112:113], v[108:109], v[106:107], v[110:111] op_sel_hi:[1,0,1]
	v_pk_fma_f32 v[106:107], v[108:109], v[106:107], v[110:111] neg_lo:[0,0,1] neg_hi:[0,0,1]
	v_mov_b32_e32 v107, v113
	s_delay_alu instid0(VALU_DEP_1)
	v_pk_add_f32 v[102:103], v[102:103], v[106:107]
	s_and_not1_b32 exec_lo, exec_lo, s0
	s_cbranch_execnz .LBB112_282
; %bb.283:
	s_or_b32 exec_lo, exec_lo, s0
.LBB112_284:
	s_delay_alu instid0(SALU_CYCLE_1) | instskip(SKIP_4) | instid1(VALU_DEP_1)
	s_or_b32 exec_lo, exec_lo, s27
	v_mov_b32_e32 v104, 0
	ds_load_b64 v[104:105], v104 offset:160
	s_wait_dscnt 0x0
	v_pk_mul_f32 v[106:107], v[102:103], v[104:105] op_sel:[1,1] op_sel_hi:[0,1]
	v_pk_fma_f32 v[108:109], v[102:103], v[104:105], v[106:107] op_sel_hi:[1,0,1]
	v_pk_fma_f32 v[102:103], v[102:103], v[104:105], v[106:107] neg_lo:[0,0,1] neg_hi:[0,0,1]
	s_delay_alu instid0(VALU_DEP_2)
	v_mov_b32_e32 v103, v109
	scratch_store_b64 off, v[102:103], off offset:160
.LBB112_285:
	s_wait_xcnt 0x0
	s_or_b32 exec_lo, exec_lo, s26
	scratch_load_b64 v[102:103], off, off offset:152
	v_cmp_lt_u32_e64 s0, 19, v0
	s_wait_loadcnt 0x0
	ds_store_b64 v1, v[102:103]
	s_wait_storecnt_dscnt 0x0
	s_barrier_signal -1
	s_barrier_wait -1
	s_wait_xcnt 0x0
	s_and_saveexec_b32 s25, s0
	s_cbranch_execz .LBB112_295
; %bb.286:
	s_and_not1_b32 vcc_lo, exec_lo, s5
	s_cbranch_vccnz .LBB112_288
; %bb.287:
	scratch_load_b64 v[102:103], v59, off
	ds_load_b64 v[104:105], v1
	s_wait_loadcnt_dscnt 0x0
	v_pk_mul_f32 v[106:107], v[104:105], v[102:103] op_sel:[1,1] op_sel_hi:[0,1]
	s_delay_alu instid0(VALU_DEP_1) | instskip(SKIP_1) | instid1(VALU_DEP_2)
	v_pk_fma_f32 v[108:109], v[104:105], v[102:103], v[106:107] op_sel_hi:[1,0,1]
	v_pk_fma_f32 v[102:103], v[104:105], v[102:103], v[106:107] neg_lo:[0,0,1] neg_hi:[0,0,1]
	v_mov_b32_e32 v103, v109
	s_cbranch_execz .LBB112_289
	s_branch .LBB112_290
.LBB112_288:
                                        ; implicit-def: $vgpr102_vgpr103
.LBB112_289:
	ds_load_b64 v[102:103], v1
.LBB112_290:
	s_and_saveexec_b32 s26, s1
	s_cbranch_execz .LBB112_294
; %bb.291:
	v_subrev_nc_u32_e32 v104, 20, v0
	s_movk_i32 s27, 0x230
	s_mov_b32 s1, 0
.LBB112_292:                            ; =>This Inner Loop Header: Depth=1
	scratch_load_b64 v[106:107], off, s24
	v_dual_mov_b32 v105, s27 :: v_dual_add_nc_u32 v104, -1, v104
	s_add_co_i32 s27, s27, 8
	s_wait_xcnt 0x0
	s_add_co_i32 s24, s24, 8
	ds_load_b64 v[108:109], v105
	v_cmp_eq_u32_e32 vcc_lo, 0, v104
	s_or_b32 s1, vcc_lo, s1
	s_wait_loadcnt_dscnt 0x0
	v_pk_mul_f32 v[110:111], v[108:109], v[106:107] op_sel:[1,1] op_sel_hi:[0,1]
	s_delay_alu instid0(VALU_DEP_1) | instskip(SKIP_1) | instid1(VALU_DEP_2)
	v_pk_fma_f32 v[112:113], v[108:109], v[106:107], v[110:111] op_sel_hi:[1,0,1]
	v_pk_fma_f32 v[106:107], v[108:109], v[106:107], v[110:111] neg_lo:[0,0,1] neg_hi:[0,0,1]
	v_mov_b32_e32 v107, v113
	s_delay_alu instid0(VALU_DEP_1)
	v_pk_add_f32 v[102:103], v[102:103], v[106:107]
	s_and_not1_b32 exec_lo, exec_lo, s1
	s_cbranch_execnz .LBB112_292
; %bb.293:
	s_or_b32 exec_lo, exec_lo, s1
.LBB112_294:
	s_delay_alu instid0(SALU_CYCLE_1) | instskip(SKIP_4) | instid1(VALU_DEP_1)
	s_or_b32 exec_lo, exec_lo, s26
	v_mov_b32_e32 v104, 0
	ds_load_b64 v[104:105], v104 offset:152
	s_wait_dscnt 0x0
	v_pk_mul_f32 v[106:107], v[102:103], v[104:105] op_sel:[1,1] op_sel_hi:[0,1]
	v_pk_fma_f32 v[108:109], v[102:103], v[104:105], v[106:107] op_sel_hi:[1,0,1]
	v_pk_fma_f32 v[102:103], v[102:103], v[104:105], v[106:107] neg_lo:[0,0,1] neg_hi:[0,0,1]
	s_delay_alu instid0(VALU_DEP_2)
	v_mov_b32_e32 v103, v109
	scratch_store_b64 off, v[102:103], off offset:152
.LBB112_295:
	s_wait_xcnt 0x0
	s_or_b32 exec_lo, exec_lo, s25
	scratch_load_b64 v[102:103], off, off offset:144
	v_cmp_lt_u32_e64 s1, 18, v0
	s_wait_loadcnt 0x0
	ds_store_b64 v1, v[102:103]
	s_wait_storecnt_dscnt 0x0
	s_barrier_signal -1
	s_barrier_wait -1
	s_wait_xcnt 0x0
	s_and_saveexec_b32 s24, s1
	s_cbranch_execz .LBB112_305
; %bb.296:
	s_and_not1_b32 vcc_lo, exec_lo, s5
	s_cbranch_vccnz .LBB112_298
; %bb.297:
	scratch_load_b64 v[102:103], v59, off
	ds_load_b64 v[104:105], v1
	s_wait_loadcnt_dscnt 0x0
	v_pk_mul_f32 v[106:107], v[104:105], v[102:103] op_sel:[1,1] op_sel_hi:[0,1]
	s_delay_alu instid0(VALU_DEP_1) | instskip(SKIP_1) | instid1(VALU_DEP_2)
	v_pk_fma_f32 v[108:109], v[104:105], v[102:103], v[106:107] op_sel_hi:[1,0,1]
	v_pk_fma_f32 v[102:103], v[104:105], v[102:103], v[106:107] neg_lo:[0,0,1] neg_hi:[0,0,1]
	v_mov_b32_e32 v103, v109
	s_cbranch_execz .LBB112_299
	s_branch .LBB112_300
.LBB112_298:
                                        ; implicit-def: $vgpr102_vgpr103
.LBB112_299:
	ds_load_b64 v[102:103], v1
.LBB112_300:
	s_and_saveexec_b32 s25, s0
	s_cbranch_execz .LBB112_304
; %bb.301:
	v_subrev_nc_u32_e32 v104, 19, v0
	s_movk_i32 s26, 0x228
	s_mov_b32 s0, 0
.LBB112_302:                            ; =>This Inner Loop Header: Depth=1
	scratch_load_b64 v[106:107], off, s23
	v_dual_mov_b32 v105, s26 :: v_dual_add_nc_u32 v104, -1, v104
	s_add_co_i32 s26, s26, 8
	s_wait_xcnt 0x0
	s_add_co_i32 s23, s23, 8
	ds_load_b64 v[108:109], v105
	v_cmp_eq_u32_e32 vcc_lo, 0, v104
	s_or_b32 s0, vcc_lo, s0
	s_wait_loadcnt_dscnt 0x0
	v_pk_mul_f32 v[110:111], v[108:109], v[106:107] op_sel:[1,1] op_sel_hi:[0,1]
	s_delay_alu instid0(VALU_DEP_1) | instskip(SKIP_1) | instid1(VALU_DEP_2)
	v_pk_fma_f32 v[112:113], v[108:109], v[106:107], v[110:111] op_sel_hi:[1,0,1]
	v_pk_fma_f32 v[106:107], v[108:109], v[106:107], v[110:111] neg_lo:[0,0,1] neg_hi:[0,0,1]
	v_mov_b32_e32 v107, v113
	s_delay_alu instid0(VALU_DEP_1)
	v_pk_add_f32 v[102:103], v[102:103], v[106:107]
	s_and_not1_b32 exec_lo, exec_lo, s0
	s_cbranch_execnz .LBB112_302
; %bb.303:
	s_or_b32 exec_lo, exec_lo, s0
.LBB112_304:
	s_delay_alu instid0(SALU_CYCLE_1) | instskip(SKIP_4) | instid1(VALU_DEP_1)
	s_or_b32 exec_lo, exec_lo, s25
	v_mov_b32_e32 v104, 0
	ds_load_b64 v[104:105], v104 offset:144
	s_wait_dscnt 0x0
	v_pk_mul_f32 v[106:107], v[102:103], v[104:105] op_sel:[1,1] op_sel_hi:[0,1]
	v_pk_fma_f32 v[108:109], v[102:103], v[104:105], v[106:107] op_sel_hi:[1,0,1]
	v_pk_fma_f32 v[102:103], v[102:103], v[104:105], v[106:107] neg_lo:[0,0,1] neg_hi:[0,0,1]
	s_delay_alu instid0(VALU_DEP_2)
	v_mov_b32_e32 v103, v109
	scratch_store_b64 off, v[102:103], off offset:144
.LBB112_305:
	s_wait_xcnt 0x0
	s_or_b32 exec_lo, exec_lo, s24
	scratch_load_b64 v[102:103], off, off offset:136
	v_cmp_lt_u32_e64 s0, 17, v0
	s_wait_loadcnt 0x0
	ds_store_b64 v1, v[102:103]
	s_wait_storecnt_dscnt 0x0
	s_barrier_signal -1
	s_barrier_wait -1
	s_wait_xcnt 0x0
	s_and_saveexec_b32 s23, s0
	s_cbranch_execz .LBB112_315
; %bb.306:
	s_and_not1_b32 vcc_lo, exec_lo, s5
	s_cbranch_vccnz .LBB112_308
; %bb.307:
	scratch_load_b64 v[102:103], v59, off
	ds_load_b64 v[104:105], v1
	s_wait_loadcnt_dscnt 0x0
	v_pk_mul_f32 v[106:107], v[104:105], v[102:103] op_sel:[1,1] op_sel_hi:[0,1]
	s_delay_alu instid0(VALU_DEP_1) | instskip(SKIP_1) | instid1(VALU_DEP_2)
	v_pk_fma_f32 v[108:109], v[104:105], v[102:103], v[106:107] op_sel_hi:[1,0,1]
	v_pk_fma_f32 v[102:103], v[104:105], v[102:103], v[106:107] neg_lo:[0,0,1] neg_hi:[0,0,1]
	v_mov_b32_e32 v103, v109
	s_cbranch_execz .LBB112_309
	s_branch .LBB112_310
.LBB112_308:
                                        ; implicit-def: $vgpr102_vgpr103
.LBB112_309:
	ds_load_b64 v[102:103], v1
.LBB112_310:
	s_and_saveexec_b32 s24, s1
	s_cbranch_execz .LBB112_314
; %bb.311:
	v_subrev_nc_u32_e32 v104, 18, v0
	s_movk_i32 s25, 0x220
	s_mov_b32 s1, 0
.LBB112_312:                            ; =>This Inner Loop Header: Depth=1
	scratch_load_b64 v[106:107], off, s22
	v_dual_mov_b32 v105, s25 :: v_dual_add_nc_u32 v104, -1, v104
	s_add_co_i32 s25, s25, 8
	s_wait_xcnt 0x0
	s_add_co_i32 s22, s22, 8
	ds_load_b64 v[108:109], v105
	v_cmp_eq_u32_e32 vcc_lo, 0, v104
	s_or_b32 s1, vcc_lo, s1
	s_wait_loadcnt_dscnt 0x0
	v_pk_mul_f32 v[110:111], v[108:109], v[106:107] op_sel:[1,1] op_sel_hi:[0,1]
	s_delay_alu instid0(VALU_DEP_1) | instskip(SKIP_1) | instid1(VALU_DEP_2)
	v_pk_fma_f32 v[112:113], v[108:109], v[106:107], v[110:111] op_sel_hi:[1,0,1]
	v_pk_fma_f32 v[106:107], v[108:109], v[106:107], v[110:111] neg_lo:[0,0,1] neg_hi:[0,0,1]
	v_mov_b32_e32 v107, v113
	s_delay_alu instid0(VALU_DEP_1)
	v_pk_add_f32 v[102:103], v[102:103], v[106:107]
	s_and_not1_b32 exec_lo, exec_lo, s1
	s_cbranch_execnz .LBB112_312
; %bb.313:
	s_or_b32 exec_lo, exec_lo, s1
.LBB112_314:
	s_delay_alu instid0(SALU_CYCLE_1) | instskip(SKIP_4) | instid1(VALU_DEP_1)
	s_or_b32 exec_lo, exec_lo, s24
	v_mov_b32_e32 v104, 0
	ds_load_b64 v[104:105], v104 offset:136
	s_wait_dscnt 0x0
	v_pk_mul_f32 v[106:107], v[102:103], v[104:105] op_sel:[1,1] op_sel_hi:[0,1]
	v_pk_fma_f32 v[108:109], v[102:103], v[104:105], v[106:107] op_sel_hi:[1,0,1]
	v_pk_fma_f32 v[102:103], v[102:103], v[104:105], v[106:107] neg_lo:[0,0,1] neg_hi:[0,0,1]
	s_delay_alu instid0(VALU_DEP_2)
	v_mov_b32_e32 v103, v109
	scratch_store_b64 off, v[102:103], off offset:136
.LBB112_315:
	s_wait_xcnt 0x0
	s_or_b32 exec_lo, exec_lo, s23
	scratch_load_b64 v[102:103], off, off offset:128
	v_cmp_lt_u32_e64 s1, 16, v0
	s_wait_loadcnt 0x0
	ds_store_b64 v1, v[102:103]
	s_wait_storecnt_dscnt 0x0
	s_barrier_signal -1
	s_barrier_wait -1
	s_wait_xcnt 0x0
	s_and_saveexec_b32 s22, s1
	s_cbranch_execz .LBB112_325
; %bb.316:
	s_and_not1_b32 vcc_lo, exec_lo, s5
	s_cbranch_vccnz .LBB112_318
; %bb.317:
	scratch_load_b64 v[102:103], v59, off
	ds_load_b64 v[104:105], v1
	s_wait_loadcnt_dscnt 0x0
	v_pk_mul_f32 v[106:107], v[104:105], v[102:103] op_sel:[1,1] op_sel_hi:[0,1]
	s_delay_alu instid0(VALU_DEP_1) | instskip(SKIP_1) | instid1(VALU_DEP_2)
	v_pk_fma_f32 v[108:109], v[104:105], v[102:103], v[106:107] op_sel_hi:[1,0,1]
	v_pk_fma_f32 v[102:103], v[104:105], v[102:103], v[106:107] neg_lo:[0,0,1] neg_hi:[0,0,1]
	v_mov_b32_e32 v103, v109
	s_cbranch_execz .LBB112_319
	s_branch .LBB112_320
.LBB112_318:
                                        ; implicit-def: $vgpr102_vgpr103
.LBB112_319:
	ds_load_b64 v[102:103], v1
.LBB112_320:
	s_and_saveexec_b32 s23, s0
	s_cbranch_execz .LBB112_324
; %bb.321:
	v_subrev_nc_u32_e32 v104, 17, v0
	s_movk_i32 s24, 0x218
	s_mov_b32 s0, 0
.LBB112_322:                            ; =>This Inner Loop Header: Depth=1
	scratch_load_b64 v[106:107], off, s21
	v_dual_mov_b32 v105, s24 :: v_dual_add_nc_u32 v104, -1, v104
	s_add_co_i32 s24, s24, 8
	s_wait_xcnt 0x0
	s_add_co_i32 s21, s21, 8
	ds_load_b64 v[108:109], v105
	v_cmp_eq_u32_e32 vcc_lo, 0, v104
	s_or_b32 s0, vcc_lo, s0
	s_wait_loadcnt_dscnt 0x0
	v_pk_mul_f32 v[110:111], v[108:109], v[106:107] op_sel:[1,1] op_sel_hi:[0,1]
	s_delay_alu instid0(VALU_DEP_1) | instskip(SKIP_1) | instid1(VALU_DEP_2)
	v_pk_fma_f32 v[112:113], v[108:109], v[106:107], v[110:111] op_sel_hi:[1,0,1]
	v_pk_fma_f32 v[106:107], v[108:109], v[106:107], v[110:111] neg_lo:[0,0,1] neg_hi:[0,0,1]
	v_mov_b32_e32 v107, v113
	s_delay_alu instid0(VALU_DEP_1)
	v_pk_add_f32 v[102:103], v[102:103], v[106:107]
	s_and_not1_b32 exec_lo, exec_lo, s0
	s_cbranch_execnz .LBB112_322
; %bb.323:
	s_or_b32 exec_lo, exec_lo, s0
.LBB112_324:
	s_delay_alu instid0(SALU_CYCLE_1) | instskip(SKIP_4) | instid1(VALU_DEP_1)
	s_or_b32 exec_lo, exec_lo, s23
	v_mov_b32_e32 v104, 0
	ds_load_b64 v[104:105], v104 offset:128
	s_wait_dscnt 0x0
	v_pk_mul_f32 v[106:107], v[102:103], v[104:105] op_sel:[1,1] op_sel_hi:[0,1]
	v_pk_fma_f32 v[108:109], v[102:103], v[104:105], v[106:107] op_sel_hi:[1,0,1]
	v_pk_fma_f32 v[102:103], v[102:103], v[104:105], v[106:107] neg_lo:[0,0,1] neg_hi:[0,0,1]
	s_delay_alu instid0(VALU_DEP_2)
	v_mov_b32_e32 v103, v109
	scratch_store_b64 off, v[102:103], off offset:128
.LBB112_325:
	s_wait_xcnt 0x0
	s_or_b32 exec_lo, exec_lo, s22
	scratch_load_b64 v[102:103], off, off offset:120
	v_cmp_lt_u32_e64 s0, 15, v0
	s_wait_loadcnt 0x0
	ds_store_b64 v1, v[102:103]
	s_wait_storecnt_dscnt 0x0
	s_barrier_signal -1
	s_barrier_wait -1
	s_wait_xcnt 0x0
	s_and_saveexec_b32 s21, s0
	s_cbranch_execz .LBB112_335
; %bb.326:
	s_and_not1_b32 vcc_lo, exec_lo, s5
	s_cbranch_vccnz .LBB112_328
; %bb.327:
	scratch_load_b64 v[102:103], v59, off
	ds_load_b64 v[104:105], v1
	s_wait_loadcnt_dscnt 0x0
	v_pk_mul_f32 v[106:107], v[104:105], v[102:103] op_sel:[1,1] op_sel_hi:[0,1]
	s_delay_alu instid0(VALU_DEP_1) | instskip(SKIP_1) | instid1(VALU_DEP_2)
	v_pk_fma_f32 v[108:109], v[104:105], v[102:103], v[106:107] op_sel_hi:[1,0,1]
	v_pk_fma_f32 v[102:103], v[104:105], v[102:103], v[106:107] neg_lo:[0,0,1] neg_hi:[0,0,1]
	v_mov_b32_e32 v103, v109
	s_cbranch_execz .LBB112_329
	s_branch .LBB112_330
.LBB112_328:
                                        ; implicit-def: $vgpr102_vgpr103
.LBB112_329:
	ds_load_b64 v[102:103], v1
.LBB112_330:
	s_and_saveexec_b32 s22, s1
	s_cbranch_execz .LBB112_334
; %bb.331:
	v_add_nc_u32_e32 v104, -16, v0
	s_movk_i32 s23, 0x210
	s_mov_b32 s1, 0
.LBB112_332:                            ; =>This Inner Loop Header: Depth=1
	scratch_load_b64 v[106:107], off, s20
	v_dual_mov_b32 v105, s23 :: v_dual_add_nc_u32 v104, -1, v104
	s_add_co_i32 s23, s23, 8
	s_wait_xcnt 0x0
	s_add_co_i32 s20, s20, 8
	ds_load_b64 v[108:109], v105
	v_cmp_eq_u32_e32 vcc_lo, 0, v104
	s_or_b32 s1, vcc_lo, s1
	s_wait_loadcnt_dscnt 0x0
	v_pk_mul_f32 v[110:111], v[108:109], v[106:107] op_sel:[1,1] op_sel_hi:[0,1]
	s_delay_alu instid0(VALU_DEP_1) | instskip(SKIP_1) | instid1(VALU_DEP_2)
	v_pk_fma_f32 v[112:113], v[108:109], v[106:107], v[110:111] op_sel_hi:[1,0,1]
	v_pk_fma_f32 v[106:107], v[108:109], v[106:107], v[110:111] neg_lo:[0,0,1] neg_hi:[0,0,1]
	v_mov_b32_e32 v107, v113
	s_delay_alu instid0(VALU_DEP_1)
	v_pk_add_f32 v[102:103], v[102:103], v[106:107]
	s_and_not1_b32 exec_lo, exec_lo, s1
	s_cbranch_execnz .LBB112_332
; %bb.333:
	s_or_b32 exec_lo, exec_lo, s1
.LBB112_334:
	s_delay_alu instid0(SALU_CYCLE_1) | instskip(SKIP_4) | instid1(VALU_DEP_1)
	s_or_b32 exec_lo, exec_lo, s22
	v_mov_b32_e32 v104, 0
	ds_load_b64 v[104:105], v104 offset:120
	s_wait_dscnt 0x0
	v_pk_mul_f32 v[106:107], v[102:103], v[104:105] op_sel:[1,1] op_sel_hi:[0,1]
	v_pk_fma_f32 v[108:109], v[102:103], v[104:105], v[106:107] op_sel_hi:[1,0,1]
	v_pk_fma_f32 v[102:103], v[102:103], v[104:105], v[106:107] neg_lo:[0,0,1] neg_hi:[0,0,1]
	s_delay_alu instid0(VALU_DEP_2)
	v_mov_b32_e32 v103, v109
	scratch_store_b64 off, v[102:103], off offset:120
.LBB112_335:
	s_wait_xcnt 0x0
	s_or_b32 exec_lo, exec_lo, s21
	scratch_load_b64 v[102:103], off, off offset:112
	v_cmp_lt_u32_e64 s1, 14, v0
	s_wait_loadcnt 0x0
	ds_store_b64 v1, v[102:103]
	s_wait_storecnt_dscnt 0x0
	s_barrier_signal -1
	s_barrier_wait -1
	s_wait_xcnt 0x0
	s_and_saveexec_b32 s20, s1
	s_cbranch_execz .LBB112_345
; %bb.336:
	s_and_not1_b32 vcc_lo, exec_lo, s5
	s_cbranch_vccnz .LBB112_338
; %bb.337:
	scratch_load_b64 v[102:103], v59, off
	ds_load_b64 v[104:105], v1
	s_wait_loadcnt_dscnt 0x0
	v_pk_mul_f32 v[106:107], v[104:105], v[102:103] op_sel:[1,1] op_sel_hi:[0,1]
	s_delay_alu instid0(VALU_DEP_1) | instskip(SKIP_1) | instid1(VALU_DEP_2)
	v_pk_fma_f32 v[108:109], v[104:105], v[102:103], v[106:107] op_sel_hi:[1,0,1]
	v_pk_fma_f32 v[102:103], v[104:105], v[102:103], v[106:107] neg_lo:[0,0,1] neg_hi:[0,0,1]
	v_mov_b32_e32 v103, v109
	s_cbranch_execz .LBB112_339
	s_branch .LBB112_340
.LBB112_338:
                                        ; implicit-def: $vgpr102_vgpr103
.LBB112_339:
	ds_load_b64 v[102:103], v1
.LBB112_340:
	s_and_saveexec_b32 s21, s0
	s_cbranch_execz .LBB112_344
; %bb.341:
	v_add_nc_u32_e32 v104, -15, v0
	s_movk_i32 s22, 0x208
	s_mov_b32 s0, 0
.LBB112_342:                            ; =>This Inner Loop Header: Depth=1
	scratch_load_b64 v[106:107], off, s19
	v_dual_mov_b32 v105, s22 :: v_dual_add_nc_u32 v104, -1, v104
	s_add_co_i32 s22, s22, 8
	s_wait_xcnt 0x0
	s_add_co_i32 s19, s19, 8
	ds_load_b64 v[108:109], v105
	v_cmp_eq_u32_e32 vcc_lo, 0, v104
	s_or_b32 s0, vcc_lo, s0
	s_wait_loadcnt_dscnt 0x0
	v_pk_mul_f32 v[110:111], v[108:109], v[106:107] op_sel:[1,1] op_sel_hi:[0,1]
	s_delay_alu instid0(VALU_DEP_1) | instskip(SKIP_1) | instid1(VALU_DEP_2)
	v_pk_fma_f32 v[112:113], v[108:109], v[106:107], v[110:111] op_sel_hi:[1,0,1]
	v_pk_fma_f32 v[106:107], v[108:109], v[106:107], v[110:111] neg_lo:[0,0,1] neg_hi:[0,0,1]
	v_mov_b32_e32 v107, v113
	s_delay_alu instid0(VALU_DEP_1)
	v_pk_add_f32 v[102:103], v[102:103], v[106:107]
	s_and_not1_b32 exec_lo, exec_lo, s0
	s_cbranch_execnz .LBB112_342
; %bb.343:
	s_or_b32 exec_lo, exec_lo, s0
.LBB112_344:
	s_delay_alu instid0(SALU_CYCLE_1) | instskip(SKIP_4) | instid1(VALU_DEP_1)
	s_or_b32 exec_lo, exec_lo, s21
	v_mov_b32_e32 v104, 0
	ds_load_b64 v[104:105], v104 offset:112
	s_wait_dscnt 0x0
	v_pk_mul_f32 v[106:107], v[102:103], v[104:105] op_sel:[1,1] op_sel_hi:[0,1]
	v_pk_fma_f32 v[108:109], v[102:103], v[104:105], v[106:107] op_sel_hi:[1,0,1]
	v_pk_fma_f32 v[102:103], v[102:103], v[104:105], v[106:107] neg_lo:[0,0,1] neg_hi:[0,0,1]
	s_delay_alu instid0(VALU_DEP_2)
	v_mov_b32_e32 v103, v109
	scratch_store_b64 off, v[102:103], off offset:112
.LBB112_345:
	s_wait_xcnt 0x0
	s_or_b32 exec_lo, exec_lo, s20
	scratch_load_b64 v[102:103], off, off offset:104
	v_cmp_lt_u32_e64 s0, 13, v0
	s_wait_loadcnt 0x0
	ds_store_b64 v1, v[102:103]
	s_wait_storecnt_dscnt 0x0
	s_barrier_signal -1
	s_barrier_wait -1
	s_wait_xcnt 0x0
	s_and_saveexec_b32 s19, s0
	s_cbranch_execz .LBB112_355
; %bb.346:
	s_and_not1_b32 vcc_lo, exec_lo, s5
	s_cbranch_vccnz .LBB112_348
; %bb.347:
	scratch_load_b64 v[102:103], v59, off
	ds_load_b64 v[104:105], v1
	s_wait_loadcnt_dscnt 0x0
	v_pk_mul_f32 v[106:107], v[104:105], v[102:103] op_sel:[1,1] op_sel_hi:[0,1]
	s_delay_alu instid0(VALU_DEP_1) | instskip(SKIP_1) | instid1(VALU_DEP_2)
	v_pk_fma_f32 v[108:109], v[104:105], v[102:103], v[106:107] op_sel_hi:[1,0,1]
	v_pk_fma_f32 v[102:103], v[104:105], v[102:103], v[106:107] neg_lo:[0,0,1] neg_hi:[0,0,1]
	v_mov_b32_e32 v103, v109
	s_cbranch_execz .LBB112_349
	s_branch .LBB112_350
.LBB112_348:
                                        ; implicit-def: $vgpr102_vgpr103
.LBB112_349:
	ds_load_b64 v[102:103], v1
.LBB112_350:
	s_and_saveexec_b32 s20, s1
	s_cbranch_execz .LBB112_354
; %bb.351:
	v_add_nc_u32_e32 v104, -14, v0
	s_movk_i32 s21, 0x200
	s_mov_b32 s1, 0
.LBB112_352:                            ; =>This Inner Loop Header: Depth=1
	scratch_load_b64 v[106:107], off, s18
	v_dual_mov_b32 v105, s21 :: v_dual_add_nc_u32 v104, -1, v104
	s_add_co_i32 s21, s21, 8
	s_wait_xcnt 0x0
	s_add_co_i32 s18, s18, 8
	ds_load_b64 v[108:109], v105
	v_cmp_eq_u32_e32 vcc_lo, 0, v104
	s_or_b32 s1, vcc_lo, s1
	s_wait_loadcnt_dscnt 0x0
	v_pk_mul_f32 v[110:111], v[108:109], v[106:107] op_sel:[1,1] op_sel_hi:[0,1]
	s_delay_alu instid0(VALU_DEP_1) | instskip(SKIP_1) | instid1(VALU_DEP_2)
	v_pk_fma_f32 v[112:113], v[108:109], v[106:107], v[110:111] op_sel_hi:[1,0,1]
	v_pk_fma_f32 v[106:107], v[108:109], v[106:107], v[110:111] neg_lo:[0,0,1] neg_hi:[0,0,1]
	v_mov_b32_e32 v107, v113
	s_delay_alu instid0(VALU_DEP_1)
	v_pk_add_f32 v[102:103], v[102:103], v[106:107]
	s_and_not1_b32 exec_lo, exec_lo, s1
	s_cbranch_execnz .LBB112_352
; %bb.353:
	s_or_b32 exec_lo, exec_lo, s1
.LBB112_354:
	s_delay_alu instid0(SALU_CYCLE_1) | instskip(SKIP_4) | instid1(VALU_DEP_1)
	s_or_b32 exec_lo, exec_lo, s20
	v_mov_b32_e32 v104, 0
	ds_load_b64 v[104:105], v104 offset:104
	s_wait_dscnt 0x0
	v_pk_mul_f32 v[106:107], v[102:103], v[104:105] op_sel:[1,1] op_sel_hi:[0,1]
	v_pk_fma_f32 v[108:109], v[102:103], v[104:105], v[106:107] op_sel_hi:[1,0,1]
	v_pk_fma_f32 v[102:103], v[102:103], v[104:105], v[106:107] neg_lo:[0,0,1] neg_hi:[0,0,1]
	s_delay_alu instid0(VALU_DEP_2)
	v_mov_b32_e32 v103, v109
	scratch_store_b64 off, v[102:103], off offset:104
.LBB112_355:
	s_wait_xcnt 0x0
	s_or_b32 exec_lo, exec_lo, s19
	scratch_load_b64 v[102:103], off, off offset:96
	v_cmp_lt_u32_e64 s1, 12, v0
	s_wait_loadcnt 0x0
	ds_store_b64 v1, v[102:103]
	s_wait_storecnt_dscnt 0x0
	s_barrier_signal -1
	s_barrier_wait -1
	s_wait_xcnt 0x0
	s_and_saveexec_b32 s18, s1
	s_cbranch_execz .LBB112_365
; %bb.356:
	s_and_not1_b32 vcc_lo, exec_lo, s5
	s_cbranch_vccnz .LBB112_358
; %bb.357:
	scratch_load_b64 v[102:103], v59, off
	ds_load_b64 v[104:105], v1
	s_wait_loadcnt_dscnt 0x0
	v_pk_mul_f32 v[106:107], v[104:105], v[102:103] op_sel:[1,1] op_sel_hi:[0,1]
	s_delay_alu instid0(VALU_DEP_1) | instskip(SKIP_1) | instid1(VALU_DEP_2)
	v_pk_fma_f32 v[108:109], v[104:105], v[102:103], v[106:107] op_sel_hi:[1,0,1]
	v_pk_fma_f32 v[102:103], v[104:105], v[102:103], v[106:107] neg_lo:[0,0,1] neg_hi:[0,0,1]
	v_mov_b32_e32 v103, v109
	s_cbranch_execz .LBB112_359
	s_branch .LBB112_360
.LBB112_358:
                                        ; implicit-def: $vgpr102_vgpr103
.LBB112_359:
	ds_load_b64 v[102:103], v1
.LBB112_360:
	s_and_saveexec_b32 s19, s0
	s_cbranch_execz .LBB112_364
; %bb.361:
	v_add_nc_u32_e32 v104, -13, v0
	s_movk_i32 s20, 0x1f8
	s_mov_b32 s0, 0
.LBB112_362:                            ; =>This Inner Loop Header: Depth=1
	scratch_load_b64 v[106:107], off, s17
	v_dual_mov_b32 v105, s20 :: v_dual_add_nc_u32 v104, -1, v104
	s_add_co_i32 s20, s20, 8
	s_wait_xcnt 0x0
	s_add_co_i32 s17, s17, 8
	ds_load_b64 v[108:109], v105
	v_cmp_eq_u32_e32 vcc_lo, 0, v104
	s_or_b32 s0, vcc_lo, s0
	s_wait_loadcnt_dscnt 0x0
	v_pk_mul_f32 v[110:111], v[108:109], v[106:107] op_sel:[1,1] op_sel_hi:[0,1]
	s_delay_alu instid0(VALU_DEP_1) | instskip(SKIP_1) | instid1(VALU_DEP_2)
	v_pk_fma_f32 v[112:113], v[108:109], v[106:107], v[110:111] op_sel_hi:[1,0,1]
	v_pk_fma_f32 v[106:107], v[108:109], v[106:107], v[110:111] neg_lo:[0,0,1] neg_hi:[0,0,1]
	v_mov_b32_e32 v107, v113
	s_delay_alu instid0(VALU_DEP_1)
	v_pk_add_f32 v[102:103], v[102:103], v[106:107]
	s_and_not1_b32 exec_lo, exec_lo, s0
	s_cbranch_execnz .LBB112_362
; %bb.363:
	s_or_b32 exec_lo, exec_lo, s0
.LBB112_364:
	s_delay_alu instid0(SALU_CYCLE_1) | instskip(SKIP_4) | instid1(VALU_DEP_1)
	s_or_b32 exec_lo, exec_lo, s19
	v_mov_b32_e32 v104, 0
	ds_load_b64 v[104:105], v104 offset:96
	s_wait_dscnt 0x0
	v_pk_mul_f32 v[106:107], v[102:103], v[104:105] op_sel:[1,1] op_sel_hi:[0,1]
	v_pk_fma_f32 v[108:109], v[102:103], v[104:105], v[106:107] op_sel_hi:[1,0,1]
	v_pk_fma_f32 v[102:103], v[102:103], v[104:105], v[106:107] neg_lo:[0,0,1] neg_hi:[0,0,1]
	s_delay_alu instid0(VALU_DEP_2)
	v_mov_b32_e32 v103, v109
	scratch_store_b64 off, v[102:103], off offset:96
.LBB112_365:
	s_wait_xcnt 0x0
	s_or_b32 exec_lo, exec_lo, s18
	scratch_load_b64 v[102:103], off, off offset:88
	v_cmp_lt_u32_e64 s0, 11, v0
	s_wait_loadcnt 0x0
	ds_store_b64 v1, v[102:103]
	s_wait_storecnt_dscnt 0x0
	s_barrier_signal -1
	s_barrier_wait -1
	s_wait_xcnt 0x0
	s_and_saveexec_b32 s17, s0
	s_cbranch_execz .LBB112_375
; %bb.366:
	s_and_not1_b32 vcc_lo, exec_lo, s5
	s_cbranch_vccnz .LBB112_368
; %bb.367:
	scratch_load_b64 v[102:103], v59, off
	ds_load_b64 v[104:105], v1
	s_wait_loadcnt_dscnt 0x0
	v_pk_mul_f32 v[106:107], v[104:105], v[102:103] op_sel:[1,1] op_sel_hi:[0,1]
	s_delay_alu instid0(VALU_DEP_1) | instskip(SKIP_1) | instid1(VALU_DEP_2)
	v_pk_fma_f32 v[108:109], v[104:105], v[102:103], v[106:107] op_sel_hi:[1,0,1]
	v_pk_fma_f32 v[102:103], v[104:105], v[102:103], v[106:107] neg_lo:[0,0,1] neg_hi:[0,0,1]
	v_mov_b32_e32 v103, v109
	s_cbranch_execz .LBB112_369
	s_branch .LBB112_370
.LBB112_368:
                                        ; implicit-def: $vgpr102_vgpr103
.LBB112_369:
	ds_load_b64 v[102:103], v1
.LBB112_370:
	s_and_saveexec_b32 s18, s1
	s_cbranch_execz .LBB112_374
; %bb.371:
	v_add_nc_u32_e32 v104, -12, v0
	s_movk_i32 s19, 0x1f0
	s_mov_b32 s1, 0
.LBB112_372:                            ; =>This Inner Loop Header: Depth=1
	scratch_load_b64 v[106:107], off, s16
	v_dual_mov_b32 v105, s19 :: v_dual_add_nc_u32 v104, -1, v104
	s_add_co_i32 s19, s19, 8
	s_wait_xcnt 0x0
	s_add_co_i32 s16, s16, 8
	ds_load_b64 v[108:109], v105
	v_cmp_eq_u32_e32 vcc_lo, 0, v104
	s_or_b32 s1, vcc_lo, s1
	s_wait_loadcnt_dscnt 0x0
	v_pk_mul_f32 v[110:111], v[108:109], v[106:107] op_sel:[1,1] op_sel_hi:[0,1]
	s_delay_alu instid0(VALU_DEP_1) | instskip(SKIP_1) | instid1(VALU_DEP_2)
	v_pk_fma_f32 v[112:113], v[108:109], v[106:107], v[110:111] op_sel_hi:[1,0,1]
	v_pk_fma_f32 v[106:107], v[108:109], v[106:107], v[110:111] neg_lo:[0,0,1] neg_hi:[0,0,1]
	v_mov_b32_e32 v107, v113
	s_delay_alu instid0(VALU_DEP_1)
	v_pk_add_f32 v[102:103], v[102:103], v[106:107]
	s_and_not1_b32 exec_lo, exec_lo, s1
	s_cbranch_execnz .LBB112_372
; %bb.373:
	s_or_b32 exec_lo, exec_lo, s1
.LBB112_374:
	s_delay_alu instid0(SALU_CYCLE_1) | instskip(SKIP_4) | instid1(VALU_DEP_1)
	s_or_b32 exec_lo, exec_lo, s18
	v_mov_b32_e32 v104, 0
	ds_load_b64 v[104:105], v104 offset:88
	s_wait_dscnt 0x0
	v_pk_mul_f32 v[106:107], v[102:103], v[104:105] op_sel:[1,1] op_sel_hi:[0,1]
	v_pk_fma_f32 v[108:109], v[102:103], v[104:105], v[106:107] op_sel_hi:[1,0,1]
	v_pk_fma_f32 v[102:103], v[102:103], v[104:105], v[106:107] neg_lo:[0,0,1] neg_hi:[0,0,1]
	s_delay_alu instid0(VALU_DEP_2)
	v_mov_b32_e32 v103, v109
	scratch_store_b64 off, v[102:103], off offset:88
.LBB112_375:
	s_wait_xcnt 0x0
	s_or_b32 exec_lo, exec_lo, s17
	scratch_load_b64 v[102:103], off, off offset:80
	v_cmp_lt_u32_e64 s1, 10, v0
	s_wait_loadcnt 0x0
	ds_store_b64 v1, v[102:103]
	s_wait_storecnt_dscnt 0x0
	s_barrier_signal -1
	s_barrier_wait -1
	s_wait_xcnt 0x0
	s_and_saveexec_b32 s16, s1
	s_cbranch_execz .LBB112_385
; %bb.376:
	s_and_not1_b32 vcc_lo, exec_lo, s5
	s_cbranch_vccnz .LBB112_378
; %bb.377:
	scratch_load_b64 v[102:103], v59, off
	ds_load_b64 v[104:105], v1
	s_wait_loadcnt_dscnt 0x0
	v_pk_mul_f32 v[106:107], v[104:105], v[102:103] op_sel:[1,1] op_sel_hi:[0,1]
	s_delay_alu instid0(VALU_DEP_1) | instskip(SKIP_1) | instid1(VALU_DEP_2)
	v_pk_fma_f32 v[108:109], v[104:105], v[102:103], v[106:107] op_sel_hi:[1,0,1]
	v_pk_fma_f32 v[102:103], v[104:105], v[102:103], v[106:107] neg_lo:[0,0,1] neg_hi:[0,0,1]
	v_mov_b32_e32 v103, v109
	s_cbranch_execz .LBB112_379
	s_branch .LBB112_380
.LBB112_378:
                                        ; implicit-def: $vgpr102_vgpr103
.LBB112_379:
	ds_load_b64 v[102:103], v1
.LBB112_380:
	s_and_saveexec_b32 s17, s0
	s_cbranch_execz .LBB112_384
; %bb.381:
	v_add_nc_u32_e32 v104, -11, v0
	s_movk_i32 s18, 0x1e8
	s_mov_b32 s0, 0
.LBB112_382:                            ; =>This Inner Loop Header: Depth=1
	scratch_load_b64 v[106:107], off, s15
	v_dual_mov_b32 v105, s18 :: v_dual_add_nc_u32 v104, -1, v104
	s_add_co_i32 s18, s18, 8
	s_wait_xcnt 0x0
	s_add_co_i32 s15, s15, 8
	ds_load_b64 v[108:109], v105
	v_cmp_eq_u32_e32 vcc_lo, 0, v104
	s_or_b32 s0, vcc_lo, s0
	s_wait_loadcnt_dscnt 0x0
	v_pk_mul_f32 v[110:111], v[108:109], v[106:107] op_sel:[1,1] op_sel_hi:[0,1]
	s_delay_alu instid0(VALU_DEP_1) | instskip(SKIP_1) | instid1(VALU_DEP_2)
	v_pk_fma_f32 v[112:113], v[108:109], v[106:107], v[110:111] op_sel_hi:[1,0,1]
	v_pk_fma_f32 v[106:107], v[108:109], v[106:107], v[110:111] neg_lo:[0,0,1] neg_hi:[0,0,1]
	v_mov_b32_e32 v107, v113
	s_delay_alu instid0(VALU_DEP_1)
	v_pk_add_f32 v[102:103], v[102:103], v[106:107]
	s_and_not1_b32 exec_lo, exec_lo, s0
	s_cbranch_execnz .LBB112_382
; %bb.383:
	s_or_b32 exec_lo, exec_lo, s0
.LBB112_384:
	s_delay_alu instid0(SALU_CYCLE_1) | instskip(SKIP_4) | instid1(VALU_DEP_1)
	s_or_b32 exec_lo, exec_lo, s17
	v_mov_b32_e32 v104, 0
	ds_load_b64 v[104:105], v104 offset:80
	s_wait_dscnt 0x0
	v_pk_mul_f32 v[106:107], v[102:103], v[104:105] op_sel:[1,1] op_sel_hi:[0,1]
	v_pk_fma_f32 v[108:109], v[102:103], v[104:105], v[106:107] op_sel_hi:[1,0,1]
	v_pk_fma_f32 v[102:103], v[102:103], v[104:105], v[106:107] neg_lo:[0,0,1] neg_hi:[0,0,1]
	s_delay_alu instid0(VALU_DEP_2)
	v_mov_b32_e32 v103, v109
	scratch_store_b64 off, v[102:103], off offset:80
.LBB112_385:
	s_wait_xcnt 0x0
	s_or_b32 exec_lo, exec_lo, s16
	scratch_load_b64 v[102:103], off, off offset:72
	v_cmp_lt_u32_e64 s0, 9, v0
	s_wait_loadcnt 0x0
	ds_store_b64 v1, v[102:103]
	s_wait_storecnt_dscnt 0x0
	s_barrier_signal -1
	s_barrier_wait -1
	s_wait_xcnt 0x0
	s_and_saveexec_b32 s15, s0
	s_cbranch_execz .LBB112_395
; %bb.386:
	s_and_not1_b32 vcc_lo, exec_lo, s5
	s_cbranch_vccnz .LBB112_388
; %bb.387:
	scratch_load_b64 v[102:103], v59, off
	ds_load_b64 v[104:105], v1
	s_wait_loadcnt_dscnt 0x0
	v_pk_mul_f32 v[106:107], v[104:105], v[102:103] op_sel:[1,1] op_sel_hi:[0,1]
	s_delay_alu instid0(VALU_DEP_1) | instskip(SKIP_1) | instid1(VALU_DEP_2)
	v_pk_fma_f32 v[108:109], v[104:105], v[102:103], v[106:107] op_sel_hi:[1,0,1]
	v_pk_fma_f32 v[102:103], v[104:105], v[102:103], v[106:107] neg_lo:[0,0,1] neg_hi:[0,0,1]
	v_mov_b32_e32 v103, v109
	s_cbranch_execz .LBB112_389
	s_branch .LBB112_390
.LBB112_388:
                                        ; implicit-def: $vgpr102_vgpr103
.LBB112_389:
	ds_load_b64 v[102:103], v1
.LBB112_390:
	s_and_saveexec_b32 s16, s1
	s_cbranch_execz .LBB112_394
; %bb.391:
	v_add_nc_u32_e32 v104, -10, v0
	s_movk_i32 s17, 0x1e0
	s_mov_b32 s1, 0
.LBB112_392:                            ; =>This Inner Loop Header: Depth=1
	scratch_load_b64 v[106:107], off, s14
	v_dual_mov_b32 v105, s17 :: v_dual_add_nc_u32 v104, -1, v104
	s_add_co_i32 s17, s17, 8
	s_wait_xcnt 0x0
	s_add_co_i32 s14, s14, 8
	ds_load_b64 v[108:109], v105
	v_cmp_eq_u32_e32 vcc_lo, 0, v104
	s_or_b32 s1, vcc_lo, s1
	s_wait_loadcnt_dscnt 0x0
	v_pk_mul_f32 v[110:111], v[108:109], v[106:107] op_sel:[1,1] op_sel_hi:[0,1]
	s_delay_alu instid0(VALU_DEP_1) | instskip(SKIP_1) | instid1(VALU_DEP_2)
	v_pk_fma_f32 v[112:113], v[108:109], v[106:107], v[110:111] op_sel_hi:[1,0,1]
	v_pk_fma_f32 v[106:107], v[108:109], v[106:107], v[110:111] neg_lo:[0,0,1] neg_hi:[0,0,1]
	v_mov_b32_e32 v107, v113
	s_delay_alu instid0(VALU_DEP_1)
	v_pk_add_f32 v[102:103], v[102:103], v[106:107]
	s_and_not1_b32 exec_lo, exec_lo, s1
	s_cbranch_execnz .LBB112_392
; %bb.393:
	s_or_b32 exec_lo, exec_lo, s1
.LBB112_394:
	s_delay_alu instid0(SALU_CYCLE_1) | instskip(SKIP_4) | instid1(VALU_DEP_1)
	s_or_b32 exec_lo, exec_lo, s16
	v_mov_b32_e32 v104, 0
	ds_load_b64 v[104:105], v104 offset:72
	s_wait_dscnt 0x0
	v_pk_mul_f32 v[106:107], v[102:103], v[104:105] op_sel:[1,1] op_sel_hi:[0,1]
	v_pk_fma_f32 v[108:109], v[102:103], v[104:105], v[106:107] op_sel_hi:[1,0,1]
	v_pk_fma_f32 v[102:103], v[102:103], v[104:105], v[106:107] neg_lo:[0,0,1] neg_hi:[0,0,1]
	s_delay_alu instid0(VALU_DEP_2)
	v_mov_b32_e32 v103, v109
	scratch_store_b64 off, v[102:103], off offset:72
.LBB112_395:
	s_wait_xcnt 0x0
	s_or_b32 exec_lo, exec_lo, s15
	scratch_load_b64 v[102:103], off, off offset:64
	v_cmp_lt_u32_e64 s1, 8, v0
	s_wait_loadcnt 0x0
	ds_store_b64 v1, v[102:103]
	s_wait_storecnt_dscnt 0x0
	s_barrier_signal -1
	s_barrier_wait -1
	s_wait_xcnt 0x0
	s_and_saveexec_b32 s14, s1
	s_cbranch_execz .LBB112_405
; %bb.396:
	s_and_not1_b32 vcc_lo, exec_lo, s5
	s_cbranch_vccnz .LBB112_398
; %bb.397:
	scratch_load_b64 v[102:103], v59, off
	ds_load_b64 v[104:105], v1
	s_wait_loadcnt_dscnt 0x0
	v_pk_mul_f32 v[106:107], v[104:105], v[102:103] op_sel:[1,1] op_sel_hi:[0,1]
	s_delay_alu instid0(VALU_DEP_1) | instskip(SKIP_1) | instid1(VALU_DEP_2)
	v_pk_fma_f32 v[108:109], v[104:105], v[102:103], v[106:107] op_sel_hi:[1,0,1]
	v_pk_fma_f32 v[102:103], v[104:105], v[102:103], v[106:107] neg_lo:[0,0,1] neg_hi:[0,0,1]
	v_mov_b32_e32 v103, v109
	s_cbranch_execz .LBB112_399
	s_branch .LBB112_400
.LBB112_398:
                                        ; implicit-def: $vgpr102_vgpr103
.LBB112_399:
	ds_load_b64 v[102:103], v1
.LBB112_400:
	s_and_saveexec_b32 s15, s0
	s_cbranch_execz .LBB112_404
; %bb.401:
	v_add_nc_u32_e32 v104, -9, v0
	s_movk_i32 s16, 0x1d8
	s_mov_b32 s0, 0
.LBB112_402:                            ; =>This Inner Loop Header: Depth=1
	scratch_load_b64 v[106:107], off, s13
	v_dual_mov_b32 v105, s16 :: v_dual_add_nc_u32 v104, -1, v104
	s_add_co_i32 s16, s16, 8
	s_wait_xcnt 0x0
	s_add_co_i32 s13, s13, 8
	ds_load_b64 v[108:109], v105
	v_cmp_eq_u32_e32 vcc_lo, 0, v104
	s_or_b32 s0, vcc_lo, s0
	s_wait_loadcnt_dscnt 0x0
	v_pk_mul_f32 v[110:111], v[108:109], v[106:107] op_sel:[1,1] op_sel_hi:[0,1]
	s_delay_alu instid0(VALU_DEP_1) | instskip(SKIP_1) | instid1(VALU_DEP_2)
	v_pk_fma_f32 v[112:113], v[108:109], v[106:107], v[110:111] op_sel_hi:[1,0,1]
	v_pk_fma_f32 v[106:107], v[108:109], v[106:107], v[110:111] neg_lo:[0,0,1] neg_hi:[0,0,1]
	v_mov_b32_e32 v107, v113
	s_delay_alu instid0(VALU_DEP_1)
	v_pk_add_f32 v[102:103], v[102:103], v[106:107]
	s_and_not1_b32 exec_lo, exec_lo, s0
	s_cbranch_execnz .LBB112_402
; %bb.403:
	s_or_b32 exec_lo, exec_lo, s0
.LBB112_404:
	s_delay_alu instid0(SALU_CYCLE_1) | instskip(SKIP_4) | instid1(VALU_DEP_1)
	s_or_b32 exec_lo, exec_lo, s15
	v_mov_b32_e32 v104, 0
	ds_load_b64 v[104:105], v104 offset:64
	s_wait_dscnt 0x0
	v_pk_mul_f32 v[106:107], v[102:103], v[104:105] op_sel:[1,1] op_sel_hi:[0,1]
	v_pk_fma_f32 v[108:109], v[102:103], v[104:105], v[106:107] op_sel_hi:[1,0,1]
	v_pk_fma_f32 v[102:103], v[102:103], v[104:105], v[106:107] neg_lo:[0,0,1] neg_hi:[0,0,1]
	s_delay_alu instid0(VALU_DEP_2)
	v_mov_b32_e32 v103, v109
	scratch_store_b64 off, v[102:103], off offset:64
.LBB112_405:
	s_wait_xcnt 0x0
	s_or_b32 exec_lo, exec_lo, s14
	scratch_load_b64 v[102:103], off, off offset:56
	v_cmp_lt_u32_e64 s0, 7, v0
	s_wait_loadcnt 0x0
	ds_store_b64 v1, v[102:103]
	s_wait_storecnt_dscnt 0x0
	s_barrier_signal -1
	s_barrier_wait -1
	s_wait_xcnt 0x0
	s_and_saveexec_b32 s13, s0
	s_cbranch_execz .LBB112_415
; %bb.406:
	s_and_not1_b32 vcc_lo, exec_lo, s5
	s_cbranch_vccnz .LBB112_408
; %bb.407:
	scratch_load_b64 v[102:103], v59, off
	ds_load_b64 v[104:105], v1
	s_wait_loadcnt_dscnt 0x0
	v_pk_mul_f32 v[106:107], v[104:105], v[102:103] op_sel:[1,1] op_sel_hi:[0,1]
	s_delay_alu instid0(VALU_DEP_1) | instskip(SKIP_1) | instid1(VALU_DEP_2)
	v_pk_fma_f32 v[108:109], v[104:105], v[102:103], v[106:107] op_sel_hi:[1,0,1]
	v_pk_fma_f32 v[102:103], v[104:105], v[102:103], v[106:107] neg_lo:[0,0,1] neg_hi:[0,0,1]
	v_mov_b32_e32 v103, v109
	s_cbranch_execz .LBB112_409
	s_branch .LBB112_410
.LBB112_408:
                                        ; implicit-def: $vgpr102_vgpr103
.LBB112_409:
	ds_load_b64 v[102:103], v1
.LBB112_410:
	s_and_saveexec_b32 s14, s1
	s_cbranch_execz .LBB112_414
; %bb.411:
	v_add_nc_u32_e32 v104, -8, v0
	s_movk_i32 s15, 0x1d0
	s_mov_b32 s1, 0
.LBB112_412:                            ; =>This Inner Loop Header: Depth=1
	scratch_load_b64 v[106:107], off, s12
	v_dual_mov_b32 v105, s15 :: v_dual_add_nc_u32 v104, -1, v104
	s_add_co_i32 s15, s15, 8
	s_wait_xcnt 0x0
	s_add_co_i32 s12, s12, 8
	ds_load_b64 v[108:109], v105
	v_cmp_eq_u32_e32 vcc_lo, 0, v104
	s_or_b32 s1, vcc_lo, s1
	s_wait_loadcnt_dscnt 0x0
	v_pk_mul_f32 v[110:111], v[108:109], v[106:107] op_sel:[1,1] op_sel_hi:[0,1]
	s_delay_alu instid0(VALU_DEP_1) | instskip(SKIP_1) | instid1(VALU_DEP_2)
	v_pk_fma_f32 v[112:113], v[108:109], v[106:107], v[110:111] op_sel_hi:[1,0,1]
	v_pk_fma_f32 v[106:107], v[108:109], v[106:107], v[110:111] neg_lo:[0,0,1] neg_hi:[0,0,1]
	v_mov_b32_e32 v107, v113
	s_delay_alu instid0(VALU_DEP_1)
	v_pk_add_f32 v[102:103], v[102:103], v[106:107]
	s_and_not1_b32 exec_lo, exec_lo, s1
	s_cbranch_execnz .LBB112_412
; %bb.413:
	s_or_b32 exec_lo, exec_lo, s1
.LBB112_414:
	s_delay_alu instid0(SALU_CYCLE_1) | instskip(SKIP_4) | instid1(VALU_DEP_1)
	s_or_b32 exec_lo, exec_lo, s14
	v_mov_b32_e32 v104, 0
	ds_load_b64 v[104:105], v104 offset:56
	s_wait_dscnt 0x0
	v_pk_mul_f32 v[106:107], v[102:103], v[104:105] op_sel:[1,1] op_sel_hi:[0,1]
	v_pk_fma_f32 v[108:109], v[102:103], v[104:105], v[106:107] op_sel_hi:[1,0,1]
	v_pk_fma_f32 v[102:103], v[102:103], v[104:105], v[106:107] neg_lo:[0,0,1] neg_hi:[0,0,1]
	s_delay_alu instid0(VALU_DEP_2)
	v_mov_b32_e32 v103, v109
	scratch_store_b64 off, v[102:103], off offset:56
.LBB112_415:
	s_wait_xcnt 0x0
	s_or_b32 exec_lo, exec_lo, s13
	scratch_load_b64 v[102:103], off, off offset:48
	v_cmp_lt_u32_e64 s1, 6, v0
	s_wait_loadcnt 0x0
	ds_store_b64 v1, v[102:103]
	s_wait_storecnt_dscnt 0x0
	s_barrier_signal -1
	s_barrier_wait -1
	s_wait_xcnt 0x0
	s_and_saveexec_b32 s12, s1
	s_cbranch_execz .LBB112_425
; %bb.416:
	s_and_not1_b32 vcc_lo, exec_lo, s5
	s_cbranch_vccnz .LBB112_418
; %bb.417:
	scratch_load_b64 v[102:103], v59, off
	ds_load_b64 v[104:105], v1
	s_wait_loadcnt_dscnt 0x0
	v_pk_mul_f32 v[106:107], v[104:105], v[102:103] op_sel:[1,1] op_sel_hi:[0,1]
	s_delay_alu instid0(VALU_DEP_1) | instskip(SKIP_1) | instid1(VALU_DEP_2)
	v_pk_fma_f32 v[108:109], v[104:105], v[102:103], v[106:107] op_sel_hi:[1,0,1]
	v_pk_fma_f32 v[102:103], v[104:105], v[102:103], v[106:107] neg_lo:[0,0,1] neg_hi:[0,0,1]
	v_mov_b32_e32 v103, v109
	s_cbranch_execz .LBB112_419
	s_branch .LBB112_420
.LBB112_418:
                                        ; implicit-def: $vgpr102_vgpr103
.LBB112_419:
	ds_load_b64 v[102:103], v1
.LBB112_420:
	s_and_saveexec_b32 s13, s0
	s_cbranch_execz .LBB112_424
; %bb.421:
	v_add_nc_u32_e32 v104, -7, v0
	s_movk_i32 s14, 0x1c8
	s_mov_b32 s0, 0
.LBB112_422:                            ; =>This Inner Loop Header: Depth=1
	scratch_load_b64 v[106:107], off, s11
	v_dual_mov_b32 v105, s14 :: v_dual_add_nc_u32 v104, -1, v104
	s_add_co_i32 s14, s14, 8
	s_wait_xcnt 0x0
	s_add_co_i32 s11, s11, 8
	ds_load_b64 v[108:109], v105
	v_cmp_eq_u32_e32 vcc_lo, 0, v104
	s_or_b32 s0, vcc_lo, s0
	s_wait_loadcnt_dscnt 0x0
	v_pk_mul_f32 v[110:111], v[108:109], v[106:107] op_sel:[1,1] op_sel_hi:[0,1]
	s_delay_alu instid0(VALU_DEP_1) | instskip(SKIP_1) | instid1(VALU_DEP_2)
	v_pk_fma_f32 v[112:113], v[108:109], v[106:107], v[110:111] op_sel_hi:[1,0,1]
	v_pk_fma_f32 v[106:107], v[108:109], v[106:107], v[110:111] neg_lo:[0,0,1] neg_hi:[0,0,1]
	v_mov_b32_e32 v107, v113
	s_delay_alu instid0(VALU_DEP_1)
	v_pk_add_f32 v[102:103], v[102:103], v[106:107]
	s_and_not1_b32 exec_lo, exec_lo, s0
	s_cbranch_execnz .LBB112_422
; %bb.423:
	s_or_b32 exec_lo, exec_lo, s0
.LBB112_424:
	s_delay_alu instid0(SALU_CYCLE_1) | instskip(SKIP_4) | instid1(VALU_DEP_1)
	s_or_b32 exec_lo, exec_lo, s13
	v_mov_b32_e32 v104, 0
	ds_load_b64 v[104:105], v104 offset:48
	s_wait_dscnt 0x0
	v_pk_mul_f32 v[106:107], v[102:103], v[104:105] op_sel:[1,1] op_sel_hi:[0,1]
	v_pk_fma_f32 v[108:109], v[102:103], v[104:105], v[106:107] op_sel_hi:[1,0,1]
	v_pk_fma_f32 v[102:103], v[102:103], v[104:105], v[106:107] neg_lo:[0,0,1] neg_hi:[0,0,1]
	s_delay_alu instid0(VALU_DEP_2)
	v_mov_b32_e32 v103, v109
	scratch_store_b64 off, v[102:103], off offset:48
.LBB112_425:
	s_wait_xcnt 0x0
	s_or_b32 exec_lo, exec_lo, s12
	scratch_load_b64 v[102:103], off, off offset:40
	v_cmp_lt_u32_e64 s0, 5, v0
	s_wait_loadcnt 0x0
	ds_store_b64 v1, v[102:103]
	s_wait_storecnt_dscnt 0x0
	s_barrier_signal -1
	s_barrier_wait -1
	s_wait_xcnt 0x0
	s_and_saveexec_b32 s11, s0
	s_cbranch_execz .LBB112_435
; %bb.426:
	s_and_not1_b32 vcc_lo, exec_lo, s5
	s_cbranch_vccnz .LBB112_428
; %bb.427:
	scratch_load_b64 v[102:103], v59, off
	ds_load_b64 v[104:105], v1
	s_wait_loadcnt_dscnt 0x0
	v_pk_mul_f32 v[106:107], v[104:105], v[102:103] op_sel:[1,1] op_sel_hi:[0,1]
	s_delay_alu instid0(VALU_DEP_1) | instskip(SKIP_1) | instid1(VALU_DEP_2)
	v_pk_fma_f32 v[108:109], v[104:105], v[102:103], v[106:107] op_sel_hi:[1,0,1]
	v_pk_fma_f32 v[102:103], v[104:105], v[102:103], v[106:107] neg_lo:[0,0,1] neg_hi:[0,0,1]
	v_mov_b32_e32 v103, v109
	s_cbranch_execz .LBB112_429
	s_branch .LBB112_430
.LBB112_428:
                                        ; implicit-def: $vgpr102_vgpr103
.LBB112_429:
	ds_load_b64 v[102:103], v1
.LBB112_430:
	s_and_saveexec_b32 s12, s1
	s_cbranch_execz .LBB112_434
; %bb.431:
	v_add_nc_u32_e32 v104, -6, v0
	s_movk_i32 s13, 0x1c0
	s_mov_b32 s1, 0
.LBB112_432:                            ; =>This Inner Loop Header: Depth=1
	scratch_load_b64 v[106:107], off, s10
	v_dual_mov_b32 v105, s13 :: v_dual_add_nc_u32 v104, -1, v104
	s_add_co_i32 s13, s13, 8
	s_wait_xcnt 0x0
	s_add_co_i32 s10, s10, 8
	ds_load_b64 v[108:109], v105
	v_cmp_eq_u32_e32 vcc_lo, 0, v104
	s_or_b32 s1, vcc_lo, s1
	s_wait_loadcnt_dscnt 0x0
	v_pk_mul_f32 v[110:111], v[108:109], v[106:107] op_sel:[1,1] op_sel_hi:[0,1]
	s_delay_alu instid0(VALU_DEP_1) | instskip(SKIP_1) | instid1(VALU_DEP_2)
	v_pk_fma_f32 v[112:113], v[108:109], v[106:107], v[110:111] op_sel_hi:[1,0,1]
	v_pk_fma_f32 v[106:107], v[108:109], v[106:107], v[110:111] neg_lo:[0,0,1] neg_hi:[0,0,1]
	v_mov_b32_e32 v107, v113
	s_delay_alu instid0(VALU_DEP_1)
	v_pk_add_f32 v[102:103], v[102:103], v[106:107]
	s_and_not1_b32 exec_lo, exec_lo, s1
	s_cbranch_execnz .LBB112_432
; %bb.433:
	s_or_b32 exec_lo, exec_lo, s1
.LBB112_434:
	s_delay_alu instid0(SALU_CYCLE_1) | instskip(SKIP_4) | instid1(VALU_DEP_1)
	s_or_b32 exec_lo, exec_lo, s12
	v_mov_b32_e32 v104, 0
	ds_load_b64 v[104:105], v104 offset:40
	s_wait_dscnt 0x0
	v_pk_mul_f32 v[106:107], v[102:103], v[104:105] op_sel:[1,1] op_sel_hi:[0,1]
	v_pk_fma_f32 v[108:109], v[102:103], v[104:105], v[106:107] op_sel_hi:[1,0,1]
	v_pk_fma_f32 v[102:103], v[102:103], v[104:105], v[106:107] neg_lo:[0,0,1] neg_hi:[0,0,1]
	s_delay_alu instid0(VALU_DEP_2)
	v_mov_b32_e32 v103, v109
	scratch_store_b64 off, v[102:103], off offset:40
.LBB112_435:
	s_wait_xcnt 0x0
	s_or_b32 exec_lo, exec_lo, s11
	scratch_load_b64 v[102:103], off, off offset:32
	v_cmp_lt_u32_e64 s1, 4, v0
	s_wait_loadcnt 0x0
	ds_store_b64 v1, v[102:103]
	s_wait_storecnt_dscnt 0x0
	s_barrier_signal -1
	s_barrier_wait -1
	s_wait_xcnt 0x0
	s_and_saveexec_b32 s10, s1
	s_cbranch_execz .LBB112_445
; %bb.436:
	s_and_not1_b32 vcc_lo, exec_lo, s5
	s_cbranch_vccnz .LBB112_438
; %bb.437:
	scratch_load_b64 v[102:103], v59, off
	ds_load_b64 v[104:105], v1
	s_wait_loadcnt_dscnt 0x0
	v_pk_mul_f32 v[106:107], v[104:105], v[102:103] op_sel:[1,1] op_sel_hi:[0,1]
	s_delay_alu instid0(VALU_DEP_1) | instskip(SKIP_1) | instid1(VALU_DEP_2)
	v_pk_fma_f32 v[108:109], v[104:105], v[102:103], v[106:107] op_sel_hi:[1,0,1]
	v_pk_fma_f32 v[102:103], v[104:105], v[102:103], v[106:107] neg_lo:[0,0,1] neg_hi:[0,0,1]
	v_mov_b32_e32 v103, v109
	s_cbranch_execz .LBB112_439
	s_branch .LBB112_440
.LBB112_438:
                                        ; implicit-def: $vgpr102_vgpr103
.LBB112_439:
	ds_load_b64 v[102:103], v1
.LBB112_440:
	s_and_saveexec_b32 s11, s0
	s_cbranch_execz .LBB112_444
; %bb.441:
	v_add_nc_u32_e32 v104, -5, v0
	s_movk_i32 s12, 0x1b8
	s_mov_b32 s0, 0
.LBB112_442:                            ; =>This Inner Loop Header: Depth=1
	scratch_load_b64 v[106:107], off, s9
	v_dual_mov_b32 v105, s12 :: v_dual_add_nc_u32 v104, -1, v104
	s_add_co_i32 s12, s12, 8
	s_wait_xcnt 0x0
	s_add_co_i32 s9, s9, 8
	ds_load_b64 v[108:109], v105
	v_cmp_eq_u32_e32 vcc_lo, 0, v104
	s_or_b32 s0, vcc_lo, s0
	s_wait_loadcnt_dscnt 0x0
	v_pk_mul_f32 v[110:111], v[108:109], v[106:107] op_sel:[1,1] op_sel_hi:[0,1]
	s_delay_alu instid0(VALU_DEP_1) | instskip(SKIP_1) | instid1(VALU_DEP_2)
	v_pk_fma_f32 v[112:113], v[108:109], v[106:107], v[110:111] op_sel_hi:[1,0,1]
	v_pk_fma_f32 v[106:107], v[108:109], v[106:107], v[110:111] neg_lo:[0,0,1] neg_hi:[0,0,1]
	v_mov_b32_e32 v107, v113
	s_delay_alu instid0(VALU_DEP_1)
	v_pk_add_f32 v[102:103], v[102:103], v[106:107]
	s_and_not1_b32 exec_lo, exec_lo, s0
	s_cbranch_execnz .LBB112_442
; %bb.443:
	s_or_b32 exec_lo, exec_lo, s0
.LBB112_444:
	s_delay_alu instid0(SALU_CYCLE_1) | instskip(SKIP_4) | instid1(VALU_DEP_1)
	s_or_b32 exec_lo, exec_lo, s11
	v_mov_b32_e32 v104, 0
	ds_load_b64 v[104:105], v104 offset:32
	s_wait_dscnt 0x0
	v_pk_mul_f32 v[106:107], v[102:103], v[104:105] op_sel:[1,1] op_sel_hi:[0,1]
	v_pk_fma_f32 v[108:109], v[102:103], v[104:105], v[106:107] op_sel_hi:[1,0,1]
	v_pk_fma_f32 v[102:103], v[102:103], v[104:105], v[106:107] neg_lo:[0,0,1] neg_hi:[0,0,1]
	s_delay_alu instid0(VALU_DEP_2)
	v_mov_b32_e32 v103, v109
	scratch_store_b64 off, v[102:103], off offset:32
.LBB112_445:
	s_wait_xcnt 0x0
	s_or_b32 exec_lo, exec_lo, s10
	scratch_load_b64 v[102:103], off, off offset:24
	v_cmp_lt_u32_e64 s0, 3, v0
	s_wait_loadcnt 0x0
	ds_store_b64 v1, v[102:103]
	s_wait_storecnt_dscnt 0x0
	s_barrier_signal -1
	s_barrier_wait -1
	s_wait_xcnt 0x0
	s_and_saveexec_b32 s9, s0
	s_cbranch_execz .LBB112_455
; %bb.446:
	s_and_not1_b32 vcc_lo, exec_lo, s5
	s_cbranch_vccnz .LBB112_448
; %bb.447:
	scratch_load_b64 v[102:103], v59, off
	ds_load_b64 v[104:105], v1
	s_wait_loadcnt_dscnt 0x0
	v_pk_mul_f32 v[106:107], v[104:105], v[102:103] op_sel:[1,1] op_sel_hi:[0,1]
	s_delay_alu instid0(VALU_DEP_1) | instskip(SKIP_1) | instid1(VALU_DEP_2)
	v_pk_fma_f32 v[108:109], v[104:105], v[102:103], v[106:107] op_sel_hi:[1,0,1]
	v_pk_fma_f32 v[102:103], v[104:105], v[102:103], v[106:107] neg_lo:[0,0,1] neg_hi:[0,0,1]
	v_mov_b32_e32 v103, v109
	s_cbranch_execz .LBB112_449
	s_branch .LBB112_450
.LBB112_448:
                                        ; implicit-def: $vgpr102_vgpr103
.LBB112_449:
	ds_load_b64 v[102:103], v1
.LBB112_450:
	s_and_saveexec_b32 s10, s1
	s_cbranch_execz .LBB112_454
; %bb.451:
	v_add_nc_u32_e32 v104, -4, v0
	s_movk_i32 s11, 0x1b0
	s_mov_b32 s1, 0
.LBB112_452:                            ; =>This Inner Loop Header: Depth=1
	scratch_load_b64 v[106:107], off, s8
	v_dual_mov_b32 v105, s11 :: v_dual_add_nc_u32 v104, -1, v104
	s_add_co_i32 s11, s11, 8
	s_wait_xcnt 0x0
	s_add_co_i32 s8, s8, 8
	ds_load_b64 v[108:109], v105
	v_cmp_eq_u32_e32 vcc_lo, 0, v104
	s_or_b32 s1, vcc_lo, s1
	s_wait_loadcnt_dscnt 0x0
	v_pk_mul_f32 v[110:111], v[108:109], v[106:107] op_sel:[1,1] op_sel_hi:[0,1]
	s_delay_alu instid0(VALU_DEP_1) | instskip(SKIP_1) | instid1(VALU_DEP_2)
	v_pk_fma_f32 v[112:113], v[108:109], v[106:107], v[110:111] op_sel_hi:[1,0,1]
	v_pk_fma_f32 v[106:107], v[108:109], v[106:107], v[110:111] neg_lo:[0,0,1] neg_hi:[0,0,1]
	v_mov_b32_e32 v107, v113
	s_delay_alu instid0(VALU_DEP_1)
	v_pk_add_f32 v[102:103], v[102:103], v[106:107]
	s_and_not1_b32 exec_lo, exec_lo, s1
	s_cbranch_execnz .LBB112_452
; %bb.453:
	s_or_b32 exec_lo, exec_lo, s1
.LBB112_454:
	s_delay_alu instid0(SALU_CYCLE_1) | instskip(SKIP_4) | instid1(VALU_DEP_1)
	s_or_b32 exec_lo, exec_lo, s10
	v_mov_b32_e32 v104, 0
	ds_load_b64 v[104:105], v104 offset:24
	s_wait_dscnt 0x0
	v_pk_mul_f32 v[106:107], v[102:103], v[104:105] op_sel:[1,1] op_sel_hi:[0,1]
	v_pk_fma_f32 v[108:109], v[102:103], v[104:105], v[106:107] op_sel_hi:[1,0,1]
	v_pk_fma_f32 v[102:103], v[102:103], v[104:105], v[106:107] neg_lo:[0,0,1] neg_hi:[0,0,1]
	s_delay_alu instid0(VALU_DEP_2)
	v_mov_b32_e32 v103, v109
	scratch_store_b64 off, v[102:103], off offset:24
.LBB112_455:
	s_wait_xcnt 0x0
	s_or_b32 exec_lo, exec_lo, s9
	scratch_load_b64 v[102:103], off, off offset:16
	v_cmp_lt_u32_e64 s1, 2, v0
	s_wait_loadcnt 0x0
	ds_store_b64 v1, v[102:103]
	s_wait_storecnt_dscnt 0x0
	s_barrier_signal -1
	s_barrier_wait -1
	s_wait_xcnt 0x0
	s_and_saveexec_b32 s8, s1
	s_cbranch_execz .LBB112_465
; %bb.456:
	s_and_not1_b32 vcc_lo, exec_lo, s5
	s_cbranch_vccnz .LBB112_458
; %bb.457:
	scratch_load_b64 v[102:103], v59, off
	ds_load_b64 v[104:105], v1
	s_wait_loadcnt_dscnt 0x0
	v_pk_mul_f32 v[106:107], v[104:105], v[102:103] op_sel:[1,1] op_sel_hi:[0,1]
	s_delay_alu instid0(VALU_DEP_1) | instskip(SKIP_1) | instid1(VALU_DEP_2)
	v_pk_fma_f32 v[108:109], v[104:105], v[102:103], v[106:107] op_sel_hi:[1,0,1]
	v_pk_fma_f32 v[102:103], v[104:105], v[102:103], v[106:107] neg_lo:[0,0,1] neg_hi:[0,0,1]
	v_mov_b32_e32 v103, v109
	s_cbranch_execz .LBB112_459
	s_branch .LBB112_460
.LBB112_458:
                                        ; implicit-def: $vgpr102_vgpr103
.LBB112_459:
	ds_load_b64 v[102:103], v1
.LBB112_460:
	s_and_saveexec_b32 s9, s0
	s_cbranch_execz .LBB112_464
; %bb.461:
	v_add_nc_u32_e32 v104, -3, v0
	s_movk_i32 s10, 0x1a8
	s_mov_b32 s0, 0
.LBB112_462:                            ; =>This Inner Loop Header: Depth=1
	scratch_load_b64 v[106:107], off, s7
	v_dual_mov_b32 v105, s10 :: v_dual_add_nc_u32 v104, -1, v104
	s_add_co_i32 s10, s10, 8
	s_wait_xcnt 0x0
	s_add_co_i32 s7, s7, 8
	ds_load_b64 v[108:109], v105
	v_cmp_eq_u32_e32 vcc_lo, 0, v104
	s_or_b32 s0, vcc_lo, s0
	s_wait_loadcnt_dscnt 0x0
	v_pk_mul_f32 v[110:111], v[108:109], v[106:107] op_sel:[1,1] op_sel_hi:[0,1]
	s_delay_alu instid0(VALU_DEP_1) | instskip(SKIP_1) | instid1(VALU_DEP_2)
	v_pk_fma_f32 v[112:113], v[108:109], v[106:107], v[110:111] op_sel_hi:[1,0,1]
	v_pk_fma_f32 v[106:107], v[108:109], v[106:107], v[110:111] neg_lo:[0,0,1] neg_hi:[0,0,1]
	v_mov_b32_e32 v107, v113
	s_delay_alu instid0(VALU_DEP_1)
	v_pk_add_f32 v[102:103], v[102:103], v[106:107]
	s_and_not1_b32 exec_lo, exec_lo, s0
	s_cbranch_execnz .LBB112_462
; %bb.463:
	s_or_b32 exec_lo, exec_lo, s0
.LBB112_464:
	s_delay_alu instid0(SALU_CYCLE_1) | instskip(SKIP_4) | instid1(VALU_DEP_1)
	s_or_b32 exec_lo, exec_lo, s9
	v_mov_b32_e32 v104, 0
	ds_load_b64 v[104:105], v104 offset:16
	s_wait_dscnt 0x0
	v_pk_mul_f32 v[106:107], v[102:103], v[104:105] op_sel:[1,1] op_sel_hi:[0,1]
	v_pk_fma_f32 v[108:109], v[102:103], v[104:105], v[106:107] op_sel_hi:[1,0,1]
	v_pk_fma_f32 v[102:103], v[102:103], v[104:105], v[106:107] neg_lo:[0,0,1] neg_hi:[0,0,1]
	s_delay_alu instid0(VALU_DEP_2)
	v_mov_b32_e32 v103, v109
	scratch_store_b64 off, v[102:103], off offset:16
.LBB112_465:
	s_wait_xcnt 0x0
	s_or_b32 exec_lo, exec_lo, s8
	scratch_load_b64 v[102:103], off, off offset:8
	v_cmp_lt_u32_e64 s0, 1, v0
	s_wait_loadcnt 0x0
	ds_store_b64 v1, v[102:103]
	s_wait_storecnt_dscnt 0x0
	s_barrier_signal -1
	s_barrier_wait -1
	s_wait_xcnt 0x0
	s_and_saveexec_b32 s7, s0
	s_cbranch_execz .LBB112_475
; %bb.466:
	s_and_not1_b32 vcc_lo, exec_lo, s5
	s_cbranch_vccnz .LBB112_468
; %bb.467:
	scratch_load_b64 v[102:103], v59, off
	ds_load_b64 v[104:105], v1
	s_wait_loadcnt_dscnt 0x0
	v_pk_mul_f32 v[106:107], v[104:105], v[102:103] op_sel:[1,1] op_sel_hi:[0,1]
	s_delay_alu instid0(VALU_DEP_1) | instskip(SKIP_1) | instid1(VALU_DEP_2)
	v_pk_fma_f32 v[108:109], v[104:105], v[102:103], v[106:107] op_sel_hi:[1,0,1]
	v_pk_fma_f32 v[102:103], v[104:105], v[102:103], v[106:107] neg_lo:[0,0,1] neg_hi:[0,0,1]
	v_mov_b32_e32 v103, v109
	s_cbranch_execz .LBB112_469
	s_branch .LBB112_470
.LBB112_468:
                                        ; implicit-def: $vgpr102_vgpr103
.LBB112_469:
	ds_load_b64 v[102:103], v1
.LBB112_470:
	s_and_saveexec_b32 s8, s1
	s_cbranch_execz .LBB112_474
; %bb.471:
	v_add_nc_u32_e32 v104, -2, v0
	s_movk_i32 s9, 0x1a0
	s_mov_b32 s1, 0
.LBB112_472:                            ; =>This Inner Loop Header: Depth=1
	scratch_load_b64 v[106:107], off, s6
	v_dual_mov_b32 v105, s9 :: v_dual_add_nc_u32 v104, -1, v104
	s_add_co_i32 s9, s9, 8
	s_wait_xcnt 0x0
	s_add_co_i32 s6, s6, 8
	ds_load_b64 v[108:109], v105
	v_cmp_eq_u32_e32 vcc_lo, 0, v104
	s_or_b32 s1, vcc_lo, s1
	s_wait_loadcnt_dscnt 0x0
	v_pk_mul_f32 v[110:111], v[108:109], v[106:107] op_sel:[1,1] op_sel_hi:[0,1]
	s_delay_alu instid0(VALU_DEP_1) | instskip(SKIP_1) | instid1(VALU_DEP_2)
	v_pk_fma_f32 v[112:113], v[108:109], v[106:107], v[110:111] op_sel_hi:[1,0,1]
	v_pk_fma_f32 v[106:107], v[108:109], v[106:107], v[110:111] neg_lo:[0,0,1] neg_hi:[0,0,1]
	v_mov_b32_e32 v107, v113
	s_delay_alu instid0(VALU_DEP_1)
	v_pk_add_f32 v[102:103], v[102:103], v[106:107]
	s_and_not1_b32 exec_lo, exec_lo, s1
	s_cbranch_execnz .LBB112_472
; %bb.473:
	s_or_b32 exec_lo, exec_lo, s1
.LBB112_474:
	s_delay_alu instid0(SALU_CYCLE_1) | instskip(SKIP_4) | instid1(VALU_DEP_1)
	s_or_b32 exec_lo, exec_lo, s8
	v_mov_b32_e32 v104, 0
	ds_load_b64 v[104:105], v104 offset:8
	s_wait_dscnt 0x0
	v_pk_mul_f32 v[106:107], v[102:103], v[104:105] op_sel:[1,1] op_sel_hi:[0,1]
	v_pk_fma_f32 v[108:109], v[102:103], v[104:105], v[106:107] op_sel_hi:[1,0,1]
	v_pk_fma_f32 v[102:103], v[102:103], v[104:105], v[106:107] neg_lo:[0,0,1] neg_hi:[0,0,1]
	s_delay_alu instid0(VALU_DEP_2)
	v_mov_b32_e32 v103, v109
	scratch_store_b64 off, v[102:103], off offset:8
.LBB112_475:
	s_wait_xcnt 0x0
	s_or_b32 exec_lo, exec_lo, s7
	scratch_load_b64 v[102:103], off, off
	s_mov_b32 s6, 0
	s_mov_b32 s1, 0
	s_mov_b32 s8, exec_lo
                                        ; implicit-def: $vgpr146
                                        ; implicit-def: $sgpr7
	s_wait_loadcnt 0x0
	ds_store_b64 v1, v[102:103]
	s_wait_storecnt_dscnt 0x0
	s_barrier_signal -1
	s_barrier_wait -1
	s_wait_xcnt 0x0
	v_cmpx_ne_u32_e32 0, v0
	s_cbranch_execz .LBB112_485
; %bb.476:
	s_and_not1_b32 vcc_lo, exec_lo, s5
	s_cbranch_vccnz .LBB112_478
; %bb.477:
	scratch_load_b64 v[104:105], v59, off
	ds_load_b64 v[106:107], v1
	s_wait_loadcnt_dscnt 0x0
	v_dual_mul_f32 v102, v107, v105 :: v_dual_mul_f32 v103, v106, v105
	s_delay_alu instid0(VALU_DEP_1)
	v_dual_fma_f32 v102, v106, v104, -v102 :: v_dual_fmac_f32 v103, v107, v104
	s_and_not1_b32 vcc_lo, exec_lo, s1
	s_cbranch_vccz .LBB112_479
	s_branch .LBB112_480
.LBB112_478:
                                        ; implicit-def: $vgpr102
.LBB112_479:
	ds_load_b64 v[102:103], v1
.LBB112_480:
	s_and_saveexec_b32 s1, s0
	s_cbranch_execz .LBB112_484
; %bb.481:
	v_add_nc_u32_e32 v104, -1, v0
	s_movk_i32 s7, 0x198
	s_mov_b32 s0, 0
.LBB112_482:                            ; =>This Inner Loop Header: Depth=1
	scratch_load_b64 v[106:107], off, s4
	v_mov_b32_e32 v105, s7
	s_add_co_i32 s7, s7, 8
	s_wait_xcnt 0x0
	s_add_co_i32 s4, s4, 8
	v_add_nc_u32_e32 v104, -1, v104
	ds_load_b64 v[108:109], v105
	v_cmp_eq_u32_e32 vcc_lo, 0, v104
	s_or_b32 s0, vcc_lo, s0
	s_wait_loadcnt_dscnt 0x0
	v_dual_mul_f32 v105, v109, v107 :: v_dual_mul_f32 v107, v108, v107
	s_delay_alu instid0(VALU_DEP_1) | instskip(NEXT) | instid1(VALU_DEP_1)
	v_dual_fma_f32 v105, v108, v106, -v105 :: v_dual_fmac_f32 v107, v109, v106
	v_dual_add_f32 v102, v102, v105 :: v_dual_add_f32 v103, v103, v107
	s_and_not1_b32 exec_lo, exec_lo, s0
	s_cbranch_execnz .LBB112_482
; %bb.483:
	s_or_b32 exec_lo, exec_lo, s0
.LBB112_484:
	s_delay_alu instid0(SALU_CYCLE_1)
	s_or_b32 exec_lo, exec_lo, s1
	v_mov_b32_e32 v104, 0
	s_mov_b32 s1, exec_lo
	s_or_b32 s7, 0, 4
	ds_load_b64 v[104:105], v104
	s_wait_dscnt 0x0
	v_dual_mul_f32 v106, v103, v105 :: v_dual_mul_f32 v146, v102, v105
	s_delay_alu instid0(VALU_DEP_1) | instskip(NEXT) | instid1(VALU_DEP_2)
	v_fma_f32 v102, v102, v104, -v106
	v_fmac_f32_e32 v146, v103, v104
	scratch_store_b32 off, v102, off
.LBB112_485:
	s_wait_xcnt 0x0
	s_or_b32 exec_lo, exec_lo, s8
	s_delay_alu instid0(SALU_CYCLE_1)
	s_and_b32 vcc_lo, exec_lo, s6
	s_cbranch_vccz .LBB112_961
.LBB112_486:
	scratch_load_b64 v[102:103], off, off offset:8
	v_cmp_eq_u32_e64 s0, 0, v0
	s_wait_loadcnt 0x0
	ds_store_b64 v1, v[102:103]
	s_wait_storecnt_dscnt 0x0
	s_barrier_signal -1
	s_barrier_wait -1
	s_wait_xcnt 0x0
	s_and_saveexec_b32 s4, s0
	s_cbranch_execz .LBB112_492
; %bb.487:
	s_and_b32 vcc_lo, exec_lo, s5
	s_cbranch_vccz .LBB112_489
; %bb.488:
	scratch_load_b64 v[102:103], v59, off
	ds_load_b64 v[104:105], v1
	s_wait_loadcnt_dscnt 0x0
	v_pk_mul_f32 v[106:107], v[104:105], v[102:103] op_sel:[1,1] op_sel_hi:[0,1]
	v_pk_mul_f32 v[108:109], v[104:105], v[102:103] op_sel_hi:[1,0]
	s_delay_alu instid0(VALU_DEP_2) | instskip(NEXT) | instid1(VALU_DEP_2)
	v_pk_fma_f32 v[102:103], v[104:105], v[102:103], v[106:107] op_sel_hi:[1,0,1]
	v_sub_f32_e32 v102, v108, v106
	s_cbranch_execz .LBB112_490
	s_branch .LBB112_491
.LBB112_489:
                                        ; implicit-def: $vgpr103
.LBB112_490:
	ds_load_b64 v[102:103], v1
.LBB112_491:
	s_wait_dscnt 0x0
	v_dual_mov_b32 v104, 0 :: v_dual_mov_b32 v106, v103
	v_mov_b32_e32 v107, v102
	ds_load_b64 v[104:105], v104 offset:8
	s_wait_dscnt 0x0
	v_pk_mul_f32 v[106:107], v[106:107], v[104:105] op_sel:[0,1]
	s_delay_alu instid0(VALU_DEP_1) | instskip(SKIP_1) | instid1(VALU_DEP_2)
	v_pk_fma_f32 v[108:109], v[102:103], v[104:105], v[106:107] op_sel_hi:[1,0,1]
	v_pk_fma_f32 v[102:103], v[102:103], v[104:105], v[106:107] neg_lo:[0,0,1] neg_hi:[0,0,1]
	v_mov_b32_e32 v103, v109
	scratch_store_b64 off, v[102:103], off offset:8
.LBB112_492:
	s_wait_xcnt 0x0
	s_or_b32 exec_lo, exec_lo, s4
	scratch_load_b64 v[102:103], off, off offset:16
	v_cndmask_b32_e64 v104, 0, 1, s5
	s_mov_b32 s4, exec_lo
	s_wait_loadcnt 0x0
	ds_store_b64 v1, v[102:103]
	s_wait_storecnt_dscnt 0x0
	s_barrier_signal -1
	s_barrier_wait -1
	s_wait_xcnt 0x0
	v_cmpx_gt_u32_e32 2, v0
	s_cbranch_execz .LBB112_500
; %bb.493:
	s_and_not1_b32 vcc_lo, exec_lo, s5
	s_cbranch_vccnz .LBB112_495
; %bb.494:
	scratch_load_b64 v[102:103], v59, off
	ds_load_b64 v[106:107], v1
	s_wait_loadcnt_dscnt 0x0
	v_pk_mul_f32 v[108:109], v[106:107], v[102:103] op_sel:[1,1] op_sel_hi:[0,1]
	s_delay_alu instid0(VALU_DEP_1) | instskip(SKIP_1) | instid1(VALU_DEP_2)
	v_pk_fma_f32 v[110:111], v[106:107], v[102:103], v[108:109] op_sel_hi:[1,0,1]
	v_pk_fma_f32 v[102:103], v[106:107], v[102:103], v[108:109] neg_lo:[0,0,1] neg_hi:[0,0,1]
	v_mov_b32_e32 v103, v111
	s_cbranch_execz .LBB112_496
	s_branch .LBB112_497
.LBB112_495:
                                        ; implicit-def: $vgpr102_vgpr103
.LBB112_496:
	ds_load_b64 v[102:103], v1
.LBB112_497:
	s_and_saveexec_b32 s5, s0
	s_cbranch_execz .LBB112_499
; %bb.498:
	scratch_load_b64 v[106:107], off, off offset:8
	v_mov_b32_e32 v105, 0
	ds_load_b64 v[108:109], v105 offset:408
	s_wait_loadcnt_dscnt 0x0
	v_pk_mul_f32 v[110:111], v[108:109], v[106:107] op_sel:[1,1] op_sel_hi:[0,1]
	s_delay_alu instid0(VALU_DEP_1) | instskip(SKIP_1) | instid1(VALU_DEP_2)
	v_pk_fma_f32 v[112:113], v[108:109], v[106:107], v[110:111] op_sel_hi:[1,0,1]
	v_pk_fma_f32 v[106:107], v[108:109], v[106:107], v[110:111] neg_lo:[0,0,1] neg_hi:[0,0,1]
	v_mov_b32_e32 v107, v113
	s_delay_alu instid0(VALU_DEP_1)
	v_pk_add_f32 v[102:103], v[102:103], v[106:107]
.LBB112_499:
	s_or_b32 exec_lo, exec_lo, s5
	v_mov_b32_e32 v105, 0
	ds_load_b64 v[106:107], v105 offset:16
	s_wait_dscnt 0x0
	v_pk_mul_f32 v[108:109], v[102:103], v[106:107] op_sel:[1,1] op_sel_hi:[0,1]
	s_delay_alu instid0(VALU_DEP_1) | instskip(SKIP_1) | instid1(VALU_DEP_2)
	v_pk_fma_f32 v[110:111], v[102:103], v[106:107], v[108:109] op_sel_hi:[1,0,1]
	v_pk_fma_f32 v[102:103], v[102:103], v[106:107], v[108:109] neg_lo:[0,0,1] neg_hi:[0,0,1]
	v_mov_b32_e32 v103, v111
	scratch_store_b64 off, v[102:103], off offset:16
.LBB112_500:
	s_wait_xcnt 0x0
	s_or_b32 exec_lo, exec_lo, s4
	scratch_load_b64 v[102:103], off, off offset:24
	s_mov_b32 s4, exec_lo
	s_wait_loadcnt 0x0
	ds_store_b64 v1, v[102:103]
	s_wait_storecnt_dscnt 0x0
	s_barrier_signal -1
	s_barrier_wait -1
	s_wait_xcnt 0x0
	v_cmpx_gt_u32_e32 3, v0
	s_cbranch_execz .LBB112_510
; %bb.501:
	v_cmp_ne_u32_e32 vcc_lo, 1, v104
	s_cbranch_vccnz .LBB112_503
; %bb.502:
	scratch_load_b64 v[102:103], v59, off
	ds_load_b64 v[106:107], v1
	s_wait_loadcnt_dscnt 0x0
	v_pk_mul_f32 v[108:109], v[106:107], v[102:103] op_sel:[1,1] op_sel_hi:[0,1]
	s_delay_alu instid0(VALU_DEP_1) | instskip(SKIP_1) | instid1(VALU_DEP_2)
	v_pk_fma_f32 v[110:111], v[106:107], v[102:103], v[108:109] op_sel_hi:[1,0,1]
	v_pk_fma_f32 v[102:103], v[106:107], v[102:103], v[108:109] neg_lo:[0,0,1] neg_hi:[0,0,1]
	v_mov_b32_e32 v103, v111
	s_cbranch_execz .LBB112_504
	s_branch .LBB112_505
.LBB112_503:
                                        ; implicit-def: $vgpr102_vgpr103
.LBB112_504:
	ds_load_b64 v[102:103], v1
.LBB112_505:
	s_mov_b32 s5, exec_lo
	v_cmpx_ne_u32_e32 2, v0
	s_cbranch_execz .LBB112_509
; %bb.506:
	scratch_load_b64 v[106:107], v59, off offset:8
	ds_load_b64 v[108:109], v1 offset:8
	s_wait_loadcnt_dscnt 0x0
	v_pk_mul_f32 v[110:111], v[108:109], v[106:107] op_sel:[1,1] op_sel_hi:[0,1]
	s_delay_alu instid0(VALU_DEP_1) | instskip(SKIP_1) | instid1(VALU_DEP_2)
	v_pk_fma_f32 v[112:113], v[108:109], v[106:107], v[110:111] op_sel_hi:[1,0,1]
	v_pk_fma_f32 v[106:107], v[108:109], v[106:107], v[110:111] neg_lo:[0,0,1] neg_hi:[0,0,1]
	v_mov_b32_e32 v107, v113
	s_delay_alu instid0(VALU_DEP_1)
	v_pk_add_f32 v[102:103], v[102:103], v[106:107]
	s_and_saveexec_b32 s6, s0
	s_cbranch_execz .LBB112_508
; %bb.507:
	scratch_load_b64 v[106:107], off, off offset:16
	v_mov_b32_e32 v105, 0
	ds_load_b64 v[108:109], v105 offset:416
	s_wait_loadcnt_dscnt 0x0
	v_pk_mul_f32 v[110:111], v[108:109], v[106:107] op_sel:[1,1] op_sel_hi:[0,1]
	s_delay_alu instid0(VALU_DEP_1) | instskip(SKIP_1) | instid1(VALU_DEP_2)
	v_pk_fma_f32 v[112:113], v[108:109], v[106:107], v[110:111] op_sel_hi:[1,0,1]
	v_pk_fma_f32 v[106:107], v[108:109], v[106:107], v[110:111] neg_lo:[0,0,1] neg_hi:[0,0,1]
	v_mov_b32_e32 v107, v113
	s_delay_alu instid0(VALU_DEP_1)
	v_pk_add_f32 v[102:103], v[102:103], v[106:107]
.LBB112_508:
	s_or_b32 exec_lo, exec_lo, s6
.LBB112_509:
	s_delay_alu instid0(SALU_CYCLE_1) | instskip(SKIP_4) | instid1(VALU_DEP_1)
	s_or_b32 exec_lo, exec_lo, s5
	v_mov_b32_e32 v105, 0
	ds_load_b64 v[106:107], v105 offset:24
	s_wait_dscnt 0x0
	v_pk_mul_f32 v[108:109], v[102:103], v[106:107] op_sel:[1,1] op_sel_hi:[0,1]
	v_pk_fma_f32 v[110:111], v[102:103], v[106:107], v[108:109] op_sel_hi:[1,0,1]
	v_pk_fma_f32 v[102:103], v[102:103], v[106:107], v[108:109] neg_lo:[0,0,1] neg_hi:[0,0,1]
	s_delay_alu instid0(VALU_DEP_2)
	v_mov_b32_e32 v103, v111
	scratch_store_b64 off, v[102:103], off offset:24
.LBB112_510:
	s_wait_xcnt 0x0
	s_or_b32 exec_lo, exec_lo, s4
	scratch_load_b64 v[102:103], off, off offset:32
	s_mov_b32 s0, exec_lo
	s_wait_loadcnt 0x0
	ds_store_b64 v1, v[102:103]
	s_wait_storecnt_dscnt 0x0
	s_barrier_signal -1
	s_barrier_wait -1
	s_wait_xcnt 0x0
	v_cmpx_gt_u32_e32 4, v0
	s_cbranch_execz .LBB112_520
; %bb.511:
	v_cmp_ne_u32_e32 vcc_lo, 1, v104
	s_cbranch_vccnz .LBB112_513
; %bb.512:
	scratch_load_b64 v[102:103], v59, off
	ds_load_b64 v[106:107], v1
	s_wait_loadcnt_dscnt 0x0
	v_pk_mul_f32 v[108:109], v[106:107], v[102:103] op_sel:[1,1] op_sel_hi:[0,1]
	s_delay_alu instid0(VALU_DEP_1) | instskip(SKIP_1) | instid1(VALU_DEP_2)
	v_pk_fma_f32 v[110:111], v[106:107], v[102:103], v[108:109] op_sel_hi:[1,0,1]
	v_pk_fma_f32 v[102:103], v[106:107], v[102:103], v[108:109] neg_lo:[0,0,1] neg_hi:[0,0,1]
	v_mov_b32_e32 v103, v111
	s_cbranch_execz .LBB112_514
	s_branch .LBB112_515
.LBB112_513:
                                        ; implicit-def: $vgpr102_vgpr103
.LBB112_514:
	ds_load_b64 v[102:103], v1
.LBB112_515:
	s_mov_b32 s4, exec_lo
	v_cmpx_ne_u32_e32 3, v0
	s_cbranch_execz .LBB112_519
; %bb.516:
	v_add_nc_u32_e32 v105, 0x198, v58
	v_add3_u32 v106, 0, v58, 8
	v_mov_b32_e32 v107, v0
	s_mov_b32 s5, 0
.LBB112_517:                            ; =>This Inner Loop Header: Depth=1
	scratch_load_b64 v[108:109], v106, off
	ds_load_b64 v[110:111], v105
	s_wait_xcnt 0x0
	v_dual_add_nc_u32 v105, 8, v105 :: v_dual_add_nc_u32 v106, 8, v106
	s_wait_loadcnt_dscnt 0x0
	v_pk_mul_f32 v[112:113], v[110:111], v[108:109] op_sel:[1,1] op_sel_hi:[0,1]
	s_delay_alu instid0(VALU_DEP_1) | instskip(SKIP_2) | instid1(VALU_DEP_3)
	v_pk_fma_f32 v[114:115], v[110:111], v[108:109], v[112:113] op_sel_hi:[1,0,1]
	v_add_nc_u32_e32 v107, 1, v107
	v_pk_fma_f32 v[108:109], v[110:111], v[108:109], v[112:113] neg_lo:[0,0,1] neg_hi:[0,0,1]
	v_mov_b32_e32 v109, v115
	s_delay_alu instid0(VALU_DEP_3) | instskip(NEXT) | instid1(VALU_DEP_2)
	v_cmp_lt_u32_e32 vcc_lo, 2, v107
	v_pk_add_f32 v[102:103], v[102:103], v[108:109]
	s_or_b32 s5, vcc_lo, s5
	s_delay_alu instid0(SALU_CYCLE_1)
	s_and_not1_b32 exec_lo, exec_lo, s5
	s_cbranch_execnz .LBB112_517
; %bb.518:
	s_or_b32 exec_lo, exec_lo, s5
.LBB112_519:
	s_delay_alu instid0(SALU_CYCLE_1) | instskip(SKIP_4) | instid1(VALU_DEP_1)
	s_or_b32 exec_lo, exec_lo, s4
	v_mov_b32_e32 v105, 0
	ds_load_b64 v[106:107], v105 offset:32
	s_wait_dscnt 0x0
	v_pk_mul_f32 v[108:109], v[102:103], v[106:107] op_sel:[1,1] op_sel_hi:[0,1]
	v_pk_fma_f32 v[110:111], v[102:103], v[106:107], v[108:109] op_sel_hi:[1,0,1]
	v_pk_fma_f32 v[102:103], v[102:103], v[106:107], v[108:109] neg_lo:[0,0,1] neg_hi:[0,0,1]
	s_delay_alu instid0(VALU_DEP_2)
	v_mov_b32_e32 v103, v111
	scratch_store_b64 off, v[102:103], off offset:32
.LBB112_520:
	s_wait_xcnt 0x0
	s_or_b32 exec_lo, exec_lo, s0
	scratch_load_b64 v[102:103], off, off offset:40
	s_mov_b32 s0, exec_lo
	s_wait_loadcnt 0x0
	ds_store_b64 v1, v[102:103]
	s_wait_storecnt_dscnt 0x0
	s_barrier_signal -1
	s_barrier_wait -1
	s_wait_xcnt 0x0
	v_cmpx_gt_u32_e32 5, v0
	s_cbranch_execz .LBB112_530
; %bb.521:
	v_cmp_ne_u32_e32 vcc_lo, 1, v104
	s_cbranch_vccnz .LBB112_523
; %bb.522:
	scratch_load_b64 v[102:103], v59, off
	ds_load_b64 v[106:107], v1
	s_wait_loadcnt_dscnt 0x0
	v_pk_mul_f32 v[108:109], v[106:107], v[102:103] op_sel:[1,1] op_sel_hi:[0,1]
	s_delay_alu instid0(VALU_DEP_1) | instskip(SKIP_1) | instid1(VALU_DEP_2)
	v_pk_fma_f32 v[110:111], v[106:107], v[102:103], v[108:109] op_sel_hi:[1,0,1]
	v_pk_fma_f32 v[102:103], v[106:107], v[102:103], v[108:109] neg_lo:[0,0,1] neg_hi:[0,0,1]
	v_mov_b32_e32 v103, v111
	s_cbranch_execz .LBB112_524
	s_branch .LBB112_525
.LBB112_523:
                                        ; implicit-def: $vgpr102_vgpr103
.LBB112_524:
	ds_load_b64 v[102:103], v1
.LBB112_525:
	s_mov_b32 s4, exec_lo
	v_cmpx_ne_u32_e32 4, v0
	s_cbranch_execz .LBB112_529
; %bb.526:
	v_add_nc_u32_e32 v105, 0x198, v58
	v_add3_u32 v106, 0, v58, 8
	v_mov_b32_e32 v107, v0
	s_mov_b32 s5, 0
.LBB112_527:                            ; =>This Inner Loop Header: Depth=1
	scratch_load_b64 v[108:109], v106, off
	ds_load_b64 v[110:111], v105
	s_wait_xcnt 0x0
	v_dual_add_nc_u32 v105, 8, v105 :: v_dual_add_nc_u32 v106, 8, v106
	s_wait_loadcnt_dscnt 0x0
	v_pk_mul_f32 v[112:113], v[110:111], v[108:109] op_sel:[1,1] op_sel_hi:[0,1]
	s_delay_alu instid0(VALU_DEP_1) | instskip(SKIP_2) | instid1(VALU_DEP_3)
	v_pk_fma_f32 v[114:115], v[110:111], v[108:109], v[112:113] op_sel_hi:[1,0,1]
	v_add_nc_u32_e32 v107, 1, v107
	v_pk_fma_f32 v[108:109], v[110:111], v[108:109], v[112:113] neg_lo:[0,0,1] neg_hi:[0,0,1]
	v_mov_b32_e32 v109, v115
	s_delay_alu instid0(VALU_DEP_3) | instskip(NEXT) | instid1(VALU_DEP_2)
	v_cmp_lt_u32_e32 vcc_lo, 3, v107
	v_pk_add_f32 v[102:103], v[102:103], v[108:109]
	s_or_b32 s5, vcc_lo, s5
	s_delay_alu instid0(SALU_CYCLE_1)
	s_and_not1_b32 exec_lo, exec_lo, s5
	s_cbranch_execnz .LBB112_527
; %bb.528:
	s_or_b32 exec_lo, exec_lo, s5
.LBB112_529:
	s_delay_alu instid0(SALU_CYCLE_1) | instskip(SKIP_4) | instid1(VALU_DEP_1)
	s_or_b32 exec_lo, exec_lo, s4
	v_mov_b32_e32 v105, 0
	ds_load_b64 v[106:107], v105 offset:40
	s_wait_dscnt 0x0
	v_pk_mul_f32 v[108:109], v[102:103], v[106:107] op_sel:[1,1] op_sel_hi:[0,1]
	v_pk_fma_f32 v[110:111], v[102:103], v[106:107], v[108:109] op_sel_hi:[1,0,1]
	v_pk_fma_f32 v[102:103], v[102:103], v[106:107], v[108:109] neg_lo:[0,0,1] neg_hi:[0,0,1]
	s_delay_alu instid0(VALU_DEP_2)
	v_mov_b32_e32 v103, v111
	scratch_store_b64 off, v[102:103], off offset:40
.LBB112_530:
	s_wait_xcnt 0x0
	s_or_b32 exec_lo, exec_lo, s0
	scratch_load_b64 v[102:103], off, off offset:48
	s_mov_b32 s0, exec_lo
	s_wait_loadcnt 0x0
	ds_store_b64 v1, v[102:103]
	s_wait_storecnt_dscnt 0x0
	s_barrier_signal -1
	s_barrier_wait -1
	s_wait_xcnt 0x0
	v_cmpx_gt_u32_e32 6, v0
	s_cbranch_execz .LBB112_540
; %bb.531:
	v_cmp_ne_u32_e32 vcc_lo, 1, v104
	s_cbranch_vccnz .LBB112_533
; %bb.532:
	scratch_load_b64 v[102:103], v59, off
	ds_load_b64 v[106:107], v1
	s_wait_loadcnt_dscnt 0x0
	v_pk_mul_f32 v[108:109], v[106:107], v[102:103] op_sel:[1,1] op_sel_hi:[0,1]
	s_delay_alu instid0(VALU_DEP_1) | instskip(SKIP_1) | instid1(VALU_DEP_2)
	v_pk_fma_f32 v[110:111], v[106:107], v[102:103], v[108:109] op_sel_hi:[1,0,1]
	v_pk_fma_f32 v[102:103], v[106:107], v[102:103], v[108:109] neg_lo:[0,0,1] neg_hi:[0,0,1]
	v_mov_b32_e32 v103, v111
	s_cbranch_execz .LBB112_534
	s_branch .LBB112_535
.LBB112_533:
                                        ; implicit-def: $vgpr102_vgpr103
.LBB112_534:
	ds_load_b64 v[102:103], v1
.LBB112_535:
	s_mov_b32 s4, exec_lo
	v_cmpx_ne_u32_e32 5, v0
	s_cbranch_execz .LBB112_539
; %bb.536:
	v_add_nc_u32_e32 v105, 0x198, v58
	v_add3_u32 v106, 0, v58, 8
	v_mov_b32_e32 v107, v0
	s_mov_b32 s5, 0
.LBB112_537:                            ; =>This Inner Loop Header: Depth=1
	scratch_load_b64 v[108:109], v106, off
	ds_load_b64 v[110:111], v105
	s_wait_xcnt 0x0
	v_dual_add_nc_u32 v105, 8, v105 :: v_dual_add_nc_u32 v106, 8, v106
	s_wait_loadcnt_dscnt 0x0
	v_pk_mul_f32 v[112:113], v[110:111], v[108:109] op_sel:[1,1] op_sel_hi:[0,1]
	s_delay_alu instid0(VALU_DEP_1) | instskip(SKIP_2) | instid1(VALU_DEP_3)
	v_pk_fma_f32 v[114:115], v[110:111], v[108:109], v[112:113] op_sel_hi:[1,0,1]
	v_add_nc_u32_e32 v107, 1, v107
	v_pk_fma_f32 v[108:109], v[110:111], v[108:109], v[112:113] neg_lo:[0,0,1] neg_hi:[0,0,1]
	v_mov_b32_e32 v109, v115
	s_delay_alu instid0(VALU_DEP_3) | instskip(NEXT) | instid1(VALU_DEP_2)
	v_cmp_lt_u32_e32 vcc_lo, 4, v107
	v_pk_add_f32 v[102:103], v[102:103], v[108:109]
	s_or_b32 s5, vcc_lo, s5
	s_delay_alu instid0(SALU_CYCLE_1)
	s_and_not1_b32 exec_lo, exec_lo, s5
	s_cbranch_execnz .LBB112_537
; %bb.538:
	s_or_b32 exec_lo, exec_lo, s5
.LBB112_539:
	s_delay_alu instid0(SALU_CYCLE_1) | instskip(SKIP_4) | instid1(VALU_DEP_1)
	s_or_b32 exec_lo, exec_lo, s4
	v_mov_b32_e32 v105, 0
	ds_load_b64 v[106:107], v105 offset:48
	s_wait_dscnt 0x0
	v_pk_mul_f32 v[108:109], v[102:103], v[106:107] op_sel:[1,1] op_sel_hi:[0,1]
	v_pk_fma_f32 v[110:111], v[102:103], v[106:107], v[108:109] op_sel_hi:[1,0,1]
	v_pk_fma_f32 v[102:103], v[102:103], v[106:107], v[108:109] neg_lo:[0,0,1] neg_hi:[0,0,1]
	s_delay_alu instid0(VALU_DEP_2)
	v_mov_b32_e32 v103, v111
	scratch_store_b64 off, v[102:103], off offset:48
.LBB112_540:
	s_wait_xcnt 0x0
	s_or_b32 exec_lo, exec_lo, s0
	scratch_load_b64 v[102:103], off, off offset:56
	s_mov_b32 s0, exec_lo
	s_wait_loadcnt 0x0
	ds_store_b64 v1, v[102:103]
	s_wait_storecnt_dscnt 0x0
	s_barrier_signal -1
	s_barrier_wait -1
	s_wait_xcnt 0x0
	v_cmpx_gt_u32_e32 7, v0
	s_cbranch_execz .LBB112_550
; %bb.541:
	v_cmp_ne_u32_e32 vcc_lo, 1, v104
	s_cbranch_vccnz .LBB112_543
; %bb.542:
	scratch_load_b64 v[102:103], v59, off
	ds_load_b64 v[106:107], v1
	s_wait_loadcnt_dscnt 0x0
	v_pk_mul_f32 v[108:109], v[106:107], v[102:103] op_sel:[1,1] op_sel_hi:[0,1]
	s_delay_alu instid0(VALU_DEP_1) | instskip(SKIP_1) | instid1(VALU_DEP_2)
	v_pk_fma_f32 v[110:111], v[106:107], v[102:103], v[108:109] op_sel_hi:[1,0,1]
	v_pk_fma_f32 v[102:103], v[106:107], v[102:103], v[108:109] neg_lo:[0,0,1] neg_hi:[0,0,1]
	v_mov_b32_e32 v103, v111
	s_cbranch_execz .LBB112_544
	s_branch .LBB112_545
.LBB112_543:
                                        ; implicit-def: $vgpr102_vgpr103
.LBB112_544:
	ds_load_b64 v[102:103], v1
.LBB112_545:
	s_mov_b32 s4, exec_lo
	v_cmpx_ne_u32_e32 6, v0
	s_cbranch_execz .LBB112_549
; %bb.546:
	v_add_nc_u32_e32 v105, 0x198, v58
	v_add3_u32 v106, 0, v58, 8
	v_mov_b32_e32 v107, v0
	s_mov_b32 s5, 0
.LBB112_547:                            ; =>This Inner Loop Header: Depth=1
	scratch_load_b64 v[108:109], v106, off
	ds_load_b64 v[110:111], v105
	s_wait_xcnt 0x0
	v_dual_add_nc_u32 v105, 8, v105 :: v_dual_add_nc_u32 v106, 8, v106
	s_wait_loadcnt_dscnt 0x0
	v_pk_mul_f32 v[112:113], v[110:111], v[108:109] op_sel:[1,1] op_sel_hi:[0,1]
	s_delay_alu instid0(VALU_DEP_1) | instskip(SKIP_2) | instid1(VALU_DEP_3)
	v_pk_fma_f32 v[114:115], v[110:111], v[108:109], v[112:113] op_sel_hi:[1,0,1]
	v_add_nc_u32_e32 v107, 1, v107
	v_pk_fma_f32 v[108:109], v[110:111], v[108:109], v[112:113] neg_lo:[0,0,1] neg_hi:[0,0,1]
	v_mov_b32_e32 v109, v115
	s_delay_alu instid0(VALU_DEP_3) | instskip(NEXT) | instid1(VALU_DEP_2)
	v_cmp_lt_u32_e32 vcc_lo, 5, v107
	v_pk_add_f32 v[102:103], v[102:103], v[108:109]
	s_or_b32 s5, vcc_lo, s5
	s_delay_alu instid0(SALU_CYCLE_1)
	s_and_not1_b32 exec_lo, exec_lo, s5
	s_cbranch_execnz .LBB112_547
; %bb.548:
	s_or_b32 exec_lo, exec_lo, s5
.LBB112_549:
	s_delay_alu instid0(SALU_CYCLE_1) | instskip(SKIP_4) | instid1(VALU_DEP_1)
	s_or_b32 exec_lo, exec_lo, s4
	v_mov_b32_e32 v105, 0
	ds_load_b64 v[106:107], v105 offset:56
	s_wait_dscnt 0x0
	v_pk_mul_f32 v[108:109], v[102:103], v[106:107] op_sel:[1,1] op_sel_hi:[0,1]
	v_pk_fma_f32 v[110:111], v[102:103], v[106:107], v[108:109] op_sel_hi:[1,0,1]
	v_pk_fma_f32 v[102:103], v[102:103], v[106:107], v[108:109] neg_lo:[0,0,1] neg_hi:[0,0,1]
	s_delay_alu instid0(VALU_DEP_2)
	v_mov_b32_e32 v103, v111
	scratch_store_b64 off, v[102:103], off offset:56
.LBB112_550:
	s_wait_xcnt 0x0
	s_or_b32 exec_lo, exec_lo, s0
	scratch_load_b64 v[102:103], off, off offset:64
	s_mov_b32 s0, exec_lo
	s_wait_loadcnt 0x0
	ds_store_b64 v1, v[102:103]
	s_wait_storecnt_dscnt 0x0
	s_barrier_signal -1
	s_barrier_wait -1
	s_wait_xcnt 0x0
	v_cmpx_gt_u32_e32 8, v0
	s_cbranch_execz .LBB112_560
; %bb.551:
	v_cmp_ne_u32_e32 vcc_lo, 1, v104
	s_cbranch_vccnz .LBB112_553
; %bb.552:
	scratch_load_b64 v[102:103], v59, off
	ds_load_b64 v[106:107], v1
	s_wait_loadcnt_dscnt 0x0
	v_pk_mul_f32 v[108:109], v[106:107], v[102:103] op_sel:[1,1] op_sel_hi:[0,1]
	s_delay_alu instid0(VALU_DEP_1) | instskip(SKIP_1) | instid1(VALU_DEP_2)
	v_pk_fma_f32 v[110:111], v[106:107], v[102:103], v[108:109] op_sel_hi:[1,0,1]
	v_pk_fma_f32 v[102:103], v[106:107], v[102:103], v[108:109] neg_lo:[0,0,1] neg_hi:[0,0,1]
	v_mov_b32_e32 v103, v111
	s_cbranch_execz .LBB112_554
	s_branch .LBB112_555
.LBB112_553:
                                        ; implicit-def: $vgpr102_vgpr103
.LBB112_554:
	ds_load_b64 v[102:103], v1
.LBB112_555:
	s_mov_b32 s4, exec_lo
	v_cmpx_ne_u32_e32 7, v0
	s_cbranch_execz .LBB112_559
; %bb.556:
	v_add_nc_u32_e32 v105, 0x198, v58
	v_add3_u32 v106, 0, v58, 8
	v_mov_b32_e32 v107, v0
	s_mov_b32 s5, 0
.LBB112_557:                            ; =>This Inner Loop Header: Depth=1
	scratch_load_b64 v[108:109], v106, off
	ds_load_b64 v[110:111], v105
	s_wait_xcnt 0x0
	v_dual_add_nc_u32 v105, 8, v105 :: v_dual_add_nc_u32 v106, 8, v106
	s_wait_loadcnt_dscnt 0x0
	v_pk_mul_f32 v[112:113], v[110:111], v[108:109] op_sel:[1,1] op_sel_hi:[0,1]
	s_delay_alu instid0(VALU_DEP_1) | instskip(SKIP_2) | instid1(VALU_DEP_3)
	v_pk_fma_f32 v[114:115], v[110:111], v[108:109], v[112:113] op_sel_hi:[1,0,1]
	v_add_nc_u32_e32 v107, 1, v107
	v_pk_fma_f32 v[108:109], v[110:111], v[108:109], v[112:113] neg_lo:[0,0,1] neg_hi:[0,0,1]
	v_mov_b32_e32 v109, v115
	s_delay_alu instid0(VALU_DEP_3) | instskip(NEXT) | instid1(VALU_DEP_2)
	v_cmp_lt_u32_e32 vcc_lo, 6, v107
	v_pk_add_f32 v[102:103], v[102:103], v[108:109]
	s_or_b32 s5, vcc_lo, s5
	s_delay_alu instid0(SALU_CYCLE_1)
	s_and_not1_b32 exec_lo, exec_lo, s5
	s_cbranch_execnz .LBB112_557
; %bb.558:
	s_or_b32 exec_lo, exec_lo, s5
.LBB112_559:
	s_delay_alu instid0(SALU_CYCLE_1) | instskip(SKIP_4) | instid1(VALU_DEP_1)
	s_or_b32 exec_lo, exec_lo, s4
	v_mov_b32_e32 v105, 0
	ds_load_b64 v[106:107], v105 offset:64
	s_wait_dscnt 0x0
	v_pk_mul_f32 v[108:109], v[102:103], v[106:107] op_sel:[1,1] op_sel_hi:[0,1]
	v_pk_fma_f32 v[110:111], v[102:103], v[106:107], v[108:109] op_sel_hi:[1,0,1]
	v_pk_fma_f32 v[102:103], v[102:103], v[106:107], v[108:109] neg_lo:[0,0,1] neg_hi:[0,0,1]
	s_delay_alu instid0(VALU_DEP_2)
	v_mov_b32_e32 v103, v111
	scratch_store_b64 off, v[102:103], off offset:64
.LBB112_560:
	s_wait_xcnt 0x0
	s_or_b32 exec_lo, exec_lo, s0
	scratch_load_b64 v[102:103], off, off offset:72
	s_mov_b32 s0, exec_lo
	s_wait_loadcnt 0x0
	ds_store_b64 v1, v[102:103]
	s_wait_storecnt_dscnt 0x0
	s_barrier_signal -1
	s_barrier_wait -1
	s_wait_xcnt 0x0
	v_cmpx_gt_u32_e32 9, v0
	s_cbranch_execz .LBB112_570
; %bb.561:
	v_cmp_ne_u32_e32 vcc_lo, 1, v104
	s_cbranch_vccnz .LBB112_563
; %bb.562:
	scratch_load_b64 v[102:103], v59, off
	ds_load_b64 v[106:107], v1
	s_wait_loadcnt_dscnt 0x0
	v_pk_mul_f32 v[108:109], v[106:107], v[102:103] op_sel:[1,1] op_sel_hi:[0,1]
	s_delay_alu instid0(VALU_DEP_1) | instskip(SKIP_1) | instid1(VALU_DEP_2)
	v_pk_fma_f32 v[110:111], v[106:107], v[102:103], v[108:109] op_sel_hi:[1,0,1]
	v_pk_fma_f32 v[102:103], v[106:107], v[102:103], v[108:109] neg_lo:[0,0,1] neg_hi:[0,0,1]
	v_mov_b32_e32 v103, v111
	s_cbranch_execz .LBB112_564
	s_branch .LBB112_565
.LBB112_563:
                                        ; implicit-def: $vgpr102_vgpr103
.LBB112_564:
	ds_load_b64 v[102:103], v1
.LBB112_565:
	s_mov_b32 s4, exec_lo
	v_cmpx_ne_u32_e32 8, v0
	s_cbranch_execz .LBB112_569
; %bb.566:
	v_add_nc_u32_e32 v105, 0x198, v58
	v_add3_u32 v106, 0, v58, 8
	v_mov_b32_e32 v107, v0
	s_mov_b32 s5, 0
.LBB112_567:                            ; =>This Inner Loop Header: Depth=1
	scratch_load_b64 v[108:109], v106, off
	ds_load_b64 v[110:111], v105
	s_wait_xcnt 0x0
	v_dual_add_nc_u32 v105, 8, v105 :: v_dual_add_nc_u32 v106, 8, v106
	s_wait_loadcnt_dscnt 0x0
	v_pk_mul_f32 v[112:113], v[110:111], v[108:109] op_sel:[1,1] op_sel_hi:[0,1]
	s_delay_alu instid0(VALU_DEP_1) | instskip(SKIP_2) | instid1(VALU_DEP_3)
	v_pk_fma_f32 v[114:115], v[110:111], v[108:109], v[112:113] op_sel_hi:[1,0,1]
	v_add_nc_u32_e32 v107, 1, v107
	v_pk_fma_f32 v[108:109], v[110:111], v[108:109], v[112:113] neg_lo:[0,0,1] neg_hi:[0,0,1]
	v_mov_b32_e32 v109, v115
	s_delay_alu instid0(VALU_DEP_3) | instskip(NEXT) | instid1(VALU_DEP_2)
	v_cmp_lt_u32_e32 vcc_lo, 7, v107
	v_pk_add_f32 v[102:103], v[102:103], v[108:109]
	s_or_b32 s5, vcc_lo, s5
	s_delay_alu instid0(SALU_CYCLE_1)
	s_and_not1_b32 exec_lo, exec_lo, s5
	s_cbranch_execnz .LBB112_567
; %bb.568:
	s_or_b32 exec_lo, exec_lo, s5
.LBB112_569:
	s_delay_alu instid0(SALU_CYCLE_1) | instskip(SKIP_4) | instid1(VALU_DEP_1)
	s_or_b32 exec_lo, exec_lo, s4
	v_mov_b32_e32 v105, 0
	ds_load_b64 v[106:107], v105 offset:72
	s_wait_dscnt 0x0
	v_pk_mul_f32 v[108:109], v[102:103], v[106:107] op_sel:[1,1] op_sel_hi:[0,1]
	v_pk_fma_f32 v[110:111], v[102:103], v[106:107], v[108:109] op_sel_hi:[1,0,1]
	v_pk_fma_f32 v[102:103], v[102:103], v[106:107], v[108:109] neg_lo:[0,0,1] neg_hi:[0,0,1]
	s_delay_alu instid0(VALU_DEP_2)
	v_mov_b32_e32 v103, v111
	scratch_store_b64 off, v[102:103], off offset:72
.LBB112_570:
	s_wait_xcnt 0x0
	s_or_b32 exec_lo, exec_lo, s0
	scratch_load_b64 v[102:103], off, off offset:80
	s_mov_b32 s0, exec_lo
	s_wait_loadcnt 0x0
	ds_store_b64 v1, v[102:103]
	s_wait_storecnt_dscnt 0x0
	s_barrier_signal -1
	s_barrier_wait -1
	s_wait_xcnt 0x0
	v_cmpx_gt_u32_e32 10, v0
	s_cbranch_execz .LBB112_580
; %bb.571:
	v_cmp_ne_u32_e32 vcc_lo, 1, v104
	s_cbranch_vccnz .LBB112_573
; %bb.572:
	scratch_load_b64 v[102:103], v59, off
	ds_load_b64 v[106:107], v1
	s_wait_loadcnt_dscnt 0x0
	v_pk_mul_f32 v[108:109], v[106:107], v[102:103] op_sel:[1,1] op_sel_hi:[0,1]
	s_delay_alu instid0(VALU_DEP_1) | instskip(SKIP_1) | instid1(VALU_DEP_2)
	v_pk_fma_f32 v[110:111], v[106:107], v[102:103], v[108:109] op_sel_hi:[1,0,1]
	v_pk_fma_f32 v[102:103], v[106:107], v[102:103], v[108:109] neg_lo:[0,0,1] neg_hi:[0,0,1]
	v_mov_b32_e32 v103, v111
	s_cbranch_execz .LBB112_574
	s_branch .LBB112_575
.LBB112_573:
                                        ; implicit-def: $vgpr102_vgpr103
.LBB112_574:
	ds_load_b64 v[102:103], v1
.LBB112_575:
	s_mov_b32 s4, exec_lo
	v_cmpx_ne_u32_e32 9, v0
	s_cbranch_execz .LBB112_579
; %bb.576:
	v_add_nc_u32_e32 v105, 0x198, v58
	v_add3_u32 v106, 0, v58, 8
	v_mov_b32_e32 v107, v0
	s_mov_b32 s5, 0
.LBB112_577:                            ; =>This Inner Loop Header: Depth=1
	scratch_load_b64 v[108:109], v106, off
	ds_load_b64 v[110:111], v105
	s_wait_xcnt 0x0
	v_dual_add_nc_u32 v105, 8, v105 :: v_dual_add_nc_u32 v106, 8, v106
	s_wait_loadcnt_dscnt 0x0
	v_pk_mul_f32 v[112:113], v[110:111], v[108:109] op_sel:[1,1] op_sel_hi:[0,1]
	s_delay_alu instid0(VALU_DEP_1) | instskip(SKIP_2) | instid1(VALU_DEP_3)
	v_pk_fma_f32 v[114:115], v[110:111], v[108:109], v[112:113] op_sel_hi:[1,0,1]
	v_add_nc_u32_e32 v107, 1, v107
	v_pk_fma_f32 v[108:109], v[110:111], v[108:109], v[112:113] neg_lo:[0,0,1] neg_hi:[0,0,1]
	v_mov_b32_e32 v109, v115
	s_delay_alu instid0(VALU_DEP_3) | instskip(NEXT) | instid1(VALU_DEP_2)
	v_cmp_lt_u32_e32 vcc_lo, 8, v107
	v_pk_add_f32 v[102:103], v[102:103], v[108:109]
	s_or_b32 s5, vcc_lo, s5
	s_delay_alu instid0(SALU_CYCLE_1)
	s_and_not1_b32 exec_lo, exec_lo, s5
	s_cbranch_execnz .LBB112_577
; %bb.578:
	s_or_b32 exec_lo, exec_lo, s5
.LBB112_579:
	s_delay_alu instid0(SALU_CYCLE_1) | instskip(SKIP_4) | instid1(VALU_DEP_1)
	s_or_b32 exec_lo, exec_lo, s4
	v_mov_b32_e32 v105, 0
	ds_load_b64 v[106:107], v105 offset:80
	s_wait_dscnt 0x0
	v_pk_mul_f32 v[108:109], v[102:103], v[106:107] op_sel:[1,1] op_sel_hi:[0,1]
	v_pk_fma_f32 v[110:111], v[102:103], v[106:107], v[108:109] op_sel_hi:[1,0,1]
	v_pk_fma_f32 v[102:103], v[102:103], v[106:107], v[108:109] neg_lo:[0,0,1] neg_hi:[0,0,1]
	s_delay_alu instid0(VALU_DEP_2)
	v_mov_b32_e32 v103, v111
	scratch_store_b64 off, v[102:103], off offset:80
.LBB112_580:
	s_wait_xcnt 0x0
	s_or_b32 exec_lo, exec_lo, s0
	scratch_load_b64 v[102:103], off, off offset:88
	s_mov_b32 s0, exec_lo
	s_wait_loadcnt 0x0
	ds_store_b64 v1, v[102:103]
	s_wait_storecnt_dscnt 0x0
	s_barrier_signal -1
	s_barrier_wait -1
	s_wait_xcnt 0x0
	v_cmpx_gt_u32_e32 11, v0
	s_cbranch_execz .LBB112_590
; %bb.581:
	v_cmp_ne_u32_e32 vcc_lo, 1, v104
	s_cbranch_vccnz .LBB112_583
; %bb.582:
	scratch_load_b64 v[102:103], v59, off
	ds_load_b64 v[106:107], v1
	s_wait_loadcnt_dscnt 0x0
	v_pk_mul_f32 v[108:109], v[106:107], v[102:103] op_sel:[1,1] op_sel_hi:[0,1]
	s_delay_alu instid0(VALU_DEP_1) | instskip(SKIP_1) | instid1(VALU_DEP_2)
	v_pk_fma_f32 v[110:111], v[106:107], v[102:103], v[108:109] op_sel_hi:[1,0,1]
	v_pk_fma_f32 v[102:103], v[106:107], v[102:103], v[108:109] neg_lo:[0,0,1] neg_hi:[0,0,1]
	v_mov_b32_e32 v103, v111
	s_cbranch_execz .LBB112_584
	s_branch .LBB112_585
.LBB112_583:
                                        ; implicit-def: $vgpr102_vgpr103
.LBB112_584:
	ds_load_b64 v[102:103], v1
.LBB112_585:
	s_mov_b32 s4, exec_lo
	v_cmpx_ne_u32_e32 10, v0
	s_cbranch_execz .LBB112_589
; %bb.586:
	v_add_nc_u32_e32 v105, 0x198, v58
	v_add3_u32 v106, 0, v58, 8
	v_mov_b32_e32 v107, v0
	s_mov_b32 s5, 0
.LBB112_587:                            ; =>This Inner Loop Header: Depth=1
	scratch_load_b64 v[108:109], v106, off
	ds_load_b64 v[110:111], v105
	s_wait_xcnt 0x0
	v_dual_add_nc_u32 v105, 8, v105 :: v_dual_add_nc_u32 v106, 8, v106
	s_wait_loadcnt_dscnt 0x0
	v_pk_mul_f32 v[112:113], v[110:111], v[108:109] op_sel:[1,1] op_sel_hi:[0,1]
	s_delay_alu instid0(VALU_DEP_1) | instskip(SKIP_2) | instid1(VALU_DEP_3)
	v_pk_fma_f32 v[114:115], v[110:111], v[108:109], v[112:113] op_sel_hi:[1,0,1]
	v_add_nc_u32_e32 v107, 1, v107
	v_pk_fma_f32 v[108:109], v[110:111], v[108:109], v[112:113] neg_lo:[0,0,1] neg_hi:[0,0,1]
	v_mov_b32_e32 v109, v115
	s_delay_alu instid0(VALU_DEP_3) | instskip(NEXT) | instid1(VALU_DEP_2)
	v_cmp_lt_u32_e32 vcc_lo, 9, v107
	v_pk_add_f32 v[102:103], v[102:103], v[108:109]
	s_or_b32 s5, vcc_lo, s5
	s_delay_alu instid0(SALU_CYCLE_1)
	s_and_not1_b32 exec_lo, exec_lo, s5
	s_cbranch_execnz .LBB112_587
; %bb.588:
	s_or_b32 exec_lo, exec_lo, s5
.LBB112_589:
	s_delay_alu instid0(SALU_CYCLE_1) | instskip(SKIP_4) | instid1(VALU_DEP_1)
	s_or_b32 exec_lo, exec_lo, s4
	v_mov_b32_e32 v105, 0
	ds_load_b64 v[106:107], v105 offset:88
	s_wait_dscnt 0x0
	v_pk_mul_f32 v[108:109], v[102:103], v[106:107] op_sel:[1,1] op_sel_hi:[0,1]
	v_pk_fma_f32 v[110:111], v[102:103], v[106:107], v[108:109] op_sel_hi:[1,0,1]
	v_pk_fma_f32 v[102:103], v[102:103], v[106:107], v[108:109] neg_lo:[0,0,1] neg_hi:[0,0,1]
	s_delay_alu instid0(VALU_DEP_2)
	v_mov_b32_e32 v103, v111
	scratch_store_b64 off, v[102:103], off offset:88
.LBB112_590:
	s_wait_xcnt 0x0
	s_or_b32 exec_lo, exec_lo, s0
	scratch_load_b64 v[102:103], off, off offset:96
	s_mov_b32 s0, exec_lo
	s_wait_loadcnt 0x0
	ds_store_b64 v1, v[102:103]
	s_wait_storecnt_dscnt 0x0
	s_barrier_signal -1
	s_barrier_wait -1
	s_wait_xcnt 0x0
	v_cmpx_gt_u32_e32 12, v0
	s_cbranch_execz .LBB112_600
; %bb.591:
	v_cmp_ne_u32_e32 vcc_lo, 1, v104
	s_cbranch_vccnz .LBB112_593
; %bb.592:
	scratch_load_b64 v[102:103], v59, off
	ds_load_b64 v[106:107], v1
	s_wait_loadcnt_dscnt 0x0
	v_pk_mul_f32 v[108:109], v[106:107], v[102:103] op_sel:[1,1] op_sel_hi:[0,1]
	s_delay_alu instid0(VALU_DEP_1) | instskip(SKIP_1) | instid1(VALU_DEP_2)
	v_pk_fma_f32 v[110:111], v[106:107], v[102:103], v[108:109] op_sel_hi:[1,0,1]
	v_pk_fma_f32 v[102:103], v[106:107], v[102:103], v[108:109] neg_lo:[0,0,1] neg_hi:[0,0,1]
	v_mov_b32_e32 v103, v111
	s_cbranch_execz .LBB112_594
	s_branch .LBB112_595
.LBB112_593:
                                        ; implicit-def: $vgpr102_vgpr103
.LBB112_594:
	ds_load_b64 v[102:103], v1
.LBB112_595:
	s_mov_b32 s4, exec_lo
	v_cmpx_ne_u32_e32 11, v0
	s_cbranch_execz .LBB112_599
; %bb.596:
	v_add_nc_u32_e32 v105, 0x198, v58
	v_add3_u32 v106, 0, v58, 8
	v_mov_b32_e32 v107, v0
	s_mov_b32 s5, 0
.LBB112_597:                            ; =>This Inner Loop Header: Depth=1
	scratch_load_b64 v[108:109], v106, off
	ds_load_b64 v[110:111], v105
	s_wait_xcnt 0x0
	v_dual_add_nc_u32 v105, 8, v105 :: v_dual_add_nc_u32 v106, 8, v106
	s_wait_loadcnt_dscnt 0x0
	v_pk_mul_f32 v[112:113], v[110:111], v[108:109] op_sel:[1,1] op_sel_hi:[0,1]
	s_delay_alu instid0(VALU_DEP_1) | instskip(SKIP_2) | instid1(VALU_DEP_3)
	v_pk_fma_f32 v[114:115], v[110:111], v[108:109], v[112:113] op_sel_hi:[1,0,1]
	v_add_nc_u32_e32 v107, 1, v107
	v_pk_fma_f32 v[108:109], v[110:111], v[108:109], v[112:113] neg_lo:[0,0,1] neg_hi:[0,0,1]
	v_mov_b32_e32 v109, v115
	s_delay_alu instid0(VALU_DEP_3) | instskip(NEXT) | instid1(VALU_DEP_2)
	v_cmp_lt_u32_e32 vcc_lo, 10, v107
	v_pk_add_f32 v[102:103], v[102:103], v[108:109]
	s_or_b32 s5, vcc_lo, s5
	s_delay_alu instid0(SALU_CYCLE_1)
	s_and_not1_b32 exec_lo, exec_lo, s5
	s_cbranch_execnz .LBB112_597
; %bb.598:
	s_or_b32 exec_lo, exec_lo, s5
.LBB112_599:
	s_delay_alu instid0(SALU_CYCLE_1) | instskip(SKIP_4) | instid1(VALU_DEP_1)
	s_or_b32 exec_lo, exec_lo, s4
	v_mov_b32_e32 v105, 0
	ds_load_b64 v[106:107], v105 offset:96
	s_wait_dscnt 0x0
	v_pk_mul_f32 v[108:109], v[102:103], v[106:107] op_sel:[1,1] op_sel_hi:[0,1]
	v_pk_fma_f32 v[110:111], v[102:103], v[106:107], v[108:109] op_sel_hi:[1,0,1]
	v_pk_fma_f32 v[102:103], v[102:103], v[106:107], v[108:109] neg_lo:[0,0,1] neg_hi:[0,0,1]
	s_delay_alu instid0(VALU_DEP_2)
	v_mov_b32_e32 v103, v111
	scratch_store_b64 off, v[102:103], off offset:96
.LBB112_600:
	s_wait_xcnt 0x0
	s_or_b32 exec_lo, exec_lo, s0
	scratch_load_b64 v[102:103], off, off offset:104
	s_mov_b32 s0, exec_lo
	s_wait_loadcnt 0x0
	ds_store_b64 v1, v[102:103]
	s_wait_storecnt_dscnt 0x0
	s_barrier_signal -1
	s_barrier_wait -1
	s_wait_xcnt 0x0
	v_cmpx_gt_u32_e32 13, v0
	s_cbranch_execz .LBB112_610
; %bb.601:
	v_cmp_ne_u32_e32 vcc_lo, 1, v104
	s_cbranch_vccnz .LBB112_603
; %bb.602:
	scratch_load_b64 v[102:103], v59, off
	ds_load_b64 v[106:107], v1
	s_wait_loadcnt_dscnt 0x0
	v_pk_mul_f32 v[108:109], v[106:107], v[102:103] op_sel:[1,1] op_sel_hi:[0,1]
	s_delay_alu instid0(VALU_DEP_1) | instskip(SKIP_1) | instid1(VALU_DEP_2)
	v_pk_fma_f32 v[110:111], v[106:107], v[102:103], v[108:109] op_sel_hi:[1,0,1]
	v_pk_fma_f32 v[102:103], v[106:107], v[102:103], v[108:109] neg_lo:[0,0,1] neg_hi:[0,0,1]
	v_mov_b32_e32 v103, v111
	s_cbranch_execz .LBB112_604
	s_branch .LBB112_605
.LBB112_603:
                                        ; implicit-def: $vgpr102_vgpr103
.LBB112_604:
	ds_load_b64 v[102:103], v1
.LBB112_605:
	s_mov_b32 s4, exec_lo
	v_cmpx_ne_u32_e32 12, v0
	s_cbranch_execz .LBB112_609
; %bb.606:
	v_add_nc_u32_e32 v105, 0x198, v58
	v_add3_u32 v106, 0, v58, 8
	v_mov_b32_e32 v107, v0
	s_mov_b32 s5, 0
.LBB112_607:                            ; =>This Inner Loop Header: Depth=1
	scratch_load_b64 v[108:109], v106, off
	ds_load_b64 v[110:111], v105
	s_wait_xcnt 0x0
	v_dual_add_nc_u32 v105, 8, v105 :: v_dual_add_nc_u32 v106, 8, v106
	s_wait_loadcnt_dscnt 0x0
	v_pk_mul_f32 v[112:113], v[110:111], v[108:109] op_sel:[1,1] op_sel_hi:[0,1]
	s_delay_alu instid0(VALU_DEP_1) | instskip(SKIP_2) | instid1(VALU_DEP_3)
	v_pk_fma_f32 v[114:115], v[110:111], v[108:109], v[112:113] op_sel_hi:[1,0,1]
	v_add_nc_u32_e32 v107, 1, v107
	v_pk_fma_f32 v[108:109], v[110:111], v[108:109], v[112:113] neg_lo:[0,0,1] neg_hi:[0,0,1]
	v_mov_b32_e32 v109, v115
	s_delay_alu instid0(VALU_DEP_3) | instskip(NEXT) | instid1(VALU_DEP_2)
	v_cmp_lt_u32_e32 vcc_lo, 11, v107
	v_pk_add_f32 v[102:103], v[102:103], v[108:109]
	s_or_b32 s5, vcc_lo, s5
	s_delay_alu instid0(SALU_CYCLE_1)
	s_and_not1_b32 exec_lo, exec_lo, s5
	s_cbranch_execnz .LBB112_607
; %bb.608:
	s_or_b32 exec_lo, exec_lo, s5
.LBB112_609:
	s_delay_alu instid0(SALU_CYCLE_1) | instskip(SKIP_4) | instid1(VALU_DEP_1)
	s_or_b32 exec_lo, exec_lo, s4
	v_mov_b32_e32 v105, 0
	ds_load_b64 v[106:107], v105 offset:104
	s_wait_dscnt 0x0
	v_pk_mul_f32 v[108:109], v[102:103], v[106:107] op_sel:[1,1] op_sel_hi:[0,1]
	v_pk_fma_f32 v[110:111], v[102:103], v[106:107], v[108:109] op_sel_hi:[1,0,1]
	v_pk_fma_f32 v[102:103], v[102:103], v[106:107], v[108:109] neg_lo:[0,0,1] neg_hi:[0,0,1]
	s_delay_alu instid0(VALU_DEP_2)
	v_mov_b32_e32 v103, v111
	scratch_store_b64 off, v[102:103], off offset:104
.LBB112_610:
	s_wait_xcnt 0x0
	s_or_b32 exec_lo, exec_lo, s0
	scratch_load_b64 v[102:103], off, off offset:112
	s_mov_b32 s0, exec_lo
	s_wait_loadcnt 0x0
	ds_store_b64 v1, v[102:103]
	s_wait_storecnt_dscnt 0x0
	s_barrier_signal -1
	s_barrier_wait -1
	s_wait_xcnt 0x0
	v_cmpx_gt_u32_e32 14, v0
	s_cbranch_execz .LBB112_620
; %bb.611:
	v_cmp_ne_u32_e32 vcc_lo, 1, v104
	s_cbranch_vccnz .LBB112_613
; %bb.612:
	scratch_load_b64 v[102:103], v59, off
	ds_load_b64 v[106:107], v1
	s_wait_loadcnt_dscnt 0x0
	v_pk_mul_f32 v[108:109], v[106:107], v[102:103] op_sel:[1,1] op_sel_hi:[0,1]
	s_delay_alu instid0(VALU_DEP_1) | instskip(SKIP_1) | instid1(VALU_DEP_2)
	v_pk_fma_f32 v[110:111], v[106:107], v[102:103], v[108:109] op_sel_hi:[1,0,1]
	v_pk_fma_f32 v[102:103], v[106:107], v[102:103], v[108:109] neg_lo:[0,0,1] neg_hi:[0,0,1]
	v_mov_b32_e32 v103, v111
	s_cbranch_execz .LBB112_614
	s_branch .LBB112_615
.LBB112_613:
                                        ; implicit-def: $vgpr102_vgpr103
.LBB112_614:
	ds_load_b64 v[102:103], v1
.LBB112_615:
	s_mov_b32 s4, exec_lo
	v_cmpx_ne_u32_e32 13, v0
	s_cbranch_execz .LBB112_619
; %bb.616:
	v_add_nc_u32_e32 v105, 0x198, v58
	v_add3_u32 v106, 0, v58, 8
	v_mov_b32_e32 v107, v0
	s_mov_b32 s5, 0
.LBB112_617:                            ; =>This Inner Loop Header: Depth=1
	scratch_load_b64 v[108:109], v106, off
	ds_load_b64 v[110:111], v105
	s_wait_xcnt 0x0
	v_dual_add_nc_u32 v105, 8, v105 :: v_dual_add_nc_u32 v106, 8, v106
	s_wait_loadcnt_dscnt 0x0
	v_pk_mul_f32 v[112:113], v[110:111], v[108:109] op_sel:[1,1] op_sel_hi:[0,1]
	s_delay_alu instid0(VALU_DEP_1) | instskip(SKIP_2) | instid1(VALU_DEP_3)
	v_pk_fma_f32 v[114:115], v[110:111], v[108:109], v[112:113] op_sel_hi:[1,0,1]
	v_add_nc_u32_e32 v107, 1, v107
	v_pk_fma_f32 v[108:109], v[110:111], v[108:109], v[112:113] neg_lo:[0,0,1] neg_hi:[0,0,1]
	v_mov_b32_e32 v109, v115
	s_delay_alu instid0(VALU_DEP_3) | instskip(NEXT) | instid1(VALU_DEP_2)
	v_cmp_lt_u32_e32 vcc_lo, 12, v107
	v_pk_add_f32 v[102:103], v[102:103], v[108:109]
	s_or_b32 s5, vcc_lo, s5
	s_delay_alu instid0(SALU_CYCLE_1)
	s_and_not1_b32 exec_lo, exec_lo, s5
	s_cbranch_execnz .LBB112_617
; %bb.618:
	s_or_b32 exec_lo, exec_lo, s5
.LBB112_619:
	s_delay_alu instid0(SALU_CYCLE_1) | instskip(SKIP_4) | instid1(VALU_DEP_1)
	s_or_b32 exec_lo, exec_lo, s4
	v_mov_b32_e32 v105, 0
	ds_load_b64 v[106:107], v105 offset:112
	s_wait_dscnt 0x0
	v_pk_mul_f32 v[108:109], v[102:103], v[106:107] op_sel:[1,1] op_sel_hi:[0,1]
	v_pk_fma_f32 v[110:111], v[102:103], v[106:107], v[108:109] op_sel_hi:[1,0,1]
	v_pk_fma_f32 v[102:103], v[102:103], v[106:107], v[108:109] neg_lo:[0,0,1] neg_hi:[0,0,1]
	s_delay_alu instid0(VALU_DEP_2)
	v_mov_b32_e32 v103, v111
	scratch_store_b64 off, v[102:103], off offset:112
.LBB112_620:
	s_wait_xcnt 0x0
	s_or_b32 exec_lo, exec_lo, s0
	scratch_load_b64 v[102:103], off, off offset:120
	s_mov_b32 s0, exec_lo
	s_wait_loadcnt 0x0
	ds_store_b64 v1, v[102:103]
	s_wait_storecnt_dscnt 0x0
	s_barrier_signal -1
	s_barrier_wait -1
	s_wait_xcnt 0x0
	v_cmpx_gt_u32_e32 15, v0
	s_cbranch_execz .LBB112_630
; %bb.621:
	v_cmp_ne_u32_e32 vcc_lo, 1, v104
	s_cbranch_vccnz .LBB112_623
; %bb.622:
	scratch_load_b64 v[102:103], v59, off
	ds_load_b64 v[106:107], v1
	s_wait_loadcnt_dscnt 0x0
	v_pk_mul_f32 v[108:109], v[106:107], v[102:103] op_sel:[1,1] op_sel_hi:[0,1]
	s_delay_alu instid0(VALU_DEP_1) | instskip(SKIP_1) | instid1(VALU_DEP_2)
	v_pk_fma_f32 v[110:111], v[106:107], v[102:103], v[108:109] op_sel_hi:[1,0,1]
	v_pk_fma_f32 v[102:103], v[106:107], v[102:103], v[108:109] neg_lo:[0,0,1] neg_hi:[0,0,1]
	v_mov_b32_e32 v103, v111
	s_cbranch_execz .LBB112_624
	s_branch .LBB112_625
.LBB112_623:
                                        ; implicit-def: $vgpr102_vgpr103
.LBB112_624:
	ds_load_b64 v[102:103], v1
.LBB112_625:
	s_mov_b32 s4, exec_lo
	v_cmpx_ne_u32_e32 14, v0
	s_cbranch_execz .LBB112_629
; %bb.626:
	v_add_nc_u32_e32 v105, 0x198, v58
	v_add3_u32 v106, 0, v58, 8
	v_mov_b32_e32 v107, v0
	s_mov_b32 s5, 0
.LBB112_627:                            ; =>This Inner Loop Header: Depth=1
	scratch_load_b64 v[108:109], v106, off
	ds_load_b64 v[110:111], v105
	s_wait_xcnt 0x0
	v_dual_add_nc_u32 v105, 8, v105 :: v_dual_add_nc_u32 v106, 8, v106
	s_wait_loadcnt_dscnt 0x0
	v_pk_mul_f32 v[112:113], v[110:111], v[108:109] op_sel:[1,1] op_sel_hi:[0,1]
	s_delay_alu instid0(VALU_DEP_1) | instskip(SKIP_2) | instid1(VALU_DEP_3)
	v_pk_fma_f32 v[114:115], v[110:111], v[108:109], v[112:113] op_sel_hi:[1,0,1]
	v_add_nc_u32_e32 v107, 1, v107
	v_pk_fma_f32 v[108:109], v[110:111], v[108:109], v[112:113] neg_lo:[0,0,1] neg_hi:[0,0,1]
	v_mov_b32_e32 v109, v115
	s_delay_alu instid0(VALU_DEP_3) | instskip(NEXT) | instid1(VALU_DEP_2)
	v_cmp_lt_u32_e32 vcc_lo, 13, v107
	v_pk_add_f32 v[102:103], v[102:103], v[108:109]
	s_or_b32 s5, vcc_lo, s5
	s_delay_alu instid0(SALU_CYCLE_1)
	s_and_not1_b32 exec_lo, exec_lo, s5
	s_cbranch_execnz .LBB112_627
; %bb.628:
	s_or_b32 exec_lo, exec_lo, s5
.LBB112_629:
	s_delay_alu instid0(SALU_CYCLE_1) | instskip(SKIP_4) | instid1(VALU_DEP_1)
	s_or_b32 exec_lo, exec_lo, s4
	v_mov_b32_e32 v105, 0
	ds_load_b64 v[106:107], v105 offset:120
	s_wait_dscnt 0x0
	v_pk_mul_f32 v[108:109], v[102:103], v[106:107] op_sel:[1,1] op_sel_hi:[0,1]
	v_pk_fma_f32 v[110:111], v[102:103], v[106:107], v[108:109] op_sel_hi:[1,0,1]
	v_pk_fma_f32 v[102:103], v[102:103], v[106:107], v[108:109] neg_lo:[0,0,1] neg_hi:[0,0,1]
	s_delay_alu instid0(VALU_DEP_2)
	v_mov_b32_e32 v103, v111
	scratch_store_b64 off, v[102:103], off offset:120
.LBB112_630:
	s_wait_xcnt 0x0
	s_or_b32 exec_lo, exec_lo, s0
	scratch_load_b64 v[102:103], off, off offset:128
	s_mov_b32 s0, exec_lo
	s_wait_loadcnt 0x0
	ds_store_b64 v1, v[102:103]
	s_wait_storecnt_dscnt 0x0
	s_barrier_signal -1
	s_barrier_wait -1
	s_wait_xcnt 0x0
	v_cmpx_gt_u32_e32 16, v0
	s_cbranch_execz .LBB112_640
; %bb.631:
	v_cmp_ne_u32_e32 vcc_lo, 1, v104
	s_cbranch_vccnz .LBB112_633
; %bb.632:
	scratch_load_b64 v[102:103], v59, off
	ds_load_b64 v[106:107], v1
	s_wait_loadcnt_dscnt 0x0
	v_pk_mul_f32 v[108:109], v[106:107], v[102:103] op_sel:[1,1] op_sel_hi:[0,1]
	s_delay_alu instid0(VALU_DEP_1) | instskip(SKIP_1) | instid1(VALU_DEP_2)
	v_pk_fma_f32 v[110:111], v[106:107], v[102:103], v[108:109] op_sel_hi:[1,0,1]
	v_pk_fma_f32 v[102:103], v[106:107], v[102:103], v[108:109] neg_lo:[0,0,1] neg_hi:[0,0,1]
	v_mov_b32_e32 v103, v111
	s_cbranch_execz .LBB112_634
	s_branch .LBB112_635
.LBB112_633:
                                        ; implicit-def: $vgpr102_vgpr103
.LBB112_634:
	ds_load_b64 v[102:103], v1
.LBB112_635:
	s_mov_b32 s4, exec_lo
	v_cmpx_ne_u32_e32 15, v0
	s_cbranch_execz .LBB112_639
; %bb.636:
	v_add_nc_u32_e32 v105, 0x198, v58
	v_add3_u32 v106, 0, v58, 8
	v_mov_b32_e32 v107, v0
	s_mov_b32 s5, 0
.LBB112_637:                            ; =>This Inner Loop Header: Depth=1
	scratch_load_b64 v[108:109], v106, off
	ds_load_b64 v[110:111], v105
	s_wait_xcnt 0x0
	v_dual_add_nc_u32 v105, 8, v105 :: v_dual_add_nc_u32 v106, 8, v106
	s_wait_loadcnt_dscnt 0x0
	v_pk_mul_f32 v[112:113], v[110:111], v[108:109] op_sel:[1,1] op_sel_hi:[0,1]
	s_delay_alu instid0(VALU_DEP_1) | instskip(SKIP_2) | instid1(VALU_DEP_3)
	v_pk_fma_f32 v[114:115], v[110:111], v[108:109], v[112:113] op_sel_hi:[1,0,1]
	v_add_nc_u32_e32 v107, 1, v107
	v_pk_fma_f32 v[108:109], v[110:111], v[108:109], v[112:113] neg_lo:[0,0,1] neg_hi:[0,0,1]
	v_mov_b32_e32 v109, v115
	s_delay_alu instid0(VALU_DEP_3) | instskip(NEXT) | instid1(VALU_DEP_2)
	v_cmp_lt_u32_e32 vcc_lo, 14, v107
	v_pk_add_f32 v[102:103], v[102:103], v[108:109]
	s_or_b32 s5, vcc_lo, s5
	s_delay_alu instid0(SALU_CYCLE_1)
	s_and_not1_b32 exec_lo, exec_lo, s5
	s_cbranch_execnz .LBB112_637
; %bb.638:
	s_or_b32 exec_lo, exec_lo, s5
.LBB112_639:
	s_delay_alu instid0(SALU_CYCLE_1) | instskip(SKIP_4) | instid1(VALU_DEP_1)
	s_or_b32 exec_lo, exec_lo, s4
	v_mov_b32_e32 v105, 0
	ds_load_b64 v[106:107], v105 offset:128
	s_wait_dscnt 0x0
	v_pk_mul_f32 v[108:109], v[102:103], v[106:107] op_sel:[1,1] op_sel_hi:[0,1]
	v_pk_fma_f32 v[110:111], v[102:103], v[106:107], v[108:109] op_sel_hi:[1,0,1]
	v_pk_fma_f32 v[102:103], v[102:103], v[106:107], v[108:109] neg_lo:[0,0,1] neg_hi:[0,0,1]
	s_delay_alu instid0(VALU_DEP_2)
	v_mov_b32_e32 v103, v111
	scratch_store_b64 off, v[102:103], off offset:128
.LBB112_640:
	s_wait_xcnt 0x0
	s_or_b32 exec_lo, exec_lo, s0
	scratch_load_b64 v[102:103], off, off offset:136
	s_mov_b32 s0, exec_lo
	s_wait_loadcnt 0x0
	ds_store_b64 v1, v[102:103]
	s_wait_storecnt_dscnt 0x0
	s_barrier_signal -1
	s_barrier_wait -1
	s_wait_xcnt 0x0
	v_cmpx_gt_u32_e32 17, v0
	s_cbranch_execz .LBB112_650
; %bb.641:
	v_cmp_ne_u32_e32 vcc_lo, 1, v104
	s_cbranch_vccnz .LBB112_643
; %bb.642:
	scratch_load_b64 v[102:103], v59, off
	ds_load_b64 v[106:107], v1
	s_wait_loadcnt_dscnt 0x0
	v_pk_mul_f32 v[108:109], v[106:107], v[102:103] op_sel:[1,1] op_sel_hi:[0,1]
	s_delay_alu instid0(VALU_DEP_1) | instskip(SKIP_1) | instid1(VALU_DEP_2)
	v_pk_fma_f32 v[110:111], v[106:107], v[102:103], v[108:109] op_sel_hi:[1,0,1]
	v_pk_fma_f32 v[102:103], v[106:107], v[102:103], v[108:109] neg_lo:[0,0,1] neg_hi:[0,0,1]
	v_mov_b32_e32 v103, v111
	s_cbranch_execz .LBB112_644
	s_branch .LBB112_645
.LBB112_643:
                                        ; implicit-def: $vgpr102_vgpr103
.LBB112_644:
	ds_load_b64 v[102:103], v1
.LBB112_645:
	s_mov_b32 s4, exec_lo
	v_cmpx_ne_u32_e32 16, v0
	s_cbranch_execz .LBB112_649
; %bb.646:
	v_add_nc_u32_e32 v105, 0x198, v58
	v_add3_u32 v106, 0, v58, 8
	v_mov_b32_e32 v107, v0
	s_mov_b32 s5, 0
.LBB112_647:                            ; =>This Inner Loop Header: Depth=1
	scratch_load_b64 v[108:109], v106, off
	ds_load_b64 v[110:111], v105
	s_wait_xcnt 0x0
	v_dual_add_nc_u32 v105, 8, v105 :: v_dual_add_nc_u32 v106, 8, v106
	s_wait_loadcnt_dscnt 0x0
	v_pk_mul_f32 v[112:113], v[110:111], v[108:109] op_sel:[1,1] op_sel_hi:[0,1]
	s_delay_alu instid0(VALU_DEP_1) | instskip(SKIP_2) | instid1(VALU_DEP_3)
	v_pk_fma_f32 v[114:115], v[110:111], v[108:109], v[112:113] op_sel_hi:[1,0,1]
	v_add_nc_u32_e32 v107, 1, v107
	v_pk_fma_f32 v[108:109], v[110:111], v[108:109], v[112:113] neg_lo:[0,0,1] neg_hi:[0,0,1]
	v_mov_b32_e32 v109, v115
	s_delay_alu instid0(VALU_DEP_3) | instskip(NEXT) | instid1(VALU_DEP_2)
	v_cmp_lt_u32_e32 vcc_lo, 15, v107
	v_pk_add_f32 v[102:103], v[102:103], v[108:109]
	s_or_b32 s5, vcc_lo, s5
	s_delay_alu instid0(SALU_CYCLE_1)
	s_and_not1_b32 exec_lo, exec_lo, s5
	s_cbranch_execnz .LBB112_647
; %bb.648:
	s_or_b32 exec_lo, exec_lo, s5
.LBB112_649:
	s_delay_alu instid0(SALU_CYCLE_1) | instskip(SKIP_4) | instid1(VALU_DEP_1)
	s_or_b32 exec_lo, exec_lo, s4
	v_mov_b32_e32 v105, 0
	ds_load_b64 v[106:107], v105 offset:136
	s_wait_dscnt 0x0
	v_pk_mul_f32 v[108:109], v[102:103], v[106:107] op_sel:[1,1] op_sel_hi:[0,1]
	v_pk_fma_f32 v[110:111], v[102:103], v[106:107], v[108:109] op_sel_hi:[1,0,1]
	v_pk_fma_f32 v[102:103], v[102:103], v[106:107], v[108:109] neg_lo:[0,0,1] neg_hi:[0,0,1]
	s_delay_alu instid0(VALU_DEP_2)
	v_mov_b32_e32 v103, v111
	scratch_store_b64 off, v[102:103], off offset:136
.LBB112_650:
	s_wait_xcnt 0x0
	s_or_b32 exec_lo, exec_lo, s0
	scratch_load_b64 v[102:103], off, off offset:144
	s_mov_b32 s0, exec_lo
	s_wait_loadcnt 0x0
	ds_store_b64 v1, v[102:103]
	s_wait_storecnt_dscnt 0x0
	s_barrier_signal -1
	s_barrier_wait -1
	s_wait_xcnt 0x0
	v_cmpx_gt_u32_e32 18, v0
	s_cbranch_execz .LBB112_660
; %bb.651:
	v_cmp_ne_u32_e32 vcc_lo, 1, v104
	s_cbranch_vccnz .LBB112_653
; %bb.652:
	scratch_load_b64 v[102:103], v59, off
	ds_load_b64 v[106:107], v1
	s_wait_loadcnt_dscnt 0x0
	v_pk_mul_f32 v[108:109], v[106:107], v[102:103] op_sel:[1,1] op_sel_hi:[0,1]
	s_delay_alu instid0(VALU_DEP_1) | instskip(SKIP_1) | instid1(VALU_DEP_2)
	v_pk_fma_f32 v[110:111], v[106:107], v[102:103], v[108:109] op_sel_hi:[1,0,1]
	v_pk_fma_f32 v[102:103], v[106:107], v[102:103], v[108:109] neg_lo:[0,0,1] neg_hi:[0,0,1]
	v_mov_b32_e32 v103, v111
	s_cbranch_execz .LBB112_654
	s_branch .LBB112_655
.LBB112_653:
                                        ; implicit-def: $vgpr102_vgpr103
.LBB112_654:
	ds_load_b64 v[102:103], v1
.LBB112_655:
	s_mov_b32 s4, exec_lo
	v_cmpx_ne_u32_e32 17, v0
	s_cbranch_execz .LBB112_659
; %bb.656:
	v_add_nc_u32_e32 v105, 0x198, v58
	v_add3_u32 v106, 0, v58, 8
	v_mov_b32_e32 v107, v0
	s_mov_b32 s5, 0
.LBB112_657:                            ; =>This Inner Loop Header: Depth=1
	scratch_load_b64 v[108:109], v106, off
	ds_load_b64 v[110:111], v105
	s_wait_xcnt 0x0
	v_dual_add_nc_u32 v105, 8, v105 :: v_dual_add_nc_u32 v106, 8, v106
	s_wait_loadcnt_dscnt 0x0
	v_pk_mul_f32 v[112:113], v[110:111], v[108:109] op_sel:[1,1] op_sel_hi:[0,1]
	s_delay_alu instid0(VALU_DEP_1) | instskip(SKIP_2) | instid1(VALU_DEP_3)
	v_pk_fma_f32 v[114:115], v[110:111], v[108:109], v[112:113] op_sel_hi:[1,0,1]
	v_add_nc_u32_e32 v107, 1, v107
	v_pk_fma_f32 v[108:109], v[110:111], v[108:109], v[112:113] neg_lo:[0,0,1] neg_hi:[0,0,1]
	v_mov_b32_e32 v109, v115
	s_delay_alu instid0(VALU_DEP_3) | instskip(NEXT) | instid1(VALU_DEP_2)
	v_cmp_lt_u32_e32 vcc_lo, 16, v107
	v_pk_add_f32 v[102:103], v[102:103], v[108:109]
	s_or_b32 s5, vcc_lo, s5
	s_delay_alu instid0(SALU_CYCLE_1)
	s_and_not1_b32 exec_lo, exec_lo, s5
	s_cbranch_execnz .LBB112_657
; %bb.658:
	s_or_b32 exec_lo, exec_lo, s5
.LBB112_659:
	s_delay_alu instid0(SALU_CYCLE_1) | instskip(SKIP_4) | instid1(VALU_DEP_1)
	s_or_b32 exec_lo, exec_lo, s4
	v_mov_b32_e32 v105, 0
	ds_load_b64 v[106:107], v105 offset:144
	s_wait_dscnt 0x0
	v_pk_mul_f32 v[108:109], v[102:103], v[106:107] op_sel:[1,1] op_sel_hi:[0,1]
	v_pk_fma_f32 v[110:111], v[102:103], v[106:107], v[108:109] op_sel_hi:[1,0,1]
	v_pk_fma_f32 v[102:103], v[102:103], v[106:107], v[108:109] neg_lo:[0,0,1] neg_hi:[0,0,1]
	s_delay_alu instid0(VALU_DEP_2)
	v_mov_b32_e32 v103, v111
	scratch_store_b64 off, v[102:103], off offset:144
.LBB112_660:
	s_wait_xcnt 0x0
	s_or_b32 exec_lo, exec_lo, s0
	scratch_load_b64 v[102:103], off, off offset:152
	s_mov_b32 s0, exec_lo
	s_wait_loadcnt 0x0
	ds_store_b64 v1, v[102:103]
	s_wait_storecnt_dscnt 0x0
	s_barrier_signal -1
	s_barrier_wait -1
	s_wait_xcnt 0x0
	v_cmpx_gt_u32_e32 19, v0
	s_cbranch_execz .LBB112_670
; %bb.661:
	v_cmp_ne_u32_e32 vcc_lo, 1, v104
	s_cbranch_vccnz .LBB112_663
; %bb.662:
	scratch_load_b64 v[102:103], v59, off
	ds_load_b64 v[106:107], v1
	s_wait_loadcnt_dscnt 0x0
	v_pk_mul_f32 v[108:109], v[106:107], v[102:103] op_sel:[1,1] op_sel_hi:[0,1]
	s_delay_alu instid0(VALU_DEP_1) | instskip(SKIP_1) | instid1(VALU_DEP_2)
	v_pk_fma_f32 v[110:111], v[106:107], v[102:103], v[108:109] op_sel_hi:[1,0,1]
	v_pk_fma_f32 v[102:103], v[106:107], v[102:103], v[108:109] neg_lo:[0,0,1] neg_hi:[0,0,1]
	v_mov_b32_e32 v103, v111
	s_cbranch_execz .LBB112_664
	s_branch .LBB112_665
.LBB112_663:
                                        ; implicit-def: $vgpr102_vgpr103
.LBB112_664:
	ds_load_b64 v[102:103], v1
.LBB112_665:
	s_mov_b32 s4, exec_lo
	v_cmpx_ne_u32_e32 18, v0
	s_cbranch_execz .LBB112_669
; %bb.666:
	v_add_nc_u32_e32 v105, 0x198, v58
	v_add3_u32 v106, 0, v58, 8
	v_mov_b32_e32 v107, v0
	s_mov_b32 s5, 0
.LBB112_667:                            ; =>This Inner Loop Header: Depth=1
	scratch_load_b64 v[108:109], v106, off
	ds_load_b64 v[110:111], v105
	s_wait_xcnt 0x0
	v_dual_add_nc_u32 v105, 8, v105 :: v_dual_add_nc_u32 v106, 8, v106
	s_wait_loadcnt_dscnt 0x0
	v_pk_mul_f32 v[112:113], v[110:111], v[108:109] op_sel:[1,1] op_sel_hi:[0,1]
	s_delay_alu instid0(VALU_DEP_1) | instskip(SKIP_2) | instid1(VALU_DEP_3)
	v_pk_fma_f32 v[114:115], v[110:111], v[108:109], v[112:113] op_sel_hi:[1,0,1]
	v_add_nc_u32_e32 v107, 1, v107
	v_pk_fma_f32 v[108:109], v[110:111], v[108:109], v[112:113] neg_lo:[0,0,1] neg_hi:[0,0,1]
	v_mov_b32_e32 v109, v115
	s_delay_alu instid0(VALU_DEP_3) | instskip(NEXT) | instid1(VALU_DEP_2)
	v_cmp_lt_u32_e32 vcc_lo, 17, v107
	v_pk_add_f32 v[102:103], v[102:103], v[108:109]
	s_or_b32 s5, vcc_lo, s5
	s_delay_alu instid0(SALU_CYCLE_1)
	s_and_not1_b32 exec_lo, exec_lo, s5
	s_cbranch_execnz .LBB112_667
; %bb.668:
	s_or_b32 exec_lo, exec_lo, s5
.LBB112_669:
	s_delay_alu instid0(SALU_CYCLE_1) | instskip(SKIP_4) | instid1(VALU_DEP_1)
	s_or_b32 exec_lo, exec_lo, s4
	v_mov_b32_e32 v105, 0
	ds_load_b64 v[106:107], v105 offset:152
	s_wait_dscnt 0x0
	v_pk_mul_f32 v[108:109], v[102:103], v[106:107] op_sel:[1,1] op_sel_hi:[0,1]
	v_pk_fma_f32 v[110:111], v[102:103], v[106:107], v[108:109] op_sel_hi:[1,0,1]
	v_pk_fma_f32 v[102:103], v[102:103], v[106:107], v[108:109] neg_lo:[0,0,1] neg_hi:[0,0,1]
	s_delay_alu instid0(VALU_DEP_2)
	v_mov_b32_e32 v103, v111
	scratch_store_b64 off, v[102:103], off offset:152
.LBB112_670:
	s_wait_xcnt 0x0
	s_or_b32 exec_lo, exec_lo, s0
	scratch_load_b64 v[102:103], off, off offset:160
	s_mov_b32 s0, exec_lo
	s_wait_loadcnt 0x0
	ds_store_b64 v1, v[102:103]
	s_wait_storecnt_dscnt 0x0
	s_barrier_signal -1
	s_barrier_wait -1
	s_wait_xcnt 0x0
	v_cmpx_gt_u32_e32 20, v0
	s_cbranch_execz .LBB112_680
; %bb.671:
	v_cmp_ne_u32_e32 vcc_lo, 1, v104
	s_cbranch_vccnz .LBB112_673
; %bb.672:
	scratch_load_b64 v[102:103], v59, off
	ds_load_b64 v[106:107], v1
	s_wait_loadcnt_dscnt 0x0
	v_pk_mul_f32 v[108:109], v[106:107], v[102:103] op_sel:[1,1] op_sel_hi:[0,1]
	s_delay_alu instid0(VALU_DEP_1) | instskip(SKIP_1) | instid1(VALU_DEP_2)
	v_pk_fma_f32 v[110:111], v[106:107], v[102:103], v[108:109] op_sel_hi:[1,0,1]
	v_pk_fma_f32 v[102:103], v[106:107], v[102:103], v[108:109] neg_lo:[0,0,1] neg_hi:[0,0,1]
	v_mov_b32_e32 v103, v111
	s_cbranch_execz .LBB112_674
	s_branch .LBB112_675
.LBB112_673:
                                        ; implicit-def: $vgpr102_vgpr103
.LBB112_674:
	ds_load_b64 v[102:103], v1
.LBB112_675:
	s_mov_b32 s4, exec_lo
	v_cmpx_ne_u32_e32 19, v0
	s_cbranch_execz .LBB112_679
; %bb.676:
	v_add_nc_u32_e32 v105, 0x198, v58
	v_add3_u32 v106, 0, v58, 8
	v_mov_b32_e32 v107, v0
	s_mov_b32 s5, 0
.LBB112_677:                            ; =>This Inner Loop Header: Depth=1
	scratch_load_b64 v[108:109], v106, off
	ds_load_b64 v[110:111], v105
	s_wait_xcnt 0x0
	v_dual_add_nc_u32 v105, 8, v105 :: v_dual_add_nc_u32 v106, 8, v106
	s_wait_loadcnt_dscnt 0x0
	v_pk_mul_f32 v[112:113], v[110:111], v[108:109] op_sel:[1,1] op_sel_hi:[0,1]
	s_delay_alu instid0(VALU_DEP_1) | instskip(SKIP_2) | instid1(VALU_DEP_3)
	v_pk_fma_f32 v[114:115], v[110:111], v[108:109], v[112:113] op_sel_hi:[1,0,1]
	v_add_nc_u32_e32 v107, 1, v107
	v_pk_fma_f32 v[108:109], v[110:111], v[108:109], v[112:113] neg_lo:[0,0,1] neg_hi:[0,0,1]
	v_mov_b32_e32 v109, v115
	s_delay_alu instid0(VALU_DEP_3) | instskip(NEXT) | instid1(VALU_DEP_2)
	v_cmp_lt_u32_e32 vcc_lo, 18, v107
	v_pk_add_f32 v[102:103], v[102:103], v[108:109]
	s_or_b32 s5, vcc_lo, s5
	s_delay_alu instid0(SALU_CYCLE_1)
	s_and_not1_b32 exec_lo, exec_lo, s5
	s_cbranch_execnz .LBB112_677
; %bb.678:
	s_or_b32 exec_lo, exec_lo, s5
.LBB112_679:
	s_delay_alu instid0(SALU_CYCLE_1) | instskip(SKIP_4) | instid1(VALU_DEP_1)
	s_or_b32 exec_lo, exec_lo, s4
	v_mov_b32_e32 v105, 0
	ds_load_b64 v[106:107], v105 offset:160
	s_wait_dscnt 0x0
	v_pk_mul_f32 v[108:109], v[102:103], v[106:107] op_sel:[1,1] op_sel_hi:[0,1]
	v_pk_fma_f32 v[110:111], v[102:103], v[106:107], v[108:109] op_sel_hi:[1,0,1]
	v_pk_fma_f32 v[102:103], v[102:103], v[106:107], v[108:109] neg_lo:[0,0,1] neg_hi:[0,0,1]
	s_delay_alu instid0(VALU_DEP_2)
	v_mov_b32_e32 v103, v111
	scratch_store_b64 off, v[102:103], off offset:160
.LBB112_680:
	s_wait_xcnt 0x0
	s_or_b32 exec_lo, exec_lo, s0
	scratch_load_b64 v[102:103], off, off offset:168
	s_mov_b32 s0, exec_lo
	s_wait_loadcnt 0x0
	ds_store_b64 v1, v[102:103]
	s_wait_storecnt_dscnt 0x0
	s_barrier_signal -1
	s_barrier_wait -1
	s_wait_xcnt 0x0
	v_cmpx_gt_u32_e32 21, v0
	s_cbranch_execz .LBB112_690
; %bb.681:
	v_cmp_ne_u32_e32 vcc_lo, 1, v104
	s_cbranch_vccnz .LBB112_683
; %bb.682:
	scratch_load_b64 v[102:103], v59, off
	ds_load_b64 v[106:107], v1
	s_wait_loadcnt_dscnt 0x0
	v_pk_mul_f32 v[108:109], v[106:107], v[102:103] op_sel:[1,1] op_sel_hi:[0,1]
	s_delay_alu instid0(VALU_DEP_1) | instskip(SKIP_1) | instid1(VALU_DEP_2)
	v_pk_fma_f32 v[110:111], v[106:107], v[102:103], v[108:109] op_sel_hi:[1,0,1]
	v_pk_fma_f32 v[102:103], v[106:107], v[102:103], v[108:109] neg_lo:[0,0,1] neg_hi:[0,0,1]
	v_mov_b32_e32 v103, v111
	s_cbranch_execz .LBB112_684
	s_branch .LBB112_685
.LBB112_683:
                                        ; implicit-def: $vgpr102_vgpr103
.LBB112_684:
	ds_load_b64 v[102:103], v1
.LBB112_685:
	s_mov_b32 s4, exec_lo
	v_cmpx_ne_u32_e32 20, v0
	s_cbranch_execz .LBB112_689
; %bb.686:
	v_add_nc_u32_e32 v105, 0x198, v58
	v_add3_u32 v106, 0, v58, 8
	v_mov_b32_e32 v107, v0
	s_mov_b32 s5, 0
.LBB112_687:                            ; =>This Inner Loop Header: Depth=1
	scratch_load_b64 v[108:109], v106, off
	ds_load_b64 v[110:111], v105
	s_wait_xcnt 0x0
	v_dual_add_nc_u32 v105, 8, v105 :: v_dual_add_nc_u32 v106, 8, v106
	s_wait_loadcnt_dscnt 0x0
	v_pk_mul_f32 v[112:113], v[110:111], v[108:109] op_sel:[1,1] op_sel_hi:[0,1]
	s_delay_alu instid0(VALU_DEP_1) | instskip(SKIP_2) | instid1(VALU_DEP_3)
	v_pk_fma_f32 v[114:115], v[110:111], v[108:109], v[112:113] op_sel_hi:[1,0,1]
	v_add_nc_u32_e32 v107, 1, v107
	v_pk_fma_f32 v[108:109], v[110:111], v[108:109], v[112:113] neg_lo:[0,0,1] neg_hi:[0,0,1]
	v_mov_b32_e32 v109, v115
	s_delay_alu instid0(VALU_DEP_3) | instskip(NEXT) | instid1(VALU_DEP_2)
	v_cmp_lt_u32_e32 vcc_lo, 19, v107
	v_pk_add_f32 v[102:103], v[102:103], v[108:109]
	s_or_b32 s5, vcc_lo, s5
	s_delay_alu instid0(SALU_CYCLE_1)
	s_and_not1_b32 exec_lo, exec_lo, s5
	s_cbranch_execnz .LBB112_687
; %bb.688:
	s_or_b32 exec_lo, exec_lo, s5
.LBB112_689:
	s_delay_alu instid0(SALU_CYCLE_1) | instskip(SKIP_4) | instid1(VALU_DEP_1)
	s_or_b32 exec_lo, exec_lo, s4
	v_mov_b32_e32 v105, 0
	ds_load_b64 v[106:107], v105 offset:168
	s_wait_dscnt 0x0
	v_pk_mul_f32 v[108:109], v[102:103], v[106:107] op_sel:[1,1] op_sel_hi:[0,1]
	v_pk_fma_f32 v[110:111], v[102:103], v[106:107], v[108:109] op_sel_hi:[1,0,1]
	v_pk_fma_f32 v[102:103], v[102:103], v[106:107], v[108:109] neg_lo:[0,0,1] neg_hi:[0,0,1]
	s_delay_alu instid0(VALU_DEP_2)
	v_mov_b32_e32 v103, v111
	scratch_store_b64 off, v[102:103], off offset:168
.LBB112_690:
	s_wait_xcnt 0x0
	s_or_b32 exec_lo, exec_lo, s0
	scratch_load_b64 v[102:103], off, off offset:176
	s_mov_b32 s0, exec_lo
	s_wait_loadcnt 0x0
	ds_store_b64 v1, v[102:103]
	s_wait_storecnt_dscnt 0x0
	s_barrier_signal -1
	s_barrier_wait -1
	s_wait_xcnt 0x0
	v_cmpx_gt_u32_e32 22, v0
	s_cbranch_execz .LBB112_700
; %bb.691:
	v_cmp_ne_u32_e32 vcc_lo, 1, v104
	s_cbranch_vccnz .LBB112_693
; %bb.692:
	scratch_load_b64 v[102:103], v59, off
	ds_load_b64 v[106:107], v1
	s_wait_loadcnt_dscnt 0x0
	v_pk_mul_f32 v[108:109], v[106:107], v[102:103] op_sel:[1,1] op_sel_hi:[0,1]
	s_delay_alu instid0(VALU_DEP_1) | instskip(SKIP_1) | instid1(VALU_DEP_2)
	v_pk_fma_f32 v[110:111], v[106:107], v[102:103], v[108:109] op_sel_hi:[1,0,1]
	v_pk_fma_f32 v[102:103], v[106:107], v[102:103], v[108:109] neg_lo:[0,0,1] neg_hi:[0,0,1]
	v_mov_b32_e32 v103, v111
	s_cbranch_execz .LBB112_694
	s_branch .LBB112_695
.LBB112_693:
                                        ; implicit-def: $vgpr102_vgpr103
.LBB112_694:
	ds_load_b64 v[102:103], v1
.LBB112_695:
	s_mov_b32 s4, exec_lo
	v_cmpx_ne_u32_e32 21, v0
	s_cbranch_execz .LBB112_699
; %bb.696:
	v_add_nc_u32_e32 v105, 0x198, v58
	v_add3_u32 v106, 0, v58, 8
	v_mov_b32_e32 v107, v0
	s_mov_b32 s5, 0
.LBB112_697:                            ; =>This Inner Loop Header: Depth=1
	scratch_load_b64 v[108:109], v106, off
	ds_load_b64 v[110:111], v105
	s_wait_xcnt 0x0
	v_dual_add_nc_u32 v105, 8, v105 :: v_dual_add_nc_u32 v106, 8, v106
	s_wait_loadcnt_dscnt 0x0
	v_pk_mul_f32 v[112:113], v[110:111], v[108:109] op_sel:[1,1] op_sel_hi:[0,1]
	s_delay_alu instid0(VALU_DEP_1) | instskip(SKIP_2) | instid1(VALU_DEP_3)
	v_pk_fma_f32 v[114:115], v[110:111], v[108:109], v[112:113] op_sel_hi:[1,0,1]
	v_add_nc_u32_e32 v107, 1, v107
	v_pk_fma_f32 v[108:109], v[110:111], v[108:109], v[112:113] neg_lo:[0,0,1] neg_hi:[0,0,1]
	v_mov_b32_e32 v109, v115
	s_delay_alu instid0(VALU_DEP_3) | instskip(NEXT) | instid1(VALU_DEP_2)
	v_cmp_lt_u32_e32 vcc_lo, 20, v107
	v_pk_add_f32 v[102:103], v[102:103], v[108:109]
	s_or_b32 s5, vcc_lo, s5
	s_delay_alu instid0(SALU_CYCLE_1)
	s_and_not1_b32 exec_lo, exec_lo, s5
	s_cbranch_execnz .LBB112_697
; %bb.698:
	s_or_b32 exec_lo, exec_lo, s5
.LBB112_699:
	s_delay_alu instid0(SALU_CYCLE_1) | instskip(SKIP_4) | instid1(VALU_DEP_1)
	s_or_b32 exec_lo, exec_lo, s4
	v_mov_b32_e32 v105, 0
	ds_load_b64 v[106:107], v105 offset:176
	s_wait_dscnt 0x0
	v_pk_mul_f32 v[108:109], v[102:103], v[106:107] op_sel:[1,1] op_sel_hi:[0,1]
	v_pk_fma_f32 v[110:111], v[102:103], v[106:107], v[108:109] op_sel_hi:[1,0,1]
	v_pk_fma_f32 v[102:103], v[102:103], v[106:107], v[108:109] neg_lo:[0,0,1] neg_hi:[0,0,1]
	s_delay_alu instid0(VALU_DEP_2)
	v_mov_b32_e32 v103, v111
	scratch_store_b64 off, v[102:103], off offset:176
.LBB112_700:
	s_wait_xcnt 0x0
	s_or_b32 exec_lo, exec_lo, s0
	scratch_load_b64 v[102:103], off, off offset:184
	s_mov_b32 s0, exec_lo
	s_wait_loadcnt 0x0
	ds_store_b64 v1, v[102:103]
	s_wait_storecnt_dscnt 0x0
	s_barrier_signal -1
	s_barrier_wait -1
	s_wait_xcnt 0x0
	v_cmpx_gt_u32_e32 23, v0
	s_cbranch_execz .LBB112_710
; %bb.701:
	v_cmp_ne_u32_e32 vcc_lo, 1, v104
	s_cbranch_vccnz .LBB112_703
; %bb.702:
	scratch_load_b64 v[102:103], v59, off
	ds_load_b64 v[106:107], v1
	s_wait_loadcnt_dscnt 0x0
	v_pk_mul_f32 v[108:109], v[106:107], v[102:103] op_sel:[1,1] op_sel_hi:[0,1]
	s_delay_alu instid0(VALU_DEP_1) | instskip(SKIP_1) | instid1(VALU_DEP_2)
	v_pk_fma_f32 v[110:111], v[106:107], v[102:103], v[108:109] op_sel_hi:[1,0,1]
	v_pk_fma_f32 v[102:103], v[106:107], v[102:103], v[108:109] neg_lo:[0,0,1] neg_hi:[0,0,1]
	v_mov_b32_e32 v103, v111
	s_cbranch_execz .LBB112_704
	s_branch .LBB112_705
.LBB112_703:
                                        ; implicit-def: $vgpr102_vgpr103
.LBB112_704:
	ds_load_b64 v[102:103], v1
.LBB112_705:
	s_mov_b32 s4, exec_lo
	v_cmpx_ne_u32_e32 22, v0
	s_cbranch_execz .LBB112_709
; %bb.706:
	v_add_nc_u32_e32 v105, 0x198, v58
	v_add3_u32 v106, 0, v58, 8
	v_mov_b32_e32 v107, v0
	s_mov_b32 s5, 0
.LBB112_707:                            ; =>This Inner Loop Header: Depth=1
	scratch_load_b64 v[108:109], v106, off
	ds_load_b64 v[110:111], v105
	s_wait_xcnt 0x0
	v_dual_add_nc_u32 v105, 8, v105 :: v_dual_add_nc_u32 v106, 8, v106
	s_wait_loadcnt_dscnt 0x0
	v_pk_mul_f32 v[112:113], v[110:111], v[108:109] op_sel:[1,1] op_sel_hi:[0,1]
	s_delay_alu instid0(VALU_DEP_1) | instskip(SKIP_2) | instid1(VALU_DEP_3)
	v_pk_fma_f32 v[114:115], v[110:111], v[108:109], v[112:113] op_sel_hi:[1,0,1]
	v_add_nc_u32_e32 v107, 1, v107
	v_pk_fma_f32 v[108:109], v[110:111], v[108:109], v[112:113] neg_lo:[0,0,1] neg_hi:[0,0,1]
	v_mov_b32_e32 v109, v115
	s_delay_alu instid0(VALU_DEP_3) | instskip(NEXT) | instid1(VALU_DEP_2)
	v_cmp_lt_u32_e32 vcc_lo, 21, v107
	v_pk_add_f32 v[102:103], v[102:103], v[108:109]
	s_or_b32 s5, vcc_lo, s5
	s_delay_alu instid0(SALU_CYCLE_1)
	s_and_not1_b32 exec_lo, exec_lo, s5
	s_cbranch_execnz .LBB112_707
; %bb.708:
	s_or_b32 exec_lo, exec_lo, s5
.LBB112_709:
	s_delay_alu instid0(SALU_CYCLE_1) | instskip(SKIP_4) | instid1(VALU_DEP_1)
	s_or_b32 exec_lo, exec_lo, s4
	v_mov_b32_e32 v105, 0
	ds_load_b64 v[106:107], v105 offset:184
	s_wait_dscnt 0x0
	v_pk_mul_f32 v[108:109], v[102:103], v[106:107] op_sel:[1,1] op_sel_hi:[0,1]
	v_pk_fma_f32 v[110:111], v[102:103], v[106:107], v[108:109] op_sel_hi:[1,0,1]
	v_pk_fma_f32 v[102:103], v[102:103], v[106:107], v[108:109] neg_lo:[0,0,1] neg_hi:[0,0,1]
	s_delay_alu instid0(VALU_DEP_2)
	v_mov_b32_e32 v103, v111
	scratch_store_b64 off, v[102:103], off offset:184
.LBB112_710:
	s_wait_xcnt 0x0
	s_or_b32 exec_lo, exec_lo, s0
	scratch_load_b64 v[102:103], off, off offset:192
	s_mov_b32 s0, exec_lo
	s_wait_loadcnt 0x0
	ds_store_b64 v1, v[102:103]
	s_wait_storecnt_dscnt 0x0
	s_barrier_signal -1
	s_barrier_wait -1
	s_wait_xcnt 0x0
	v_cmpx_gt_u32_e32 24, v0
	s_cbranch_execz .LBB112_720
; %bb.711:
	v_cmp_ne_u32_e32 vcc_lo, 1, v104
	s_cbranch_vccnz .LBB112_713
; %bb.712:
	scratch_load_b64 v[102:103], v59, off
	ds_load_b64 v[106:107], v1
	s_wait_loadcnt_dscnt 0x0
	v_pk_mul_f32 v[108:109], v[106:107], v[102:103] op_sel:[1,1] op_sel_hi:[0,1]
	s_delay_alu instid0(VALU_DEP_1) | instskip(SKIP_1) | instid1(VALU_DEP_2)
	v_pk_fma_f32 v[110:111], v[106:107], v[102:103], v[108:109] op_sel_hi:[1,0,1]
	v_pk_fma_f32 v[102:103], v[106:107], v[102:103], v[108:109] neg_lo:[0,0,1] neg_hi:[0,0,1]
	v_mov_b32_e32 v103, v111
	s_cbranch_execz .LBB112_714
	s_branch .LBB112_715
.LBB112_713:
                                        ; implicit-def: $vgpr102_vgpr103
.LBB112_714:
	ds_load_b64 v[102:103], v1
.LBB112_715:
	s_mov_b32 s4, exec_lo
	v_cmpx_ne_u32_e32 23, v0
	s_cbranch_execz .LBB112_719
; %bb.716:
	v_add_nc_u32_e32 v105, 0x198, v58
	v_add3_u32 v106, 0, v58, 8
	v_mov_b32_e32 v107, v0
	s_mov_b32 s5, 0
.LBB112_717:                            ; =>This Inner Loop Header: Depth=1
	scratch_load_b64 v[108:109], v106, off
	ds_load_b64 v[110:111], v105
	s_wait_xcnt 0x0
	v_dual_add_nc_u32 v105, 8, v105 :: v_dual_add_nc_u32 v106, 8, v106
	s_wait_loadcnt_dscnt 0x0
	v_pk_mul_f32 v[112:113], v[110:111], v[108:109] op_sel:[1,1] op_sel_hi:[0,1]
	s_delay_alu instid0(VALU_DEP_1) | instskip(SKIP_2) | instid1(VALU_DEP_3)
	v_pk_fma_f32 v[114:115], v[110:111], v[108:109], v[112:113] op_sel_hi:[1,0,1]
	v_add_nc_u32_e32 v107, 1, v107
	v_pk_fma_f32 v[108:109], v[110:111], v[108:109], v[112:113] neg_lo:[0,0,1] neg_hi:[0,0,1]
	v_mov_b32_e32 v109, v115
	s_delay_alu instid0(VALU_DEP_3) | instskip(NEXT) | instid1(VALU_DEP_2)
	v_cmp_lt_u32_e32 vcc_lo, 22, v107
	v_pk_add_f32 v[102:103], v[102:103], v[108:109]
	s_or_b32 s5, vcc_lo, s5
	s_delay_alu instid0(SALU_CYCLE_1)
	s_and_not1_b32 exec_lo, exec_lo, s5
	s_cbranch_execnz .LBB112_717
; %bb.718:
	s_or_b32 exec_lo, exec_lo, s5
.LBB112_719:
	s_delay_alu instid0(SALU_CYCLE_1) | instskip(SKIP_4) | instid1(VALU_DEP_1)
	s_or_b32 exec_lo, exec_lo, s4
	v_mov_b32_e32 v105, 0
	ds_load_b64 v[106:107], v105 offset:192
	s_wait_dscnt 0x0
	v_pk_mul_f32 v[108:109], v[102:103], v[106:107] op_sel:[1,1] op_sel_hi:[0,1]
	v_pk_fma_f32 v[110:111], v[102:103], v[106:107], v[108:109] op_sel_hi:[1,0,1]
	v_pk_fma_f32 v[102:103], v[102:103], v[106:107], v[108:109] neg_lo:[0,0,1] neg_hi:[0,0,1]
	s_delay_alu instid0(VALU_DEP_2)
	v_mov_b32_e32 v103, v111
	scratch_store_b64 off, v[102:103], off offset:192
.LBB112_720:
	s_wait_xcnt 0x0
	s_or_b32 exec_lo, exec_lo, s0
	scratch_load_b64 v[102:103], off, off offset:200
	s_mov_b32 s0, exec_lo
	s_wait_loadcnt 0x0
	ds_store_b64 v1, v[102:103]
	s_wait_storecnt_dscnt 0x0
	s_barrier_signal -1
	s_barrier_wait -1
	s_wait_xcnt 0x0
	v_cmpx_gt_u32_e32 25, v0
	s_cbranch_execz .LBB112_730
; %bb.721:
	v_cmp_ne_u32_e32 vcc_lo, 1, v104
	s_cbranch_vccnz .LBB112_723
; %bb.722:
	scratch_load_b64 v[102:103], v59, off
	ds_load_b64 v[106:107], v1
	s_wait_loadcnt_dscnt 0x0
	v_pk_mul_f32 v[108:109], v[106:107], v[102:103] op_sel:[1,1] op_sel_hi:[0,1]
	s_delay_alu instid0(VALU_DEP_1) | instskip(SKIP_1) | instid1(VALU_DEP_2)
	v_pk_fma_f32 v[110:111], v[106:107], v[102:103], v[108:109] op_sel_hi:[1,0,1]
	v_pk_fma_f32 v[102:103], v[106:107], v[102:103], v[108:109] neg_lo:[0,0,1] neg_hi:[0,0,1]
	v_mov_b32_e32 v103, v111
	s_cbranch_execz .LBB112_724
	s_branch .LBB112_725
.LBB112_723:
                                        ; implicit-def: $vgpr102_vgpr103
.LBB112_724:
	ds_load_b64 v[102:103], v1
.LBB112_725:
	s_mov_b32 s4, exec_lo
	v_cmpx_ne_u32_e32 24, v0
	s_cbranch_execz .LBB112_729
; %bb.726:
	v_add_nc_u32_e32 v105, 0x198, v58
	v_add3_u32 v106, 0, v58, 8
	v_mov_b32_e32 v107, v0
	s_mov_b32 s5, 0
.LBB112_727:                            ; =>This Inner Loop Header: Depth=1
	scratch_load_b64 v[108:109], v106, off
	ds_load_b64 v[110:111], v105
	s_wait_xcnt 0x0
	v_dual_add_nc_u32 v105, 8, v105 :: v_dual_add_nc_u32 v106, 8, v106
	s_wait_loadcnt_dscnt 0x0
	v_pk_mul_f32 v[112:113], v[110:111], v[108:109] op_sel:[1,1] op_sel_hi:[0,1]
	s_delay_alu instid0(VALU_DEP_1) | instskip(SKIP_2) | instid1(VALU_DEP_3)
	v_pk_fma_f32 v[114:115], v[110:111], v[108:109], v[112:113] op_sel_hi:[1,0,1]
	v_add_nc_u32_e32 v107, 1, v107
	v_pk_fma_f32 v[108:109], v[110:111], v[108:109], v[112:113] neg_lo:[0,0,1] neg_hi:[0,0,1]
	v_mov_b32_e32 v109, v115
	s_delay_alu instid0(VALU_DEP_3) | instskip(NEXT) | instid1(VALU_DEP_2)
	v_cmp_lt_u32_e32 vcc_lo, 23, v107
	v_pk_add_f32 v[102:103], v[102:103], v[108:109]
	s_or_b32 s5, vcc_lo, s5
	s_delay_alu instid0(SALU_CYCLE_1)
	s_and_not1_b32 exec_lo, exec_lo, s5
	s_cbranch_execnz .LBB112_727
; %bb.728:
	s_or_b32 exec_lo, exec_lo, s5
.LBB112_729:
	s_delay_alu instid0(SALU_CYCLE_1) | instskip(SKIP_4) | instid1(VALU_DEP_1)
	s_or_b32 exec_lo, exec_lo, s4
	v_mov_b32_e32 v105, 0
	ds_load_b64 v[106:107], v105 offset:200
	s_wait_dscnt 0x0
	v_pk_mul_f32 v[108:109], v[102:103], v[106:107] op_sel:[1,1] op_sel_hi:[0,1]
	v_pk_fma_f32 v[110:111], v[102:103], v[106:107], v[108:109] op_sel_hi:[1,0,1]
	v_pk_fma_f32 v[102:103], v[102:103], v[106:107], v[108:109] neg_lo:[0,0,1] neg_hi:[0,0,1]
	s_delay_alu instid0(VALU_DEP_2)
	v_mov_b32_e32 v103, v111
	scratch_store_b64 off, v[102:103], off offset:200
.LBB112_730:
	s_wait_xcnt 0x0
	s_or_b32 exec_lo, exec_lo, s0
	scratch_load_b64 v[102:103], off, off offset:208
	s_mov_b32 s0, exec_lo
	s_wait_loadcnt 0x0
	ds_store_b64 v1, v[102:103]
	s_wait_storecnt_dscnt 0x0
	s_barrier_signal -1
	s_barrier_wait -1
	s_wait_xcnt 0x0
	v_cmpx_gt_u32_e32 26, v0
	s_cbranch_execz .LBB112_740
; %bb.731:
	v_cmp_ne_u32_e32 vcc_lo, 1, v104
	s_cbranch_vccnz .LBB112_733
; %bb.732:
	scratch_load_b64 v[102:103], v59, off
	ds_load_b64 v[106:107], v1
	s_wait_loadcnt_dscnt 0x0
	v_pk_mul_f32 v[108:109], v[106:107], v[102:103] op_sel:[1,1] op_sel_hi:[0,1]
	s_delay_alu instid0(VALU_DEP_1) | instskip(SKIP_1) | instid1(VALU_DEP_2)
	v_pk_fma_f32 v[110:111], v[106:107], v[102:103], v[108:109] op_sel_hi:[1,0,1]
	v_pk_fma_f32 v[102:103], v[106:107], v[102:103], v[108:109] neg_lo:[0,0,1] neg_hi:[0,0,1]
	v_mov_b32_e32 v103, v111
	s_cbranch_execz .LBB112_734
	s_branch .LBB112_735
.LBB112_733:
                                        ; implicit-def: $vgpr102_vgpr103
.LBB112_734:
	ds_load_b64 v[102:103], v1
.LBB112_735:
	s_mov_b32 s4, exec_lo
	v_cmpx_ne_u32_e32 25, v0
	s_cbranch_execz .LBB112_739
; %bb.736:
	v_add_nc_u32_e32 v105, 0x198, v58
	v_add3_u32 v106, 0, v58, 8
	v_mov_b32_e32 v107, v0
	s_mov_b32 s5, 0
.LBB112_737:                            ; =>This Inner Loop Header: Depth=1
	scratch_load_b64 v[108:109], v106, off
	ds_load_b64 v[110:111], v105
	s_wait_xcnt 0x0
	v_dual_add_nc_u32 v105, 8, v105 :: v_dual_add_nc_u32 v106, 8, v106
	s_wait_loadcnt_dscnt 0x0
	v_pk_mul_f32 v[112:113], v[110:111], v[108:109] op_sel:[1,1] op_sel_hi:[0,1]
	s_delay_alu instid0(VALU_DEP_1) | instskip(SKIP_2) | instid1(VALU_DEP_3)
	v_pk_fma_f32 v[114:115], v[110:111], v[108:109], v[112:113] op_sel_hi:[1,0,1]
	v_add_nc_u32_e32 v107, 1, v107
	v_pk_fma_f32 v[108:109], v[110:111], v[108:109], v[112:113] neg_lo:[0,0,1] neg_hi:[0,0,1]
	v_mov_b32_e32 v109, v115
	s_delay_alu instid0(VALU_DEP_3) | instskip(NEXT) | instid1(VALU_DEP_2)
	v_cmp_lt_u32_e32 vcc_lo, 24, v107
	v_pk_add_f32 v[102:103], v[102:103], v[108:109]
	s_or_b32 s5, vcc_lo, s5
	s_delay_alu instid0(SALU_CYCLE_1)
	s_and_not1_b32 exec_lo, exec_lo, s5
	s_cbranch_execnz .LBB112_737
; %bb.738:
	s_or_b32 exec_lo, exec_lo, s5
.LBB112_739:
	s_delay_alu instid0(SALU_CYCLE_1) | instskip(SKIP_4) | instid1(VALU_DEP_1)
	s_or_b32 exec_lo, exec_lo, s4
	v_mov_b32_e32 v105, 0
	ds_load_b64 v[106:107], v105 offset:208
	s_wait_dscnt 0x0
	v_pk_mul_f32 v[108:109], v[102:103], v[106:107] op_sel:[1,1] op_sel_hi:[0,1]
	v_pk_fma_f32 v[110:111], v[102:103], v[106:107], v[108:109] op_sel_hi:[1,0,1]
	v_pk_fma_f32 v[102:103], v[102:103], v[106:107], v[108:109] neg_lo:[0,0,1] neg_hi:[0,0,1]
	s_delay_alu instid0(VALU_DEP_2)
	v_mov_b32_e32 v103, v111
	scratch_store_b64 off, v[102:103], off offset:208
.LBB112_740:
	s_wait_xcnt 0x0
	s_or_b32 exec_lo, exec_lo, s0
	scratch_load_b64 v[102:103], off, off offset:216
	s_mov_b32 s0, exec_lo
	s_wait_loadcnt 0x0
	ds_store_b64 v1, v[102:103]
	s_wait_storecnt_dscnt 0x0
	s_barrier_signal -1
	s_barrier_wait -1
	s_wait_xcnt 0x0
	v_cmpx_gt_u32_e32 27, v0
	s_cbranch_execz .LBB112_750
; %bb.741:
	v_cmp_ne_u32_e32 vcc_lo, 1, v104
	s_cbranch_vccnz .LBB112_743
; %bb.742:
	scratch_load_b64 v[102:103], v59, off
	ds_load_b64 v[106:107], v1
	s_wait_loadcnt_dscnt 0x0
	v_pk_mul_f32 v[108:109], v[106:107], v[102:103] op_sel:[1,1] op_sel_hi:[0,1]
	s_delay_alu instid0(VALU_DEP_1) | instskip(SKIP_1) | instid1(VALU_DEP_2)
	v_pk_fma_f32 v[110:111], v[106:107], v[102:103], v[108:109] op_sel_hi:[1,0,1]
	v_pk_fma_f32 v[102:103], v[106:107], v[102:103], v[108:109] neg_lo:[0,0,1] neg_hi:[0,0,1]
	v_mov_b32_e32 v103, v111
	s_cbranch_execz .LBB112_744
	s_branch .LBB112_745
.LBB112_743:
                                        ; implicit-def: $vgpr102_vgpr103
.LBB112_744:
	ds_load_b64 v[102:103], v1
.LBB112_745:
	s_mov_b32 s4, exec_lo
	v_cmpx_ne_u32_e32 26, v0
	s_cbranch_execz .LBB112_749
; %bb.746:
	v_add_nc_u32_e32 v105, 0x198, v58
	v_add3_u32 v106, 0, v58, 8
	v_mov_b32_e32 v107, v0
	s_mov_b32 s5, 0
.LBB112_747:                            ; =>This Inner Loop Header: Depth=1
	scratch_load_b64 v[108:109], v106, off
	ds_load_b64 v[110:111], v105
	s_wait_xcnt 0x0
	v_dual_add_nc_u32 v105, 8, v105 :: v_dual_add_nc_u32 v106, 8, v106
	s_wait_loadcnt_dscnt 0x0
	v_pk_mul_f32 v[112:113], v[110:111], v[108:109] op_sel:[1,1] op_sel_hi:[0,1]
	s_delay_alu instid0(VALU_DEP_1) | instskip(SKIP_2) | instid1(VALU_DEP_3)
	v_pk_fma_f32 v[114:115], v[110:111], v[108:109], v[112:113] op_sel_hi:[1,0,1]
	v_add_nc_u32_e32 v107, 1, v107
	v_pk_fma_f32 v[108:109], v[110:111], v[108:109], v[112:113] neg_lo:[0,0,1] neg_hi:[0,0,1]
	v_mov_b32_e32 v109, v115
	s_delay_alu instid0(VALU_DEP_3) | instskip(NEXT) | instid1(VALU_DEP_2)
	v_cmp_lt_u32_e32 vcc_lo, 25, v107
	v_pk_add_f32 v[102:103], v[102:103], v[108:109]
	s_or_b32 s5, vcc_lo, s5
	s_delay_alu instid0(SALU_CYCLE_1)
	s_and_not1_b32 exec_lo, exec_lo, s5
	s_cbranch_execnz .LBB112_747
; %bb.748:
	s_or_b32 exec_lo, exec_lo, s5
.LBB112_749:
	s_delay_alu instid0(SALU_CYCLE_1) | instskip(SKIP_4) | instid1(VALU_DEP_1)
	s_or_b32 exec_lo, exec_lo, s4
	v_mov_b32_e32 v105, 0
	ds_load_b64 v[106:107], v105 offset:216
	s_wait_dscnt 0x0
	v_pk_mul_f32 v[108:109], v[102:103], v[106:107] op_sel:[1,1] op_sel_hi:[0,1]
	v_pk_fma_f32 v[110:111], v[102:103], v[106:107], v[108:109] op_sel_hi:[1,0,1]
	v_pk_fma_f32 v[102:103], v[102:103], v[106:107], v[108:109] neg_lo:[0,0,1] neg_hi:[0,0,1]
	s_delay_alu instid0(VALU_DEP_2)
	v_mov_b32_e32 v103, v111
	scratch_store_b64 off, v[102:103], off offset:216
.LBB112_750:
	s_wait_xcnt 0x0
	s_or_b32 exec_lo, exec_lo, s0
	scratch_load_b64 v[102:103], off, off offset:224
	s_mov_b32 s0, exec_lo
	s_wait_loadcnt 0x0
	ds_store_b64 v1, v[102:103]
	s_wait_storecnt_dscnt 0x0
	s_barrier_signal -1
	s_barrier_wait -1
	s_wait_xcnt 0x0
	v_cmpx_gt_u32_e32 28, v0
	s_cbranch_execz .LBB112_760
; %bb.751:
	v_cmp_ne_u32_e32 vcc_lo, 1, v104
	s_cbranch_vccnz .LBB112_753
; %bb.752:
	scratch_load_b64 v[102:103], v59, off
	ds_load_b64 v[106:107], v1
	s_wait_loadcnt_dscnt 0x0
	v_pk_mul_f32 v[108:109], v[106:107], v[102:103] op_sel:[1,1] op_sel_hi:[0,1]
	s_delay_alu instid0(VALU_DEP_1) | instskip(SKIP_1) | instid1(VALU_DEP_2)
	v_pk_fma_f32 v[110:111], v[106:107], v[102:103], v[108:109] op_sel_hi:[1,0,1]
	v_pk_fma_f32 v[102:103], v[106:107], v[102:103], v[108:109] neg_lo:[0,0,1] neg_hi:[0,0,1]
	v_mov_b32_e32 v103, v111
	s_cbranch_execz .LBB112_754
	s_branch .LBB112_755
.LBB112_753:
                                        ; implicit-def: $vgpr102_vgpr103
.LBB112_754:
	ds_load_b64 v[102:103], v1
.LBB112_755:
	s_mov_b32 s4, exec_lo
	v_cmpx_ne_u32_e32 27, v0
	s_cbranch_execz .LBB112_759
; %bb.756:
	v_add_nc_u32_e32 v105, 0x198, v58
	v_add3_u32 v106, 0, v58, 8
	v_mov_b32_e32 v107, v0
	s_mov_b32 s5, 0
.LBB112_757:                            ; =>This Inner Loop Header: Depth=1
	scratch_load_b64 v[108:109], v106, off
	ds_load_b64 v[110:111], v105
	s_wait_xcnt 0x0
	v_dual_add_nc_u32 v105, 8, v105 :: v_dual_add_nc_u32 v106, 8, v106
	s_wait_loadcnt_dscnt 0x0
	v_pk_mul_f32 v[112:113], v[110:111], v[108:109] op_sel:[1,1] op_sel_hi:[0,1]
	s_delay_alu instid0(VALU_DEP_1) | instskip(SKIP_2) | instid1(VALU_DEP_3)
	v_pk_fma_f32 v[114:115], v[110:111], v[108:109], v[112:113] op_sel_hi:[1,0,1]
	v_add_nc_u32_e32 v107, 1, v107
	v_pk_fma_f32 v[108:109], v[110:111], v[108:109], v[112:113] neg_lo:[0,0,1] neg_hi:[0,0,1]
	v_mov_b32_e32 v109, v115
	s_delay_alu instid0(VALU_DEP_3) | instskip(NEXT) | instid1(VALU_DEP_2)
	v_cmp_lt_u32_e32 vcc_lo, 26, v107
	v_pk_add_f32 v[102:103], v[102:103], v[108:109]
	s_or_b32 s5, vcc_lo, s5
	s_delay_alu instid0(SALU_CYCLE_1)
	s_and_not1_b32 exec_lo, exec_lo, s5
	s_cbranch_execnz .LBB112_757
; %bb.758:
	s_or_b32 exec_lo, exec_lo, s5
.LBB112_759:
	s_delay_alu instid0(SALU_CYCLE_1) | instskip(SKIP_4) | instid1(VALU_DEP_1)
	s_or_b32 exec_lo, exec_lo, s4
	v_mov_b32_e32 v105, 0
	ds_load_b64 v[106:107], v105 offset:224
	s_wait_dscnt 0x0
	v_pk_mul_f32 v[108:109], v[102:103], v[106:107] op_sel:[1,1] op_sel_hi:[0,1]
	v_pk_fma_f32 v[110:111], v[102:103], v[106:107], v[108:109] op_sel_hi:[1,0,1]
	v_pk_fma_f32 v[102:103], v[102:103], v[106:107], v[108:109] neg_lo:[0,0,1] neg_hi:[0,0,1]
	s_delay_alu instid0(VALU_DEP_2)
	v_mov_b32_e32 v103, v111
	scratch_store_b64 off, v[102:103], off offset:224
.LBB112_760:
	s_wait_xcnt 0x0
	s_or_b32 exec_lo, exec_lo, s0
	scratch_load_b64 v[102:103], off, off offset:232
	s_mov_b32 s0, exec_lo
	s_wait_loadcnt 0x0
	ds_store_b64 v1, v[102:103]
	s_wait_storecnt_dscnt 0x0
	s_barrier_signal -1
	s_barrier_wait -1
	s_wait_xcnt 0x0
	v_cmpx_gt_u32_e32 29, v0
	s_cbranch_execz .LBB112_770
; %bb.761:
	v_cmp_ne_u32_e32 vcc_lo, 1, v104
	s_cbranch_vccnz .LBB112_763
; %bb.762:
	scratch_load_b64 v[102:103], v59, off
	ds_load_b64 v[106:107], v1
	s_wait_loadcnt_dscnt 0x0
	v_pk_mul_f32 v[108:109], v[106:107], v[102:103] op_sel:[1,1] op_sel_hi:[0,1]
	s_delay_alu instid0(VALU_DEP_1) | instskip(SKIP_1) | instid1(VALU_DEP_2)
	v_pk_fma_f32 v[110:111], v[106:107], v[102:103], v[108:109] op_sel_hi:[1,0,1]
	v_pk_fma_f32 v[102:103], v[106:107], v[102:103], v[108:109] neg_lo:[0,0,1] neg_hi:[0,0,1]
	v_mov_b32_e32 v103, v111
	s_cbranch_execz .LBB112_764
	s_branch .LBB112_765
.LBB112_763:
                                        ; implicit-def: $vgpr102_vgpr103
.LBB112_764:
	ds_load_b64 v[102:103], v1
.LBB112_765:
	s_mov_b32 s4, exec_lo
	v_cmpx_ne_u32_e32 28, v0
	s_cbranch_execz .LBB112_769
; %bb.766:
	v_add_nc_u32_e32 v105, 0x198, v58
	v_add3_u32 v106, 0, v58, 8
	v_mov_b32_e32 v107, v0
	s_mov_b32 s5, 0
.LBB112_767:                            ; =>This Inner Loop Header: Depth=1
	scratch_load_b64 v[108:109], v106, off
	ds_load_b64 v[110:111], v105
	s_wait_xcnt 0x0
	v_dual_add_nc_u32 v105, 8, v105 :: v_dual_add_nc_u32 v106, 8, v106
	s_wait_loadcnt_dscnt 0x0
	v_pk_mul_f32 v[112:113], v[110:111], v[108:109] op_sel:[1,1] op_sel_hi:[0,1]
	s_delay_alu instid0(VALU_DEP_1) | instskip(SKIP_2) | instid1(VALU_DEP_3)
	v_pk_fma_f32 v[114:115], v[110:111], v[108:109], v[112:113] op_sel_hi:[1,0,1]
	v_add_nc_u32_e32 v107, 1, v107
	v_pk_fma_f32 v[108:109], v[110:111], v[108:109], v[112:113] neg_lo:[0,0,1] neg_hi:[0,0,1]
	v_mov_b32_e32 v109, v115
	s_delay_alu instid0(VALU_DEP_3) | instskip(NEXT) | instid1(VALU_DEP_2)
	v_cmp_lt_u32_e32 vcc_lo, 27, v107
	v_pk_add_f32 v[102:103], v[102:103], v[108:109]
	s_or_b32 s5, vcc_lo, s5
	s_delay_alu instid0(SALU_CYCLE_1)
	s_and_not1_b32 exec_lo, exec_lo, s5
	s_cbranch_execnz .LBB112_767
; %bb.768:
	s_or_b32 exec_lo, exec_lo, s5
.LBB112_769:
	s_delay_alu instid0(SALU_CYCLE_1) | instskip(SKIP_4) | instid1(VALU_DEP_1)
	s_or_b32 exec_lo, exec_lo, s4
	v_mov_b32_e32 v105, 0
	ds_load_b64 v[106:107], v105 offset:232
	s_wait_dscnt 0x0
	v_pk_mul_f32 v[108:109], v[102:103], v[106:107] op_sel:[1,1] op_sel_hi:[0,1]
	v_pk_fma_f32 v[110:111], v[102:103], v[106:107], v[108:109] op_sel_hi:[1,0,1]
	v_pk_fma_f32 v[102:103], v[102:103], v[106:107], v[108:109] neg_lo:[0,0,1] neg_hi:[0,0,1]
	s_delay_alu instid0(VALU_DEP_2)
	v_mov_b32_e32 v103, v111
	scratch_store_b64 off, v[102:103], off offset:232
.LBB112_770:
	s_wait_xcnt 0x0
	s_or_b32 exec_lo, exec_lo, s0
	scratch_load_b64 v[102:103], off, off offset:240
	s_mov_b32 s0, exec_lo
	s_wait_loadcnt 0x0
	ds_store_b64 v1, v[102:103]
	s_wait_storecnt_dscnt 0x0
	s_barrier_signal -1
	s_barrier_wait -1
	s_wait_xcnt 0x0
	v_cmpx_gt_u32_e32 30, v0
	s_cbranch_execz .LBB112_780
; %bb.771:
	v_cmp_ne_u32_e32 vcc_lo, 1, v104
	s_cbranch_vccnz .LBB112_773
; %bb.772:
	scratch_load_b64 v[102:103], v59, off
	ds_load_b64 v[106:107], v1
	s_wait_loadcnt_dscnt 0x0
	v_pk_mul_f32 v[108:109], v[106:107], v[102:103] op_sel:[1,1] op_sel_hi:[0,1]
	s_delay_alu instid0(VALU_DEP_1) | instskip(SKIP_1) | instid1(VALU_DEP_2)
	v_pk_fma_f32 v[110:111], v[106:107], v[102:103], v[108:109] op_sel_hi:[1,0,1]
	v_pk_fma_f32 v[102:103], v[106:107], v[102:103], v[108:109] neg_lo:[0,0,1] neg_hi:[0,0,1]
	v_mov_b32_e32 v103, v111
	s_cbranch_execz .LBB112_774
	s_branch .LBB112_775
.LBB112_773:
                                        ; implicit-def: $vgpr102_vgpr103
.LBB112_774:
	ds_load_b64 v[102:103], v1
.LBB112_775:
	s_mov_b32 s4, exec_lo
	v_cmpx_ne_u32_e32 29, v0
	s_cbranch_execz .LBB112_779
; %bb.776:
	v_add_nc_u32_e32 v105, 0x198, v58
	v_add3_u32 v106, 0, v58, 8
	v_mov_b32_e32 v107, v0
	s_mov_b32 s5, 0
.LBB112_777:                            ; =>This Inner Loop Header: Depth=1
	scratch_load_b64 v[108:109], v106, off
	ds_load_b64 v[110:111], v105
	s_wait_xcnt 0x0
	v_dual_add_nc_u32 v105, 8, v105 :: v_dual_add_nc_u32 v106, 8, v106
	s_wait_loadcnt_dscnt 0x0
	v_pk_mul_f32 v[112:113], v[110:111], v[108:109] op_sel:[1,1] op_sel_hi:[0,1]
	s_delay_alu instid0(VALU_DEP_1) | instskip(SKIP_2) | instid1(VALU_DEP_3)
	v_pk_fma_f32 v[114:115], v[110:111], v[108:109], v[112:113] op_sel_hi:[1,0,1]
	v_add_nc_u32_e32 v107, 1, v107
	v_pk_fma_f32 v[108:109], v[110:111], v[108:109], v[112:113] neg_lo:[0,0,1] neg_hi:[0,0,1]
	v_mov_b32_e32 v109, v115
	s_delay_alu instid0(VALU_DEP_3) | instskip(NEXT) | instid1(VALU_DEP_2)
	v_cmp_lt_u32_e32 vcc_lo, 28, v107
	v_pk_add_f32 v[102:103], v[102:103], v[108:109]
	s_or_b32 s5, vcc_lo, s5
	s_delay_alu instid0(SALU_CYCLE_1)
	s_and_not1_b32 exec_lo, exec_lo, s5
	s_cbranch_execnz .LBB112_777
; %bb.778:
	s_or_b32 exec_lo, exec_lo, s5
.LBB112_779:
	s_delay_alu instid0(SALU_CYCLE_1) | instskip(SKIP_4) | instid1(VALU_DEP_1)
	s_or_b32 exec_lo, exec_lo, s4
	v_mov_b32_e32 v105, 0
	ds_load_b64 v[106:107], v105 offset:240
	s_wait_dscnt 0x0
	v_pk_mul_f32 v[108:109], v[102:103], v[106:107] op_sel:[1,1] op_sel_hi:[0,1]
	v_pk_fma_f32 v[110:111], v[102:103], v[106:107], v[108:109] op_sel_hi:[1,0,1]
	v_pk_fma_f32 v[102:103], v[102:103], v[106:107], v[108:109] neg_lo:[0,0,1] neg_hi:[0,0,1]
	s_delay_alu instid0(VALU_DEP_2)
	v_mov_b32_e32 v103, v111
	scratch_store_b64 off, v[102:103], off offset:240
.LBB112_780:
	s_wait_xcnt 0x0
	s_or_b32 exec_lo, exec_lo, s0
	scratch_load_b64 v[102:103], off, off offset:248
	s_mov_b32 s0, exec_lo
	s_wait_loadcnt 0x0
	ds_store_b64 v1, v[102:103]
	s_wait_storecnt_dscnt 0x0
	s_barrier_signal -1
	s_barrier_wait -1
	s_wait_xcnt 0x0
	v_cmpx_gt_u32_e32 31, v0
	s_cbranch_execz .LBB112_790
; %bb.781:
	v_cmp_ne_u32_e32 vcc_lo, 1, v104
	s_cbranch_vccnz .LBB112_783
; %bb.782:
	scratch_load_b64 v[102:103], v59, off
	ds_load_b64 v[106:107], v1
	s_wait_loadcnt_dscnt 0x0
	v_pk_mul_f32 v[108:109], v[106:107], v[102:103] op_sel:[1,1] op_sel_hi:[0,1]
	s_delay_alu instid0(VALU_DEP_1) | instskip(SKIP_1) | instid1(VALU_DEP_2)
	v_pk_fma_f32 v[110:111], v[106:107], v[102:103], v[108:109] op_sel_hi:[1,0,1]
	v_pk_fma_f32 v[102:103], v[106:107], v[102:103], v[108:109] neg_lo:[0,0,1] neg_hi:[0,0,1]
	v_mov_b32_e32 v103, v111
	s_cbranch_execz .LBB112_784
	s_branch .LBB112_785
.LBB112_783:
                                        ; implicit-def: $vgpr102_vgpr103
.LBB112_784:
	ds_load_b64 v[102:103], v1
.LBB112_785:
	s_mov_b32 s4, exec_lo
	v_cmpx_ne_u32_e32 30, v0
	s_cbranch_execz .LBB112_789
; %bb.786:
	v_add_nc_u32_e32 v105, 0x198, v58
	v_add3_u32 v106, 0, v58, 8
	v_mov_b32_e32 v107, v0
	s_mov_b32 s5, 0
.LBB112_787:                            ; =>This Inner Loop Header: Depth=1
	scratch_load_b64 v[108:109], v106, off
	ds_load_b64 v[110:111], v105
	s_wait_xcnt 0x0
	v_dual_add_nc_u32 v105, 8, v105 :: v_dual_add_nc_u32 v106, 8, v106
	s_wait_loadcnt_dscnt 0x0
	v_pk_mul_f32 v[112:113], v[110:111], v[108:109] op_sel:[1,1] op_sel_hi:[0,1]
	s_delay_alu instid0(VALU_DEP_1) | instskip(SKIP_2) | instid1(VALU_DEP_3)
	v_pk_fma_f32 v[114:115], v[110:111], v[108:109], v[112:113] op_sel_hi:[1,0,1]
	v_add_nc_u32_e32 v107, 1, v107
	v_pk_fma_f32 v[108:109], v[110:111], v[108:109], v[112:113] neg_lo:[0,0,1] neg_hi:[0,0,1]
	v_mov_b32_e32 v109, v115
	s_delay_alu instid0(VALU_DEP_3) | instskip(NEXT) | instid1(VALU_DEP_2)
	v_cmp_lt_u32_e32 vcc_lo, 29, v107
	v_pk_add_f32 v[102:103], v[102:103], v[108:109]
	s_or_b32 s5, vcc_lo, s5
	s_delay_alu instid0(SALU_CYCLE_1)
	s_and_not1_b32 exec_lo, exec_lo, s5
	s_cbranch_execnz .LBB112_787
; %bb.788:
	s_or_b32 exec_lo, exec_lo, s5
.LBB112_789:
	s_delay_alu instid0(SALU_CYCLE_1) | instskip(SKIP_4) | instid1(VALU_DEP_1)
	s_or_b32 exec_lo, exec_lo, s4
	v_mov_b32_e32 v105, 0
	ds_load_b64 v[106:107], v105 offset:248
	s_wait_dscnt 0x0
	v_pk_mul_f32 v[108:109], v[102:103], v[106:107] op_sel:[1,1] op_sel_hi:[0,1]
	v_pk_fma_f32 v[110:111], v[102:103], v[106:107], v[108:109] op_sel_hi:[1,0,1]
	v_pk_fma_f32 v[102:103], v[102:103], v[106:107], v[108:109] neg_lo:[0,0,1] neg_hi:[0,0,1]
	s_delay_alu instid0(VALU_DEP_2)
	v_mov_b32_e32 v103, v111
	scratch_store_b64 off, v[102:103], off offset:248
.LBB112_790:
	s_wait_xcnt 0x0
	s_or_b32 exec_lo, exec_lo, s0
	scratch_load_b64 v[102:103], off, off offset:256
	s_mov_b32 s0, exec_lo
	s_wait_loadcnt 0x0
	ds_store_b64 v1, v[102:103]
	s_wait_storecnt_dscnt 0x0
	s_barrier_signal -1
	s_barrier_wait -1
	s_wait_xcnt 0x0
	v_cmpx_gt_u32_e32 32, v0
	s_cbranch_execz .LBB112_800
; %bb.791:
	v_cmp_ne_u32_e32 vcc_lo, 1, v104
	s_cbranch_vccnz .LBB112_793
; %bb.792:
	scratch_load_b64 v[102:103], v59, off
	ds_load_b64 v[106:107], v1
	s_wait_loadcnt_dscnt 0x0
	v_pk_mul_f32 v[108:109], v[106:107], v[102:103] op_sel:[1,1] op_sel_hi:[0,1]
	s_delay_alu instid0(VALU_DEP_1) | instskip(SKIP_1) | instid1(VALU_DEP_2)
	v_pk_fma_f32 v[110:111], v[106:107], v[102:103], v[108:109] op_sel_hi:[1,0,1]
	v_pk_fma_f32 v[102:103], v[106:107], v[102:103], v[108:109] neg_lo:[0,0,1] neg_hi:[0,0,1]
	v_mov_b32_e32 v103, v111
	s_cbranch_execz .LBB112_794
	s_branch .LBB112_795
.LBB112_793:
                                        ; implicit-def: $vgpr102_vgpr103
.LBB112_794:
	ds_load_b64 v[102:103], v1
.LBB112_795:
	s_mov_b32 s4, exec_lo
	v_cmpx_ne_u32_e32 31, v0
	s_cbranch_execz .LBB112_799
; %bb.796:
	v_add_nc_u32_e32 v105, 0x198, v58
	v_add3_u32 v106, 0, v58, 8
	v_mov_b32_e32 v107, v0
	s_mov_b32 s5, 0
.LBB112_797:                            ; =>This Inner Loop Header: Depth=1
	scratch_load_b64 v[108:109], v106, off
	ds_load_b64 v[110:111], v105
	s_wait_xcnt 0x0
	v_dual_add_nc_u32 v105, 8, v105 :: v_dual_add_nc_u32 v106, 8, v106
	s_wait_loadcnt_dscnt 0x0
	v_pk_mul_f32 v[112:113], v[110:111], v[108:109] op_sel:[1,1] op_sel_hi:[0,1]
	s_delay_alu instid0(VALU_DEP_1) | instskip(SKIP_2) | instid1(VALU_DEP_3)
	v_pk_fma_f32 v[114:115], v[110:111], v[108:109], v[112:113] op_sel_hi:[1,0,1]
	v_add_nc_u32_e32 v107, 1, v107
	v_pk_fma_f32 v[108:109], v[110:111], v[108:109], v[112:113] neg_lo:[0,0,1] neg_hi:[0,0,1]
	v_mov_b32_e32 v109, v115
	s_delay_alu instid0(VALU_DEP_3) | instskip(NEXT) | instid1(VALU_DEP_2)
	v_cmp_lt_u32_e32 vcc_lo, 30, v107
	v_pk_add_f32 v[102:103], v[102:103], v[108:109]
	s_or_b32 s5, vcc_lo, s5
	s_delay_alu instid0(SALU_CYCLE_1)
	s_and_not1_b32 exec_lo, exec_lo, s5
	s_cbranch_execnz .LBB112_797
; %bb.798:
	s_or_b32 exec_lo, exec_lo, s5
.LBB112_799:
	s_delay_alu instid0(SALU_CYCLE_1) | instskip(SKIP_4) | instid1(VALU_DEP_1)
	s_or_b32 exec_lo, exec_lo, s4
	v_mov_b32_e32 v105, 0
	ds_load_b64 v[106:107], v105 offset:256
	s_wait_dscnt 0x0
	v_pk_mul_f32 v[108:109], v[102:103], v[106:107] op_sel:[1,1] op_sel_hi:[0,1]
	v_pk_fma_f32 v[110:111], v[102:103], v[106:107], v[108:109] op_sel_hi:[1,0,1]
	v_pk_fma_f32 v[102:103], v[102:103], v[106:107], v[108:109] neg_lo:[0,0,1] neg_hi:[0,0,1]
	s_delay_alu instid0(VALU_DEP_2)
	v_mov_b32_e32 v103, v111
	scratch_store_b64 off, v[102:103], off offset:256
.LBB112_800:
	s_wait_xcnt 0x0
	s_or_b32 exec_lo, exec_lo, s0
	scratch_load_b64 v[102:103], off, off offset:264
	s_mov_b32 s0, exec_lo
	s_wait_loadcnt 0x0
	ds_store_b64 v1, v[102:103]
	s_wait_storecnt_dscnt 0x0
	s_barrier_signal -1
	s_barrier_wait -1
	s_wait_xcnt 0x0
	v_cmpx_gt_u32_e32 33, v0
	s_cbranch_execz .LBB112_810
; %bb.801:
	v_cmp_ne_u32_e32 vcc_lo, 1, v104
	s_cbranch_vccnz .LBB112_803
; %bb.802:
	scratch_load_b64 v[102:103], v59, off
	ds_load_b64 v[106:107], v1
	s_wait_loadcnt_dscnt 0x0
	v_pk_mul_f32 v[108:109], v[106:107], v[102:103] op_sel:[1,1] op_sel_hi:[0,1]
	s_delay_alu instid0(VALU_DEP_1) | instskip(SKIP_1) | instid1(VALU_DEP_2)
	v_pk_fma_f32 v[110:111], v[106:107], v[102:103], v[108:109] op_sel_hi:[1,0,1]
	v_pk_fma_f32 v[102:103], v[106:107], v[102:103], v[108:109] neg_lo:[0,0,1] neg_hi:[0,0,1]
	v_mov_b32_e32 v103, v111
	s_cbranch_execz .LBB112_804
	s_branch .LBB112_805
.LBB112_803:
                                        ; implicit-def: $vgpr102_vgpr103
.LBB112_804:
	ds_load_b64 v[102:103], v1
.LBB112_805:
	s_mov_b32 s4, exec_lo
	v_cmpx_ne_u32_e32 32, v0
	s_cbranch_execz .LBB112_809
; %bb.806:
	v_add_nc_u32_e32 v105, 0x198, v58
	v_add3_u32 v106, 0, v58, 8
	v_mov_b32_e32 v107, v0
	s_mov_b32 s5, 0
.LBB112_807:                            ; =>This Inner Loop Header: Depth=1
	scratch_load_b64 v[108:109], v106, off
	ds_load_b64 v[110:111], v105
	s_wait_xcnt 0x0
	v_dual_add_nc_u32 v105, 8, v105 :: v_dual_add_nc_u32 v106, 8, v106
	s_wait_loadcnt_dscnt 0x0
	v_pk_mul_f32 v[112:113], v[110:111], v[108:109] op_sel:[1,1] op_sel_hi:[0,1]
	s_delay_alu instid0(VALU_DEP_1) | instskip(SKIP_2) | instid1(VALU_DEP_3)
	v_pk_fma_f32 v[114:115], v[110:111], v[108:109], v[112:113] op_sel_hi:[1,0,1]
	v_add_nc_u32_e32 v107, 1, v107
	v_pk_fma_f32 v[108:109], v[110:111], v[108:109], v[112:113] neg_lo:[0,0,1] neg_hi:[0,0,1]
	v_mov_b32_e32 v109, v115
	s_delay_alu instid0(VALU_DEP_3) | instskip(NEXT) | instid1(VALU_DEP_2)
	v_cmp_lt_u32_e32 vcc_lo, 31, v107
	v_pk_add_f32 v[102:103], v[102:103], v[108:109]
	s_or_b32 s5, vcc_lo, s5
	s_delay_alu instid0(SALU_CYCLE_1)
	s_and_not1_b32 exec_lo, exec_lo, s5
	s_cbranch_execnz .LBB112_807
; %bb.808:
	s_or_b32 exec_lo, exec_lo, s5
.LBB112_809:
	s_delay_alu instid0(SALU_CYCLE_1) | instskip(SKIP_4) | instid1(VALU_DEP_1)
	s_or_b32 exec_lo, exec_lo, s4
	v_mov_b32_e32 v105, 0
	ds_load_b64 v[106:107], v105 offset:264
	s_wait_dscnt 0x0
	v_pk_mul_f32 v[108:109], v[102:103], v[106:107] op_sel:[1,1] op_sel_hi:[0,1]
	v_pk_fma_f32 v[110:111], v[102:103], v[106:107], v[108:109] op_sel_hi:[1,0,1]
	v_pk_fma_f32 v[102:103], v[102:103], v[106:107], v[108:109] neg_lo:[0,0,1] neg_hi:[0,0,1]
	s_delay_alu instid0(VALU_DEP_2)
	v_mov_b32_e32 v103, v111
	scratch_store_b64 off, v[102:103], off offset:264
.LBB112_810:
	s_wait_xcnt 0x0
	s_or_b32 exec_lo, exec_lo, s0
	scratch_load_b64 v[102:103], off, off offset:272
	s_mov_b32 s0, exec_lo
	s_wait_loadcnt 0x0
	ds_store_b64 v1, v[102:103]
	s_wait_storecnt_dscnt 0x0
	s_barrier_signal -1
	s_barrier_wait -1
	s_wait_xcnt 0x0
	v_cmpx_gt_u32_e32 34, v0
	s_cbranch_execz .LBB112_820
; %bb.811:
	v_cmp_ne_u32_e32 vcc_lo, 1, v104
	s_cbranch_vccnz .LBB112_813
; %bb.812:
	scratch_load_b64 v[102:103], v59, off
	ds_load_b64 v[106:107], v1
	s_wait_loadcnt_dscnt 0x0
	v_pk_mul_f32 v[108:109], v[106:107], v[102:103] op_sel:[1,1] op_sel_hi:[0,1]
	s_delay_alu instid0(VALU_DEP_1) | instskip(SKIP_1) | instid1(VALU_DEP_2)
	v_pk_fma_f32 v[110:111], v[106:107], v[102:103], v[108:109] op_sel_hi:[1,0,1]
	v_pk_fma_f32 v[102:103], v[106:107], v[102:103], v[108:109] neg_lo:[0,0,1] neg_hi:[0,0,1]
	v_mov_b32_e32 v103, v111
	s_cbranch_execz .LBB112_814
	s_branch .LBB112_815
.LBB112_813:
                                        ; implicit-def: $vgpr102_vgpr103
.LBB112_814:
	ds_load_b64 v[102:103], v1
.LBB112_815:
	s_mov_b32 s4, exec_lo
	v_cmpx_ne_u32_e32 33, v0
	s_cbranch_execz .LBB112_819
; %bb.816:
	v_add_nc_u32_e32 v105, 0x198, v58
	v_add3_u32 v106, 0, v58, 8
	v_mov_b32_e32 v107, v0
	s_mov_b32 s5, 0
.LBB112_817:                            ; =>This Inner Loop Header: Depth=1
	scratch_load_b64 v[108:109], v106, off
	ds_load_b64 v[110:111], v105
	s_wait_xcnt 0x0
	v_dual_add_nc_u32 v105, 8, v105 :: v_dual_add_nc_u32 v106, 8, v106
	s_wait_loadcnt_dscnt 0x0
	v_pk_mul_f32 v[112:113], v[110:111], v[108:109] op_sel:[1,1] op_sel_hi:[0,1]
	s_delay_alu instid0(VALU_DEP_1) | instskip(SKIP_2) | instid1(VALU_DEP_3)
	v_pk_fma_f32 v[114:115], v[110:111], v[108:109], v[112:113] op_sel_hi:[1,0,1]
	v_add_nc_u32_e32 v107, 1, v107
	v_pk_fma_f32 v[108:109], v[110:111], v[108:109], v[112:113] neg_lo:[0,0,1] neg_hi:[0,0,1]
	v_mov_b32_e32 v109, v115
	s_delay_alu instid0(VALU_DEP_3) | instskip(NEXT) | instid1(VALU_DEP_2)
	v_cmp_lt_u32_e32 vcc_lo, 32, v107
	v_pk_add_f32 v[102:103], v[102:103], v[108:109]
	s_or_b32 s5, vcc_lo, s5
	s_delay_alu instid0(SALU_CYCLE_1)
	s_and_not1_b32 exec_lo, exec_lo, s5
	s_cbranch_execnz .LBB112_817
; %bb.818:
	s_or_b32 exec_lo, exec_lo, s5
.LBB112_819:
	s_delay_alu instid0(SALU_CYCLE_1) | instskip(SKIP_4) | instid1(VALU_DEP_1)
	s_or_b32 exec_lo, exec_lo, s4
	v_mov_b32_e32 v105, 0
	ds_load_b64 v[106:107], v105 offset:272
	s_wait_dscnt 0x0
	v_pk_mul_f32 v[108:109], v[102:103], v[106:107] op_sel:[1,1] op_sel_hi:[0,1]
	v_pk_fma_f32 v[110:111], v[102:103], v[106:107], v[108:109] op_sel_hi:[1,0,1]
	v_pk_fma_f32 v[102:103], v[102:103], v[106:107], v[108:109] neg_lo:[0,0,1] neg_hi:[0,0,1]
	s_delay_alu instid0(VALU_DEP_2)
	v_mov_b32_e32 v103, v111
	scratch_store_b64 off, v[102:103], off offset:272
.LBB112_820:
	s_wait_xcnt 0x0
	s_or_b32 exec_lo, exec_lo, s0
	scratch_load_b64 v[102:103], off, off offset:280
	s_mov_b32 s0, exec_lo
	s_wait_loadcnt 0x0
	ds_store_b64 v1, v[102:103]
	s_wait_storecnt_dscnt 0x0
	s_barrier_signal -1
	s_barrier_wait -1
	s_wait_xcnt 0x0
	v_cmpx_gt_u32_e32 35, v0
	s_cbranch_execz .LBB112_830
; %bb.821:
	v_cmp_ne_u32_e32 vcc_lo, 1, v104
	s_cbranch_vccnz .LBB112_823
; %bb.822:
	scratch_load_b64 v[102:103], v59, off
	ds_load_b64 v[106:107], v1
	s_wait_loadcnt_dscnt 0x0
	v_pk_mul_f32 v[108:109], v[106:107], v[102:103] op_sel:[1,1] op_sel_hi:[0,1]
	s_delay_alu instid0(VALU_DEP_1) | instskip(SKIP_1) | instid1(VALU_DEP_2)
	v_pk_fma_f32 v[110:111], v[106:107], v[102:103], v[108:109] op_sel_hi:[1,0,1]
	v_pk_fma_f32 v[102:103], v[106:107], v[102:103], v[108:109] neg_lo:[0,0,1] neg_hi:[0,0,1]
	v_mov_b32_e32 v103, v111
	s_cbranch_execz .LBB112_824
	s_branch .LBB112_825
.LBB112_823:
                                        ; implicit-def: $vgpr102_vgpr103
.LBB112_824:
	ds_load_b64 v[102:103], v1
.LBB112_825:
	s_mov_b32 s4, exec_lo
	v_cmpx_ne_u32_e32 34, v0
	s_cbranch_execz .LBB112_829
; %bb.826:
	v_add_nc_u32_e32 v105, 0x198, v58
	v_add3_u32 v106, 0, v58, 8
	v_mov_b32_e32 v107, v0
	s_mov_b32 s5, 0
.LBB112_827:                            ; =>This Inner Loop Header: Depth=1
	scratch_load_b64 v[108:109], v106, off
	ds_load_b64 v[110:111], v105
	s_wait_xcnt 0x0
	v_dual_add_nc_u32 v105, 8, v105 :: v_dual_add_nc_u32 v106, 8, v106
	s_wait_loadcnt_dscnt 0x0
	v_pk_mul_f32 v[112:113], v[110:111], v[108:109] op_sel:[1,1] op_sel_hi:[0,1]
	s_delay_alu instid0(VALU_DEP_1) | instskip(SKIP_2) | instid1(VALU_DEP_3)
	v_pk_fma_f32 v[114:115], v[110:111], v[108:109], v[112:113] op_sel_hi:[1,0,1]
	v_add_nc_u32_e32 v107, 1, v107
	v_pk_fma_f32 v[108:109], v[110:111], v[108:109], v[112:113] neg_lo:[0,0,1] neg_hi:[0,0,1]
	v_mov_b32_e32 v109, v115
	s_delay_alu instid0(VALU_DEP_3) | instskip(NEXT) | instid1(VALU_DEP_2)
	v_cmp_lt_u32_e32 vcc_lo, 33, v107
	v_pk_add_f32 v[102:103], v[102:103], v[108:109]
	s_or_b32 s5, vcc_lo, s5
	s_delay_alu instid0(SALU_CYCLE_1)
	s_and_not1_b32 exec_lo, exec_lo, s5
	s_cbranch_execnz .LBB112_827
; %bb.828:
	s_or_b32 exec_lo, exec_lo, s5
.LBB112_829:
	s_delay_alu instid0(SALU_CYCLE_1) | instskip(SKIP_4) | instid1(VALU_DEP_1)
	s_or_b32 exec_lo, exec_lo, s4
	v_mov_b32_e32 v105, 0
	ds_load_b64 v[106:107], v105 offset:280
	s_wait_dscnt 0x0
	v_pk_mul_f32 v[108:109], v[102:103], v[106:107] op_sel:[1,1] op_sel_hi:[0,1]
	v_pk_fma_f32 v[110:111], v[102:103], v[106:107], v[108:109] op_sel_hi:[1,0,1]
	v_pk_fma_f32 v[102:103], v[102:103], v[106:107], v[108:109] neg_lo:[0,0,1] neg_hi:[0,0,1]
	s_delay_alu instid0(VALU_DEP_2)
	v_mov_b32_e32 v103, v111
	scratch_store_b64 off, v[102:103], off offset:280
.LBB112_830:
	s_wait_xcnt 0x0
	s_or_b32 exec_lo, exec_lo, s0
	scratch_load_b64 v[102:103], off, off offset:288
	s_mov_b32 s0, exec_lo
	s_wait_loadcnt 0x0
	ds_store_b64 v1, v[102:103]
	s_wait_storecnt_dscnt 0x0
	s_barrier_signal -1
	s_barrier_wait -1
	s_wait_xcnt 0x0
	v_cmpx_gt_u32_e32 36, v0
	s_cbranch_execz .LBB112_840
; %bb.831:
	v_cmp_ne_u32_e32 vcc_lo, 1, v104
	s_cbranch_vccnz .LBB112_833
; %bb.832:
	scratch_load_b64 v[102:103], v59, off
	ds_load_b64 v[106:107], v1
	s_wait_loadcnt_dscnt 0x0
	v_pk_mul_f32 v[108:109], v[106:107], v[102:103] op_sel:[1,1] op_sel_hi:[0,1]
	s_delay_alu instid0(VALU_DEP_1) | instskip(SKIP_1) | instid1(VALU_DEP_2)
	v_pk_fma_f32 v[110:111], v[106:107], v[102:103], v[108:109] op_sel_hi:[1,0,1]
	v_pk_fma_f32 v[102:103], v[106:107], v[102:103], v[108:109] neg_lo:[0,0,1] neg_hi:[0,0,1]
	v_mov_b32_e32 v103, v111
	s_cbranch_execz .LBB112_834
	s_branch .LBB112_835
.LBB112_833:
                                        ; implicit-def: $vgpr102_vgpr103
.LBB112_834:
	ds_load_b64 v[102:103], v1
.LBB112_835:
	s_mov_b32 s4, exec_lo
	v_cmpx_ne_u32_e32 35, v0
	s_cbranch_execz .LBB112_839
; %bb.836:
	v_add_nc_u32_e32 v105, 0x198, v58
	v_add3_u32 v106, 0, v58, 8
	v_mov_b32_e32 v107, v0
	s_mov_b32 s5, 0
.LBB112_837:                            ; =>This Inner Loop Header: Depth=1
	scratch_load_b64 v[108:109], v106, off
	ds_load_b64 v[110:111], v105
	s_wait_xcnt 0x0
	v_dual_add_nc_u32 v105, 8, v105 :: v_dual_add_nc_u32 v106, 8, v106
	s_wait_loadcnt_dscnt 0x0
	v_pk_mul_f32 v[112:113], v[110:111], v[108:109] op_sel:[1,1] op_sel_hi:[0,1]
	s_delay_alu instid0(VALU_DEP_1) | instskip(SKIP_2) | instid1(VALU_DEP_3)
	v_pk_fma_f32 v[114:115], v[110:111], v[108:109], v[112:113] op_sel_hi:[1,0,1]
	v_add_nc_u32_e32 v107, 1, v107
	v_pk_fma_f32 v[108:109], v[110:111], v[108:109], v[112:113] neg_lo:[0,0,1] neg_hi:[0,0,1]
	v_mov_b32_e32 v109, v115
	s_delay_alu instid0(VALU_DEP_3) | instskip(NEXT) | instid1(VALU_DEP_2)
	v_cmp_lt_u32_e32 vcc_lo, 34, v107
	v_pk_add_f32 v[102:103], v[102:103], v[108:109]
	s_or_b32 s5, vcc_lo, s5
	s_delay_alu instid0(SALU_CYCLE_1)
	s_and_not1_b32 exec_lo, exec_lo, s5
	s_cbranch_execnz .LBB112_837
; %bb.838:
	s_or_b32 exec_lo, exec_lo, s5
.LBB112_839:
	s_delay_alu instid0(SALU_CYCLE_1) | instskip(SKIP_4) | instid1(VALU_DEP_1)
	s_or_b32 exec_lo, exec_lo, s4
	v_mov_b32_e32 v105, 0
	ds_load_b64 v[106:107], v105 offset:288
	s_wait_dscnt 0x0
	v_pk_mul_f32 v[108:109], v[102:103], v[106:107] op_sel:[1,1] op_sel_hi:[0,1]
	v_pk_fma_f32 v[110:111], v[102:103], v[106:107], v[108:109] op_sel_hi:[1,0,1]
	v_pk_fma_f32 v[102:103], v[102:103], v[106:107], v[108:109] neg_lo:[0,0,1] neg_hi:[0,0,1]
	s_delay_alu instid0(VALU_DEP_2)
	v_mov_b32_e32 v103, v111
	scratch_store_b64 off, v[102:103], off offset:288
.LBB112_840:
	s_wait_xcnt 0x0
	s_or_b32 exec_lo, exec_lo, s0
	scratch_load_b64 v[102:103], off, off offset:296
	s_mov_b32 s0, exec_lo
	s_wait_loadcnt 0x0
	ds_store_b64 v1, v[102:103]
	s_wait_storecnt_dscnt 0x0
	s_barrier_signal -1
	s_barrier_wait -1
	s_wait_xcnt 0x0
	v_cmpx_gt_u32_e32 37, v0
	s_cbranch_execz .LBB112_850
; %bb.841:
	v_cmp_ne_u32_e32 vcc_lo, 1, v104
	s_cbranch_vccnz .LBB112_843
; %bb.842:
	scratch_load_b64 v[102:103], v59, off
	ds_load_b64 v[106:107], v1
	s_wait_loadcnt_dscnt 0x0
	v_pk_mul_f32 v[108:109], v[106:107], v[102:103] op_sel:[1,1] op_sel_hi:[0,1]
	s_delay_alu instid0(VALU_DEP_1) | instskip(SKIP_1) | instid1(VALU_DEP_2)
	v_pk_fma_f32 v[110:111], v[106:107], v[102:103], v[108:109] op_sel_hi:[1,0,1]
	v_pk_fma_f32 v[102:103], v[106:107], v[102:103], v[108:109] neg_lo:[0,0,1] neg_hi:[0,0,1]
	v_mov_b32_e32 v103, v111
	s_cbranch_execz .LBB112_844
	s_branch .LBB112_845
.LBB112_843:
                                        ; implicit-def: $vgpr102_vgpr103
.LBB112_844:
	ds_load_b64 v[102:103], v1
.LBB112_845:
	s_mov_b32 s4, exec_lo
	v_cmpx_ne_u32_e32 36, v0
	s_cbranch_execz .LBB112_849
; %bb.846:
	v_add_nc_u32_e32 v105, 0x198, v58
	v_add3_u32 v106, 0, v58, 8
	v_mov_b32_e32 v107, v0
	s_mov_b32 s5, 0
.LBB112_847:                            ; =>This Inner Loop Header: Depth=1
	scratch_load_b64 v[108:109], v106, off
	ds_load_b64 v[110:111], v105
	s_wait_xcnt 0x0
	v_dual_add_nc_u32 v105, 8, v105 :: v_dual_add_nc_u32 v106, 8, v106
	s_wait_loadcnt_dscnt 0x0
	v_pk_mul_f32 v[112:113], v[110:111], v[108:109] op_sel:[1,1] op_sel_hi:[0,1]
	s_delay_alu instid0(VALU_DEP_1) | instskip(SKIP_2) | instid1(VALU_DEP_3)
	v_pk_fma_f32 v[114:115], v[110:111], v[108:109], v[112:113] op_sel_hi:[1,0,1]
	v_add_nc_u32_e32 v107, 1, v107
	v_pk_fma_f32 v[108:109], v[110:111], v[108:109], v[112:113] neg_lo:[0,0,1] neg_hi:[0,0,1]
	v_mov_b32_e32 v109, v115
	s_delay_alu instid0(VALU_DEP_3) | instskip(NEXT) | instid1(VALU_DEP_2)
	v_cmp_lt_u32_e32 vcc_lo, 35, v107
	v_pk_add_f32 v[102:103], v[102:103], v[108:109]
	s_or_b32 s5, vcc_lo, s5
	s_delay_alu instid0(SALU_CYCLE_1)
	s_and_not1_b32 exec_lo, exec_lo, s5
	s_cbranch_execnz .LBB112_847
; %bb.848:
	s_or_b32 exec_lo, exec_lo, s5
.LBB112_849:
	s_delay_alu instid0(SALU_CYCLE_1) | instskip(SKIP_4) | instid1(VALU_DEP_1)
	s_or_b32 exec_lo, exec_lo, s4
	v_mov_b32_e32 v105, 0
	ds_load_b64 v[106:107], v105 offset:296
	s_wait_dscnt 0x0
	v_pk_mul_f32 v[108:109], v[102:103], v[106:107] op_sel:[1,1] op_sel_hi:[0,1]
	v_pk_fma_f32 v[110:111], v[102:103], v[106:107], v[108:109] op_sel_hi:[1,0,1]
	v_pk_fma_f32 v[102:103], v[102:103], v[106:107], v[108:109] neg_lo:[0,0,1] neg_hi:[0,0,1]
	s_delay_alu instid0(VALU_DEP_2)
	v_mov_b32_e32 v103, v111
	scratch_store_b64 off, v[102:103], off offset:296
.LBB112_850:
	s_wait_xcnt 0x0
	s_or_b32 exec_lo, exec_lo, s0
	scratch_load_b64 v[102:103], off, off offset:304
	s_mov_b32 s0, exec_lo
	s_wait_loadcnt 0x0
	ds_store_b64 v1, v[102:103]
	s_wait_storecnt_dscnt 0x0
	s_barrier_signal -1
	s_barrier_wait -1
	s_wait_xcnt 0x0
	v_cmpx_gt_u32_e32 38, v0
	s_cbranch_execz .LBB112_860
; %bb.851:
	v_cmp_ne_u32_e32 vcc_lo, 1, v104
	s_cbranch_vccnz .LBB112_853
; %bb.852:
	scratch_load_b64 v[102:103], v59, off
	ds_load_b64 v[106:107], v1
	s_wait_loadcnt_dscnt 0x0
	v_pk_mul_f32 v[108:109], v[106:107], v[102:103] op_sel:[1,1] op_sel_hi:[0,1]
	s_delay_alu instid0(VALU_DEP_1) | instskip(SKIP_1) | instid1(VALU_DEP_2)
	v_pk_fma_f32 v[110:111], v[106:107], v[102:103], v[108:109] op_sel_hi:[1,0,1]
	v_pk_fma_f32 v[102:103], v[106:107], v[102:103], v[108:109] neg_lo:[0,0,1] neg_hi:[0,0,1]
	v_mov_b32_e32 v103, v111
	s_cbranch_execz .LBB112_854
	s_branch .LBB112_855
.LBB112_853:
                                        ; implicit-def: $vgpr102_vgpr103
.LBB112_854:
	ds_load_b64 v[102:103], v1
.LBB112_855:
	s_mov_b32 s4, exec_lo
	v_cmpx_ne_u32_e32 37, v0
	s_cbranch_execz .LBB112_859
; %bb.856:
	v_add_nc_u32_e32 v105, 0x198, v58
	v_add3_u32 v106, 0, v58, 8
	v_mov_b32_e32 v107, v0
	s_mov_b32 s5, 0
.LBB112_857:                            ; =>This Inner Loop Header: Depth=1
	scratch_load_b64 v[108:109], v106, off
	ds_load_b64 v[110:111], v105
	s_wait_xcnt 0x0
	v_dual_add_nc_u32 v105, 8, v105 :: v_dual_add_nc_u32 v106, 8, v106
	s_wait_loadcnt_dscnt 0x0
	v_pk_mul_f32 v[112:113], v[110:111], v[108:109] op_sel:[1,1] op_sel_hi:[0,1]
	s_delay_alu instid0(VALU_DEP_1) | instskip(SKIP_2) | instid1(VALU_DEP_3)
	v_pk_fma_f32 v[114:115], v[110:111], v[108:109], v[112:113] op_sel_hi:[1,0,1]
	v_add_nc_u32_e32 v107, 1, v107
	v_pk_fma_f32 v[108:109], v[110:111], v[108:109], v[112:113] neg_lo:[0,0,1] neg_hi:[0,0,1]
	v_mov_b32_e32 v109, v115
	s_delay_alu instid0(VALU_DEP_3) | instskip(NEXT) | instid1(VALU_DEP_2)
	v_cmp_lt_u32_e32 vcc_lo, 36, v107
	v_pk_add_f32 v[102:103], v[102:103], v[108:109]
	s_or_b32 s5, vcc_lo, s5
	s_delay_alu instid0(SALU_CYCLE_1)
	s_and_not1_b32 exec_lo, exec_lo, s5
	s_cbranch_execnz .LBB112_857
; %bb.858:
	s_or_b32 exec_lo, exec_lo, s5
.LBB112_859:
	s_delay_alu instid0(SALU_CYCLE_1) | instskip(SKIP_4) | instid1(VALU_DEP_1)
	s_or_b32 exec_lo, exec_lo, s4
	v_mov_b32_e32 v105, 0
	ds_load_b64 v[106:107], v105 offset:304
	s_wait_dscnt 0x0
	v_pk_mul_f32 v[108:109], v[102:103], v[106:107] op_sel:[1,1] op_sel_hi:[0,1]
	v_pk_fma_f32 v[110:111], v[102:103], v[106:107], v[108:109] op_sel_hi:[1,0,1]
	v_pk_fma_f32 v[102:103], v[102:103], v[106:107], v[108:109] neg_lo:[0,0,1] neg_hi:[0,0,1]
	s_delay_alu instid0(VALU_DEP_2)
	v_mov_b32_e32 v103, v111
	scratch_store_b64 off, v[102:103], off offset:304
.LBB112_860:
	s_wait_xcnt 0x0
	s_or_b32 exec_lo, exec_lo, s0
	scratch_load_b64 v[102:103], off, off offset:312
	s_mov_b32 s0, exec_lo
	s_wait_loadcnt 0x0
	ds_store_b64 v1, v[102:103]
	s_wait_storecnt_dscnt 0x0
	s_barrier_signal -1
	s_barrier_wait -1
	s_wait_xcnt 0x0
	v_cmpx_gt_u32_e32 39, v0
	s_cbranch_execz .LBB112_870
; %bb.861:
	v_cmp_ne_u32_e32 vcc_lo, 1, v104
	s_cbranch_vccnz .LBB112_863
; %bb.862:
	scratch_load_b64 v[102:103], v59, off
	ds_load_b64 v[106:107], v1
	s_wait_loadcnt_dscnt 0x0
	v_pk_mul_f32 v[108:109], v[106:107], v[102:103] op_sel:[1,1] op_sel_hi:[0,1]
	s_delay_alu instid0(VALU_DEP_1) | instskip(SKIP_1) | instid1(VALU_DEP_2)
	v_pk_fma_f32 v[110:111], v[106:107], v[102:103], v[108:109] op_sel_hi:[1,0,1]
	v_pk_fma_f32 v[102:103], v[106:107], v[102:103], v[108:109] neg_lo:[0,0,1] neg_hi:[0,0,1]
	v_mov_b32_e32 v103, v111
	s_cbranch_execz .LBB112_864
	s_branch .LBB112_865
.LBB112_863:
                                        ; implicit-def: $vgpr102_vgpr103
.LBB112_864:
	ds_load_b64 v[102:103], v1
.LBB112_865:
	s_mov_b32 s4, exec_lo
	v_cmpx_ne_u32_e32 38, v0
	s_cbranch_execz .LBB112_869
; %bb.866:
	v_add_nc_u32_e32 v105, 0x198, v58
	v_add3_u32 v106, 0, v58, 8
	v_mov_b32_e32 v107, v0
	s_mov_b32 s5, 0
.LBB112_867:                            ; =>This Inner Loop Header: Depth=1
	scratch_load_b64 v[108:109], v106, off
	ds_load_b64 v[110:111], v105
	s_wait_xcnt 0x0
	v_dual_add_nc_u32 v105, 8, v105 :: v_dual_add_nc_u32 v106, 8, v106
	s_wait_loadcnt_dscnt 0x0
	v_pk_mul_f32 v[112:113], v[110:111], v[108:109] op_sel:[1,1] op_sel_hi:[0,1]
	s_delay_alu instid0(VALU_DEP_1) | instskip(SKIP_2) | instid1(VALU_DEP_3)
	v_pk_fma_f32 v[114:115], v[110:111], v[108:109], v[112:113] op_sel_hi:[1,0,1]
	v_add_nc_u32_e32 v107, 1, v107
	v_pk_fma_f32 v[108:109], v[110:111], v[108:109], v[112:113] neg_lo:[0,0,1] neg_hi:[0,0,1]
	v_mov_b32_e32 v109, v115
	s_delay_alu instid0(VALU_DEP_3) | instskip(NEXT) | instid1(VALU_DEP_2)
	v_cmp_lt_u32_e32 vcc_lo, 37, v107
	v_pk_add_f32 v[102:103], v[102:103], v[108:109]
	s_or_b32 s5, vcc_lo, s5
	s_delay_alu instid0(SALU_CYCLE_1)
	s_and_not1_b32 exec_lo, exec_lo, s5
	s_cbranch_execnz .LBB112_867
; %bb.868:
	s_or_b32 exec_lo, exec_lo, s5
.LBB112_869:
	s_delay_alu instid0(SALU_CYCLE_1) | instskip(SKIP_4) | instid1(VALU_DEP_1)
	s_or_b32 exec_lo, exec_lo, s4
	v_mov_b32_e32 v105, 0
	ds_load_b64 v[106:107], v105 offset:312
	s_wait_dscnt 0x0
	v_pk_mul_f32 v[108:109], v[102:103], v[106:107] op_sel:[1,1] op_sel_hi:[0,1]
	v_pk_fma_f32 v[110:111], v[102:103], v[106:107], v[108:109] op_sel_hi:[1,0,1]
	v_pk_fma_f32 v[102:103], v[102:103], v[106:107], v[108:109] neg_lo:[0,0,1] neg_hi:[0,0,1]
	s_delay_alu instid0(VALU_DEP_2)
	v_mov_b32_e32 v103, v111
	scratch_store_b64 off, v[102:103], off offset:312
.LBB112_870:
	s_wait_xcnt 0x0
	s_or_b32 exec_lo, exec_lo, s0
	scratch_load_b64 v[102:103], off, off offset:320
	s_mov_b32 s0, exec_lo
	s_wait_loadcnt 0x0
	ds_store_b64 v1, v[102:103]
	s_wait_storecnt_dscnt 0x0
	s_barrier_signal -1
	s_barrier_wait -1
	s_wait_xcnt 0x0
	v_cmpx_gt_u32_e32 40, v0
	s_cbranch_execz .LBB112_880
; %bb.871:
	v_cmp_ne_u32_e32 vcc_lo, 1, v104
	s_cbranch_vccnz .LBB112_873
; %bb.872:
	scratch_load_b64 v[102:103], v59, off
	ds_load_b64 v[106:107], v1
	s_wait_loadcnt_dscnt 0x0
	v_pk_mul_f32 v[108:109], v[106:107], v[102:103] op_sel:[1,1] op_sel_hi:[0,1]
	s_delay_alu instid0(VALU_DEP_1) | instskip(SKIP_1) | instid1(VALU_DEP_2)
	v_pk_fma_f32 v[110:111], v[106:107], v[102:103], v[108:109] op_sel_hi:[1,0,1]
	v_pk_fma_f32 v[102:103], v[106:107], v[102:103], v[108:109] neg_lo:[0,0,1] neg_hi:[0,0,1]
	v_mov_b32_e32 v103, v111
	s_cbranch_execz .LBB112_874
	s_branch .LBB112_875
.LBB112_873:
                                        ; implicit-def: $vgpr102_vgpr103
.LBB112_874:
	ds_load_b64 v[102:103], v1
.LBB112_875:
	s_mov_b32 s4, exec_lo
	v_cmpx_ne_u32_e32 39, v0
	s_cbranch_execz .LBB112_879
; %bb.876:
	v_add_nc_u32_e32 v105, 0x198, v58
	v_add3_u32 v106, 0, v58, 8
	v_mov_b32_e32 v107, v0
	s_mov_b32 s5, 0
.LBB112_877:                            ; =>This Inner Loop Header: Depth=1
	scratch_load_b64 v[108:109], v106, off
	ds_load_b64 v[110:111], v105
	s_wait_xcnt 0x0
	v_dual_add_nc_u32 v105, 8, v105 :: v_dual_add_nc_u32 v106, 8, v106
	s_wait_loadcnt_dscnt 0x0
	v_pk_mul_f32 v[112:113], v[110:111], v[108:109] op_sel:[1,1] op_sel_hi:[0,1]
	s_delay_alu instid0(VALU_DEP_1) | instskip(SKIP_2) | instid1(VALU_DEP_3)
	v_pk_fma_f32 v[114:115], v[110:111], v[108:109], v[112:113] op_sel_hi:[1,0,1]
	v_add_nc_u32_e32 v107, 1, v107
	v_pk_fma_f32 v[108:109], v[110:111], v[108:109], v[112:113] neg_lo:[0,0,1] neg_hi:[0,0,1]
	v_mov_b32_e32 v109, v115
	s_delay_alu instid0(VALU_DEP_3) | instskip(NEXT) | instid1(VALU_DEP_2)
	v_cmp_lt_u32_e32 vcc_lo, 38, v107
	v_pk_add_f32 v[102:103], v[102:103], v[108:109]
	s_or_b32 s5, vcc_lo, s5
	s_delay_alu instid0(SALU_CYCLE_1)
	s_and_not1_b32 exec_lo, exec_lo, s5
	s_cbranch_execnz .LBB112_877
; %bb.878:
	s_or_b32 exec_lo, exec_lo, s5
.LBB112_879:
	s_delay_alu instid0(SALU_CYCLE_1) | instskip(SKIP_4) | instid1(VALU_DEP_1)
	s_or_b32 exec_lo, exec_lo, s4
	v_mov_b32_e32 v105, 0
	ds_load_b64 v[106:107], v105 offset:320
	s_wait_dscnt 0x0
	v_pk_mul_f32 v[108:109], v[102:103], v[106:107] op_sel:[1,1] op_sel_hi:[0,1]
	v_pk_fma_f32 v[110:111], v[102:103], v[106:107], v[108:109] op_sel_hi:[1,0,1]
	v_pk_fma_f32 v[102:103], v[102:103], v[106:107], v[108:109] neg_lo:[0,0,1] neg_hi:[0,0,1]
	s_delay_alu instid0(VALU_DEP_2)
	v_mov_b32_e32 v103, v111
	scratch_store_b64 off, v[102:103], off offset:320
.LBB112_880:
	s_wait_xcnt 0x0
	s_or_b32 exec_lo, exec_lo, s0
	scratch_load_b64 v[102:103], off, off offset:328
	s_mov_b32 s0, exec_lo
	s_wait_loadcnt 0x0
	ds_store_b64 v1, v[102:103]
	s_wait_storecnt_dscnt 0x0
	s_barrier_signal -1
	s_barrier_wait -1
	s_wait_xcnt 0x0
	v_cmpx_gt_u32_e32 41, v0
	s_cbranch_execz .LBB112_890
; %bb.881:
	v_cmp_ne_u32_e32 vcc_lo, 1, v104
	s_cbranch_vccnz .LBB112_883
; %bb.882:
	scratch_load_b64 v[102:103], v59, off
	ds_load_b64 v[106:107], v1
	s_wait_loadcnt_dscnt 0x0
	v_pk_mul_f32 v[108:109], v[106:107], v[102:103] op_sel:[1,1] op_sel_hi:[0,1]
	s_delay_alu instid0(VALU_DEP_1) | instskip(SKIP_1) | instid1(VALU_DEP_2)
	v_pk_fma_f32 v[110:111], v[106:107], v[102:103], v[108:109] op_sel_hi:[1,0,1]
	v_pk_fma_f32 v[102:103], v[106:107], v[102:103], v[108:109] neg_lo:[0,0,1] neg_hi:[0,0,1]
	v_mov_b32_e32 v103, v111
	s_cbranch_execz .LBB112_884
	s_branch .LBB112_885
.LBB112_883:
                                        ; implicit-def: $vgpr102_vgpr103
.LBB112_884:
	ds_load_b64 v[102:103], v1
.LBB112_885:
	s_mov_b32 s4, exec_lo
	v_cmpx_ne_u32_e32 40, v0
	s_cbranch_execz .LBB112_889
; %bb.886:
	v_add_nc_u32_e32 v105, 0x198, v58
	v_add3_u32 v106, 0, v58, 8
	v_mov_b32_e32 v107, v0
	s_mov_b32 s5, 0
.LBB112_887:                            ; =>This Inner Loop Header: Depth=1
	scratch_load_b64 v[108:109], v106, off
	ds_load_b64 v[110:111], v105
	s_wait_xcnt 0x0
	v_dual_add_nc_u32 v105, 8, v105 :: v_dual_add_nc_u32 v106, 8, v106
	s_wait_loadcnt_dscnt 0x0
	v_pk_mul_f32 v[112:113], v[110:111], v[108:109] op_sel:[1,1] op_sel_hi:[0,1]
	s_delay_alu instid0(VALU_DEP_1) | instskip(SKIP_2) | instid1(VALU_DEP_3)
	v_pk_fma_f32 v[114:115], v[110:111], v[108:109], v[112:113] op_sel_hi:[1,0,1]
	v_add_nc_u32_e32 v107, 1, v107
	v_pk_fma_f32 v[108:109], v[110:111], v[108:109], v[112:113] neg_lo:[0,0,1] neg_hi:[0,0,1]
	v_mov_b32_e32 v109, v115
	s_delay_alu instid0(VALU_DEP_3) | instskip(NEXT) | instid1(VALU_DEP_2)
	v_cmp_lt_u32_e32 vcc_lo, 39, v107
	v_pk_add_f32 v[102:103], v[102:103], v[108:109]
	s_or_b32 s5, vcc_lo, s5
	s_delay_alu instid0(SALU_CYCLE_1)
	s_and_not1_b32 exec_lo, exec_lo, s5
	s_cbranch_execnz .LBB112_887
; %bb.888:
	s_or_b32 exec_lo, exec_lo, s5
.LBB112_889:
	s_delay_alu instid0(SALU_CYCLE_1) | instskip(SKIP_4) | instid1(VALU_DEP_1)
	s_or_b32 exec_lo, exec_lo, s4
	v_mov_b32_e32 v105, 0
	ds_load_b64 v[106:107], v105 offset:328
	s_wait_dscnt 0x0
	v_pk_mul_f32 v[108:109], v[102:103], v[106:107] op_sel:[1,1] op_sel_hi:[0,1]
	v_pk_fma_f32 v[110:111], v[102:103], v[106:107], v[108:109] op_sel_hi:[1,0,1]
	v_pk_fma_f32 v[102:103], v[102:103], v[106:107], v[108:109] neg_lo:[0,0,1] neg_hi:[0,0,1]
	s_delay_alu instid0(VALU_DEP_2)
	v_mov_b32_e32 v103, v111
	scratch_store_b64 off, v[102:103], off offset:328
.LBB112_890:
	s_wait_xcnt 0x0
	s_or_b32 exec_lo, exec_lo, s0
	scratch_load_b64 v[102:103], off, off offset:336
	s_mov_b32 s0, exec_lo
	s_wait_loadcnt 0x0
	ds_store_b64 v1, v[102:103]
	s_wait_storecnt_dscnt 0x0
	s_barrier_signal -1
	s_barrier_wait -1
	s_wait_xcnt 0x0
	v_cmpx_gt_u32_e32 42, v0
	s_cbranch_execz .LBB112_900
; %bb.891:
	v_cmp_ne_u32_e32 vcc_lo, 1, v104
	s_cbranch_vccnz .LBB112_893
; %bb.892:
	scratch_load_b64 v[102:103], v59, off
	ds_load_b64 v[106:107], v1
	s_wait_loadcnt_dscnt 0x0
	v_pk_mul_f32 v[108:109], v[106:107], v[102:103] op_sel:[1,1] op_sel_hi:[0,1]
	s_delay_alu instid0(VALU_DEP_1) | instskip(SKIP_1) | instid1(VALU_DEP_2)
	v_pk_fma_f32 v[110:111], v[106:107], v[102:103], v[108:109] op_sel_hi:[1,0,1]
	v_pk_fma_f32 v[102:103], v[106:107], v[102:103], v[108:109] neg_lo:[0,0,1] neg_hi:[0,0,1]
	v_mov_b32_e32 v103, v111
	s_cbranch_execz .LBB112_894
	s_branch .LBB112_895
.LBB112_893:
                                        ; implicit-def: $vgpr102_vgpr103
.LBB112_894:
	ds_load_b64 v[102:103], v1
.LBB112_895:
	s_mov_b32 s4, exec_lo
	v_cmpx_ne_u32_e32 41, v0
	s_cbranch_execz .LBB112_899
; %bb.896:
	v_add_nc_u32_e32 v105, 0x198, v58
	v_add3_u32 v106, 0, v58, 8
	v_mov_b32_e32 v107, v0
	s_mov_b32 s5, 0
.LBB112_897:                            ; =>This Inner Loop Header: Depth=1
	scratch_load_b64 v[108:109], v106, off
	ds_load_b64 v[110:111], v105
	s_wait_xcnt 0x0
	v_dual_add_nc_u32 v105, 8, v105 :: v_dual_add_nc_u32 v106, 8, v106
	s_wait_loadcnt_dscnt 0x0
	v_pk_mul_f32 v[112:113], v[110:111], v[108:109] op_sel:[1,1] op_sel_hi:[0,1]
	s_delay_alu instid0(VALU_DEP_1) | instskip(SKIP_2) | instid1(VALU_DEP_3)
	v_pk_fma_f32 v[114:115], v[110:111], v[108:109], v[112:113] op_sel_hi:[1,0,1]
	v_add_nc_u32_e32 v107, 1, v107
	v_pk_fma_f32 v[108:109], v[110:111], v[108:109], v[112:113] neg_lo:[0,0,1] neg_hi:[0,0,1]
	v_mov_b32_e32 v109, v115
	s_delay_alu instid0(VALU_DEP_3) | instskip(NEXT) | instid1(VALU_DEP_2)
	v_cmp_lt_u32_e32 vcc_lo, 40, v107
	v_pk_add_f32 v[102:103], v[102:103], v[108:109]
	s_or_b32 s5, vcc_lo, s5
	s_delay_alu instid0(SALU_CYCLE_1)
	s_and_not1_b32 exec_lo, exec_lo, s5
	s_cbranch_execnz .LBB112_897
; %bb.898:
	s_or_b32 exec_lo, exec_lo, s5
.LBB112_899:
	s_delay_alu instid0(SALU_CYCLE_1) | instskip(SKIP_4) | instid1(VALU_DEP_1)
	s_or_b32 exec_lo, exec_lo, s4
	v_mov_b32_e32 v105, 0
	ds_load_b64 v[106:107], v105 offset:336
	s_wait_dscnt 0x0
	v_pk_mul_f32 v[108:109], v[102:103], v[106:107] op_sel:[1,1] op_sel_hi:[0,1]
	v_pk_fma_f32 v[110:111], v[102:103], v[106:107], v[108:109] op_sel_hi:[1,0,1]
	v_pk_fma_f32 v[102:103], v[102:103], v[106:107], v[108:109] neg_lo:[0,0,1] neg_hi:[0,0,1]
	s_delay_alu instid0(VALU_DEP_2)
	v_mov_b32_e32 v103, v111
	scratch_store_b64 off, v[102:103], off offset:336
.LBB112_900:
	s_wait_xcnt 0x0
	s_or_b32 exec_lo, exec_lo, s0
	scratch_load_b64 v[102:103], off, off offset:344
	s_mov_b32 s0, exec_lo
	s_wait_loadcnt 0x0
	ds_store_b64 v1, v[102:103]
	s_wait_storecnt_dscnt 0x0
	s_barrier_signal -1
	s_barrier_wait -1
	s_wait_xcnt 0x0
	v_cmpx_gt_u32_e32 43, v0
	s_cbranch_execz .LBB112_910
; %bb.901:
	v_cmp_ne_u32_e32 vcc_lo, 1, v104
	s_cbranch_vccnz .LBB112_903
; %bb.902:
	scratch_load_b64 v[102:103], v59, off
	ds_load_b64 v[106:107], v1
	s_wait_loadcnt_dscnt 0x0
	v_pk_mul_f32 v[108:109], v[106:107], v[102:103] op_sel:[1,1] op_sel_hi:[0,1]
	s_delay_alu instid0(VALU_DEP_1) | instskip(SKIP_1) | instid1(VALU_DEP_2)
	v_pk_fma_f32 v[110:111], v[106:107], v[102:103], v[108:109] op_sel_hi:[1,0,1]
	v_pk_fma_f32 v[102:103], v[106:107], v[102:103], v[108:109] neg_lo:[0,0,1] neg_hi:[0,0,1]
	v_mov_b32_e32 v103, v111
	s_cbranch_execz .LBB112_904
	s_branch .LBB112_905
.LBB112_903:
                                        ; implicit-def: $vgpr102_vgpr103
.LBB112_904:
	ds_load_b64 v[102:103], v1
.LBB112_905:
	s_mov_b32 s4, exec_lo
	v_cmpx_ne_u32_e32 42, v0
	s_cbranch_execz .LBB112_909
; %bb.906:
	v_add_nc_u32_e32 v105, 0x198, v58
	v_add3_u32 v106, 0, v58, 8
	v_mov_b32_e32 v107, v0
	s_mov_b32 s5, 0
.LBB112_907:                            ; =>This Inner Loop Header: Depth=1
	scratch_load_b64 v[108:109], v106, off
	ds_load_b64 v[110:111], v105
	s_wait_xcnt 0x0
	v_dual_add_nc_u32 v105, 8, v105 :: v_dual_add_nc_u32 v106, 8, v106
	s_wait_loadcnt_dscnt 0x0
	v_pk_mul_f32 v[112:113], v[110:111], v[108:109] op_sel:[1,1] op_sel_hi:[0,1]
	s_delay_alu instid0(VALU_DEP_1) | instskip(SKIP_2) | instid1(VALU_DEP_3)
	v_pk_fma_f32 v[114:115], v[110:111], v[108:109], v[112:113] op_sel_hi:[1,0,1]
	v_add_nc_u32_e32 v107, 1, v107
	v_pk_fma_f32 v[108:109], v[110:111], v[108:109], v[112:113] neg_lo:[0,0,1] neg_hi:[0,0,1]
	v_mov_b32_e32 v109, v115
	s_delay_alu instid0(VALU_DEP_3) | instskip(NEXT) | instid1(VALU_DEP_2)
	v_cmp_lt_u32_e32 vcc_lo, 41, v107
	v_pk_add_f32 v[102:103], v[102:103], v[108:109]
	s_or_b32 s5, vcc_lo, s5
	s_delay_alu instid0(SALU_CYCLE_1)
	s_and_not1_b32 exec_lo, exec_lo, s5
	s_cbranch_execnz .LBB112_907
; %bb.908:
	s_or_b32 exec_lo, exec_lo, s5
.LBB112_909:
	s_delay_alu instid0(SALU_CYCLE_1) | instskip(SKIP_4) | instid1(VALU_DEP_1)
	s_or_b32 exec_lo, exec_lo, s4
	v_mov_b32_e32 v105, 0
	ds_load_b64 v[106:107], v105 offset:344
	s_wait_dscnt 0x0
	v_pk_mul_f32 v[108:109], v[102:103], v[106:107] op_sel:[1,1] op_sel_hi:[0,1]
	v_pk_fma_f32 v[110:111], v[102:103], v[106:107], v[108:109] op_sel_hi:[1,0,1]
	v_pk_fma_f32 v[102:103], v[102:103], v[106:107], v[108:109] neg_lo:[0,0,1] neg_hi:[0,0,1]
	s_delay_alu instid0(VALU_DEP_2)
	v_mov_b32_e32 v103, v111
	scratch_store_b64 off, v[102:103], off offset:344
.LBB112_910:
	s_wait_xcnt 0x0
	s_or_b32 exec_lo, exec_lo, s0
	scratch_load_b64 v[102:103], off, off offset:352
	s_mov_b32 s0, exec_lo
	s_wait_loadcnt 0x0
	ds_store_b64 v1, v[102:103]
	s_wait_storecnt_dscnt 0x0
	s_barrier_signal -1
	s_barrier_wait -1
	s_wait_xcnt 0x0
	v_cmpx_gt_u32_e32 44, v0
	s_cbranch_execz .LBB112_920
; %bb.911:
	v_cmp_ne_u32_e32 vcc_lo, 1, v104
	s_cbranch_vccnz .LBB112_913
; %bb.912:
	scratch_load_b64 v[102:103], v59, off
	ds_load_b64 v[106:107], v1
	s_wait_loadcnt_dscnt 0x0
	v_pk_mul_f32 v[108:109], v[106:107], v[102:103] op_sel:[1,1] op_sel_hi:[0,1]
	s_delay_alu instid0(VALU_DEP_1) | instskip(SKIP_1) | instid1(VALU_DEP_2)
	v_pk_fma_f32 v[110:111], v[106:107], v[102:103], v[108:109] op_sel_hi:[1,0,1]
	v_pk_fma_f32 v[102:103], v[106:107], v[102:103], v[108:109] neg_lo:[0,0,1] neg_hi:[0,0,1]
	v_mov_b32_e32 v103, v111
	s_cbranch_execz .LBB112_914
	s_branch .LBB112_915
.LBB112_913:
                                        ; implicit-def: $vgpr102_vgpr103
.LBB112_914:
	ds_load_b64 v[102:103], v1
.LBB112_915:
	s_mov_b32 s4, exec_lo
	v_cmpx_ne_u32_e32 43, v0
	s_cbranch_execz .LBB112_919
; %bb.916:
	v_add_nc_u32_e32 v105, 0x198, v58
	v_add3_u32 v106, 0, v58, 8
	v_mov_b32_e32 v107, v0
	s_mov_b32 s5, 0
.LBB112_917:                            ; =>This Inner Loop Header: Depth=1
	scratch_load_b64 v[108:109], v106, off
	ds_load_b64 v[110:111], v105
	s_wait_xcnt 0x0
	v_dual_add_nc_u32 v105, 8, v105 :: v_dual_add_nc_u32 v106, 8, v106
	s_wait_loadcnt_dscnt 0x0
	v_pk_mul_f32 v[112:113], v[110:111], v[108:109] op_sel:[1,1] op_sel_hi:[0,1]
	s_delay_alu instid0(VALU_DEP_1) | instskip(SKIP_2) | instid1(VALU_DEP_3)
	v_pk_fma_f32 v[114:115], v[110:111], v[108:109], v[112:113] op_sel_hi:[1,0,1]
	v_add_nc_u32_e32 v107, 1, v107
	v_pk_fma_f32 v[108:109], v[110:111], v[108:109], v[112:113] neg_lo:[0,0,1] neg_hi:[0,0,1]
	v_mov_b32_e32 v109, v115
	s_delay_alu instid0(VALU_DEP_3) | instskip(NEXT) | instid1(VALU_DEP_2)
	v_cmp_lt_u32_e32 vcc_lo, 42, v107
	v_pk_add_f32 v[102:103], v[102:103], v[108:109]
	s_or_b32 s5, vcc_lo, s5
	s_delay_alu instid0(SALU_CYCLE_1)
	s_and_not1_b32 exec_lo, exec_lo, s5
	s_cbranch_execnz .LBB112_917
; %bb.918:
	s_or_b32 exec_lo, exec_lo, s5
.LBB112_919:
	s_delay_alu instid0(SALU_CYCLE_1) | instskip(SKIP_4) | instid1(VALU_DEP_1)
	s_or_b32 exec_lo, exec_lo, s4
	v_mov_b32_e32 v105, 0
	ds_load_b64 v[106:107], v105 offset:352
	s_wait_dscnt 0x0
	v_pk_mul_f32 v[108:109], v[102:103], v[106:107] op_sel:[1,1] op_sel_hi:[0,1]
	v_pk_fma_f32 v[110:111], v[102:103], v[106:107], v[108:109] op_sel_hi:[1,0,1]
	v_pk_fma_f32 v[102:103], v[102:103], v[106:107], v[108:109] neg_lo:[0,0,1] neg_hi:[0,0,1]
	s_delay_alu instid0(VALU_DEP_2)
	v_mov_b32_e32 v103, v111
	scratch_store_b64 off, v[102:103], off offset:352
.LBB112_920:
	s_wait_xcnt 0x0
	s_or_b32 exec_lo, exec_lo, s0
	scratch_load_b64 v[102:103], off, off offset:360
	s_mov_b32 s0, exec_lo
	s_wait_loadcnt 0x0
	ds_store_b64 v1, v[102:103]
	s_wait_storecnt_dscnt 0x0
	s_barrier_signal -1
	s_barrier_wait -1
	s_wait_xcnt 0x0
	v_cmpx_gt_u32_e32 45, v0
	s_cbranch_execz .LBB112_930
; %bb.921:
	v_cmp_ne_u32_e32 vcc_lo, 1, v104
	s_cbranch_vccnz .LBB112_923
; %bb.922:
	scratch_load_b64 v[102:103], v59, off
	ds_load_b64 v[106:107], v1
	s_wait_loadcnt_dscnt 0x0
	v_pk_mul_f32 v[108:109], v[106:107], v[102:103] op_sel:[1,1] op_sel_hi:[0,1]
	s_delay_alu instid0(VALU_DEP_1) | instskip(SKIP_1) | instid1(VALU_DEP_2)
	v_pk_fma_f32 v[110:111], v[106:107], v[102:103], v[108:109] op_sel_hi:[1,0,1]
	v_pk_fma_f32 v[102:103], v[106:107], v[102:103], v[108:109] neg_lo:[0,0,1] neg_hi:[0,0,1]
	v_mov_b32_e32 v103, v111
	s_cbranch_execz .LBB112_924
	s_branch .LBB112_925
.LBB112_923:
                                        ; implicit-def: $vgpr102_vgpr103
.LBB112_924:
	ds_load_b64 v[102:103], v1
.LBB112_925:
	s_mov_b32 s4, exec_lo
	v_cmpx_ne_u32_e32 44, v0
	s_cbranch_execz .LBB112_929
; %bb.926:
	v_add_nc_u32_e32 v105, 0x198, v58
	v_add3_u32 v106, 0, v58, 8
	v_mov_b32_e32 v107, v0
	s_mov_b32 s5, 0
.LBB112_927:                            ; =>This Inner Loop Header: Depth=1
	scratch_load_b64 v[108:109], v106, off
	ds_load_b64 v[110:111], v105
	s_wait_xcnt 0x0
	v_dual_add_nc_u32 v105, 8, v105 :: v_dual_add_nc_u32 v106, 8, v106
	s_wait_loadcnt_dscnt 0x0
	v_pk_mul_f32 v[112:113], v[110:111], v[108:109] op_sel:[1,1] op_sel_hi:[0,1]
	s_delay_alu instid0(VALU_DEP_1) | instskip(SKIP_2) | instid1(VALU_DEP_3)
	v_pk_fma_f32 v[114:115], v[110:111], v[108:109], v[112:113] op_sel_hi:[1,0,1]
	v_add_nc_u32_e32 v107, 1, v107
	v_pk_fma_f32 v[108:109], v[110:111], v[108:109], v[112:113] neg_lo:[0,0,1] neg_hi:[0,0,1]
	v_mov_b32_e32 v109, v115
	s_delay_alu instid0(VALU_DEP_3) | instskip(NEXT) | instid1(VALU_DEP_2)
	v_cmp_lt_u32_e32 vcc_lo, 43, v107
	v_pk_add_f32 v[102:103], v[102:103], v[108:109]
	s_or_b32 s5, vcc_lo, s5
	s_delay_alu instid0(SALU_CYCLE_1)
	s_and_not1_b32 exec_lo, exec_lo, s5
	s_cbranch_execnz .LBB112_927
; %bb.928:
	s_or_b32 exec_lo, exec_lo, s5
.LBB112_929:
	s_delay_alu instid0(SALU_CYCLE_1) | instskip(SKIP_4) | instid1(VALU_DEP_1)
	s_or_b32 exec_lo, exec_lo, s4
	v_mov_b32_e32 v105, 0
	ds_load_b64 v[106:107], v105 offset:360
	s_wait_dscnt 0x0
	v_pk_mul_f32 v[108:109], v[102:103], v[106:107] op_sel:[1,1] op_sel_hi:[0,1]
	v_pk_fma_f32 v[110:111], v[102:103], v[106:107], v[108:109] op_sel_hi:[1,0,1]
	v_pk_fma_f32 v[102:103], v[102:103], v[106:107], v[108:109] neg_lo:[0,0,1] neg_hi:[0,0,1]
	s_delay_alu instid0(VALU_DEP_2)
	v_mov_b32_e32 v103, v111
	scratch_store_b64 off, v[102:103], off offset:360
.LBB112_930:
	s_wait_xcnt 0x0
	s_or_b32 exec_lo, exec_lo, s0
	scratch_load_b64 v[102:103], off, off offset:368
	s_mov_b32 s0, exec_lo
	s_wait_loadcnt 0x0
	ds_store_b64 v1, v[102:103]
	s_wait_storecnt_dscnt 0x0
	s_barrier_signal -1
	s_barrier_wait -1
	s_wait_xcnt 0x0
	v_cmpx_gt_u32_e32 46, v0
	s_cbranch_execz .LBB112_940
; %bb.931:
	v_cmp_ne_u32_e32 vcc_lo, 1, v104
	s_cbranch_vccnz .LBB112_933
; %bb.932:
	scratch_load_b64 v[102:103], v59, off
	ds_load_b64 v[106:107], v1
	s_wait_loadcnt_dscnt 0x0
	v_pk_mul_f32 v[108:109], v[106:107], v[102:103] op_sel:[1,1] op_sel_hi:[0,1]
	s_delay_alu instid0(VALU_DEP_1) | instskip(SKIP_1) | instid1(VALU_DEP_2)
	v_pk_fma_f32 v[110:111], v[106:107], v[102:103], v[108:109] op_sel_hi:[1,0,1]
	v_pk_fma_f32 v[102:103], v[106:107], v[102:103], v[108:109] neg_lo:[0,0,1] neg_hi:[0,0,1]
	v_mov_b32_e32 v103, v111
	s_cbranch_execz .LBB112_934
	s_branch .LBB112_935
.LBB112_933:
                                        ; implicit-def: $vgpr102_vgpr103
.LBB112_934:
	ds_load_b64 v[102:103], v1
.LBB112_935:
	s_mov_b32 s4, exec_lo
	v_cmpx_ne_u32_e32 45, v0
	s_cbranch_execz .LBB112_939
; %bb.936:
	v_add_nc_u32_e32 v105, 0x198, v58
	v_add3_u32 v106, 0, v58, 8
	v_mov_b32_e32 v107, v0
	s_mov_b32 s5, 0
.LBB112_937:                            ; =>This Inner Loop Header: Depth=1
	scratch_load_b64 v[108:109], v106, off
	ds_load_b64 v[110:111], v105
	s_wait_xcnt 0x0
	v_dual_add_nc_u32 v105, 8, v105 :: v_dual_add_nc_u32 v106, 8, v106
	s_wait_loadcnt_dscnt 0x0
	v_pk_mul_f32 v[112:113], v[110:111], v[108:109] op_sel:[1,1] op_sel_hi:[0,1]
	s_delay_alu instid0(VALU_DEP_1) | instskip(SKIP_2) | instid1(VALU_DEP_3)
	v_pk_fma_f32 v[114:115], v[110:111], v[108:109], v[112:113] op_sel_hi:[1,0,1]
	v_add_nc_u32_e32 v107, 1, v107
	v_pk_fma_f32 v[108:109], v[110:111], v[108:109], v[112:113] neg_lo:[0,0,1] neg_hi:[0,0,1]
	v_mov_b32_e32 v109, v115
	s_delay_alu instid0(VALU_DEP_3) | instskip(NEXT) | instid1(VALU_DEP_2)
	v_cmp_lt_u32_e32 vcc_lo, 44, v107
	v_pk_add_f32 v[102:103], v[102:103], v[108:109]
	s_or_b32 s5, vcc_lo, s5
	s_delay_alu instid0(SALU_CYCLE_1)
	s_and_not1_b32 exec_lo, exec_lo, s5
	s_cbranch_execnz .LBB112_937
; %bb.938:
	s_or_b32 exec_lo, exec_lo, s5
.LBB112_939:
	s_delay_alu instid0(SALU_CYCLE_1) | instskip(SKIP_4) | instid1(VALU_DEP_1)
	s_or_b32 exec_lo, exec_lo, s4
	v_mov_b32_e32 v105, 0
	ds_load_b64 v[106:107], v105 offset:368
	s_wait_dscnt 0x0
	v_pk_mul_f32 v[108:109], v[102:103], v[106:107] op_sel:[1,1] op_sel_hi:[0,1]
	v_pk_fma_f32 v[110:111], v[102:103], v[106:107], v[108:109] op_sel_hi:[1,0,1]
	v_pk_fma_f32 v[102:103], v[102:103], v[106:107], v[108:109] neg_lo:[0,0,1] neg_hi:[0,0,1]
	s_delay_alu instid0(VALU_DEP_2)
	v_mov_b32_e32 v103, v111
	scratch_store_b64 off, v[102:103], off offset:368
.LBB112_940:
	s_wait_xcnt 0x0
	s_or_b32 exec_lo, exec_lo, s0
	scratch_load_b64 v[102:103], off, off offset:376
	v_cmp_gt_u32_e64 s0, 47, v0
	s_wait_loadcnt 0x0
	ds_store_b64 v1, v[102:103]
	s_wait_storecnt_dscnt 0x0
	s_barrier_signal -1
	s_barrier_wait -1
	s_wait_xcnt 0x0
	s_and_saveexec_b32 s4, s0
	s_cbranch_execz .LBB112_950
; %bb.941:
	v_cmp_ne_u32_e32 vcc_lo, 1, v104
	s_cbranch_vccnz .LBB112_943
; %bb.942:
	scratch_load_b64 v[102:103], v59, off
	ds_load_b64 v[106:107], v1
	s_wait_loadcnt_dscnt 0x0
	v_pk_mul_f32 v[108:109], v[106:107], v[102:103] op_sel:[1,1] op_sel_hi:[0,1]
	s_delay_alu instid0(VALU_DEP_1) | instskip(SKIP_1) | instid1(VALU_DEP_2)
	v_pk_fma_f32 v[110:111], v[106:107], v[102:103], v[108:109] op_sel_hi:[1,0,1]
	v_pk_fma_f32 v[102:103], v[106:107], v[102:103], v[108:109] neg_lo:[0,0,1] neg_hi:[0,0,1]
	v_mov_b32_e32 v103, v111
	s_cbranch_execz .LBB112_944
	s_branch .LBB112_945
.LBB112_943:
                                        ; implicit-def: $vgpr102_vgpr103
.LBB112_944:
	ds_load_b64 v[102:103], v1
.LBB112_945:
	s_mov_b32 s5, exec_lo
	v_cmpx_ne_u32_e32 46, v0
	s_cbranch_execz .LBB112_949
; %bb.946:
	v_add_nc_u32_e32 v105, 0x198, v58
	v_add3_u32 v106, 0, v58, 8
	v_mov_b32_e32 v107, v0
	s_mov_b32 s6, 0
.LBB112_947:                            ; =>This Inner Loop Header: Depth=1
	scratch_load_b64 v[108:109], v106, off
	ds_load_b64 v[110:111], v105
	s_wait_xcnt 0x0
	v_dual_add_nc_u32 v105, 8, v105 :: v_dual_add_nc_u32 v106, 8, v106
	s_wait_loadcnt_dscnt 0x0
	v_pk_mul_f32 v[112:113], v[110:111], v[108:109] op_sel:[1,1] op_sel_hi:[0,1]
	s_delay_alu instid0(VALU_DEP_1) | instskip(SKIP_2) | instid1(VALU_DEP_3)
	v_pk_fma_f32 v[114:115], v[110:111], v[108:109], v[112:113] op_sel_hi:[1,0,1]
	v_add_nc_u32_e32 v107, 1, v107
	v_pk_fma_f32 v[108:109], v[110:111], v[108:109], v[112:113] neg_lo:[0,0,1] neg_hi:[0,0,1]
	v_mov_b32_e32 v109, v115
	s_delay_alu instid0(VALU_DEP_3) | instskip(NEXT) | instid1(VALU_DEP_2)
	v_cmp_lt_u32_e32 vcc_lo, 45, v107
	v_pk_add_f32 v[102:103], v[102:103], v[108:109]
	s_or_b32 s6, vcc_lo, s6
	s_delay_alu instid0(SALU_CYCLE_1)
	s_and_not1_b32 exec_lo, exec_lo, s6
	s_cbranch_execnz .LBB112_947
; %bb.948:
	s_or_b32 exec_lo, exec_lo, s6
.LBB112_949:
	s_delay_alu instid0(SALU_CYCLE_1) | instskip(SKIP_4) | instid1(VALU_DEP_1)
	s_or_b32 exec_lo, exec_lo, s5
	v_mov_b32_e32 v105, 0
	ds_load_b64 v[106:107], v105 offset:376
	s_wait_dscnt 0x0
	v_pk_mul_f32 v[108:109], v[102:103], v[106:107] op_sel:[1,1] op_sel_hi:[0,1]
	v_pk_fma_f32 v[110:111], v[102:103], v[106:107], v[108:109] op_sel_hi:[1,0,1]
	v_pk_fma_f32 v[102:103], v[102:103], v[106:107], v[108:109] neg_lo:[0,0,1] neg_hi:[0,0,1]
	s_delay_alu instid0(VALU_DEP_2)
	v_mov_b32_e32 v103, v111
	scratch_store_b64 off, v[102:103], off offset:376
.LBB112_950:
	s_wait_xcnt 0x0
	s_or_b32 exec_lo, exec_lo, s4
	scratch_load_b64 v[102:103], off, off offset:384
	s_mov_b32 s4, exec_lo
                                        ; implicit-def: $vgpr146
                                        ; implicit-def: $sgpr7
	s_wait_loadcnt 0x0
	ds_store_b64 v1, v[102:103]
	s_wait_storecnt_dscnt 0x0
	s_barrier_signal -1
	s_barrier_wait -1
	s_wait_xcnt 0x0
	v_cmpx_ne_u32_e32 48, v0
	s_cbranch_execz .LBB112_960
; %bb.951:
	v_cmp_ne_u32_e32 vcc_lo, 1, v104
	s_cbranch_vccnz .LBB112_953
; %bb.952:
	scratch_load_b64 v[104:105], v59, off
	ds_load_b64 v[106:107], v1
	s_wait_loadcnt_dscnt 0x0
	v_dual_mul_f32 v59, v107, v105 :: v_dual_mul_f32 v103, v106, v105
	s_delay_alu instid0(VALU_DEP_1) | instskip(NEXT) | instid1(VALU_DEP_2)
	v_fma_f32 v102, v106, v104, -v59
	v_fmac_f32_e32 v103, v107, v104
	s_cbranch_execz .LBB112_954
	s_branch .LBB112_955
.LBB112_953:
                                        ; implicit-def: $vgpr103
.LBB112_954:
	ds_load_b64 v[102:103], v1
.LBB112_955:
	s_and_saveexec_b32 s5, s0
	s_cbranch_execz .LBB112_959
; %bb.956:
	v_add_nc_u32_e32 v1, 0x198, v58
	v_add3_u32 v58, 0, v58, 8
	s_mov_b32 s0, 0
.LBB112_957:                            ; =>This Inner Loop Header: Depth=1
	scratch_load_b64 v[104:105], v58, off
	ds_load_b64 v[106:107], v1
	v_dual_add_nc_u32 v0, 1, v0 :: v_dual_add_nc_u32 v1, 8, v1
	s_delay_alu instid0(VALU_DEP_1) | instskip(SKIP_3) | instid1(VALU_DEP_1)
	v_cmp_lt_u32_e32 vcc_lo, 46, v0
	s_or_b32 s0, vcc_lo, s0
	s_wait_loadcnt_dscnt 0x0
	v_dual_mul_f32 v59, v107, v105 :: v_dual_mul_f32 v105, v106, v105
	v_dual_fma_f32 v59, v106, v104, -v59 :: v_dual_fmac_f32 v105, v107, v104
	s_delay_alu instid0(VALU_DEP_1) | instskip(NEXT) | instid1(VALU_DEP_2)
	v_dual_add_nc_u32 v58, 8, v58 :: v_dual_add_f32 v102, v102, v59
	v_add_f32_e32 v103, v103, v105
	s_and_not1_b32 exec_lo, exec_lo, s0
	s_cbranch_execnz .LBB112_957
; %bb.958:
	s_or_b32 exec_lo, exec_lo, s0
.LBB112_959:
	s_delay_alu instid0(SALU_CYCLE_1)
	s_or_b32 exec_lo, exec_lo, s5
	v_mov_b32_e32 v0, 0
	s_movk_i32 s7, 0x184
	s_or_b32 s1, s1, exec_lo
	ds_load_b64 v[0:1], v0 offset:384
	s_wait_dscnt 0x0
	v_dual_mul_f32 v58, v103, v1 :: v_dual_mul_f32 v146, v102, v1
	s_delay_alu instid0(VALU_DEP_1) | instskip(NEXT) | instid1(VALU_DEP_2)
	v_fma_f32 v1, v102, v0, -v58
	v_fmac_f32_e32 v146, v103, v0
	scratch_store_b32 off, v1, off offset:384
.LBB112_960:
	s_wait_xcnt 0x0
	s_or_b32 exec_lo, exec_lo, s4
.LBB112_961:
	v_lshl_add_u64 v[144:145], v[6:7], 3, s[2:3]
	v_lshl_add_u64 v[142:143], v[8:9], 3, s[2:3]
	;; [unrolled: 1-line block ×47, first 2 shown]
	s_and_saveexec_b32 s0, s1
	s_cbranch_execz .LBB112_963
; %bb.962:
	scratch_store_b32 off, v146, s7
.LBB112_963:
	s_wait_xcnt 0x0
	s_or_b32 exec_lo, exec_lo, s0
	scratch_load_b64 v[52:53], off, off
	s_wait_loadcnt 0x0
	flat_store_b64 v[2:3], v[52:53]
	scratch_load_b64 v[2:3], off, off offset:8
	s_wait_loadcnt 0x0
	flat_store_b64 v[4:5], v[2:3]
	scratch_load_b64 v[2:3], off, off offset:16
	s_wait_loadcnt 0x0
	flat_store_b64 v[144:145], v[2:3]
	scratch_load_b64 v[2:3], off, off offset:24
	s_wait_loadcnt 0x0
	flat_store_b64 v[142:143], v[2:3]
	scratch_load_b64 v[2:3], off, off offset:32
	s_wait_loadcnt 0x0
	flat_store_b64 v[140:141], v[2:3]
	scratch_load_b64 v[2:3], off, off offset:40
	s_wait_loadcnt 0x0
	flat_store_b64 v[138:139], v[2:3]
	scratch_load_b64 v[2:3], off, off offset:48
	s_wait_loadcnt 0x0
	flat_store_b64 v[136:137], v[2:3]
	scratch_load_b64 v[2:3], off, off offset:56
	s_wait_loadcnt 0x0
	flat_store_b64 v[134:135], v[2:3]
	scratch_load_b64 v[2:3], off, off offset:64
	s_wait_loadcnt 0x0
	flat_store_b64 v[132:133], v[2:3]
	scratch_load_b64 v[2:3], off, off offset:72
	s_wait_loadcnt 0x0
	flat_store_b64 v[130:131], v[2:3]
	scratch_load_b64 v[2:3], off, off offset:80
	s_wait_loadcnt 0x0
	flat_store_b64 v[128:129], v[2:3]
	scratch_load_b64 v[2:3], off, off offset:88
	s_wait_loadcnt 0x0
	flat_store_b64 v[126:127], v[2:3]
	scratch_load_b64 v[2:3], off, off offset:96
	s_wait_loadcnt 0x0
	flat_store_b64 v[124:125], v[2:3]
	scratch_load_b64 v[2:3], off, off offset:104
	s_wait_loadcnt 0x0
	flat_store_b64 v[122:123], v[2:3]
	scratch_load_b64 v[2:3], off, off offset:112
	s_wait_loadcnt 0x0
	flat_store_b64 v[120:121], v[2:3]
	scratch_load_b64 v[2:3], off, off offset:120
	s_wait_loadcnt 0x0
	flat_store_b64 v[118:119], v[2:3]
	scratch_load_b64 v[2:3], off, off offset:128
	s_wait_loadcnt 0x0
	flat_store_b64 v[116:117], v[2:3]
	scratch_load_b64 v[2:3], off, off offset:136
	s_wait_loadcnt 0x0
	flat_store_b64 v[114:115], v[2:3]
	scratch_load_b64 v[2:3], off, off offset:144
	s_wait_loadcnt 0x0
	flat_store_b64 v[112:113], v[2:3]
	scratch_load_b64 v[2:3], off, off offset:152
	s_wait_loadcnt 0x0
	flat_store_b64 v[110:111], v[2:3]
	scratch_load_b64 v[2:3], off, off offset:160
	s_wait_loadcnt 0x0
	flat_store_b64 v[108:109], v[2:3]
	scratch_load_b64 v[2:3], off, off offset:168
	s_wait_loadcnt 0x0
	flat_store_b64 v[106:107], v[2:3]
	scratch_load_b64 v[2:3], off, off offset:176
	s_wait_loadcnt 0x0
	flat_store_b64 v[104:105], v[2:3]
	scratch_load_b64 v[2:3], off, off offset:184
	s_wait_loadcnt 0x0
	flat_store_b64 v[102:103], v[2:3]
	scratch_load_b64 v[2:3], off, off offset:192
	s_wait_loadcnt 0x0
	flat_store_b64 v[58:59], v[2:3]
	scratch_load_b64 v[2:3], off, off offset:200
	s_wait_loadcnt 0x0
	flat_store_b64 v[50:51], v[2:3]
	scratch_load_b64 v[2:3], off, off offset:208
	s_wait_loadcnt 0x0
	flat_store_b64 v[48:49], v[2:3]
	scratch_load_b64 v[2:3], off, off offset:216
	s_wait_loadcnt 0x0
	flat_store_b64 v[46:47], v[2:3]
	scratch_load_b64 v[2:3], off, off offset:224
	s_wait_loadcnt 0x0
	flat_store_b64 v[44:45], v[2:3]
	scratch_load_b64 v[2:3], off, off offset:232
	s_wait_loadcnt 0x0
	flat_store_b64 v[42:43], v[2:3]
	scratch_load_b64 v[2:3], off, off offset:240
	s_wait_loadcnt 0x0
	flat_store_b64 v[40:41], v[2:3]
	scratch_load_b64 v[2:3], off, off offset:248
	s_wait_loadcnt 0x0
	flat_store_b64 v[38:39], v[2:3]
	scratch_load_b64 v[2:3], off, off offset:256
	s_wait_loadcnt 0x0
	flat_store_b64 v[36:37], v[2:3]
	scratch_load_b64 v[2:3], off, off offset:264
	s_wait_loadcnt 0x0
	flat_store_b64 v[34:35], v[2:3]
	scratch_load_b64 v[2:3], off, off offset:272
	s_wait_loadcnt 0x0
	flat_store_b64 v[32:33], v[2:3]
	scratch_load_b64 v[2:3], off, off offset:280
	s_wait_loadcnt 0x0
	flat_store_b64 v[30:31], v[2:3]
	scratch_load_b64 v[2:3], off, off offset:288
	s_wait_loadcnt 0x0
	flat_store_b64 v[28:29], v[2:3]
	scratch_load_b64 v[2:3], off, off offset:296
	s_wait_loadcnt 0x0
	flat_store_b64 v[26:27], v[2:3]
	scratch_load_b64 v[2:3], off, off offset:304
	s_wait_loadcnt 0x0
	flat_store_b64 v[24:25], v[2:3]
	scratch_load_b64 v[2:3], off, off offset:312
	s_wait_loadcnt 0x0
	flat_store_b64 v[22:23], v[2:3]
	scratch_load_b64 v[2:3], off, off offset:320
	s_wait_loadcnt 0x0
	flat_store_b64 v[20:21], v[2:3]
	scratch_load_b64 v[2:3], off, off offset:328
	s_wait_loadcnt 0x0
	flat_store_b64 v[18:19], v[2:3]
	scratch_load_b64 v[2:3], off, off offset:336
	s_wait_loadcnt 0x0
	flat_store_b64 v[16:17], v[2:3]
	scratch_load_b64 v[2:3], off, off offset:344
	s_wait_loadcnt 0x0
	flat_store_b64 v[14:15], v[2:3]
	scratch_load_b64 v[2:3], off, off offset:352
	s_wait_loadcnt 0x0
	flat_store_b64 v[12:13], v[2:3]
	scratch_load_b64 v[2:3], off, off offset:360
	s_wait_loadcnt 0x0
	flat_store_b64 v[10:11], v[2:3]
	scratch_load_b64 v[2:3], off, off offset:368
	s_wait_loadcnt 0x0
	flat_store_b64 v[8:9], v[2:3]
	scratch_load_b64 v[2:3], off, off offset:376
	s_wait_loadcnt 0x0
	flat_store_b64 v[6:7], v[2:3]
	scratch_load_b64 v[2:3], off, off offset:384
	s_wait_loadcnt 0x0
	flat_store_b64 v[0:1], v[2:3]
.LBB112_964:
	s_sendmsg sendmsg(MSG_DEALLOC_VGPRS)
	s_endpgm
	.section	.rodata,"a",@progbits
	.p2align	6, 0x0
	.amdhsa_kernel _ZN9rocsolver6v33100L18trti2_kernel_smallILi49E19rocblas_complex_numIfEPKPS3_EEv13rocblas_fill_17rocblas_diagonal_T1_iil
		.amdhsa_group_segment_fixed_size 792
		.amdhsa_private_segment_fixed_size 400
		.amdhsa_kernarg_size 32
		.amdhsa_user_sgpr_count 2
		.amdhsa_user_sgpr_dispatch_ptr 0
		.amdhsa_user_sgpr_queue_ptr 0
		.amdhsa_user_sgpr_kernarg_segment_ptr 1
		.amdhsa_user_sgpr_dispatch_id 0
		.amdhsa_user_sgpr_kernarg_preload_length 0
		.amdhsa_user_sgpr_kernarg_preload_offset 0
		.amdhsa_user_sgpr_private_segment_size 0
		.amdhsa_wavefront_size32 1
		.amdhsa_uses_dynamic_stack 0
		.amdhsa_enable_private_segment 1
		.amdhsa_system_sgpr_workgroup_id_x 1
		.amdhsa_system_sgpr_workgroup_id_y 0
		.amdhsa_system_sgpr_workgroup_id_z 0
		.amdhsa_system_sgpr_workgroup_info 0
		.amdhsa_system_vgpr_workitem_id 0
		.amdhsa_next_free_vgpr 147
		.amdhsa_next_free_sgpr 55
		.amdhsa_named_barrier_count 0
		.amdhsa_reserve_vcc 1
		.amdhsa_float_round_mode_32 0
		.amdhsa_float_round_mode_16_64 0
		.amdhsa_float_denorm_mode_32 3
		.amdhsa_float_denorm_mode_16_64 3
		.amdhsa_fp16_overflow 0
		.amdhsa_memory_ordered 1
		.amdhsa_forward_progress 1
		.amdhsa_inst_pref_size 255
		.amdhsa_round_robin_scheduling 0
		.amdhsa_exception_fp_ieee_invalid_op 0
		.amdhsa_exception_fp_denorm_src 0
		.amdhsa_exception_fp_ieee_div_zero 0
		.amdhsa_exception_fp_ieee_overflow 0
		.amdhsa_exception_fp_ieee_underflow 0
		.amdhsa_exception_fp_ieee_inexact 0
		.amdhsa_exception_int_div_zero 0
	.end_amdhsa_kernel
	.section	.text._ZN9rocsolver6v33100L18trti2_kernel_smallILi49E19rocblas_complex_numIfEPKPS3_EEv13rocblas_fill_17rocblas_diagonal_T1_iil,"axG",@progbits,_ZN9rocsolver6v33100L18trti2_kernel_smallILi49E19rocblas_complex_numIfEPKPS3_EEv13rocblas_fill_17rocblas_diagonal_T1_iil,comdat
.Lfunc_end112:
	.size	_ZN9rocsolver6v33100L18trti2_kernel_smallILi49E19rocblas_complex_numIfEPKPS3_EEv13rocblas_fill_17rocblas_diagonal_T1_iil, .Lfunc_end112-_ZN9rocsolver6v33100L18trti2_kernel_smallILi49E19rocblas_complex_numIfEPKPS3_EEv13rocblas_fill_17rocblas_diagonal_T1_iil
                                        ; -- End function
	.set _ZN9rocsolver6v33100L18trti2_kernel_smallILi49E19rocblas_complex_numIfEPKPS3_EEv13rocblas_fill_17rocblas_diagonal_T1_iil.num_vgpr, 147
	.set _ZN9rocsolver6v33100L18trti2_kernel_smallILi49E19rocblas_complex_numIfEPKPS3_EEv13rocblas_fill_17rocblas_diagonal_T1_iil.num_agpr, 0
	.set _ZN9rocsolver6v33100L18trti2_kernel_smallILi49E19rocblas_complex_numIfEPKPS3_EEv13rocblas_fill_17rocblas_diagonal_T1_iil.numbered_sgpr, 55
	.set _ZN9rocsolver6v33100L18trti2_kernel_smallILi49E19rocblas_complex_numIfEPKPS3_EEv13rocblas_fill_17rocblas_diagonal_T1_iil.num_named_barrier, 0
	.set _ZN9rocsolver6v33100L18trti2_kernel_smallILi49E19rocblas_complex_numIfEPKPS3_EEv13rocblas_fill_17rocblas_diagonal_T1_iil.private_seg_size, 400
	.set _ZN9rocsolver6v33100L18trti2_kernel_smallILi49E19rocblas_complex_numIfEPKPS3_EEv13rocblas_fill_17rocblas_diagonal_T1_iil.uses_vcc, 1
	.set _ZN9rocsolver6v33100L18trti2_kernel_smallILi49E19rocblas_complex_numIfEPKPS3_EEv13rocblas_fill_17rocblas_diagonal_T1_iil.uses_flat_scratch, 0
	.set _ZN9rocsolver6v33100L18trti2_kernel_smallILi49E19rocblas_complex_numIfEPKPS3_EEv13rocblas_fill_17rocblas_diagonal_T1_iil.has_dyn_sized_stack, 0
	.set _ZN9rocsolver6v33100L18trti2_kernel_smallILi49E19rocblas_complex_numIfEPKPS3_EEv13rocblas_fill_17rocblas_diagonal_T1_iil.has_recursion, 0
	.set _ZN9rocsolver6v33100L18trti2_kernel_smallILi49E19rocblas_complex_numIfEPKPS3_EEv13rocblas_fill_17rocblas_diagonal_T1_iil.has_indirect_call, 0
	.section	.AMDGPU.csdata,"",@progbits
; Kernel info:
; codeLenInByte = 37836
; TotalNumSgprs: 57
; NumVgprs: 147
; ScratchSize: 400
; MemoryBound: 0
; FloatMode: 240
; IeeeMode: 1
; LDSByteSize: 792 bytes/workgroup (compile time only)
; SGPRBlocks: 0
; VGPRBlocks: 9
; NumSGPRsForWavesPerEU: 57
; NumVGPRsForWavesPerEU: 147
; NamedBarCnt: 0
; Occupancy: 6
; WaveLimiterHint : 1
; COMPUTE_PGM_RSRC2:SCRATCH_EN: 1
; COMPUTE_PGM_RSRC2:USER_SGPR: 2
; COMPUTE_PGM_RSRC2:TRAP_HANDLER: 0
; COMPUTE_PGM_RSRC2:TGID_X_EN: 1
; COMPUTE_PGM_RSRC2:TGID_Y_EN: 0
; COMPUTE_PGM_RSRC2:TGID_Z_EN: 0
; COMPUTE_PGM_RSRC2:TIDIG_COMP_CNT: 0
	.section	.text._ZN9rocsolver6v33100L18trti2_kernel_smallILi50E19rocblas_complex_numIfEPKPS3_EEv13rocblas_fill_17rocblas_diagonal_T1_iil,"axG",@progbits,_ZN9rocsolver6v33100L18trti2_kernel_smallILi50E19rocblas_complex_numIfEPKPS3_EEv13rocblas_fill_17rocblas_diagonal_T1_iil,comdat
	.globl	_ZN9rocsolver6v33100L18trti2_kernel_smallILi50E19rocblas_complex_numIfEPKPS3_EEv13rocblas_fill_17rocblas_diagonal_T1_iil ; -- Begin function _ZN9rocsolver6v33100L18trti2_kernel_smallILi50E19rocblas_complex_numIfEPKPS3_EEv13rocblas_fill_17rocblas_diagonal_T1_iil
	.p2align	8
	.type	_ZN9rocsolver6v33100L18trti2_kernel_smallILi50E19rocblas_complex_numIfEPKPS3_EEv13rocblas_fill_17rocblas_diagonal_T1_iil,@function
_ZN9rocsolver6v33100L18trti2_kernel_smallILi50E19rocblas_complex_numIfEPKPS3_EEv13rocblas_fill_17rocblas_diagonal_T1_iil: ; @_ZN9rocsolver6v33100L18trti2_kernel_smallILi50E19rocblas_complex_numIfEPKPS3_EEv13rocblas_fill_17rocblas_diagonal_T1_iil
; %bb.0:
	s_mov_b32 s2, exec_lo
	v_cmpx_gt_u32_e32 50, v0
	s_cbranch_execz .LBB113_984
; %bb.1:
	s_clause 0x1
	s_load_b64 s[2:3], s[0:1], 0x10
	s_load_b128 s[4:7], s[0:1], 0x0
	s_wait_xcnt 0x0
	s_bfe_u32 s0, ttmp6, 0x4000c
	s_and_b32 s1, ttmp6, 15
	s_add_co_i32 s0, s0, 1
	s_getreg_b32 s8, hwreg(HW_REG_IB_STS2, 6, 4)
	s_mul_i32 s0, ttmp9, s0
	v_dual_mov_b32 v59, 0 :: v_dual_lshlrev_b32 v58, 3, v0
	s_add_co_i32 s0, s1, s0
	s_wait_kmcnt 0x0
	s_ashr_i32 s1, s2, 31
	s_cmp_eq_u32 s8, 0
	s_cselect_b32 s8, ttmp9, s0
	s_mov_b32 s0, s2
	s_ashr_i32 s9, s8, 31
	s_lshl_b64 s[0:1], s[0:1], 3
	s_lshl_b64 s[8:9], s[8:9], 3
	s_delay_alu instid0(SALU_CYCLE_1)
	s_add_nc_u64 s[6:7], s[6:7], s[8:9]
	s_load_b64 s[6:7], s[6:7], 0x0
	s_wait_kmcnt 0x0
	s_add_nc_u64 s[6:7], s[6:7], s[0:1]
	s_mov_b32 s0, s3
	flat_load_b64 v[6:7], v0, s[6:7] scale_offset
	v_add_nc_u64_e32 v[2:3], s[6:7], v[58:59]
	s_ashr_i32 s1, s3, 31
	s_cmp_lg_u32 s5, 0x84
	s_delay_alu instid0(VALU_DEP_1)
	v_lshl_add_u64 v[4:5], s[0:1], 3, v[2:3]
	s_mov_b32 s0, -1
	s_wait_loadcnt_dscnt 0x0
	scratch_store_b64 off, v[6:7], off
	flat_load_b64 v[8:9], v[4:5]
	s_wait_xcnt 0x1
	v_add3_u32 v6, s3, s3, v0
	s_wait_loadcnt_dscnt 0x0
	scratch_store_b64 off, v[8:9], off offset:8
	flat_load_b64 v[10:11], v6, s[6:7] scale_offset
	s_wait_xcnt 0x1
	v_add_nc_u32_e32 v8, s3, v6
	s_wait_loadcnt_dscnt 0x0
	scratch_store_b64 off, v[10:11], off offset:16
	flat_load_b64 v[12:13], v8, s[6:7] scale_offset
	s_wait_xcnt 0x1
	v_add_nc_u32_e32 v10, s3, v8
	;; [unrolled: 5-line block ×47, first 2 shown]
	s_cselect_b32 s3, -1, 0
	s_delay_alu instid0(SALU_CYCLE_1)
	s_and_b32 vcc_lo, exec_lo, s3
	s_wait_loadcnt_dscnt 0x0
	scratch_store_b64 off, v[104:105], off offset:384
	flat_load_b64 v[104:105], v102, s[6:7] scale_offset
	s_wait_loadcnt_dscnt 0x0
	scratch_store_b64 off, v[104:105], off offset:392
	s_cbranch_vccz .LBB113_7
; %bb.2:
	scratch_load_b64 v[104:105], v0, off scale_offset
                                        ; implicit-def: $vgpr109
                                        ; implicit-def: $vgpr106
	s_wait_loadcnt 0x0
	v_cmp_ngt_f32_e64 s0, |v104|, |v105|
	s_wait_xcnt 0x0
	s_and_saveexec_b32 s1, s0
	s_delay_alu instid0(SALU_CYCLE_1)
	s_xor_b32 s0, exec_lo, s1
	s_cbranch_execz .LBB113_4
; %bb.3:
	v_div_scale_f32 v1, null, v105, v105, v104
	v_div_scale_f32 v11, vcc_lo, v104, v105, v104
	s_delay_alu instid0(VALU_DEP_2) | instskip(SKIP_1) | instid1(TRANS32_DEP_1)
	v_rcp_f32_e32 v7, v1
	v_nop
	v_fma_f32 v9, -v1, v7, 1.0
	s_delay_alu instid0(VALU_DEP_1) | instskip(NEXT) | instid1(VALU_DEP_1)
	v_fmac_f32_e32 v7, v9, v7
	v_mul_f32_e32 v9, v11, v7
	s_delay_alu instid0(VALU_DEP_1) | instskip(NEXT) | instid1(VALU_DEP_1)
	v_fma_f32 v13, -v1, v9, v11
	v_fmac_f32_e32 v9, v13, v7
	s_delay_alu instid0(VALU_DEP_1) | instskip(NEXT) | instid1(VALU_DEP_1)
	v_fma_f32 v1, -v1, v9, v11
	v_div_fmas_f32 v1, v1, v7, v9
	s_delay_alu instid0(VALU_DEP_1) | instskip(NEXT) | instid1(VALU_DEP_1)
	v_div_fixup_f32 v1, v1, v105, v104
	v_fmac_f32_e32 v105, v104, v1
	s_delay_alu instid0(VALU_DEP_1) | instskip(NEXT) | instid1(VALU_DEP_1)
	v_div_scale_f32 v7, null, v105, v105, -1.0
	v_rcp_f32_e32 v9, v7
	v_nop
	s_delay_alu instid0(TRANS32_DEP_1) | instskip(NEXT) | instid1(VALU_DEP_1)
	v_fma_f32 v11, -v7, v9, 1.0
	v_fmac_f32_e32 v9, v11, v9
	v_div_scale_f32 v11, vcc_lo, -1.0, v105, -1.0
	s_delay_alu instid0(VALU_DEP_1) | instskip(NEXT) | instid1(VALU_DEP_1)
	v_mul_f32_e32 v13, v11, v9
	v_fma_f32 v15, -v7, v13, v11
	s_delay_alu instid0(VALU_DEP_1) | instskip(NEXT) | instid1(VALU_DEP_1)
	v_fmac_f32_e32 v13, v15, v9
	v_fma_f32 v7, -v7, v13, v11
	s_delay_alu instid0(VALU_DEP_1) | instskip(NEXT) | instid1(VALU_DEP_1)
	v_div_fmas_f32 v7, v7, v9, v13
	v_div_fixup_f32 v109, v7, v105, -1.0
                                        ; implicit-def: $vgpr104_vgpr105
	s_delay_alu instid0(VALU_DEP_1) | instskip(NEXT) | instid1(VALU_DEP_1)
	v_mul_f32_e32 v106, v1, v109
	v_xor_b32_e32 v108, 0x80000000, v106
.LBB113_4:
	s_or_saveexec_b32 s0, s0
	v_lshl_add_u32 v1, v0, 3, 0
	s_xor_b32 exec_lo, exec_lo, s0
	s_cbranch_execz .LBB113_6
; %bb.5:
	v_div_scale_f32 v7, null, v104, v104, v105
	v_div_scale_f32 v13, vcc_lo, v105, v104, v105
	s_delay_alu instid0(VALU_DEP_2) | instskip(SKIP_1) | instid1(TRANS32_DEP_1)
	v_rcp_f32_e32 v9, v7
	v_nop
	v_fma_f32 v11, -v7, v9, 1.0
	s_delay_alu instid0(VALU_DEP_1) | instskip(NEXT) | instid1(VALU_DEP_1)
	v_fmac_f32_e32 v9, v11, v9
	v_mul_f32_e32 v11, v13, v9
	s_delay_alu instid0(VALU_DEP_1) | instskip(NEXT) | instid1(VALU_DEP_1)
	v_fma_f32 v15, -v7, v11, v13
	v_fmac_f32_e32 v11, v15, v9
	s_delay_alu instid0(VALU_DEP_1) | instskip(NEXT) | instid1(VALU_DEP_1)
	v_fma_f32 v7, -v7, v11, v13
	v_div_fmas_f32 v7, v7, v9, v11
	s_delay_alu instid0(VALU_DEP_1) | instskip(NEXT) | instid1(VALU_DEP_1)
	v_div_fixup_f32 v7, v7, v104, v105
	v_fmac_f32_e32 v104, v105, v7
	s_delay_alu instid0(VALU_DEP_1) | instskip(SKIP_1) | instid1(VALU_DEP_2)
	v_div_scale_f32 v9, null, v104, v104, 1.0
	v_div_scale_f32 v15, vcc_lo, 1.0, v104, 1.0
	v_rcp_f32_e32 v11, v9
	v_nop
	s_delay_alu instid0(TRANS32_DEP_1) | instskip(NEXT) | instid1(VALU_DEP_1)
	v_fma_f32 v13, -v9, v11, 1.0
	v_fmac_f32_e32 v11, v13, v11
	s_delay_alu instid0(VALU_DEP_1) | instskip(NEXT) | instid1(VALU_DEP_1)
	v_mul_f32_e32 v13, v15, v11
	v_fma_f32 v17, -v9, v13, v15
	s_delay_alu instid0(VALU_DEP_1) | instskip(NEXT) | instid1(VALU_DEP_1)
	v_fmac_f32_e32 v13, v17, v11
	v_fma_f32 v9, -v9, v13, v15
	s_delay_alu instid0(VALU_DEP_1) | instskip(NEXT) | instid1(VALU_DEP_1)
	v_div_fmas_f32 v9, v9, v11, v13
	v_div_fixup_f32 v108, v9, v104, 1.0
	s_delay_alu instid0(VALU_DEP_1)
	v_xor_b32_e32 v106, 0x80000000, v108
	v_mul_f32_e64 v109, v7, -v108
.LBB113_6:
	s_or_b32 exec_lo, exec_lo, s0
	s_delay_alu instid0(VALU_DEP_1)
	v_xor_b32_e32 v107, 0x80000000, v109
	s_mov_b32 s0, 0
	scratch_store_b64 v1, v[108:109], off
	ds_store_b64 v58, v[106:107]
.LBB113_7:
	s_and_b32 vcc_lo, exec_lo, s0
	s_cbranch_vccz .LBB113_9
; %bb.8:
	s_mov_b64 s[0:1], 0xbf800000
	s_wait_xcnt 0x0
	v_mov_b64_e32 v[104:105], s[0:1]
	ds_store_b64 v58, v[104:105]
.LBB113_9:
	v_dual_ashrrev_i32 v7, 31, v6 :: v_dual_ashrrev_i32 v9, 31, v8
	v_dual_ashrrev_i32 v11, 31, v10 :: v_dual_ashrrev_i32 v13, 31, v12
	;; [unrolled: 1-line block ×24, first 2 shown]
	s_wait_xcnt 0x0
	v_add_nc_u32_e32 v1, 0x190, v58
	v_mov_b32_e32 v59, v58
	s_cmp_eq_u32 s4, 0x79
	s_cbranch_scc1 .LBB113_13
; %bb.10:
	scratch_load_b64 v[104:105], off, off offset:384
	v_cmp_eq_u32_e64 s0, 49, v0
	s_movk_i32 s1, 0x48
	s_movk_i32 s14, 0x50
	;; [unrolled: 1-line block ×39, first 2 shown]
	s_wait_loadcnt 0x0
	ds_store_b64 v1, v[104:105]
	s_wait_storecnt_dscnt 0x0
	s_barrier_signal -1
	s_barrier_wait -1
	s_wait_xcnt 0x0
	s_and_saveexec_b32 s2, s0
	s_cbranch_execz .LBB113_17
; %bb.11:
	s_and_b32 vcc_lo, exec_lo, s3
	s_cbranch_vccz .LBB113_14
; %bb.12:
	scratch_load_b64 v[104:105], v59, off
	ds_load_b64 v[106:107], v1
	s_wait_loadcnt_dscnt 0x0
	v_pk_mul_f32 v[108:109], v[106:107], v[104:105] op_sel:[1,1] op_sel_hi:[0,1]
	v_pk_mul_f32 v[110:111], v[106:107], v[104:105] op_sel_hi:[1,0]
	s_delay_alu instid0(VALU_DEP_2) | instskip(NEXT) | instid1(VALU_DEP_2)
	v_pk_fma_f32 v[104:105], v[106:107], v[104:105], v[108:109] op_sel_hi:[1,0,1]
	v_sub_f32_e32 v104, v110, v108
	s_cbranch_execz .LBB113_15
	s_branch .LBB113_16
.LBB113_13:
	s_mov_b32 s1, 0
                                        ; implicit-def: $vgpr148
                                        ; implicit-def: $sgpr5
	s_cbranch_execnz .LBB113_496
	s_branch .LBB113_981
.LBB113_14:
                                        ; implicit-def: $vgpr105
.LBB113_15:
	ds_load_b64 v[104:105], v1
.LBB113_16:
	s_wait_dscnt 0x0
	v_dual_mov_b32 v106, 0 :: v_dual_mov_b32 v108, v105
	v_mov_b32_e32 v109, v104
	ds_load_b64 v[106:107], v106 offset:384
	s_wait_dscnt 0x0
	v_pk_mul_f32 v[108:109], v[108:109], v[106:107] op_sel:[0,1]
	s_delay_alu instid0(VALU_DEP_1) | instskip(SKIP_1) | instid1(VALU_DEP_2)
	v_pk_fma_f32 v[110:111], v[104:105], v[106:107], v[108:109] op_sel_hi:[1,0,1]
	v_pk_fma_f32 v[104:105], v[104:105], v[106:107], v[108:109] neg_lo:[0,0,1] neg_hi:[0,0,1]
	v_mov_b32_e32 v105, v111
	scratch_store_b64 off, v[104:105], off offset:384
.LBB113_17:
	s_wait_xcnt 0x0
	s_or_b32 exec_lo, exec_lo, s2
	scratch_load_b64 v[104:105], off, off offset:376
	s_mov_b32 s13, s1
	v_cmp_lt_u32_e64 s1, 47, v0
	s_or_b32 s4, 0, 8
	s_mov_b32 s5, 16
	s_mov_b32 s8, 24
	;; [unrolled: 1-line block ×7, first 2 shown]
	s_wait_loadcnt 0x0
	ds_store_b64 v1, v[104:105]
	s_wait_storecnt_dscnt 0x0
	s_barrier_signal -1
	s_barrier_wait -1
	s_wait_xcnt 0x0
	s_and_saveexec_b32 s53, s1
	s_cbranch_execz .LBB113_25
; %bb.18:
	s_and_not1_b32 vcc_lo, exec_lo, s3
	s_cbranch_vccnz .LBB113_20
; %bb.19:
	scratch_load_b64 v[104:105], v59, off
	ds_load_b64 v[106:107], v1
	s_wait_loadcnt_dscnt 0x0
	v_pk_mul_f32 v[108:109], v[106:107], v[104:105] op_sel:[1,1] op_sel_hi:[0,1]
	s_delay_alu instid0(VALU_DEP_1) | instskip(SKIP_1) | instid1(VALU_DEP_2)
	v_pk_fma_f32 v[110:111], v[106:107], v[104:105], v[108:109] op_sel_hi:[1,0,1]
	v_pk_fma_f32 v[104:105], v[106:107], v[104:105], v[108:109] neg_lo:[0,0,1] neg_hi:[0,0,1]
	v_mov_b32_e32 v105, v111
	s_cbranch_execz .LBB113_21
	s_branch .LBB113_22
.LBB113_20:
                                        ; implicit-def: $vgpr104_vgpr105
.LBB113_21:
	ds_load_b64 v[104:105], v1
.LBB113_22:
	s_and_saveexec_b32 s54, s0
	s_cbranch_execz .LBB113_24
; %bb.23:
	scratch_load_b64 v[106:107], off, off offset:384
	v_mov_b32_e32 v108, 0
	ds_load_b64 v[108:109], v108 offset:784
	s_wait_loadcnt_dscnt 0x0
	v_pk_mul_f32 v[110:111], v[108:109], v[106:107] op_sel:[1,1] op_sel_hi:[0,1]
	s_delay_alu instid0(VALU_DEP_1) | instskip(SKIP_1) | instid1(VALU_DEP_2)
	v_pk_fma_f32 v[112:113], v[108:109], v[106:107], v[110:111] op_sel_hi:[1,0,1]
	v_pk_fma_f32 v[106:107], v[108:109], v[106:107], v[110:111] neg_lo:[0,0,1] neg_hi:[0,0,1]
	v_mov_b32_e32 v107, v113
	s_delay_alu instid0(VALU_DEP_1)
	v_pk_add_f32 v[104:105], v[104:105], v[106:107]
.LBB113_24:
	s_or_b32 exec_lo, exec_lo, s54
	v_mov_b32_e32 v106, 0
	ds_load_b64 v[106:107], v106 offset:376
	s_wait_dscnt 0x0
	v_pk_mul_f32 v[108:109], v[104:105], v[106:107] op_sel:[1,1] op_sel_hi:[0,1]
	s_delay_alu instid0(VALU_DEP_1) | instskip(SKIP_1) | instid1(VALU_DEP_2)
	v_pk_fma_f32 v[110:111], v[104:105], v[106:107], v[108:109] op_sel_hi:[1,0,1]
	v_pk_fma_f32 v[104:105], v[104:105], v[106:107], v[108:109] neg_lo:[0,0,1] neg_hi:[0,0,1]
	v_mov_b32_e32 v105, v111
	scratch_store_b64 off, v[104:105], off offset:376
.LBB113_25:
	s_wait_xcnt 0x0
	s_or_b32 exec_lo, exec_lo, s53
	scratch_load_b64 v[104:105], off, off offset:368
	v_cmp_lt_u32_e64 s0, 46, v0
	s_wait_loadcnt 0x0
	ds_store_b64 v1, v[104:105]
	s_wait_storecnt_dscnt 0x0
	s_barrier_signal -1
	s_barrier_wait -1
	s_wait_xcnt 0x0
	s_and_saveexec_b32 s53, s0
	s_cbranch_execz .LBB113_35
; %bb.26:
	s_and_not1_b32 vcc_lo, exec_lo, s3
	s_cbranch_vccnz .LBB113_28
; %bb.27:
	scratch_load_b64 v[104:105], v59, off
	ds_load_b64 v[106:107], v1
	s_wait_loadcnt_dscnt 0x0
	v_pk_mul_f32 v[108:109], v[106:107], v[104:105] op_sel:[1,1] op_sel_hi:[0,1]
	s_delay_alu instid0(VALU_DEP_1) | instskip(SKIP_1) | instid1(VALU_DEP_2)
	v_pk_fma_f32 v[110:111], v[106:107], v[104:105], v[108:109] op_sel_hi:[1,0,1]
	v_pk_fma_f32 v[104:105], v[106:107], v[104:105], v[108:109] neg_lo:[0,0,1] neg_hi:[0,0,1]
	v_mov_b32_e32 v105, v111
	s_cbranch_execz .LBB113_29
	s_branch .LBB113_30
.LBB113_28:
                                        ; implicit-def: $vgpr104_vgpr105
.LBB113_29:
	ds_load_b64 v[104:105], v1
.LBB113_30:
	s_and_saveexec_b32 s54, s1
	s_cbranch_execz .LBB113_34
; %bb.31:
	v_subrev_nc_u32_e32 v106, 47, v0
	s_movk_i32 s55, 0x308
	s_mov_b32 s1, 0
.LBB113_32:                             ; =>This Inner Loop Header: Depth=1
	scratch_load_b64 v[108:109], off, s52
	v_dual_mov_b32 v107, s55 :: v_dual_add_nc_u32 v106, -1, v106
	s_add_co_i32 s55, s55, 8
	s_wait_xcnt 0x0
	s_add_co_i32 s52, s52, 8
	ds_load_b64 v[110:111], v107
	v_cmp_eq_u32_e32 vcc_lo, 0, v106
	s_or_b32 s1, vcc_lo, s1
	s_wait_loadcnt_dscnt 0x0
	v_pk_mul_f32 v[112:113], v[110:111], v[108:109] op_sel:[1,1] op_sel_hi:[0,1]
	s_delay_alu instid0(VALU_DEP_1) | instskip(SKIP_1) | instid1(VALU_DEP_2)
	v_pk_fma_f32 v[114:115], v[110:111], v[108:109], v[112:113] op_sel_hi:[1,0,1]
	v_pk_fma_f32 v[108:109], v[110:111], v[108:109], v[112:113] neg_lo:[0,0,1] neg_hi:[0,0,1]
	v_mov_b32_e32 v109, v115
	s_delay_alu instid0(VALU_DEP_1)
	v_pk_add_f32 v[104:105], v[104:105], v[108:109]
	s_and_not1_b32 exec_lo, exec_lo, s1
	s_cbranch_execnz .LBB113_32
; %bb.33:
	s_or_b32 exec_lo, exec_lo, s1
.LBB113_34:
	s_delay_alu instid0(SALU_CYCLE_1) | instskip(SKIP_4) | instid1(VALU_DEP_1)
	s_or_b32 exec_lo, exec_lo, s54
	v_mov_b32_e32 v106, 0
	ds_load_b64 v[106:107], v106 offset:368
	s_wait_dscnt 0x0
	v_pk_mul_f32 v[108:109], v[104:105], v[106:107] op_sel:[1,1] op_sel_hi:[0,1]
	v_pk_fma_f32 v[110:111], v[104:105], v[106:107], v[108:109] op_sel_hi:[1,0,1]
	v_pk_fma_f32 v[104:105], v[104:105], v[106:107], v[108:109] neg_lo:[0,0,1] neg_hi:[0,0,1]
	s_delay_alu instid0(VALU_DEP_2)
	v_mov_b32_e32 v105, v111
	scratch_store_b64 off, v[104:105], off offset:368
.LBB113_35:
	s_wait_xcnt 0x0
	s_or_b32 exec_lo, exec_lo, s53
	scratch_load_b64 v[104:105], off, off offset:360
	v_cmp_lt_u32_e64 s1, 45, v0
	s_wait_loadcnt 0x0
	ds_store_b64 v1, v[104:105]
	s_wait_storecnt_dscnt 0x0
	s_barrier_signal -1
	s_barrier_wait -1
	s_wait_xcnt 0x0
	s_and_saveexec_b32 s52, s1
	s_cbranch_execz .LBB113_45
; %bb.36:
	s_and_not1_b32 vcc_lo, exec_lo, s3
	s_cbranch_vccnz .LBB113_38
; %bb.37:
	scratch_load_b64 v[104:105], v59, off
	ds_load_b64 v[106:107], v1
	s_wait_loadcnt_dscnt 0x0
	v_pk_mul_f32 v[108:109], v[106:107], v[104:105] op_sel:[1,1] op_sel_hi:[0,1]
	s_delay_alu instid0(VALU_DEP_1) | instskip(SKIP_1) | instid1(VALU_DEP_2)
	v_pk_fma_f32 v[110:111], v[106:107], v[104:105], v[108:109] op_sel_hi:[1,0,1]
	v_pk_fma_f32 v[104:105], v[106:107], v[104:105], v[108:109] neg_lo:[0,0,1] neg_hi:[0,0,1]
	v_mov_b32_e32 v105, v111
	s_cbranch_execz .LBB113_39
	s_branch .LBB113_40
.LBB113_38:
                                        ; implicit-def: $vgpr104_vgpr105
.LBB113_39:
	ds_load_b64 v[104:105], v1
.LBB113_40:
	s_and_saveexec_b32 s53, s0
	s_cbranch_execz .LBB113_44
; %bb.41:
	v_subrev_nc_u32_e32 v106, 46, v0
	s_movk_i32 s54, 0x300
	s_mov_b32 s0, 0
.LBB113_42:                             ; =>This Inner Loop Header: Depth=1
	scratch_load_b64 v[108:109], off, s51
	v_dual_mov_b32 v107, s54 :: v_dual_add_nc_u32 v106, -1, v106
	s_add_co_i32 s54, s54, 8
	s_wait_xcnt 0x0
	s_add_co_i32 s51, s51, 8
	ds_load_b64 v[110:111], v107
	v_cmp_eq_u32_e32 vcc_lo, 0, v106
	s_or_b32 s0, vcc_lo, s0
	s_wait_loadcnt_dscnt 0x0
	v_pk_mul_f32 v[112:113], v[110:111], v[108:109] op_sel:[1,1] op_sel_hi:[0,1]
	s_delay_alu instid0(VALU_DEP_1) | instskip(SKIP_1) | instid1(VALU_DEP_2)
	v_pk_fma_f32 v[114:115], v[110:111], v[108:109], v[112:113] op_sel_hi:[1,0,1]
	v_pk_fma_f32 v[108:109], v[110:111], v[108:109], v[112:113] neg_lo:[0,0,1] neg_hi:[0,0,1]
	v_mov_b32_e32 v109, v115
	s_delay_alu instid0(VALU_DEP_1)
	v_pk_add_f32 v[104:105], v[104:105], v[108:109]
	s_and_not1_b32 exec_lo, exec_lo, s0
	s_cbranch_execnz .LBB113_42
; %bb.43:
	s_or_b32 exec_lo, exec_lo, s0
.LBB113_44:
	s_delay_alu instid0(SALU_CYCLE_1) | instskip(SKIP_4) | instid1(VALU_DEP_1)
	s_or_b32 exec_lo, exec_lo, s53
	v_mov_b32_e32 v106, 0
	ds_load_b64 v[106:107], v106 offset:360
	s_wait_dscnt 0x0
	v_pk_mul_f32 v[108:109], v[104:105], v[106:107] op_sel:[1,1] op_sel_hi:[0,1]
	v_pk_fma_f32 v[110:111], v[104:105], v[106:107], v[108:109] op_sel_hi:[1,0,1]
	v_pk_fma_f32 v[104:105], v[104:105], v[106:107], v[108:109] neg_lo:[0,0,1] neg_hi:[0,0,1]
	s_delay_alu instid0(VALU_DEP_2)
	v_mov_b32_e32 v105, v111
	scratch_store_b64 off, v[104:105], off offset:360
.LBB113_45:
	s_wait_xcnt 0x0
	s_or_b32 exec_lo, exec_lo, s52
	scratch_load_b64 v[104:105], off, off offset:352
	v_cmp_lt_u32_e64 s0, 44, v0
	s_wait_loadcnt 0x0
	ds_store_b64 v1, v[104:105]
	s_wait_storecnt_dscnt 0x0
	s_barrier_signal -1
	s_barrier_wait -1
	s_wait_xcnt 0x0
	s_and_saveexec_b32 s51, s0
	s_cbranch_execz .LBB113_55
; %bb.46:
	s_and_not1_b32 vcc_lo, exec_lo, s3
	s_cbranch_vccnz .LBB113_48
; %bb.47:
	scratch_load_b64 v[104:105], v59, off
	ds_load_b64 v[106:107], v1
	s_wait_loadcnt_dscnt 0x0
	v_pk_mul_f32 v[108:109], v[106:107], v[104:105] op_sel:[1,1] op_sel_hi:[0,1]
	s_delay_alu instid0(VALU_DEP_1) | instskip(SKIP_1) | instid1(VALU_DEP_2)
	v_pk_fma_f32 v[110:111], v[106:107], v[104:105], v[108:109] op_sel_hi:[1,0,1]
	v_pk_fma_f32 v[104:105], v[106:107], v[104:105], v[108:109] neg_lo:[0,0,1] neg_hi:[0,0,1]
	v_mov_b32_e32 v105, v111
	s_cbranch_execz .LBB113_49
	s_branch .LBB113_50
.LBB113_48:
                                        ; implicit-def: $vgpr104_vgpr105
.LBB113_49:
	ds_load_b64 v[104:105], v1
.LBB113_50:
	s_and_saveexec_b32 s52, s1
	s_cbranch_execz .LBB113_54
; %bb.51:
	v_subrev_nc_u32_e32 v106, 45, v0
	s_movk_i32 s53, 0x2f8
	s_mov_b32 s1, 0
.LBB113_52:                             ; =>This Inner Loop Header: Depth=1
	scratch_load_b64 v[108:109], off, s50
	v_dual_mov_b32 v107, s53 :: v_dual_add_nc_u32 v106, -1, v106
	s_add_co_i32 s53, s53, 8
	s_wait_xcnt 0x0
	s_add_co_i32 s50, s50, 8
	ds_load_b64 v[110:111], v107
	v_cmp_eq_u32_e32 vcc_lo, 0, v106
	s_or_b32 s1, vcc_lo, s1
	s_wait_loadcnt_dscnt 0x0
	v_pk_mul_f32 v[112:113], v[110:111], v[108:109] op_sel:[1,1] op_sel_hi:[0,1]
	s_delay_alu instid0(VALU_DEP_1) | instskip(SKIP_1) | instid1(VALU_DEP_2)
	v_pk_fma_f32 v[114:115], v[110:111], v[108:109], v[112:113] op_sel_hi:[1,0,1]
	v_pk_fma_f32 v[108:109], v[110:111], v[108:109], v[112:113] neg_lo:[0,0,1] neg_hi:[0,0,1]
	v_mov_b32_e32 v109, v115
	s_delay_alu instid0(VALU_DEP_1)
	v_pk_add_f32 v[104:105], v[104:105], v[108:109]
	s_and_not1_b32 exec_lo, exec_lo, s1
	s_cbranch_execnz .LBB113_52
; %bb.53:
	s_or_b32 exec_lo, exec_lo, s1
.LBB113_54:
	s_delay_alu instid0(SALU_CYCLE_1) | instskip(SKIP_4) | instid1(VALU_DEP_1)
	s_or_b32 exec_lo, exec_lo, s52
	v_mov_b32_e32 v106, 0
	ds_load_b64 v[106:107], v106 offset:352
	s_wait_dscnt 0x0
	v_pk_mul_f32 v[108:109], v[104:105], v[106:107] op_sel:[1,1] op_sel_hi:[0,1]
	v_pk_fma_f32 v[110:111], v[104:105], v[106:107], v[108:109] op_sel_hi:[1,0,1]
	v_pk_fma_f32 v[104:105], v[104:105], v[106:107], v[108:109] neg_lo:[0,0,1] neg_hi:[0,0,1]
	s_delay_alu instid0(VALU_DEP_2)
	v_mov_b32_e32 v105, v111
	scratch_store_b64 off, v[104:105], off offset:352
.LBB113_55:
	s_wait_xcnt 0x0
	s_or_b32 exec_lo, exec_lo, s51
	scratch_load_b64 v[104:105], off, off offset:344
	v_cmp_lt_u32_e64 s1, 43, v0
	s_wait_loadcnt 0x0
	ds_store_b64 v1, v[104:105]
	s_wait_storecnt_dscnt 0x0
	s_barrier_signal -1
	s_barrier_wait -1
	s_wait_xcnt 0x0
	s_and_saveexec_b32 s50, s1
	s_cbranch_execz .LBB113_65
; %bb.56:
	s_and_not1_b32 vcc_lo, exec_lo, s3
	s_cbranch_vccnz .LBB113_58
; %bb.57:
	scratch_load_b64 v[104:105], v59, off
	ds_load_b64 v[106:107], v1
	s_wait_loadcnt_dscnt 0x0
	v_pk_mul_f32 v[108:109], v[106:107], v[104:105] op_sel:[1,1] op_sel_hi:[0,1]
	s_delay_alu instid0(VALU_DEP_1) | instskip(SKIP_1) | instid1(VALU_DEP_2)
	v_pk_fma_f32 v[110:111], v[106:107], v[104:105], v[108:109] op_sel_hi:[1,0,1]
	v_pk_fma_f32 v[104:105], v[106:107], v[104:105], v[108:109] neg_lo:[0,0,1] neg_hi:[0,0,1]
	v_mov_b32_e32 v105, v111
	s_cbranch_execz .LBB113_59
	s_branch .LBB113_60
.LBB113_58:
                                        ; implicit-def: $vgpr104_vgpr105
.LBB113_59:
	ds_load_b64 v[104:105], v1
.LBB113_60:
	s_and_saveexec_b32 s51, s0
	s_cbranch_execz .LBB113_64
; %bb.61:
	v_subrev_nc_u32_e32 v106, 44, v0
	s_movk_i32 s52, 0x2f0
	s_mov_b32 s0, 0
.LBB113_62:                             ; =>This Inner Loop Header: Depth=1
	scratch_load_b64 v[108:109], off, s49
	v_dual_mov_b32 v107, s52 :: v_dual_add_nc_u32 v106, -1, v106
	s_add_co_i32 s52, s52, 8
	s_wait_xcnt 0x0
	s_add_co_i32 s49, s49, 8
	ds_load_b64 v[110:111], v107
	v_cmp_eq_u32_e32 vcc_lo, 0, v106
	s_or_b32 s0, vcc_lo, s0
	s_wait_loadcnt_dscnt 0x0
	v_pk_mul_f32 v[112:113], v[110:111], v[108:109] op_sel:[1,1] op_sel_hi:[0,1]
	s_delay_alu instid0(VALU_DEP_1) | instskip(SKIP_1) | instid1(VALU_DEP_2)
	v_pk_fma_f32 v[114:115], v[110:111], v[108:109], v[112:113] op_sel_hi:[1,0,1]
	v_pk_fma_f32 v[108:109], v[110:111], v[108:109], v[112:113] neg_lo:[0,0,1] neg_hi:[0,0,1]
	v_mov_b32_e32 v109, v115
	s_delay_alu instid0(VALU_DEP_1)
	v_pk_add_f32 v[104:105], v[104:105], v[108:109]
	s_and_not1_b32 exec_lo, exec_lo, s0
	s_cbranch_execnz .LBB113_62
; %bb.63:
	s_or_b32 exec_lo, exec_lo, s0
.LBB113_64:
	s_delay_alu instid0(SALU_CYCLE_1) | instskip(SKIP_4) | instid1(VALU_DEP_1)
	s_or_b32 exec_lo, exec_lo, s51
	v_mov_b32_e32 v106, 0
	ds_load_b64 v[106:107], v106 offset:344
	s_wait_dscnt 0x0
	v_pk_mul_f32 v[108:109], v[104:105], v[106:107] op_sel:[1,1] op_sel_hi:[0,1]
	v_pk_fma_f32 v[110:111], v[104:105], v[106:107], v[108:109] op_sel_hi:[1,0,1]
	v_pk_fma_f32 v[104:105], v[104:105], v[106:107], v[108:109] neg_lo:[0,0,1] neg_hi:[0,0,1]
	s_delay_alu instid0(VALU_DEP_2)
	v_mov_b32_e32 v105, v111
	scratch_store_b64 off, v[104:105], off offset:344
.LBB113_65:
	s_wait_xcnt 0x0
	s_or_b32 exec_lo, exec_lo, s50
	scratch_load_b64 v[104:105], off, off offset:336
	v_cmp_lt_u32_e64 s0, 42, v0
	s_wait_loadcnt 0x0
	ds_store_b64 v1, v[104:105]
	s_wait_storecnt_dscnt 0x0
	s_barrier_signal -1
	s_barrier_wait -1
	s_wait_xcnt 0x0
	s_and_saveexec_b32 s49, s0
	s_cbranch_execz .LBB113_75
; %bb.66:
	s_and_not1_b32 vcc_lo, exec_lo, s3
	s_cbranch_vccnz .LBB113_68
; %bb.67:
	scratch_load_b64 v[104:105], v59, off
	ds_load_b64 v[106:107], v1
	s_wait_loadcnt_dscnt 0x0
	v_pk_mul_f32 v[108:109], v[106:107], v[104:105] op_sel:[1,1] op_sel_hi:[0,1]
	s_delay_alu instid0(VALU_DEP_1) | instskip(SKIP_1) | instid1(VALU_DEP_2)
	v_pk_fma_f32 v[110:111], v[106:107], v[104:105], v[108:109] op_sel_hi:[1,0,1]
	v_pk_fma_f32 v[104:105], v[106:107], v[104:105], v[108:109] neg_lo:[0,0,1] neg_hi:[0,0,1]
	v_mov_b32_e32 v105, v111
	s_cbranch_execz .LBB113_69
	s_branch .LBB113_70
.LBB113_68:
                                        ; implicit-def: $vgpr104_vgpr105
.LBB113_69:
	ds_load_b64 v[104:105], v1
.LBB113_70:
	s_and_saveexec_b32 s50, s1
	s_cbranch_execz .LBB113_74
; %bb.71:
	v_subrev_nc_u32_e32 v106, 43, v0
	s_movk_i32 s51, 0x2e8
	s_mov_b32 s1, 0
.LBB113_72:                             ; =>This Inner Loop Header: Depth=1
	scratch_load_b64 v[108:109], off, s48
	v_dual_mov_b32 v107, s51 :: v_dual_add_nc_u32 v106, -1, v106
	s_add_co_i32 s51, s51, 8
	s_wait_xcnt 0x0
	s_add_co_i32 s48, s48, 8
	ds_load_b64 v[110:111], v107
	v_cmp_eq_u32_e32 vcc_lo, 0, v106
	s_or_b32 s1, vcc_lo, s1
	s_wait_loadcnt_dscnt 0x0
	v_pk_mul_f32 v[112:113], v[110:111], v[108:109] op_sel:[1,1] op_sel_hi:[0,1]
	s_delay_alu instid0(VALU_DEP_1) | instskip(SKIP_1) | instid1(VALU_DEP_2)
	v_pk_fma_f32 v[114:115], v[110:111], v[108:109], v[112:113] op_sel_hi:[1,0,1]
	v_pk_fma_f32 v[108:109], v[110:111], v[108:109], v[112:113] neg_lo:[0,0,1] neg_hi:[0,0,1]
	v_mov_b32_e32 v109, v115
	s_delay_alu instid0(VALU_DEP_1)
	v_pk_add_f32 v[104:105], v[104:105], v[108:109]
	s_and_not1_b32 exec_lo, exec_lo, s1
	s_cbranch_execnz .LBB113_72
; %bb.73:
	s_or_b32 exec_lo, exec_lo, s1
.LBB113_74:
	s_delay_alu instid0(SALU_CYCLE_1) | instskip(SKIP_4) | instid1(VALU_DEP_1)
	s_or_b32 exec_lo, exec_lo, s50
	v_mov_b32_e32 v106, 0
	ds_load_b64 v[106:107], v106 offset:336
	s_wait_dscnt 0x0
	v_pk_mul_f32 v[108:109], v[104:105], v[106:107] op_sel:[1,1] op_sel_hi:[0,1]
	v_pk_fma_f32 v[110:111], v[104:105], v[106:107], v[108:109] op_sel_hi:[1,0,1]
	v_pk_fma_f32 v[104:105], v[104:105], v[106:107], v[108:109] neg_lo:[0,0,1] neg_hi:[0,0,1]
	s_delay_alu instid0(VALU_DEP_2)
	v_mov_b32_e32 v105, v111
	scratch_store_b64 off, v[104:105], off offset:336
.LBB113_75:
	s_wait_xcnt 0x0
	s_or_b32 exec_lo, exec_lo, s49
	scratch_load_b64 v[104:105], off, off offset:328
	v_cmp_lt_u32_e64 s1, 41, v0
	s_wait_loadcnt 0x0
	ds_store_b64 v1, v[104:105]
	s_wait_storecnt_dscnt 0x0
	s_barrier_signal -1
	s_barrier_wait -1
	s_wait_xcnt 0x0
	s_and_saveexec_b32 s48, s1
	s_cbranch_execz .LBB113_85
; %bb.76:
	s_and_not1_b32 vcc_lo, exec_lo, s3
	s_cbranch_vccnz .LBB113_78
; %bb.77:
	scratch_load_b64 v[104:105], v59, off
	ds_load_b64 v[106:107], v1
	s_wait_loadcnt_dscnt 0x0
	v_pk_mul_f32 v[108:109], v[106:107], v[104:105] op_sel:[1,1] op_sel_hi:[0,1]
	s_delay_alu instid0(VALU_DEP_1) | instskip(SKIP_1) | instid1(VALU_DEP_2)
	v_pk_fma_f32 v[110:111], v[106:107], v[104:105], v[108:109] op_sel_hi:[1,0,1]
	v_pk_fma_f32 v[104:105], v[106:107], v[104:105], v[108:109] neg_lo:[0,0,1] neg_hi:[0,0,1]
	v_mov_b32_e32 v105, v111
	s_cbranch_execz .LBB113_79
	s_branch .LBB113_80
.LBB113_78:
                                        ; implicit-def: $vgpr104_vgpr105
.LBB113_79:
	ds_load_b64 v[104:105], v1
.LBB113_80:
	s_and_saveexec_b32 s49, s0
	s_cbranch_execz .LBB113_84
; %bb.81:
	v_subrev_nc_u32_e32 v106, 42, v0
	s_movk_i32 s50, 0x2e0
	s_mov_b32 s0, 0
.LBB113_82:                             ; =>This Inner Loop Header: Depth=1
	scratch_load_b64 v[108:109], off, s47
	v_dual_mov_b32 v107, s50 :: v_dual_add_nc_u32 v106, -1, v106
	s_add_co_i32 s50, s50, 8
	s_wait_xcnt 0x0
	s_add_co_i32 s47, s47, 8
	ds_load_b64 v[110:111], v107
	v_cmp_eq_u32_e32 vcc_lo, 0, v106
	s_or_b32 s0, vcc_lo, s0
	s_wait_loadcnt_dscnt 0x0
	v_pk_mul_f32 v[112:113], v[110:111], v[108:109] op_sel:[1,1] op_sel_hi:[0,1]
	s_delay_alu instid0(VALU_DEP_1) | instskip(SKIP_1) | instid1(VALU_DEP_2)
	v_pk_fma_f32 v[114:115], v[110:111], v[108:109], v[112:113] op_sel_hi:[1,0,1]
	v_pk_fma_f32 v[108:109], v[110:111], v[108:109], v[112:113] neg_lo:[0,0,1] neg_hi:[0,0,1]
	v_mov_b32_e32 v109, v115
	s_delay_alu instid0(VALU_DEP_1)
	v_pk_add_f32 v[104:105], v[104:105], v[108:109]
	s_and_not1_b32 exec_lo, exec_lo, s0
	s_cbranch_execnz .LBB113_82
; %bb.83:
	s_or_b32 exec_lo, exec_lo, s0
.LBB113_84:
	s_delay_alu instid0(SALU_CYCLE_1) | instskip(SKIP_4) | instid1(VALU_DEP_1)
	s_or_b32 exec_lo, exec_lo, s49
	v_mov_b32_e32 v106, 0
	ds_load_b64 v[106:107], v106 offset:328
	s_wait_dscnt 0x0
	v_pk_mul_f32 v[108:109], v[104:105], v[106:107] op_sel:[1,1] op_sel_hi:[0,1]
	v_pk_fma_f32 v[110:111], v[104:105], v[106:107], v[108:109] op_sel_hi:[1,0,1]
	v_pk_fma_f32 v[104:105], v[104:105], v[106:107], v[108:109] neg_lo:[0,0,1] neg_hi:[0,0,1]
	s_delay_alu instid0(VALU_DEP_2)
	v_mov_b32_e32 v105, v111
	scratch_store_b64 off, v[104:105], off offset:328
.LBB113_85:
	s_wait_xcnt 0x0
	s_or_b32 exec_lo, exec_lo, s48
	scratch_load_b64 v[104:105], off, off offset:320
	v_cmp_lt_u32_e64 s0, 40, v0
	s_wait_loadcnt 0x0
	ds_store_b64 v1, v[104:105]
	s_wait_storecnt_dscnt 0x0
	s_barrier_signal -1
	s_barrier_wait -1
	s_wait_xcnt 0x0
	s_and_saveexec_b32 s47, s0
	s_cbranch_execz .LBB113_95
; %bb.86:
	s_and_not1_b32 vcc_lo, exec_lo, s3
	s_cbranch_vccnz .LBB113_88
; %bb.87:
	scratch_load_b64 v[104:105], v59, off
	ds_load_b64 v[106:107], v1
	s_wait_loadcnt_dscnt 0x0
	v_pk_mul_f32 v[108:109], v[106:107], v[104:105] op_sel:[1,1] op_sel_hi:[0,1]
	s_delay_alu instid0(VALU_DEP_1) | instskip(SKIP_1) | instid1(VALU_DEP_2)
	v_pk_fma_f32 v[110:111], v[106:107], v[104:105], v[108:109] op_sel_hi:[1,0,1]
	v_pk_fma_f32 v[104:105], v[106:107], v[104:105], v[108:109] neg_lo:[0,0,1] neg_hi:[0,0,1]
	v_mov_b32_e32 v105, v111
	s_cbranch_execz .LBB113_89
	s_branch .LBB113_90
.LBB113_88:
                                        ; implicit-def: $vgpr104_vgpr105
.LBB113_89:
	ds_load_b64 v[104:105], v1
.LBB113_90:
	s_and_saveexec_b32 s48, s1
	s_cbranch_execz .LBB113_94
; %bb.91:
	v_subrev_nc_u32_e32 v106, 41, v0
	s_movk_i32 s49, 0x2d8
	s_mov_b32 s1, 0
.LBB113_92:                             ; =>This Inner Loop Header: Depth=1
	scratch_load_b64 v[108:109], off, s46
	v_dual_mov_b32 v107, s49 :: v_dual_add_nc_u32 v106, -1, v106
	s_add_co_i32 s49, s49, 8
	s_wait_xcnt 0x0
	s_add_co_i32 s46, s46, 8
	ds_load_b64 v[110:111], v107
	v_cmp_eq_u32_e32 vcc_lo, 0, v106
	s_or_b32 s1, vcc_lo, s1
	s_wait_loadcnt_dscnt 0x0
	v_pk_mul_f32 v[112:113], v[110:111], v[108:109] op_sel:[1,1] op_sel_hi:[0,1]
	s_delay_alu instid0(VALU_DEP_1) | instskip(SKIP_1) | instid1(VALU_DEP_2)
	v_pk_fma_f32 v[114:115], v[110:111], v[108:109], v[112:113] op_sel_hi:[1,0,1]
	v_pk_fma_f32 v[108:109], v[110:111], v[108:109], v[112:113] neg_lo:[0,0,1] neg_hi:[0,0,1]
	v_mov_b32_e32 v109, v115
	s_delay_alu instid0(VALU_DEP_1)
	v_pk_add_f32 v[104:105], v[104:105], v[108:109]
	s_and_not1_b32 exec_lo, exec_lo, s1
	s_cbranch_execnz .LBB113_92
; %bb.93:
	s_or_b32 exec_lo, exec_lo, s1
.LBB113_94:
	s_delay_alu instid0(SALU_CYCLE_1) | instskip(SKIP_4) | instid1(VALU_DEP_1)
	s_or_b32 exec_lo, exec_lo, s48
	v_mov_b32_e32 v106, 0
	ds_load_b64 v[106:107], v106 offset:320
	s_wait_dscnt 0x0
	v_pk_mul_f32 v[108:109], v[104:105], v[106:107] op_sel:[1,1] op_sel_hi:[0,1]
	v_pk_fma_f32 v[110:111], v[104:105], v[106:107], v[108:109] op_sel_hi:[1,0,1]
	v_pk_fma_f32 v[104:105], v[104:105], v[106:107], v[108:109] neg_lo:[0,0,1] neg_hi:[0,0,1]
	s_delay_alu instid0(VALU_DEP_2)
	v_mov_b32_e32 v105, v111
	scratch_store_b64 off, v[104:105], off offset:320
.LBB113_95:
	s_wait_xcnt 0x0
	s_or_b32 exec_lo, exec_lo, s47
	scratch_load_b64 v[104:105], off, off offset:312
	v_cmp_lt_u32_e64 s1, 39, v0
	s_wait_loadcnt 0x0
	ds_store_b64 v1, v[104:105]
	s_wait_storecnt_dscnt 0x0
	s_barrier_signal -1
	s_barrier_wait -1
	s_wait_xcnt 0x0
	s_and_saveexec_b32 s46, s1
	s_cbranch_execz .LBB113_105
; %bb.96:
	s_and_not1_b32 vcc_lo, exec_lo, s3
	s_cbranch_vccnz .LBB113_98
; %bb.97:
	scratch_load_b64 v[104:105], v59, off
	ds_load_b64 v[106:107], v1
	s_wait_loadcnt_dscnt 0x0
	v_pk_mul_f32 v[108:109], v[106:107], v[104:105] op_sel:[1,1] op_sel_hi:[0,1]
	s_delay_alu instid0(VALU_DEP_1) | instskip(SKIP_1) | instid1(VALU_DEP_2)
	v_pk_fma_f32 v[110:111], v[106:107], v[104:105], v[108:109] op_sel_hi:[1,0,1]
	v_pk_fma_f32 v[104:105], v[106:107], v[104:105], v[108:109] neg_lo:[0,0,1] neg_hi:[0,0,1]
	v_mov_b32_e32 v105, v111
	s_cbranch_execz .LBB113_99
	s_branch .LBB113_100
.LBB113_98:
                                        ; implicit-def: $vgpr104_vgpr105
.LBB113_99:
	ds_load_b64 v[104:105], v1
.LBB113_100:
	s_and_saveexec_b32 s47, s0
	s_cbranch_execz .LBB113_104
; %bb.101:
	v_subrev_nc_u32_e32 v106, 40, v0
	s_movk_i32 s48, 0x2d0
	s_mov_b32 s0, 0
.LBB113_102:                            ; =>This Inner Loop Header: Depth=1
	scratch_load_b64 v[108:109], off, s45
	v_dual_mov_b32 v107, s48 :: v_dual_add_nc_u32 v106, -1, v106
	s_add_co_i32 s48, s48, 8
	s_wait_xcnt 0x0
	s_add_co_i32 s45, s45, 8
	ds_load_b64 v[110:111], v107
	v_cmp_eq_u32_e32 vcc_lo, 0, v106
	s_or_b32 s0, vcc_lo, s0
	s_wait_loadcnt_dscnt 0x0
	v_pk_mul_f32 v[112:113], v[110:111], v[108:109] op_sel:[1,1] op_sel_hi:[0,1]
	s_delay_alu instid0(VALU_DEP_1) | instskip(SKIP_1) | instid1(VALU_DEP_2)
	v_pk_fma_f32 v[114:115], v[110:111], v[108:109], v[112:113] op_sel_hi:[1,0,1]
	v_pk_fma_f32 v[108:109], v[110:111], v[108:109], v[112:113] neg_lo:[0,0,1] neg_hi:[0,0,1]
	v_mov_b32_e32 v109, v115
	s_delay_alu instid0(VALU_DEP_1)
	v_pk_add_f32 v[104:105], v[104:105], v[108:109]
	s_and_not1_b32 exec_lo, exec_lo, s0
	s_cbranch_execnz .LBB113_102
; %bb.103:
	s_or_b32 exec_lo, exec_lo, s0
.LBB113_104:
	s_delay_alu instid0(SALU_CYCLE_1) | instskip(SKIP_4) | instid1(VALU_DEP_1)
	s_or_b32 exec_lo, exec_lo, s47
	v_mov_b32_e32 v106, 0
	ds_load_b64 v[106:107], v106 offset:312
	s_wait_dscnt 0x0
	v_pk_mul_f32 v[108:109], v[104:105], v[106:107] op_sel:[1,1] op_sel_hi:[0,1]
	v_pk_fma_f32 v[110:111], v[104:105], v[106:107], v[108:109] op_sel_hi:[1,0,1]
	v_pk_fma_f32 v[104:105], v[104:105], v[106:107], v[108:109] neg_lo:[0,0,1] neg_hi:[0,0,1]
	s_delay_alu instid0(VALU_DEP_2)
	v_mov_b32_e32 v105, v111
	scratch_store_b64 off, v[104:105], off offset:312
.LBB113_105:
	s_wait_xcnt 0x0
	s_or_b32 exec_lo, exec_lo, s46
	scratch_load_b64 v[104:105], off, off offset:304
	v_cmp_lt_u32_e64 s0, 38, v0
	s_wait_loadcnt 0x0
	ds_store_b64 v1, v[104:105]
	s_wait_storecnt_dscnt 0x0
	s_barrier_signal -1
	s_barrier_wait -1
	s_wait_xcnt 0x0
	s_and_saveexec_b32 s45, s0
	s_cbranch_execz .LBB113_115
; %bb.106:
	s_and_not1_b32 vcc_lo, exec_lo, s3
	s_cbranch_vccnz .LBB113_108
; %bb.107:
	scratch_load_b64 v[104:105], v59, off
	ds_load_b64 v[106:107], v1
	s_wait_loadcnt_dscnt 0x0
	v_pk_mul_f32 v[108:109], v[106:107], v[104:105] op_sel:[1,1] op_sel_hi:[0,1]
	s_delay_alu instid0(VALU_DEP_1) | instskip(SKIP_1) | instid1(VALU_DEP_2)
	v_pk_fma_f32 v[110:111], v[106:107], v[104:105], v[108:109] op_sel_hi:[1,0,1]
	v_pk_fma_f32 v[104:105], v[106:107], v[104:105], v[108:109] neg_lo:[0,0,1] neg_hi:[0,0,1]
	v_mov_b32_e32 v105, v111
	s_cbranch_execz .LBB113_109
	s_branch .LBB113_110
.LBB113_108:
                                        ; implicit-def: $vgpr104_vgpr105
.LBB113_109:
	ds_load_b64 v[104:105], v1
.LBB113_110:
	s_and_saveexec_b32 s46, s1
	s_cbranch_execz .LBB113_114
; %bb.111:
	v_subrev_nc_u32_e32 v106, 39, v0
	s_movk_i32 s47, 0x2c8
	s_mov_b32 s1, 0
.LBB113_112:                            ; =>This Inner Loop Header: Depth=1
	scratch_load_b64 v[108:109], off, s44
	v_dual_mov_b32 v107, s47 :: v_dual_add_nc_u32 v106, -1, v106
	s_add_co_i32 s47, s47, 8
	s_wait_xcnt 0x0
	s_add_co_i32 s44, s44, 8
	ds_load_b64 v[110:111], v107
	v_cmp_eq_u32_e32 vcc_lo, 0, v106
	s_or_b32 s1, vcc_lo, s1
	s_wait_loadcnt_dscnt 0x0
	v_pk_mul_f32 v[112:113], v[110:111], v[108:109] op_sel:[1,1] op_sel_hi:[0,1]
	s_delay_alu instid0(VALU_DEP_1) | instskip(SKIP_1) | instid1(VALU_DEP_2)
	v_pk_fma_f32 v[114:115], v[110:111], v[108:109], v[112:113] op_sel_hi:[1,0,1]
	v_pk_fma_f32 v[108:109], v[110:111], v[108:109], v[112:113] neg_lo:[0,0,1] neg_hi:[0,0,1]
	v_mov_b32_e32 v109, v115
	s_delay_alu instid0(VALU_DEP_1)
	v_pk_add_f32 v[104:105], v[104:105], v[108:109]
	s_and_not1_b32 exec_lo, exec_lo, s1
	s_cbranch_execnz .LBB113_112
; %bb.113:
	s_or_b32 exec_lo, exec_lo, s1
.LBB113_114:
	s_delay_alu instid0(SALU_CYCLE_1) | instskip(SKIP_4) | instid1(VALU_DEP_1)
	s_or_b32 exec_lo, exec_lo, s46
	v_mov_b32_e32 v106, 0
	ds_load_b64 v[106:107], v106 offset:304
	s_wait_dscnt 0x0
	v_pk_mul_f32 v[108:109], v[104:105], v[106:107] op_sel:[1,1] op_sel_hi:[0,1]
	v_pk_fma_f32 v[110:111], v[104:105], v[106:107], v[108:109] op_sel_hi:[1,0,1]
	v_pk_fma_f32 v[104:105], v[104:105], v[106:107], v[108:109] neg_lo:[0,0,1] neg_hi:[0,0,1]
	s_delay_alu instid0(VALU_DEP_2)
	v_mov_b32_e32 v105, v111
	scratch_store_b64 off, v[104:105], off offset:304
.LBB113_115:
	s_wait_xcnt 0x0
	s_or_b32 exec_lo, exec_lo, s45
	scratch_load_b64 v[104:105], off, off offset:296
	v_cmp_lt_u32_e64 s1, 37, v0
	s_wait_loadcnt 0x0
	ds_store_b64 v1, v[104:105]
	s_wait_storecnt_dscnt 0x0
	s_barrier_signal -1
	s_barrier_wait -1
	s_wait_xcnt 0x0
	s_and_saveexec_b32 s44, s1
	s_cbranch_execz .LBB113_125
; %bb.116:
	s_and_not1_b32 vcc_lo, exec_lo, s3
	s_cbranch_vccnz .LBB113_118
; %bb.117:
	scratch_load_b64 v[104:105], v59, off
	ds_load_b64 v[106:107], v1
	s_wait_loadcnt_dscnt 0x0
	v_pk_mul_f32 v[108:109], v[106:107], v[104:105] op_sel:[1,1] op_sel_hi:[0,1]
	s_delay_alu instid0(VALU_DEP_1) | instskip(SKIP_1) | instid1(VALU_DEP_2)
	v_pk_fma_f32 v[110:111], v[106:107], v[104:105], v[108:109] op_sel_hi:[1,0,1]
	v_pk_fma_f32 v[104:105], v[106:107], v[104:105], v[108:109] neg_lo:[0,0,1] neg_hi:[0,0,1]
	v_mov_b32_e32 v105, v111
	s_cbranch_execz .LBB113_119
	s_branch .LBB113_120
.LBB113_118:
                                        ; implicit-def: $vgpr104_vgpr105
.LBB113_119:
	ds_load_b64 v[104:105], v1
.LBB113_120:
	s_and_saveexec_b32 s45, s0
	s_cbranch_execz .LBB113_124
; %bb.121:
	v_subrev_nc_u32_e32 v106, 38, v0
	s_movk_i32 s46, 0x2c0
	s_mov_b32 s0, 0
.LBB113_122:                            ; =>This Inner Loop Header: Depth=1
	scratch_load_b64 v[108:109], off, s43
	v_dual_mov_b32 v107, s46 :: v_dual_add_nc_u32 v106, -1, v106
	s_add_co_i32 s46, s46, 8
	s_wait_xcnt 0x0
	s_add_co_i32 s43, s43, 8
	ds_load_b64 v[110:111], v107
	v_cmp_eq_u32_e32 vcc_lo, 0, v106
	s_or_b32 s0, vcc_lo, s0
	s_wait_loadcnt_dscnt 0x0
	v_pk_mul_f32 v[112:113], v[110:111], v[108:109] op_sel:[1,1] op_sel_hi:[0,1]
	s_delay_alu instid0(VALU_DEP_1) | instskip(SKIP_1) | instid1(VALU_DEP_2)
	v_pk_fma_f32 v[114:115], v[110:111], v[108:109], v[112:113] op_sel_hi:[1,0,1]
	v_pk_fma_f32 v[108:109], v[110:111], v[108:109], v[112:113] neg_lo:[0,0,1] neg_hi:[0,0,1]
	v_mov_b32_e32 v109, v115
	s_delay_alu instid0(VALU_DEP_1)
	v_pk_add_f32 v[104:105], v[104:105], v[108:109]
	s_and_not1_b32 exec_lo, exec_lo, s0
	s_cbranch_execnz .LBB113_122
; %bb.123:
	s_or_b32 exec_lo, exec_lo, s0
.LBB113_124:
	s_delay_alu instid0(SALU_CYCLE_1) | instskip(SKIP_4) | instid1(VALU_DEP_1)
	s_or_b32 exec_lo, exec_lo, s45
	v_mov_b32_e32 v106, 0
	ds_load_b64 v[106:107], v106 offset:296
	s_wait_dscnt 0x0
	v_pk_mul_f32 v[108:109], v[104:105], v[106:107] op_sel:[1,1] op_sel_hi:[0,1]
	v_pk_fma_f32 v[110:111], v[104:105], v[106:107], v[108:109] op_sel_hi:[1,0,1]
	v_pk_fma_f32 v[104:105], v[104:105], v[106:107], v[108:109] neg_lo:[0,0,1] neg_hi:[0,0,1]
	s_delay_alu instid0(VALU_DEP_2)
	v_mov_b32_e32 v105, v111
	scratch_store_b64 off, v[104:105], off offset:296
.LBB113_125:
	s_wait_xcnt 0x0
	s_or_b32 exec_lo, exec_lo, s44
	scratch_load_b64 v[104:105], off, off offset:288
	v_cmp_lt_u32_e64 s0, 36, v0
	s_wait_loadcnt 0x0
	ds_store_b64 v1, v[104:105]
	s_wait_storecnt_dscnt 0x0
	s_barrier_signal -1
	s_barrier_wait -1
	s_wait_xcnt 0x0
	s_and_saveexec_b32 s43, s0
	s_cbranch_execz .LBB113_135
; %bb.126:
	s_and_not1_b32 vcc_lo, exec_lo, s3
	s_cbranch_vccnz .LBB113_128
; %bb.127:
	scratch_load_b64 v[104:105], v59, off
	ds_load_b64 v[106:107], v1
	s_wait_loadcnt_dscnt 0x0
	v_pk_mul_f32 v[108:109], v[106:107], v[104:105] op_sel:[1,1] op_sel_hi:[0,1]
	s_delay_alu instid0(VALU_DEP_1) | instskip(SKIP_1) | instid1(VALU_DEP_2)
	v_pk_fma_f32 v[110:111], v[106:107], v[104:105], v[108:109] op_sel_hi:[1,0,1]
	v_pk_fma_f32 v[104:105], v[106:107], v[104:105], v[108:109] neg_lo:[0,0,1] neg_hi:[0,0,1]
	v_mov_b32_e32 v105, v111
	s_cbranch_execz .LBB113_129
	s_branch .LBB113_130
.LBB113_128:
                                        ; implicit-def: $vgpr104_vgpr105
.LBB113_129:
	ds_load_b64 v[104:105], v1
.LBB113_130:
	s_and_saveexec_b32 s44, s1
	s_cbranch_execz .LBB113_134
; %bb.131:
	v_subrev_nc_u32_e32 v106, 37, v0
	s_movk_i32 s45, 0x2b8
	s_mov_b32 s1, 0
.LBB113_132:                            ; =>This Inner Loop Header: Depth=1
	scratch_load_b64 v[108:109], off, s42
	v_dual_mov_b32 v107, s45 :: v_dual_add_nc_u32 v106, -1, v106
	s_add_co_i32 s45, s45, 8
	s_wait_xcnt 0x0
	s_add_co_i32 s42, s42, 8
	ds_load_b64 v[110:111], v107
	v_cmp_eq_u32_e32 vcc_lo, 0, v106
	s_or_b32 s1, vcc_lo, s1
	s_wait_loadcnt_dscnt 0x0
	v_pk_mul_f32 v[112:113], v[110:111], v[108:109] op_sel:[1,1] op_sel_hi:[0,1]
	s_delay_alu instid0(VALU_DEP_1) | instskip(SKIP_1) | instid1(VALU_DEP_2)
	v_pk_fma_f32 v[114:115], v[110:111], v[108:109], v[112:113] op_sel_hi:[1,0,1]
	v_pk_fma_f32 v[108:109], v[110:111], v[108:109], v[112:113] neg_lo:[0,0,1] neg_hi:[0,0,1]
	v_mov_b32_e32 v109, v115
	s_delay_alu instid0(VALU_DEP_1)
	v_pk_add_f32 v[104:105], v[104:105], v[108:109]
	s_and_not1_b32 exec_lo, exec_lo, s1
	s_cbranch_execnz .LBB113_132
; %bb.133:
	s_or_b32 exec_lo, exec_lo, s1
.LBB113_134:
	s_delay_alu instid0(SALU_CYCLE_1) | instskip(SKIP_4) | instid1(VALU_DEP_1)
	s_or_b32 exec_lo, exec_lo, s44
	v_mov_b32_e32 v106, 0
	ds_load_b64 v[106:107], v106 offset:288
	s_wait_dscnt 0x0
	v_pk_mul_f32 v[108:109], v[104:105], v[106:107] op_sel:[1,1] op_sel_hi:[0,1]
	v_pk_fma_f32 v[110:111], v[104:105], v[106:107], v[108:109] op_sel_hi:[1,0,1]
	v_pk_fma_f32 v[104:105], v[104:105], v[106:107], v[108:109] neg_lo:[0,0,1] neg_hi:[0,0,1]
	s_delay_alu instid0(VALU_DEP_2)
	v_mov_b32_e32 v105, v111
	scratch_store_b64 off, v[104:105], off offset:288
.LBB113_135:
	s_wait_xcnt 0x0
	s_or_b32 exec_lo, exec_lo, s43
	scratch_load_b64 v[104:105], off, off offset:280
	v_cmp_lt_u32_e64 s1, 35, v0
	s_wait_loadcnt 0x0
	ds_store_b64 v1, v[104:105]
	s_wait_storecnt_dscnt 0x0
	s_barrier_signal -1
	s_barrier_wait -1
	s_wait_xcnt 0x0
	s_and_saveexec_b32 s42, s1
	s_cbranch_execz .LBB113_145
; %bb.136:
	s_and_not1_b32 vcc_lo, exec_lo, s3
	s_cbranch_vccnz .LBB113_138
; %bb.137:
	scratch_load_b64 v[104:105], v59, off
	ds_load_b64 v[106:107], v1
	s_wait_loadcnt_dscnt 0x0
	v_pk_mul_f32 v[108:109], v[106:107], v[104:105] op_sel:[1,1] op_sel_hi:[0,1]
	s_delay_alu instid0(VALU_DEP_1) | instskip(SKIP_1) | instid1(VALU_DEP_2)
	v_pk_fma_f32 v[110:111], v[106:107], v[104:105], v[108:109] op_sel_hi:[1,0,1]
	v_pk_fma_f32 v[104:105], v[106:107], v[104:105], v[108:109] neg_lo:[0,0,1] neg_hi:[0,0,1]
	v_mov_b32_e32 v105, v111
	s_cbranch_execz .LBB113_139
	s_branch .LBB113_140
.LBB113_138:
                                        ; implicit-def: $vgpr104_vgpr105
.LBB113_139:
	ds_load_b64 v[104:105], v1
.LBB113_140:
	s_and_saveexec_b32 s43, s0
	s_cbranch_execz .LBB113_144
; %bb.141:
	v_subrev_nc_u32_e32 v106, 36, v0
	s_movk_i32 s44, 0x2b0
	s_mov_b32 s0, 0
.LBB113_142:                            ; =>This Inner Loop Header: Depth=1
	scratch_load_b64 v[108:109], off, s41
	v_dual_mov_b32 v107, s44 :: v_dual_add_nc_u32 v106, -1, v106
	s_add_co_i32 s44, s44, 8
	s_wait_xcnt 0x0
	s_add_co_i32 s41, s41, 8
	ds_load_b64 v[110:111], v107
	v_cmp_eq_u32_e32 vcc_lo, 0, v106
	s_or_b32 s0, vcc_lo, s0
	s_wait_loadcnt_dscnt 0x0
	v_pk_mul_f32 v[112:113], v[110:111], v[108:109] op_sel:[1,1] op_sel_hi:[0,1]
	s_delay_alu instid0(VALU_DEP_1) | instskip(SKIP_1) | instid1(VALU_DEP_2)
	v_pk_fma_f32 v[114:115], v[110:111], v[108:109], v[112:113] op_sel_hi:[1,0,1]
	v_pk_fma_f32 v[108:109], v[110:111], v[108:109], v[112:113] neg_lo:[0,0,1] neg_hi:[0,0,1]
	v_mov_b32_e32 v109, v115
	s_delay_alu instid0(VALU_DEP_1)
	v_pk_add_f32 v[104:105], v[104:105], v[108:109]
	s_and_not1_b32 exec_lo, exec_lo, s0
	s_cbranch_execnz .LBB113_142
; %bb.143:
	s_or_b32 exec_lo, exec_lo, s0
.LBB113_144:
	s_delay_alu instid0(SALU_CYCLE_1) | instskip(SKIP_4) | instid1(VALU_DEP_1)
	s_or_b32 exec_lo, exec_lo, s43
	v_mov_b32_e32 v106, 0
	ds_load_b64 v[106:107], v106 offset:280
	s_wait_dscnt 0x0
	v_pk_mul_f32 v[108:109], v[104:105], v[106:107] op_sel:[1,1] op_sel_hi:[0,1]
	v_pk_fma_f32 v[110:111], v[104:105], v[106:107], v[108:109] op_sel_hi:[1,0,1]
	v_pk_fma_f32 v[104:105], v[104:105], v[106:107], v[108:109] neg_lo:[0,0,1] neg_hi:[0,0,1]
	s_delay_alu instid0(VALU_DEP_2)
	v_mov_b32_e32 v105, v111
	scratch_store_b64 off, v[104:105], off offset:280
.LBB113_145:
	s_wait_xcnt 0x0
	s_or_b32 exec_lo, exec_lo, s42
	scratch_load_b64 v[104:105], off, off offset:272
	v_cmp_lt_u32_e64 s0, 34, v0
	s_wait_loadcnt 0x0
	ds_store_b64 v1, v[104:105]
	s_wait_storecnt_dscnt 0x0
	s_barrier_signal -1
	s_barrier_wait -1
	s_wait_xcnt 0x0
	s_and_saveexec_b32 s41, s0
	s_cbranch_execz .LBB113_155
; %bb.146:
	s_and_not1_b32 vcc_lo, exec_lo, s3
	s_cbranch_vccnz .LBB113_148
; %bb.147:
	scratch_load_b64 v[104:105], v59, off
	ds_load_b64 v[106:107], v1
	s_wait_loadcnt_dscnt 0x0
	v_pk_mul_f32 v[108:109], v[106:107], v[104:105] op_sel:[1,1] op_sel_hi:[0,1]
	s_delay_alu instid0(VALU_DEP_1) | instskip(SKIP_1) | instid1(VALU_DEP_2)
	v_pk_fma_f32 v[110:111], v[106:107], v[104:105], v[108:109] op_sel_hi:[1,0,1]
	v_pk_fma_f32 v[104:105], v[106:107], v[104:105], v[108:109] neg_lo:[0,0,1] neg_hi:[0,0,1]
	v_mov_b32_e32 v105, v111
	s_cbranch_execz .LBB113_149
	s_branch .LBB113_150
.LBB113_148:
                                        ; implicit-def: $vgpr104_vgpr105
.LBB113_149:
	ds_load_b64 v[104:105], v1
.LBB113_150:
	s_and_saveexec_b32 s42, s1
	s_cbranch_execz .LBB113_154
; %bb.151:
	v_subrev_nc_u32_e32 v106, 35, v0
	s_movk_i32 s43, 0x2a8
	s_mov_b32 s1, 0
.LBB113_152:                            ; =>This Inner Loop Header: Depth=1
	scratch_load_b64 v[108:109], off, s40
	v_dual_mov_b32 v107, s43 :: v_dual_add_nc_u32 v106, -1, v106
	s_add_co_i32 s43, s43, 8
	s_wait_xcnt 0x0
	s_add_co_i32 s40, s40, 8
	ds_load_b64 v[110:111], v107
	v_cmp_eq_u32_e32 vcc_lo, 0, v106
	s_or_b32 s1, vcc_lo, s1
	s_wait_loadcnt_dscnt 0x0
	v_pk_mul_f32 v[112:113], v[110:111], v[108:109] op_sel:[1,1] op_sel_hi:[0,1]
	s_delay_alu instid0(VALU_DEP_1) | instskip(SKIP_1) | instid1(VALU_DEP_2)
	v_pk_fma_f32 v[114:115], v[110:111], v[108:109], v[112:113] op_sel_hi:[1,0,1]
	v_pk_fma_f32 v[108:109], v[110:111], v[108:109], v[112:113] neg_lo:[0,0,1] neg_hi:[0,0,1]
	v_mov_b32_e32 v109, v115
	s_delay_alu instid0(VALU_DEP_1)
	v_pk_add_f32 v[104:105], v[104:105], v[108:109]
	s_and_not1_b32 exec_lo, exec_lo, s1
	s_cbranch_execnz .LBB113_152
; %bb.153:
	s_or_b32 exec_lo, exec_lo, s1
.LBB113_154:
	s_delay_alu instid0(SALU_CYCLE_1) | instskip(SKIP_4) | instid1(VALU_DEP_1)
	s_or_b32 exec_lo, exec_lo, s42
	v_mov_b32_e32 v106, 0
	ds_load_b64 v[106:107], v106 offset:272
	s_wait_dscnt 0x0
	v_pk_mul_f32 v[108:109], v[104:105], v[106:107] op_sel:[1,1] op_sel_hi:[0,1]
	v_pk_fma_f32 v[110:111], v[104:105], v[106:107], v[108:109] op_sel_hi:[1,0,1]
	v_pk_fma_f32 v[104:105], v[104:105], v[106:107], v[108:109] neg_lo:[0,0,1] neg_hi:[0,0,1]
	s_delay_alu instid0(VALU_DEP_2)
	v_mov_b32_e32 v105, v111
	scratch_store_b64 off, v[104:105], off offset:272
.LBB113_155:
	s_wait_xcnt 0x0
	s_or_b32 exec_lo, exec_lo, s41
	scratch_load_b64 v[104:105], off, off offset:264
	v_cmp_lt_u32_e64 s1, 33, v0
	s_wait_loadcnt 0x0
	ds_store_b64 v1, v[104:105]
	s_wait_storecnt_dscnt 0x0
	s_barrier_signal -1
	s_barrier_wait -1
	s_wait_xcnt 0x0
	s_and_saveexec_b32 s40, s1
	s_cbranch_execz .LBB113_165
; %bb.156:
	s_and_not1_b32 vcc_lo, exec_lo, s3
	s_cbranch_vccnz .LBB113_158
; %bb.157:
	scratch_load_b64 v[104:105], v59, off
	ds_load_b64 v[106:107], v1
	s_wait_loadcnt_dscnt 0x0
	v_pk_mul_f32 v[108:109], v[106:107], v[104:105] op_sel:[1,1] op_sel_hi:[0,1]
	s_delay_alu instid0(VALU_DEP_1) | instskip(SKIP_1) | instid1(VALU_DEP_2)
	v_pk_fma_f32 v[110:111], v[106:107], v[104:105], v[108:109] op_sel_hi:[1,0,1]
	v_pk_fma_f32 v[104:105], v[106:107], v[104:105], v[108:109] neg_lo:[0,0,1] neg_hi:[0,0,1]
	v_mov_b32_e32 v105, v111
	s_cbranch_execz .LBB113_159
	s_branch .LBB113_160
.LBB113_158:
                                        ; implicit-def: $vgpr104_vgpr105
.LBB113_159:
	ds_load_b64 v[104:105], v1
.LBB113_160:
	s_and_saveexec_b32 s41, s0
	s_cbranch_execz .LBB113_164
; %bb.161:
	v_subrev_nc_u32_e32 v106, 34, v0
	s_movk_i32 s42, 0x2a0
	s_mov_b32 s0, 0
.LBB113_162:                            ; =>This Inner Loop Header: Depth=1
	scratch_load_b64 v[108:109], off, s39
	v_dual_mov_b32 v107, s42 :: v_dual_add_nc_u32 v106, -1, v106
	s_add_co_i32 s42, s42, 8
	s_wait_xcnt 0x0
	s_add_co_i32 s39, s39, 8
	ds_load_b64 v[110:111], v107
	v_cmp_eq_u32_e32 vcc_lo, 0, v106
	s_or_b32 s0, vcc_lo, s0
	s_wait_loadcnt_dscnt 0x0
	v_pk_mul_f32 v[112:113], v[110:111], v[108:109] op_sel:[1,1] op_sel_hi:[0,1]
	s_delay_alu instid0(VALU_DEP_1) | instskip(SKIP_1) | instid1(VALU_DEP_2)
	v_pk_fma_f32 v[114:115], v[110:111], v[108:109], v[112:113] op_sel_hi:[1,0,1]
	v_pk_fma_f32 v[108:109], v[110:111], v[108:109], v[112:113] neg_lo:[0,0,1] neg_hi:[0,0,1]
	v_mov_b32_e32 v109, v115
	s_delay_alu instid0(VALU_DEP_1)
	v_pk_add_f32 v[104:105], v[104:105], v[108:109]
	s_and_not1_b32 exec_lo, exec_lo, s0
	s_cbranch_execnz .LBB113_162
; %bb.163:
	s_or_b32 exec_lo, exec_lo, s0
.LBB113_164:
	s_delay_alu instid0(SALU_CYCLE_1) | instskip(SKIP_4) | instid1(VALU_DEP_1)
	s_or_b32 exec_lo, exec_lo, s41
	v_mov_b32_e32 v106, 0
	ds_load_b64 v[106:107], v106 offset:264
	s_wait_dscnt 0x0
	v_pk_mul_f32 v[108:109], v[104:105], v[106:107] op_sel:[1,1] op_sel_hi:[0,1]
	v_pk_fma_f32 v[110:111], v[104:105], v[106:107], v[108:109] op_sel_hi:[1,0,1]
	v_pk_fma_f32 v[104:105], v[104:105], v[106:107], v[108:109] neg_lo:[0,0,1] neg_hi:[0,0,1]
	s_delay_alu instid0(VALU_DEP_2)
	v_mov_b32_e32 v105, v111
	scratch_store_b64 off, v[104:105], off offset:264
.LBB113_165:
	s_wait_xcnt 0x0
	s_or_b32 exec_lo, exec_lo, s40
	scratch_load_b64 v[104:105], off, off offset:256
	v_cmp_lt_u32_e64 s0, 32, v0
	s_wait_loadcnt 0x0
	ds_store_b64 v1, v[104:105]
	s_wait_storecnt_dscnt 0x0
	s_barrier_signal -1
	s_barrier_wait -1
	s_wait_xcnt 0x0
	s_and_saveexec_b32 s39, s0
	s_cbranch_execz .LBB113_175
; %bb.166:
	s_and_not1_b32 vcc_lo, exec_lo, s3
	s_cbranch_vccnz .LBB113_168
; %bb.167:
	scratch_load_b64 v[104:105], v59, off
	ds_load_b64 v[106:107], v1
	s_wait_loadcnt_dscnt 0x0
	v_pk_mul_f32 v[108:109], v[106:107], v[104:105] op_sel:[1,1] op_sel_hi:[0,1]
	s_delay_alu instid0(VALU_DEP_1) | instskip(SKIP_1) | instid1(VALU_DEP_2)
	v_pk_fma_f32 v[110:111], v[106:107], v[104:105], v[108:109] op_sel_hi:[1,0,1]
	v_pk_fma_f32 v[104:105], v[106:107], v[104:105], v[108:109] neg_lo:[0,0,1] neg_hi:[0,0,1]
	v_mov_b32_e32 v105, v111
	s_cbranch_execz .LBB113_169
	s_branch .LBB113_170
.LBB113_168:
                                        ; implicit-def: $vgpr104_vgpr105
.LBB113_169:
	ds_load_b64 v[104:105], v1
.LBB113_170:
	s_and_saveexec_b32 s40, s1
	s_cbranch_execz .LBB113_174
; %bb.171:
	v_subrev_nc_u32_e32 v106, 33, v0
	s_movk_i32 s41, 0x298
	s_mov_b32 s1, 0
.LBB113_172:                            ; =>This Inner Loop Header: Depth=1
	scratch_load_b64 v[108:109], off, s38
	v_dual_mov_b32 v107, s41 :: v_dual_add_nc_u32 v106, -1, v106
	s_add_co_i32 s41, s41, 8
	s_wait_xcnt 0x0
	s_add_co_i32 s38, s38, 8
	ds_load_b64 v[110:111], v107
	v_cmp_eq_u32_e32 vcc_lo, 0, v106
	s_or_b32 s1, vcc_lo, s1
	s_wait_loadcnt_dscnt 0x0
	v_pk_mul_f32 v[112:113], v[110:111], v[108:109] op_sel:[1,1] op_sel_hi:[0,1]
	s_delay_alu instid0(VALU_DEP_1) | instskip(SKIP_1) | instid1(VALU_DEP_2)
	v_pk_fma_f32 v[114:115], v[110:111], v[108:109], v[112:113] op_sel_hi:[1,0,1]
	v_pk_fma_f32 v[108:109], v[110:111], v[108:109], v[112:113] neg_lo:[0,0,1] neg_hi:[0,0,1]
	v_mov_b32_e32 v109, v115
	s_delay_alu instid0(VALU_DEP_1)
	v_pk_add_f32 v[104:105], v[104:105], v[108:109]
	s_and_not1_b32 exec_lo, exec_lo, s1
	s_cbranch_execnz .LBB113_172
; %bb.173:
	s_or_b32 exec_lo, exec_lo, s1
.LBB113_174:
	s_delay_alu instid0(SALU_CYCLE_1) | instskip(SKIP_4) | instid1(VALU_DEP_1)
	s_or_b32 exec_lo, exec_lo, s40
	v_mov_b32_e32 v106, 0
	ds_load_b64 v[106:107], v106 offset:256
	s_wait_dscnt 0x0
	v_pk_mul_f32 v[108:109], v[104:105], v[106:107] op_sel:[1,1] op_sel_hi:[0,1]
	v_pk_fma_f32 v[110:111], v[104:105], v[106:107], v[108:109] op_sel_hi:[1,0,1]
	v_pk_fma_f32 v[104:105], v[104:105], v[106:107], v[108:109] neg_lo:[0,0,1] neg_hi:[0,0,1]
	s_delay_alu instid0(VALU_DEP_2)
	v_mov_b32_e32 v105, v111
	scratch_store_b64 off, v[104:105], off offset:256
.LBB113_175:
	s_wait_xcnt 0x0
	s_or_b32 exec_lo, exec_lo, s39
	scratch_load_b64 v[104:105], off, off offset:248
	v_cmp_lt_u32_e64 s1, 31, v0
	s_wait_loadcnt 0x0
	ds_store_b64 v1, v[104:105]
	s_wait_storecnt_dscnt 0x0
	s_barrier_signal -1
	s_barrier_wait -1
	s_wait_xcnt 0x0
	s_and_saveexec_b32 s38, s1
	s_cbranch_execz .LBB113_185
; %bb.176:
	s_and_not1_b32 vcc_lo, exec_lo, s3
	s_cbranch_vccnz .LBB113_178
; %bb.177:
	scratch_load_b64 v[104:105], v59, off
	ds_load_b64 v[106:107], v1
	s_wait_loadcnt_dscnt 0x0
	v_pk_mul_f32 v[108:109], v[106:107], v[104:105] op_sel:[1,1] op_sel_hi:[0,1]
	s_delay_alu instid0(VALU_DEP_1) | instskip(SKIP_1) | instid1(VALU_DEP_2)
	v_pk_fma_f32 v[110:111], v[106:107], v[104:105], v[108:109] op_sel_hi:[1,0,1]
	v_pk_fma_f32 v[104:105], v[106:107], v[104:105], v[108:109] neg_lo:[0,0,1] neg_hi:[0,0,1]
	v_mov_b32_e32 v105, v111
	s_cbranch_execz .LBB113_179
	s_branch .LBB113_180
.LBB113_178:
                                        ; implicit-def: $vgpr104_vgpr105
.LBB113_179:
	ds_load_b64 v[104:105], v1
.LBB113_180:
	s_and_saveexec_b32 s39, s0
	s_cbranch_execz .LBB113_184
; %bb.181:
	v_subrev_nc_u32_e32 v106, 32, v0
	s_movk_i32 s40, 0x290
	s_mov_b32 s0, 0
.LBB113_182:                            ; =>This Inner Loop Header: Depth=1
	scratch_load_b64 v[108:109], off, s37
	v_dual_mov_b32 v107, s40 :: v_dual_add_nc_u32 v106, -1, v106
	s_add_co_i32 s40, s40, 8
	s_wait_xcnt 0x0
	s_add_co_i32 s37, s37, 8
	ds_load_b64 v[110:111], v107
	v_cmp_eq_u32_e32 vcc_lo, 0, v106
	s_or_b32 s0, vcc_lo, s0
	s_wait_loadcnt_dscnt 0x0
	v_pk_mul_f32 v[112:113], v[110:111], v[108:109] op_sel:[1,1] op_sel_hi:[0,1]
	s_delay_alu instid0(VALU_DEP_1) | instskip(SKIP_1) | instid1(VALU_DEP_2)
	v_pk_fma_f32 v[114:115], v[110:111], v[108:109], v[112:113] op_sel_hi:[1,0,1]
	v_pk_fma_f32 v[108:109], v[110:111], v[108:109], v[112:113] neg_lo:[0,0,1] neg_hi:[0,0,1]
	v_mov_b32_e32 v109, v115
	s_delay_alu instid0(VALU_DEP_1)
	v_pk_add_f32 v[104:105], v[104:105], v[108:109]
	s_and_not1_b32 exec_lo, exec_lo, s0
	s_cbranch_execnz .LBB113_182
; %bb.183:
	s_or_b32 exec_lo, exec_lo, s0
.LBB113_184:
	s_delay_alu instid0(SALU_CYCLE_1) | instskip(SKIP_4) | instid1(VALU_DEP_1)
	s_or_b32 exec_lo, exec_lo, s39
	v_mov_b32_e32 v106, 0
	ds_load_b64 v[106:107], v106 offset:248
	s_wait_dscnt 0x0
	v_pk_mul_f32 v[108:109], v[104:105], v[106:107] op_sel:[1,1] op_sel_hi:[0,1]
	v_pk_fma_f32 v[110:111], v[104:105], v[106:107], v[108:109] op_sel_hi:[1,0,1]
	v_pk_fma_f32 v[104:105], v[104:105], v[106:107], v[108:109] neg_lo:[0,0,1] neg_hi:[0,0,1]
	s_delay_alu instid0(VALU_DEP_2)
	v_mov_b32_e32 v105, v111
	scratch_store_b64 off, v[104:105], off offset:248
.LBB113_185:
	s_wait_xcnt 0x0
	s_or_b32 exec_lo, exec_lo, s38
	scratch_load_b64 v[104:105], off, off offset:240
	v_cmp_lt_u32_e64 s0, 30, v0
	s_wait_loadcnt 0x0
	ds_store_b64 v1, v[104:105]
	s_wait_storecnt_dscnt 0x0
	s_barrier_signal -1
	s_barrier_wait -1
	s_wait_xcnt 0x0
	s_and_saveexec_b32 s37, s0
	s_cbranch_execz .LBB113_195
; %bb.186:
	s_and_not1_b32 vcc_lo, exec_lo, s3
	s_cbranch_vccnz .LBB113_188
; %bb.187:
	scratch_load_b64 v[104:105], v59, off
	ds_load_b64 v[106:107], v1
	s_wait_loadcnt_dscnt 0x0
	v_pk_mul_f32 v[108:109], v[106:107], v[104:105] op_sel:[1,1] op_sel_hi:[0,1]
	s_delay_alu instid0(VALU_DEP_1) | instskip(SKIP_1) | instid1(VALU_DEP_2)
	v_pk_fma_f32 v[110:111], v[106:107], v[104:105], v[108:109] op_sel_hi:[1,0,1]
	v_pk_fma_f32 v[104:105], v[106:107], v[104:105], v[108:109] neg_lo:[0,0,1] neg_hi:[0,0,1]
	v_mov_b32_e32 v105, v111
	s_cbranch_execz .LBB113_189
	s_branch .LBB113_190
.LBB113_188:
                                        ; implicit-def: $vgpr104_vgpr105
.LBB113_189:
	ds_load_b64 v[104:105], v1
.LBB113_190:
	s_and_saveexec_b32 s38, s1
	s_cbranch_execz .LBB113_194
; %bb.191:
	v_subrev_nc_u32_e32 v106, 31, v0
	s_movk_i32 s39, 0x288
	s_mov_b32 s1, 0
.LBB113_192:                            ; =>This Inner Loop Header: Depth=1
	scratch_load_b64 v[108:109], off, s36
	v_dual_mov_b32 v107, s39 :: v_dual_add_nc_u32 v106, -1, v106
	s_add_co_i32 s39, s39, 8
	s_wait_xcnt 0x0
	s_add_co_i32 s36, s36, 8
	ds_load_b64 v[110:111], v107
	v_cmp_eq_u32_e32 vcc_lo, 0, v106
	s_or_b32 s1, vcc_lo, s1
	s_wait_loadcnt_dscnt 0x0
	v_pk_mul_f32 v[112:113], v[110:111], v[108:109] op_sel:[1,1] op_sel_hi:[0,1]
	s_delay_alu instid0(VALU_DEP_1) | instskip(SKIP_1) | instid1(VALU_DEP_2)
	v_pk_fma_f32 v[114:115], v[110:111], v[108:109], v[112:113] op_sel_hi:[1,0,1]
	v_pk_fma_f32 v[108:109], v[110:111], v[108:109], v[112:113] neg_lo:[0,0,1] neg_hi:[0,0,1]
	v_mov_b32_e32 v109, v115
	s_delay_alu instid0(VALU_DEP_1)
	v_pk_add_f32 v[104:105], v[104:105], v[108:109]
	s_and_not1_b32 exec_lo, exec_lo, s1
	s_cbranch_execnz .LBB113_192
; %bb.193:
	s_or_b32 exec_lo, exec_lo, s1
.LBB113_194:
	s_delay_alu instid0(SALU_CYCLE_1) | instskip(SKIP_4) | instid1(VALU_DEP_1)
	s_or_b32 exec_lo, exec_lo, s38
	v_mov_b32_e32 v106, 0
	ds_load_b64 v[106:107], v106 offset:240
	s_wait_dscnt 0x0
	v_pk_mul_f32 v[108:109], v[104:105], v[106:107] op_sel:[1,1] op_sel_hi:[0,1]
	v_pk_fma_f32 v[110:111], v[104:105], v[106:107], v[108:109] op_sel_hi:[1,0,1]
	v_pk_fma_f32 v[104:105], v[104:105], v[106:107], v[108:109] neg_lo:[0,0,1] neg_hi:[0,0,1]
	s_delay_alu instid0(VALU_DEP_2)
	v_mov_b32_e32 v105, v111
	scratch_store_b64 off, v[104:105], off offset:240
.LBB113_195:
	s_wait_xcnt 0x0
	s_or_b32 exec_lo, exec_lo, s37
	scratch_load_b64 v[104:105], off, off offset:232
	v_cmp_lt_u32_e64 s1, 29, v0
	s_wait_loadcnt 0x0
	ds_store_b64 v1, v[104:105]
	s_wait_storecnt_dscnt 0x0
	s_barrier_signal -1
	s_barrier_wait -1
	s_wait_xcnt 0x0
	s_and_saveexec_b32 s36, s1
	s_cbranch_execz .LBB113_205
; %bb.196:
	s_and_not1_b32 vcc_lo, exec_lo, s3
	s_cbranch_vccnz .LBB113_198
; %bb.197:
	scratch_load_b64 v[104:105], v59, off
	ds_load_b64 v[106:107], v1
	s_wait_loadcnt_dscnt 0x0
	v_pk_mul_f32 v[108:109], v[106:107], v[104:105] op_sel:[1,1] op_sel_hi:[0,1]
	s_delay_alu instid0(VALU_DEP_1) | instskip(SKIP_1) | instid1(VALU_DEP_2)
	v_pk_fma_f32 v[110:111], v[106:107], v[104:105], v[108:109] op_sel_hi:[1,0,1]
	v_pk_fma_f32 v[104:105], v[106:107], v[104:105], v[108:109] neg_lo:[0,0,1] neg_hi:[0,0,1]
	v_mov_b32_e32 v105, v111
	s_cbranch_execz .LBB113_199
	s_branch .LBB113_200
.LBB113_198:
                                        ; implicit-def: $vgpr104_vgpr105
.LBB113_199:
	ds_load_b64 v[104:105], v1
.LBB113_200:
	s_and_saveexec_b32 s37, s0
	s_cbranch_execz .LBB113_204
; %bb.201:
	v_subrev_nc_u32_e32 v106, 30, v0
	s_movk_i32 s38, 0x280
	s_mov_b32 s0, 0
.LBB113_202:                            ; =>This Inner Loop Header: Depth=1
	scratch_load_b64 v[108:109], off, s35
	v_dual_mov_b32 v107, s38 :: v_dual_add_nc_u32 v106, -1, v106
	s_add_co_i32 s38, s38, 8
	s_wait_xcnt 0x0
	s_add_co_i32 s35, s35, 8
	ds_load_b64 v[110:111], v107
	v_cmp_eq_u32_e32 vcc_lo, 0, v106
	s_or_b32 s0, vcc_lo, s0
	s_wait_loadcnt_dscnt 0x0
	v_pk_mul_f32 v[112:113], v[110:111], v[108:109] op_sel:[1,1] op_sel_hi:[0,1]
	s_delay_alu instid0(VALU_DEP_1) | instskip(SKIP_1) | instid1(VALU_DEP_2)
	v_pk_fma_f32 v[114:115], v[110:111], v[108:109], v[112:113] op_sel_hi:[1,0,1]
	v_pk_fma_f32 v[108:109], v[110:111], v[108:109], v[112:113] neg_lo:[0,0,1] neg_hi:[0,0,1]
	v_mov_b32_e32 v109, v115
	s_delay_alu instid0(VALU_DEP_1)
	v_pk_add_f32 v[104:105], v[104:105], v[108:109]
	s_and_not1_b32 exec_lo, exec_lo, s0
	s_cbranch_execnz .LBB113_202
; %bb.203:
	s_or_b32 exec_lo, exec_lo, s0
.LBB113_204:
	s_delay_alu instid0(SALU_CYCLE_1) | instskip(SKIP_4) | instid1(VALU_DEP_1)
	s_or_b32 exec_lo, exec_lo, s37
	v_mov_b32_e32 v106, 0
	ds_load_b64 v[106:107], v106 offset:232
	s_wait_dscnt 0x0
	v_pk_mul_f32 v[108:109], v[104:105], v[106:107] op_sel:[1,1] op_sel_hi:[0,1]
	v_pk_fma_f32 v[110:111], v[104:105], v[106:107], v[108:109] op_sel_hi:[1,0,1]
	v_pk_fma_f32 v[104:105], v[104:105], v[106:107], v[108:109] neg_lo:[0,0,1] neg_hi:[0,0,1]
	s_delay_alu instid0(VALU_DEP_2)
	v_mov_b32_e32 v105, v111
	scratch_store_b64 off, v[104:105], off offset:232
.LBB113_205:
	s_wait_xcnt 0x0
	s_or_b32 exec_lo, exec_lo, s36
	scratch_load_b64 v[104:105], off, off offset:224
	v_cmp_lt_u32_e64 s0, 28, v0
	s_wait_loadcnt 0x0
	ds_store_b64 v1, v[104:105]
	s_wait_storecnt_dscnt 0x0
	s_barrier_signal -1
	s_barrier_wait -1
	s_wait_xcnt 0x0
	s_and_saveexec_b32 s35, s0
	s_cbranch_execz .LBB113_215
; %bb.206:
	s_and_not1_b32 vcc_lo, exec_lo, s3
	s_cbranch_vccnz .LBB113_208
; %bb.207:
	scratch_load_b64 v[104:105], v59, off
	ds_load_b64 v[106:107], v1
	s_wait_loadcnt_dscnt 0x0
	v_pk_mul_f32 v[108:109], v[106:107], v[104:105] op_sel:[1,1] op_sel_hi:[0,1]
	s_delay_alu instid0(VALU_DEP_1) | instskip(SKIP_1) | instid1(VALU_DEP_2)
	v_pk_fma_f32 v[110:111], v[106:107], v[104:105], v[108:109] op_sel_hi:[1,0,1]
	v_pk_fma_f32 v[104:105], v[106:107], v[104:105], v[108:109] neg_lo:[0,0,1] neg_hi:[0,0,1]
	v_mov_b32_e32 v105, v111
	s_cbranch_execz .LBB113_209
	s_branch .LBB113_210
.LBB113_208:
                                        ; implicit-def: $vgpr104_vgpr105
.LBB113_209:
	ds_load_b64 v[104:105], v1
.LBB113_210:
	s_and_saveexec_b32 s36, s1
	s_cbranch_execz .LBB113_214
; %bb.211:
	v_subrev_nc_u32_e32 v106, 29, v0
	s_movk_i32 s37, 0x278
	s_mov_b32 s1, 0
.LBB113_212:                            ; =>This Inner Loop Header: Depth=1
	scratch_load_b64 v[108:109], off, s34
	v_dual_mov_b32 v107, s37 :: v_dual_add_nc_u32 v106, -1, v106
	s_add_co_i32 s37, s37, 8
	s_wait_xcnt 0x0
	s_add_co_i32 s34, s34, 8
	ds_load_b64 v[110:111], v107
	v_cmp_eq_u32_e32 vcc_lo, 0, v106
	s_or_b32 s1, vcc_lo, s1
	s_wait_loadcnt_dscnt 0x0
	v_pk_mul_f32 v[112:113], v[110:111], v[108:109] op_sel:[1,1] op_sel_hi:[0,1]
	s_delay_alu instid0(VALU_DEP_1) | instskip(SKIP_1) | instid1(VALU_DEP_2)
	v_pk_fma_f32 v[114:115], v[110:111], v[108:109], v[112:113] op_sel_hi:[1,0,1]
	v_pk_fma_f32 v[108:109], v[110:111], v[108:109], v[112:113] neg_lo:[0,0,1] neg_hi:[0,0,1]
	v_mov_b32_e32 v109, v115
	s_delay_alu instid0(VALU_DEP_1)
	v_pk_add_f32 v[104:105], v[104:105], v[108:109]
	s_and_not1_b32 exec_lo, exec_lo, s1
	s_cbranch_execnz .LBB113_212
; %bb.213:
	s_or_b32 exec_lo, exec_lo, s1
.LBB113_214:
	s_delay_alu instid0(SALU_CYCLE_1) | instskip(SKIP_4) | instid1(VALU_DEP_1)
	s_or_b32 exec_lo, exec_lo, s36
	v_mov_b32_e32 v106, 0
	ds_load_b64 v[106:107], v106 offset:224
	s_wait_dscnt 0x0
	v_pk_mul_f32 v[108:109], v[104:105], v[106:107] op_sel:[1,1] op_sel_hi:[0,1]
	v_pk_fma_f32 v[110:111], v[104:105], v[106:107], v[108:109] op_sel_hi:[1,0,1]
	v_pk_fma_f32 v[104:105], v[104:105], v[106:107], v[108:109] neg_lo:[0,0,1] neg_hi:[0,0,1]
	s_delay_alu instid0(VALU_DEP_2)
	v_mov_b32_e32 v105, v111
	scratch_store_b64 off, v[104:105], off offset:224
.LBB113_215:
	s_wait_xcnt 0x0
	s_or_b32 exec_lo, exec_lo, s35
	scratch_load_b64 v[104:105], off, off offset:216
	v_cmp_lt_u32_e64 s1, 27, v0
	s_wait_loadcnt 0x0
	ds_store_b64 v1, v[104:105]
	s_wait_storecnt_dscnt 0x0
	s_barrier_signal -1
	s_barrier_wait -1
	s_wait_xcnt 0x0
	s_and_saveexec_b32 s34, s1
	s_cbranch_execz .LBB113_225
; %bb.216:
	s_and_not1_b32 vcc_lo, exec_lo, s3
	s_cbranch_vccnz .LBB113_218
; %bb.217:
	scratch_load_b64 v[104:105], v59, off
	ds_load_b64 v[106:107], v1
	s_wait_loadcnt_dscnt 0x0
	v_pk_mul_f32 v[108:109], v[106:107], v[104:105] op_sel:[1,1] op_sel_hi:[0,1]
	s_delay_alu instid0(VALU_DEP_1) | instskip(SKIP_1) | instid1(VALU_DEP_2)
	v_pk_fma_f32 v[110:111], v[106:107], v[104:105], v[108:109] op_sel_hi:[1,0,1]
	v_pk_fma_f32 v[104:105], v[106:107], v[104:105], v[108:109] neg_lo:[0,0,1] neg_hi:[0,0,1]
	v_mov_b32_e32 v105, v111
	s_cbranch_execz .LBB113_219
	s_branch .LBB113_220
.LBB113_218:
                                        ; implicit-def: $vgpr104_vgpr105
.LBB113_219:
	ds_load_b64 v[104:105], v1
.LBB113_220:
	s_and_saveexec_b32 s35, s0
	s_cbranch_execz .LBB113_224
; %bb.221:
	v_subrev_nc_u32_e32 v106, 28, v0
	s_movk_i32 s36, 0x270
	s_mov_b32 s0, 0
.LBB113_222:                            ; =>This Inner Loop Header: Depth=1
	scratch_load_b64 v[108:109], off, s33
	v_dual_mov_b32 v107, s36 :: v_dual_add_nc_u32 v106, -1, v106
	s_add_co_i32 s36, s36, 8
	s_wait_xcnt 0x0
	s_add_co_i32 s33, s33, 8
	ds_load_b64 v[110:111], v107
	v_cmp_eq_u32_e32 vcc_lo, 0, v106
	s_or_b32 s0, vcc_lo, s0
	s_wait_loadcnt_dscnt 0x0
	v_pk_mul_f32 v[112:113], v[110:111], v[108:109] op_sel:[1,1] op_sel_hi:[0,1]
	s_delay_alu instid0(VALU_DEP_1) | instskip(SKIP_1) | instid1(VALU_DEP_2)
	v_pk_fma_f32 v[114:115], v[110:111], v[108:109], v[112:113] op_sel_hi:[1,0,1]
	v_pk_fma_f32 v[108:109], v[110:111], v[108:109], v[112:113] neg_lo:[0,0,1] neg_hi:[0,0,1]
	v_mov_b32_e32 v109, v115
	s_delay_alu instid0(VALU_DEP_1)
	v_pk_add_f32 v[104:105], v[104:105], v[108:109]
	s_and_not1_b32 exec_lo, exec_lo, s0
	s_cbranch_execnz .LBB113_222
; %bb.223:
	s_or_b32 exec_lo, exec_lo, s0
.LBB113_224:
	s_delay_alu instid0(SALU_CYCLE_1) | instskip(SKIP_4) | instid1(VALU_DEP_1)
	s_or_b32 exec_lo, exec_lo, s35
	v_mov_b32_e32 v106, 0
	ds_load_b64 v[106:107], v106 offset:216
	s_wait_dscnt 0x0
	v_pk_mul_f32 v[108:109], v[104:105], v[106:107] op_sel:[1,1] op_sel_hi:[0,1]
	v_pk_fma_f32 v[110:111], v[104:105], v[106:107], v[108:109] op_sel_hi:[1,0,1]
	v_pk_fma_f32 v[104:105], v[104:105], v[106:107], v[108:109] neg_lo:[0,0,1] neg_hi:[0,0,1]
	s_delay_alu instid0(VALU_DEP_2)
	v_mov_b32_e32 v105, v111
	scratch_store_b64 off, v[104:105], off offset:216
.LBB113_225:
	s_wait_xcnt 0x0
	s_or_b32 exec_lo, exec_lo, s34
	scratch_load_b64 v[104:105], off, off offset:208
	v_cmp_lt_u32_e64 s0, 26, v0
	s_wait_loadcnt 0x0
	ds_store_b64 v1, v[104:105]
	s_wait_storecnt_dscnt 0x0
	s_barrier_signal -1
	s_barrier_wait -1
	s_wait_xcnt 0x0
	s_and_saveexec_b32 s33, s0
	s_cbranch_execz .LBB113_235
; %bb.226:
	s_and_not1_b32 vcc_lo, exec_lo, s3
	s_cbranch_vccnz .LBB113_228
; %bb.227:
	scratch_load_b64 v[104:105], v59, off
	ds_load_b64 v[106:107], v1
	s_wait_loadcnt_dscnt 0x0
	v_pk_mul_f32 v[108:109], v[106:107], v[104:105] op_sel:[1,1] op_sel_hi:[0,1]
	s_delay_alu instid0(VALU_DEP_1) | instskip(SKIP_1) | instid1(VALU_DEP_2)
	v_pk_fma_f32 v[110:111], v[106:107], v[104:105], v[108:109] op_sel_hi:[1,0,1]
	v_pk_fma_f32 v[104:105], v[106:107], v[104:105], v[108:109] neg_lo:[0,0,1] neg_hi:[0,0,1]
	v_mov_b32_e32 v105, v111
	s_cbranch_execz .LBB113_229
	s_branch .LBB113_230
.LBB113_228:
                                        ; implicit-def: $vgpr104_vgpr105
.LBB113_229:
	ds_load_b64 v[104:105], v1
.LBB113_230:
	s_and_saveexec_b32 s34, s1
	s_cbranch_execz .LBB113_234
; %bb.231:
	v_subrev_nc_u32_e32 v106, 27, v0
	s_movk_i32 s35, 0x268
	s_mov_b32 s1, 0
.LBB113_232:                            ; =>This Inner Loop Header: Depth=1
	scratch_load_b64 v[108:109], off, s31
	v_dual_mov_b32 v107, s35 :: v_dual_add_nc_u32 v106, -1, v106
	s_add_co_i32 s35, s35, 8
	s_wait_xcnt 0x0
	s_add_co_i32 s31, s31, 8
	ds_load_b64 v[110:111], v107
	v_cmp_eq_u32_e32 vcc_lo, 0, v106
	s_or_b32 s1, vcc_lo, s1
	s_wait_loadcnt_dscnt 0x0
	v_pk_mul_f32 v[112:113], v[110:111], v[108:109] op_sel:[1,1] op_sel_hi:[0,1]
	s_delay_alu instid0(VALU_DEP_1) | instskip(SKIP_1) | instid1(VALU_DEP_2)
	v_pk_fma_f32 v[114:115], v[110:111], v[108:109], v[112:113] op_sel_hi:[1,0,1]
	v_pk_fma_f32 v[108:109], v[110:111], v[108:109], v[112:113] neg_lo:[0,0,1] neg_hi:[0,0,1]
	v_mov_b32_e32 v109, v115
	s_delay_alu instid0(VALU_DEP_1)
	v_pk_add_f32 v[104:105], v[104:105], v[108:109]
	s_and_not1_b32 exec_lo, exec_lo, s1
	s_cbranch_execnz .LBB113_232
; %bb.233:
	s_or_b32 exec_lo, exec_lo, s1
.LBB113_234:
	s_delay_alu instid0(SALU_CYCLE_1) | instskip(SKIP_4) | instid1(VALU_DEP_1)
	s_or_b32 exec_lo, exec_lo, s34
	v_mov_b32_e32 v106, 0
	ds_load_b64 v[106:107], v106 offset:208
	s_wait_dscnt 0x0
	v_pk_mul_f32 v[108:109], v[104:105], v[106:107] op_sel:[1,1] op_sel_hi:[0,1]
	v_pk_fma_f32 v[110:111], v[104:105], v[106:107], v[108:109] op_sel_hi:[1,0,1]
	v_pk_fma_f32 v[104:105], v[104:105], v[106:107], v[108:109] neg_lo:[0,0,1] neg_hi:[0,0,1]
	s_delay_alu instid0(VALU_DEP_2)
	v_mov_b32_e32 v105, v111
	scratch_store_b64 off, v[104:105], off offset:208
.LBB113_235:
	s_wait_xcnt 0x0
	s_or_b32 exec_lo, exec_lo, s33
	scratch_load_b64 v[104:105], off, off offset:200
	v_cmp_lt_u32_e64 s1, 25, v0
	s_wait_loadcnt 0x0
	ds_store_b64 v1, v[104:105]
	s_wait_storecnt_dscnt 0x0
	s_barrier_signal -1
	s_barrier_wait -1
	s_wait_xcnt 0x0
	s_and_saveexec_b32 s31, s1
	s_cbranch_execz .LBB113_245
; %bb.236:
	s_and_not1_b32 vcc_lo, exec_lo, s3
	s_cbranch_vccnz .LBB113_238
; %bb.237:
	scratch_load_b64 v[104:105], v59, off
	ds_load_b64 v[106:107], v1
	s_wait_loadcnt_dscnt 0x0
	v_pk_mul_f32 v[108:109], v[106:107], v[104:105] op_sel:[1,1] op_sel_hi:[0,1]
	s_delay_alu instid0(VALU_DEP_1) | instskip(SKIP_1) | instid1(VALU_DEP_2)
	v_pk_fma_f32 v[110:111], v[106:107], v[104:105], v[108:109] op_sel_hi:[1,0,1]
	v_pk_fma_f32 v[104:105], v[106:107], v[104:105], v[108:109] neg_lo:[0,0,1] neg_hi:[0,0,1]
	v_mov_b32_e32 v105, v111
	s_cbranch_execz .LBB113_239
	s_branch .LBB113_240
.LBB113_238:
                                        ; implicit-def: $vgpr104_vgpr105
.LBB113_239:
	ds_load_b64 v[104:105], v1
.LBB113_240:
	s_and_saveexec_b32 s33, s0
	s_cbranch_execz .LBB113_244
; %bb.241:
	v_subrev_nc_u32_e32 v106, 26, v0
	s_movk_i32 s34, 0x260
	s_mov_b32 s0, 0
.LBB113_242:                            ; =>This Inner Loop Header: Depth=1
	scratch_load_b64 v[108:109], off, s30
	v_dual_mov_b32 v107, s34 :: v_dual_add_nc_u32 v106, -1, v106
	s_add_co_i32 s34, s34, 8
	s_wait_xcnt 0x0
	s_add_co_i32 s30, s30, 8
	ds_load_b64 v[110:111], v107
	v_cmp_eq_u32_e32 vcc_lo, 0, v106
	s_or_b32 s0, vcc_lo, s0
	s_wait_loadcnt_dscnt 0x0
	v_pk_mul_f32 v[112:113], v[110:111], v[108:109] op_sel:[1,1] op_sel_hi:[0,1]
	s_delay_alu instid0(VALU_DEP_1) | instskip(SKIP_1) | instid1(VALU_DEP_2)
	v_pk_fma_f32 v[114:115], v[110:111], v[108:109], v[112:113] op_sel_hi:[1,0,1]
	v_pk_fma_f32 v[108:109], v[110:111], v[108:109], v[112:113] neg_lo:[0,0,1] neg_hi:[0,0,1]
	v_mov_b32_e32 v109, v115
	s_delay_alu instid0(VALU_DEP_1)
	v_pk_add_f32 v[104:105], v[104:105], v[108:109]
	s_and_not1_b32 exec_lo, exec_lo, s0
	s_cbranch_execnz .LBB113_242
; %bb.243:
	s_or_b32 exec_lo, exec_lo, s0
.LBB113_244:
	s_delay_alu instid0(SALU_CYCLE_1) | instskip(SKIP_4) | instid1(VALU_DEP_1)
	s_or_b32 exec_lo, exec_lo, s33
	v_mov_b32_e32 v106, 0
	ds_load_b64 v[106:107], v106 offset:200
	s_wait_dscnt 0x0
	v_pk_mul_f32 v[108:109], v[104:105], v[106:107] op_sel:[1,1] op_sel_hi:[0,1]
	v_pk_fma_f32 v[110:111], v[104:105], v[106:107], v[108:109] op_sel_hi:[1,0,1]
	v_pk_fma_f32 v[104:105], v[104:105], v[106:107], v[108:109] neg_lo:[0,0,1] neg_hi:[0,0,1]
	s_delay_alu instid0(VALU_DEP_2)
	v_mov_b32_e32 v105, v111
	scratch_store_b64 off, v[104:105], off offset:200
.LBB113_245:
	s_wait_xcnt 0x0
	s_or_b32 exec_lo, exec_lo, s31
	scratch_load_b64 v[104:105], off, off offset:192
	v_cmp_lt_u32_e64 s0, 24, v0
	s_wait_loadcnt 0x0
	ds_store_b64 v1, v[104:105]
	s_wait_storecnt_dscnt 0x0
	s_barrier_signal -1
	s_barrier_wait -1
	s_wait_xcnt 0x0
	s_and_saveexec_b32 s30, s0
	s_cbranch_execz .LBB113_255
; %bb.246:
	s_and_not1_b32 vcc_lo, exec_lo, s3
	s_cbranch_vccnz .LBB113_248
; %bb.247:
	scratch_load_b64 v[104:105], v59, off
	ds_load_b64 v[106:107], v1
	s_wait_loadcnt_dscnt 0x0
	v_pk_mul_f32 v[108:109], v[106:107], v[104:105] op_sel:[1,1] op_sel_hi:[0,1]
	s_delay_alu instid0(VALU_DEP_1) | instskip(SKIP_1) | instid1(VALU_DEP_2)
	v_pk_fma_f32 v[110:111], v[106:107], v[104:105], v[108:109] op_sel_hi:[1,0,1]
	v_pk_fma_f32 v[104:105], v[106:107], v[104:105], v[108:109] neg_lo:[0,0,1] neg_hi:[0,0,1]
	v_mov_b32_e32 v105, v111
	s_cbranch_execz .LBB113_249
	s_branch .LBB113_250
.LBB113_248:
                                        ; implicit-def: $vgpr104_vgpr105
.LBB113_249:
	ds_load_b64 v[104:105], v1
.LBB113_250:
	s_and_saveexec_b32 s31, s1
	s_cbranch_execz .LBB113_254
; %bb.251:
	v_subrev_nc_u32_e32 v106, 25, v0
	s_movk_i32 s33, 0x258
	s_mov_b32 s1, 0
.LBB113_252:                            ; =>This Inner Loop Header: Depth=1
	scratch_load_b64 v[108:109], off, s29
	v_dual_mov_b32 v107, s33 :: v_dual_add_nc_u32 v106, -1, v106
	s_add_co_i32 s33, s33, 8
	s_wait_xcnt 0x0
	s_add_co_i32 s29, s29, 8
	ds_load_b64 v[110:111], v107
	v_cmp_eq_u32_e32 vcc_lo, 0, v106
	s_or_b32 s1, vcc_lo, s1
	s_wait_loadcnt_dscnt 0x0
	v_pk_mul_f32 v[112:113], v[110:111], v[108:109] op_sel:[1,1] op_sel_hi:[0,1]
	s_delay_alu instid0(VALU_DEP_1) | instskip(SKIP_1) | instid1(VALU_DEP_2)
	v_pk_fma_f32 v[114:115], v[110:111], v[108:109], v[112:113] op_sel_hi:[1,0,1]
	v_pk_fma_f32 v[108:109], v[110:111], v[108:109], v[112:113] neg_lo:[0,0,1] neg_hi:[0,0,1]
	v_mov_b32_e32 v109, v115
	s_delay_alu instid0(VALU_DEP_1)
	v_pk_add_f32 v[104:105], v[104:105], v[108:109]
	s_and_not1_b32 exec_lo, exec_lo, s1
	s_cbranch_execnz .LBB113_252
; %bb.253:
	s_or_b32 exec_lo, exec_lo, s1
.LBB113_254:
	s_delay_alu instid0(SALU_CYCLE_1) | instskip(SKIP_4) | instid1(VALU_DEP_1)
	s_or_b32 exec_lo, exec_lo, s31
	v_mov_b32_e32 v106, 0
	ds_load_b64 v[106:107], v106 offset:192
	s_wait_dscnt 0x0
	v_pk_mul_f32 v[108:109], v[104:105], v[106:107] op_sel:[1,1] op_sel_hi:[0,1]
	v_pk_fma_f32 v[110:111], v[104:105], v[106:107], v[108:109] op_sel_hi:[1,0,1]
	v_pk_fma_f32 v[104:105], v[104:105], v[106:107], v[108:109] neg_lo:[0,0,1] neg_hi:[0,0,1]
	s_delay_alu instid0(VALU_DEP_2)
	v_mov_b32_e32 v105, v111
	scratch_store_b64 off, v[104:105], off offset:192
.LBB113_255:
	s_wait_xcnt 0x0
	s_or_b32 exec_lo, exec_lo, s30
	scratch_load_b64 v[104:105], off, off offset:184
	v_cmp_lt_u32_e64 s1, 23, v0
	s_wait_loadcnt 0x0
	ds_store_b64 v1, v[104:105]
	s_wait_storecnt_dscnt 0x0
	s_barrier_signal -1
	s_barrier_wait -1
	s_wait_xcnt 0x0
	s_and_saveexec_b32 s29, s1
	s_cbranch_execz .LBB113_265
; %bb.256:
	s_and_not1_b32 vcc_lo, exec_lo, s3
	s_cbranch_vccnz .LBB113_258
; %bb.257:
	scratch_load_b64 v[104:105], v59, off
	ds_load_b64 v[106:107], v1
	s_wait_loadcnt_dscnt 0x0
	v_pk_mul_f32 v[108:109], v[106:107], v[104:105] op_sel:[1,1] op_sel_hi:[0,1]
	s_delay_alu instid0(VALU_DEP_1) | instskip(SKIP_1) | instid1(VALU_DEP_2)
	v_pk_fma_f32 v[110:111], v[106:107], v[104:105], v[108:109] op_sel_hi:[1,0,1]
	v_pk_fma_f32 v[104:105], v[106:107], v[104:105], v[108:109] neg_lo:[0,0,1] neg_hi:[0,0,1]
	v_mov_b32_e32 v105, v111
	s_cbranch_execz .LBB113_259
	s_branch .LBB113_260
.LBB113_258:
                                        ; implicit-def: $vgpr104_vgpr105
.LBB113_259:
	ds_load_b64 v[104:105], v1
.LBB113_260:
	s_and_saveexec_b32 s30, s0
	s_cbranch_execz .LBB113_264
; %bb.261:
	v_subrev_nc_u32_e32 v106, 24, v0
	s_movk_i32 s31, 0x250
	s_mov_b32 s0, 0
.LBB113_262:                            ; =>This Inner Loop Header: Depth=1
	scratch_load_b64 v[108:109], off, s28
	v_dual_mov_b32 v107, s31 :: v_dual_add_nc_u32 v106, -1, v106
	s_add_co_i32 s31, s31, 8
	s_wait_xcnt 0x0
	s_add_co_i32 s28, s28, 8
	ds_load_b64 v[110:111], v107
	v_cmp_eq_u32_e32 vcc_lo, 0, v106
	s_or_b32 s0, vcc_lo, s0
	s_wait_loadcnt_dscnt 0x0
	v_pk_mul_f32 v[112:113], v[110:111], v[108:109] op_sel:[1,1] op_sel_hi:[0,1]
	s_delay_alu instid0(VALU_DEP_1) | instskip(SKIP_1) | instid1(VALU_DEP_2)
	v_pk_fma_f32 v[114:115], v[110:111], v[108:109], v[112:113] op_sel_hi:[1,0,1]
	v_pk_fma_f32 v[108:109], v[110:111], v[108:109], v[112:113] neg_lo:[0,0,1] neg_hi:[0,0,1]
	v_mov_b32_e32 v109, v115
	s_delay_alu instid0(VALU_DEP_1)
	v_pk_add_f32 v[104:105], v[104:105], v[108:109]
	s_and_not1_b32 exec_lo, exec_lo, s0
	s_cbranch_execnz .LBB113_262
; %bb.263:
	s_or_b32 exec_lo, exec_lo, s0
.LBB113_264:
	s_delay_alu instid0(SALU_CYCLE_1) | instskip(SKIP_4) | instid1(VALU_DEP_1)
	s_or_b32 exec_lo, exec_lo, s30
	v_mov_b32_e32 v106, 0
	ds_load_b64 v[106:107], v106 offset:184
	s_wait_dscnt 0x0
	v_pk_mul_f32 v[108:109], v[104:105], v[106:107] op_sel:[1,1] op_sel_hi:[0,1]
	v_pk_fma_f32 v[110:111], v[104:105], v[106:107], v[108:109] op_sel_hi:[1,0,1]
	v_pk_fma_f32 v[104:105], v[104:105], v[106:107], v[108:109] neg_lo:[0,0,1] neg_hi:[0,0,1]
	s_delay_alu instid0(VALU_DEP_2)
	v_mov_b32_e32 v105, v111
	scratch_store_b64 off, v[104:105], off offset:184
.LBB113_265:
	s_wait_xcnt 0x0
	s_or_b32 exec_lo, exec_lo, s29
	scratch_load_b64 v[104:105], off, off offset:176
	v_cmp_lt_u32_e64 s0, 22, v0
	s_wait_loadcnt 0x0
	ds_store_b64 v1, v[104:105]
	s_wait_storecnt_dscnt 0x0
	s_barrier_signal -1
	s_barrier_wait -1
	s_wait_xcnt 0x0
	s_and_saveexec_b32 s28, s0
	s_cbranch_execz .LBB113_275
; %bb.266:
	s_and_not1_b32 vcc_lo, exec_lo, s3
	s_cbranch_vccnz .LBB113_268
; %bb.267:
	scratch_load_b64 v[104:105], v59, off
	ds_load_b64 v[106:107], v1
	s_wait_loadcnt_dscnt 0x0
	v_pk_mul_f32 v[108:109], v[106:107], v[104:105] op_sel:[1,1] op_sel_hi:[0,1]
	s_delay_alu instid0(VALU_DEP_1) | instskip(SKIP_1) | instid1(VALU_DEP_2)
	v_pk_fma_f32 v[110:111], v[106:107], v[104:105], v[108:109] op_sel_hi:[1,0,1]
	v_pk_fma_f32 v[104:105], v[106:107], v[104:105], v[108:109] neg_lo:[0,0,1] neg_hi:[0,0,1]
	v_mov_b32_e32 v105, v111
	s_cbranch_execz .LBB113_269
	s_branch .LBB113_270
.LBB113_268:
                                        ; implicit-def: $vgpr104_vgpr105
.LBB113_269:
	ds_load_b64 v[104:105], v1
.LBB113_270:
	s_and_saveexec_b32 s29, s1
	s_cbranch_execz .LBB113_274
; %bb.271:
	v_subrev_nc_u32_e32 v106, 23, v0
	s_movk_i32 s30, 0x248
	s_mov_b32 s1, 0
.LBB113_272:                            ; =>This Inner Loop Header: Depth=1
	scratch_load_b64 v[108:109], off, s27
	v_dual_mov_b32 v107, s30 :: v_dual_add_nc_u32 v106, -1, v106
	s_add_co_i32 s30, s30, 8
	s_wait_xcnt 0x0
	s_add_co_i32 s27, s27, 8
	ds_load_b64 v[110:111], v107
	v_cmp_eq_u32_e32 vcc_lo, 0, v106
	s_or_b32 s1, vcc_lo, s1
	s_wait_loadcnt_dscnt 0x0
	v_pk_mul_f32 v[112:113], v[110:111], v[108:109] op_sel:[1,1] op_sel_hi:[0,1]
	s_delay_alu instid0(VALU_DEP_1) | instskip(SKIP_1) | instid1(VALU_DEP_2)
	v_pk_fma_f32 v[114:115], v[110:111], v[108:109], v[112:113] op_sel_hi:[1,0,1]
	v_pk_fma_f32 v[108:109], v[110:111], v[108:109], v[112:113] neg_lo:[0,0,1] neg_hi:[0,0,1]
	v_mov_b32_e32 v109, v115
	s_delay_alu instid0(VALU_DEP_1)
	v_pk_add_f32 v[104:105], v[104:105], v[108:109]
	s_and_not1_b32 exec_lo, exec_lo, s1
	s_cbranch_execnz .LBB113_272
; %bb.273:
	s_or_b32 exec_lo, exec_lo, s1
.LBB113_274:
	s_delay_alu instid0(SALU_CYCLE_1) | instskip(SKIP_4) | instid1(VALU_DEP_1)
	s_or_b32 exec_lo, exec_lo, s29
	v_mov_b32_e32 v106, 0
	ds_load_b64 v[106:107], v106 offset:176
	s_wait_dscnt 0x0
	v_pk_mul_f32 v[108:109], v[104:105], v[106:107] op_sel:[1,1] op_sel_hi:[0,1]
	v_pk_fma_f32 v[110:111], v[104:105], v[106:107], v[108:109] op_sel_hi:[1,0,1]
	v_pk_fma_f32 v[104:105], v[104:105], v[106:107], v[108:109] neg_lo:[0,0,1] neg_hi:[0,0,1]
	s_delay_alu instid0(VALU_DEP_2)
	v_mov_b32_e32 v105, v111
	scratch_store_b64 off, v[104:105], off offset:176
.LBB113_275:
	s_wait_xcnt 0x0
	s_or_b32 exec_lo, exec_lo, s28
	scratch_load_b64 v[104:105], off, off offset:168
	v_cmp_lt_u32_e64 s1, 21, v0
	s_wait_loadcnt 0x0
	ds_store_b64 v1, v[104:105]
	s_wait_storecnt_dscnt 0x0
	s_barrier_signal -1
	s_barrier_wait -1
	s_wait_xcnt 0x0
	s_and_saveexec_b32 s27, s1
	s_cbranch_execz .LBB113_285
; %bb.276:
	s_and_not1_b32 vcc_lo, exec_lo, s3
	s_cbranch_vccnz .LBB113_278
; %bb.277:
	scratch_load_b64 v[104:105], v59, off
	ds_load_b64 v[106:107], v1
	s_wait_loadcnt_dscnt 0x0
	v_pk_mul_f32 v[108:109], v[106:107], v[104:105] op_sel:[1,1] op_sel_hi:[0,1]
	s_delay_alu instid0(VALU_DEP_1) | instskip(SKIP_1) | instid1(VALU_DEP_2)
	v_pk_fma_f32 v[110:111], v[106:107], v[104:105], v[108:109] op_sel_hi:[1,0,1]
	v_pk_fma_f32 v[104:105], v[106:107], v[104:105], v[108:109] neg_lo:[0,0,1] neg_hi:[0,0,1]
	v_mov_b32_e32 v105, v111
	s_cbranch_execz .LBB113_279
	s_branch .LBB113_280
.LBB113_278:
                                        ; implicit-def: $vgpr104_vgpr105
.LBB113_279:
	ds_load_b64 v[104:105], v1
.LBB113_280:
	s_and_saveexec_b32 s28, s0
	s_cbranch_execz .LBB113_284
; %bb.281:
	v_subrev_nc_u32_e32 v106, 22, v0
	s_movk_i32 s29, 0x240
	s_mov_b32 s0, 0
.LBB113_282:                            ; =>This Inner Loop Header: Depth=1
	scratch_load_b64 v[108:109], off, s26
	v_dual_mov_b32 v107, s29 :: v_dual_add_nc_u32 v106, -1, v106
	s_add_co_i32 s29, s29, 8
	s_wait_xcnt 0x0
	s_add_co_i32 s26, s26, 8
	ds_load_b64 v[110:111], v107
	v_cmp_eq_u32_e32 vcc_lo, 0, v106
	s_or_b32 s0, vcc_lo, s0
	s_wait_loadcnt_dscnt 0x0
	v_pk_mul_f32 v[112:113], v[110:111], v[108:109] op_sel:[1,1] op_sel_hi:[0,1]
	s_delay_alu instid0(VALU_DEP_1) | instskip(SKIP_1) | instid1(VALU_DEP_2)
	v_pk_fma_f32 v[114:115], v[110:111], v[108:109], v[112:113] op_sel_hi:[1,0,1]
	v_pk_fma_f32 v[108:109], v[110:111], v[108:109], v[112:113] neg_lo:[0,0,1] neg_hi:[0,0,1]
	v_mov_b32_e32 v109, v115
	s_delay_alu instid0(VALU_DEP_1)
	v_pk_add_f32 v[104:105], v[104:105], v[108:109]
	s_and_not1_b32 exec_lo, exec_lo, s0
	s_cbranch_execnz .LBB113_282
; %bb.283:
	s_or_b32 exec_lo, exec_lo, s0
.LBB113_284:
	s_delay_alu instid0(SALU_CYCLE_1) | instskip(SKIP_4) | instid1(VALU_DEP_1)
	s_or_b32 exec_lo, exec_lo, s28
	v_mov_b32_e32 v106, 0
	ds_load_b64 v[106:107], v106 offset:168
	s_wait_dscnt 0x0
	v_pk_mul_f32 v[108:109], v[104:105], v[106:107] op_sel:[1,1] op_sel_hi:[0,1]
	v_pk_fma_f32 v[110:111], v[104:105], v[106:107], v[108:109] op_sel_hi:[1,0,1]
	v_pk_fma_f32 v[104:105], v[104:105], v[106:107], v[108:109] neg_lo:[0,0,1] neg_hi:[0,0,1]
	s_delay_alu instid0(VALU_DEP_2)
	v_mov_b32_e32 v105, v111
	scratch_store_b64 off, v[104:105], off offset:168
.LBB113_285:
	s_wait_xcnt 0x0
	s_or_b32 exec_lo, exec_lo, s27
	scratch_load_b64 v[104:105], off, off offset:160
	v_cmp_lt_u32_e64 s0, 20, v0
	s_wait_loadcnt 0x0
	ds_store_b64 v1, v[104:105]
	s_wait_storecnt_dscnt 0x0
	s_barrier_signal -1
	s_barrier_wait -1
	s_wait_xcnt 0x0
	s_and_saveexec_b32 s26, s0
	s_cbranch_execz .LBB113_295
; %bb.286:
	s_and_not1_b32 vcc_lo, exec_lo, s3
	s_cbranch_vccnz .LBB113_288
; %bb.287:
	scratch_load_b64 v[104:105], v59, off
	ds_load_b64 v[106:107], v1
	s_wait_loadcnt_dscnt 0x0
	v_pk_mul_f32 v[108:109], v[106:107], v[104:105] op_sel:[1,1] op_sel_hi:[0,1]
	s_delay_alu instid0(VALU_DEP_1) | instskip(SKIP_1) | instid1(VALU_DEP_2)
	v_pk_fma_f32 v[110:111], v[106:107], v[104:105], v[108:109] op_sel_hi:[1,0,1]
	v_pk_fma_f32 v[104:105], v[106:107], v[104:105], v[108:109] neg_lo:[0,0,1] neg_hi:[0,0,1]
	v_mov_b32_e32 v105, v111
	s_cbranch_execz .LBB113_289
	s_branch .LBB113_290
.LBB113_288:
                                        ; implicit-def: $vgpr104_vgpr105
.LBB113_289:
	ds_load_b64 v[104:105], v1
.LBB113_290:
	s_and_saveexec_b32 s27, s1
	s_cbranch_execz .LBB113_294
; %bb.291:
	v_subrev_nc_u32_e32 v106, 21, v0
	s_movk_i32 s28, 0x238
	s_mov_b32 s1, 0
.LBB113_292:                            ; =>This Inner Loop Header: Depth=1
	scratch_load_b64 v[108:109], off, s25
	v_dual_mov_b32 v107, s28 :: v_dual_add_nc_u32 v106, -1, v106
	s_add_co_i32 s28, s28, 8
	s_wait_xcnt 0x0
	s_add_co_i32 s25, s25, 8
	ds_load_b64 v[110:111], v107
	v_cmp_eq_u32_e32 vcc_lo, 0, v106
	s_or_b32 s1, vcc_lo, s1
	s_wait_loadcnt_dscnt 0x0
	v_pk_mul_f32 v[112:113], v[110:111], v[108:109] op_sel:[1,1] op_sel_hi:[0,1]
	s_delay_alu instid0(VALU_DEP_1) | instskip(SKIP_1) | instid1(VALU_DEP_2)
	v_pk_fma_f32 v[114:115], v[110:111], v[108:109], v[112:113] op_sel_hi:[1,0,1]
	v_pk_fma_f32 v[108:109], v[110:111], v[108:109], v[112:113] neg_lo:[0,0,1] neg_hi:[0,0,1]
	v_mov_b32_e32 v109, v115
	s_delay_alu instid0(VALU_DEP_1)
	v_pk_add_f32 v[104:105], v[104:105], v[108:109]
	s_and_not1_b32 exec_lo, exec_lo, s1
	s_cbranch_execnz .LBB113_292
; %bb.293:
	s_or_b32 exec_lo, exec_lo, s1
.LBB113_294:
	s_delay_alu instid0(SALU_CYCLE_1) | instskip(SKIP_4) | instid1(VALU_DEP_1)
	s_or_b32 exec_lo, exec_lo, s27
	v_mov_b32_e32 v106, 0
	ds_load_b64 v[106:107], v106 offset:160
	s_wait_dscnt 0x0
	v_pk_mul_f32 v[108:109], v[104:105], v[106:107] op_sel:[1,1] op_sel_hi:[0,1]
	v_pk_fma_f32 v[110:111], v[104:105], v[106:107], v[108:109] op_sel_hi:[1,0,1]
	v_pk_fma_f32 v[104:105], v[104:105], v[106:107], v[108:109] neg_lo:[0,0,1] neg_hi:[0,0,1]
	s_delay_alu instid0(VALU_DEP_2)
	v_mov_b32_e32 v105, v111
	scratch_store_b64 off, v[104:105], off offset:160
.LBB113_295:
	s_wait_xcnt 0x0
	s_or_b32 exec_lo, exec_lo, s26
	scratch_load_b64 v[104:105], off, off offset:152
	v_cmp_lt_u32_e64 s1, 19, v0
	s_wait_loadcnt 0x0
	ds_store_b64 v1, v[104:105]
	s_wait_storecnt_dscnt 0x0
	s_barrier_signal -1
	s_barrier_wait -1
	s_wait_xcnt 0x0
	s_and_saveexec_b32 s25, s1
	s_cbranch_execz .LBB113_305
; %bb.296:
	s_and_not1_b32 vcc_lo, exec_lo, s3
	s_cbranch_vccnz .LBB113_298
; %bb.297:
	scratch_load_b64 v[104:105], v59, off
	ds_load_b64 v[106:107], v1
	s_wait_loadcnt_dscnt 0x0
	v_pk_mul_f32 v[108:109], v[106:107], v[104:105] op_sel:[1,1] op_sel_hi:[0,1]
	s_delay_alu instid0(VALU_DEP_1) | instskip(SKIP_1) | instid1(VALU_DEP_2)
	v_pk_fma_f32 v[110:111], v[106:107], v[104:105], v[108:109] op_sel_hi:[1,0,1]
	v_pk_fma_f32 v[104:105], v[106:107], v[104:105], v[108:109] neg_lo:[0,0,1] neg_hi:[0,0,1]
	v_mov_b32_e32 v105, v111
	s_cbranch_execz .LBB113_299
	s_branch .LBB113_300
.LBB113_298:
                                        ; implicit-def: $vgpr104_vgpr105
.LBB113_299:
	ds_load_b64 v[104:105], v1
.LBB113_300:
	s_and_saveexec_b32 s26, s0
	s_cbranch_execz .LBB113_304
; %bb.301:
	v_subrev_nc_u32_e32 v106, 20, v0
	s_movk_i32 s27, 0x230
	s_mov_b32 s0, 0
.LBB113_302:                            ; =>This Inner Loop Header: Depth=1
	scratch_load_b64 v[108:109], off, s24
	v_dual_mov_b32 v107, s27 :: v_dual_add_nc_u32 v106, -1, v106
	s_add_co_i32 s27, s27, 8
	s_wait_xcnt 0x0
	s_add_co_i32 s24, s24, 8
	ds_load_b64 v[110:111], v107
	v_cmp_eq_u32_e32 vcc_lo, 0, v106
	s_or_b32 s0, vcc_lo, s0
	s_wait_loadcnt_dscnt 0x0
	v_pk_mul_f32 v[112:113], v[110:111], v[108:109] op_sel:[1,1] op_sel_hi:[0,1]
	s_delay_alu instid0(VALU_DEP_1) | instskip(SKIP_1) | instid1(VALU_DEP_2)
	v_pk_fma_f32 v[114:115], v[110:111], v[108:109], v[112:113] op_sel_hi:[1,0,1]
	v_pk_fma_f32 v[108:109], v[110:111], v[108:109], v[112:113] neg_lo:[0,0,1] neg_hi:[0,0,1]
	v_mov_b32_e32 v109, v115
	s_delay_alu instid0(VALU_DEP_1)
	v_pk_add_f32 v[104:105], v[104:105], v[108:109]
	s_and_not1_b32 exec_lo, exec_lo, s0
	s_cbranch_execnz .LBB113_302
; %bb.303:
	s_or_b32 exec_lo, exec_lo, s0
.LBB113_304:
	s_delay_alu instid0(SALU_CYCLE_1) | instskip(SKIP_4) | instid1(VALU_DEP_1)
	s_or_b32 exec_lo, exec_lo, s26
	v_mov_b32_e32 v106, 0
	ds_load_b64 v[106:107], v106 offset:152
	s_wait_dscnt 0x0
	v_pk_mul_f32 v[108:109], v[104:105], v[106:107] op_sel:[1,1] op_sel_hi:[0,1]
	v_pk_fma_f32 v[110:111], v[104:105], v[106:107], v[108:109] op_sel_hi:[1,0,1]
	v_pk_fma_f32 v[104:105], v[104:105], v[106:107], v[108:109] neg_lo:[0,0,1] neg_hi:[0,0,1]
	s_delay_alu instid0(VALU_DEP_2)
	v_mov_b32_e32 v105, v111
	scratch_store_b64 off, v[104:105], off offset:152
.LBB113_305:
	s_wait_xcnt 0x0
	s_or_b32 exec_lo, exec_lo, s25
	scratch_load_b64 v[104:105], off, off offset:144
	v_cmp_lt_u32_e64 s0, 18, v0
	s_wait_loadcnt 0x0
	ds_store_b64 v1, v[104:105]
	s_wait_storecnt_dscnt 0x0
	s_barrier_signal -1
	s_barrier_wait -1
	s_wait_xcnt 0x0
	s_and_saveexec_b32 s24, s0
	s_cbranch_execz .LBB113_315
; %bb.306:
	s_and_not1_b32 vcc_lo, exec_lo, s3
	s_cbranch_vccnz .LBB113_308
; %bb.307:
	scratch_load_b64 v[104:105], v59, off
	ds_load_b64 v[106:107], v1
	s_wait_loadcnt_dscnt 0x0
	v_pk_mul_f32 v[108:109], v[106:107], v[104:105] op_sel:[1,1] op_sel_hi:[0,1]
	s_delay_alu instid0(VALU_DEP_1) | instskip(SKIP_1) | instid1(VALU_DEP_2)
	v_pk_fma_f32 v[110:111], v[106:107], v[104:105], v[108:109] op_sel_hi:[1,0,1]
	v_pk_fma_f32 v[104:105], v[106:107], v[104:105], v[108:109] neg_lo:[0,0,1] neg_hi:[0,0,1]
	v_mov_b32_e32 v105, v111
	s_cbranch_execz .LBB113_309
	s_branch .LBB113_310
.LBB113_308:
                                        ; implicit-def: $vgpr104_vgpr105
.LBB113_309:
	ds_load_b64 v[104:105], v1
.LBB113_310:
	s_and_saveexec_b32 s25, s1
	s_cbranch_execz .LBB113_314
; %bb.311:
	v_subrev_nc_u32_e32 v106, 19, v0
	s_movk_i32 s26, 0x228
	s_mov_b32 s1, 0
.LBB113_312:                            ; =>This Inner Loop Header: Depth=1
	scratch_load_b64 v[108:109], off, s23
	v_dual_mov_b32 v107, s26 :: v_dual_add_nc_u32 v106, -1, v106
	s_add_co_i32 s26, s26, 8
	s_wait_xcnt 0x0
	s_add_co_i32 s23, s23, 8
	ds_load_b64 v[110:111], v107
	v_cmp_eq_u32_e32 vcc_lo, 0, v106
	s_or_b32 s1, vcc_lo, s1
	s_wait_loadcnt_dscnt 0x0
	v_pk_mul_f32 v[112:113], v[110:111], v[108:109] op_sel:[1,1] op_sel_hi:[0,1]
	s_delay_alu instid0(VALU_DEP_1) | instskip(SKIP_1) | instid1(VALU_DEP_2)
	v_pk_fma_f32 v[114:115], v[110:111], v[108:109], v[112:113] op_sel_hi:[1,0,1]
	v_pk_fma_f32 v[108:109], v[110:111], v[108:109], v[112:113] neg_lo:[0,0,1] neg_hi:[0,0,1]
	v_mov_b32_e32 v109, v115
	s_delay_alu instid0(VALU_DEP_1)
	v_pk_add_f32 v[104:105], v[104:105], v[108:109]
	s_and_not1_b32 exec_lo, exec_lo, s1
	s_cbranch_execnz .LBB113_312
; %bb.313:
	s_or_b32 exec_lo, exec_lo, s1
.LBB113_314:
	s_delay_alu instid0(SALU_CYCLE_1) | instskip(SKIP_4) | instid1(VALU_DEP_1)
	s_or_b32 exec_lo, exec_lo, s25
	v_mov_b32_e32 v106, 0
	ds_load_b64 v[106:107], v106 offset:144
	s_wait_dscnt 0x0
	v_pk_mul_f32 v[108:109], v[104:105], v[106:107] op_sel:[1,1] op_sel_hi:[0,1]
	v_pk_fma_f32 v[110:111], v[104:105], v[106:107], v[108:109] op_sel_hi:[1,0,1]
	v_pk_fma_f32 v[104:105], v[104:105], v[106:107], v[108:109] neg_lo:[0,0,1] neg_hi:[0,0,1]
	s_delay_alu instid0(VALU_DEP_2)
	v_mov_b32_e32 v105, v111
	scratch_store_b64 off, v[104:105], off offset:144
.LBB113_315:
	s_wait_xcnt 0x0
	s_or_b32 exec_lo, exec_lo, s24
	scratch_load_b64 v[104:105], off, off offset:136
	v_cmp_lt_u32_e64 s1, 17, v0
	s_wait_loadcnt 0x0
	ds_store_b64 v1, v[104:105]
	s_wait_storecnt_dscnt 0x0
	s_barrier_signal -1
	s_barrier_wait -1
	s_wait_xcnt 0x0
	s_and_saveexec_b32 s23, s1
	s_cbranch_execz .LBB113_325
; %bb.316:
	s_and_not1_b32 vcc_lo, exec_lo, s3
	s_cbranch_vccnz .LBB113_318
; %bb.317:
	scratch_load_b64 v[104:105], v59, off
	ds_load_b64 v[106:107], v1
	s_wait_loadcnt_dscnt 0x0
	v_pk_mul_f32 v[108:109], v[106:107], v[104:105] op_sel:[1,1] op_sel_hi:[0,1]
	s_delay_alu instid0(VALU_DEP_1) | instskip(SKIP_1) | instid1(VALU_DEP_2)
	v_pk_fma_f32 v[110:111], v[106:107], v[104:105], v[108:109] op_sel_hi:[1,0,1]
	v_pk_fma_f32 v[104:105], v[106:107], v[104:105], v[108:109] neg_lo:[0,0,1] neg_hi:[0,0,1]
	v_mov_b32_e32 v105, v111
	s_cbranch_execz .LBB113_319
	s_branch .LBB113_320
.LBB113_318:
                                        ; implicit-def: $vgpr104_vgpr105
.LBB113_319:
	ds_load_b64 v[104:105], v1
.LBB113_320:
	s_and_saveexec_b32 s24, s0
	s_cbranch_execz .LBB113_324
; %bb.321:
	v_subrev_nc_u32_e32 v106, 18, v0
	s_movk_i32 s25, 0x220
	s_mov_b32 s0, 0
.LBB113_322:                            ; =>This Inner Loop Header: Depth=1
	scratch_load_b64 v[108:109], off, s22
	v_dual_mov_b32 v107, s25 :: v_dual_add_nc_u32 v106, -1, v106
	s_add_co_i32 s25, s25, 8
	s_wait_xcnt 0x0
	s_add_co_i32 s22, s22, 8
	ds_load_b64 v[110:111], v107
	v_cmp_eq_u32_e32 vcc_lo, 0, v106
	s_or_b32 s0, vcc_lo, s0
	s_wait_loadcnt_dscnt 0x0
	v_pk_mul_f32 v[112:113], v[110:111], v[108:109] op_sel:[1,1] op_sel_hi:[0,1]
	s_delay_alu instid0(VALU_DEP_1) | instskip(SKIP_1) | instid1(VALU_DEP_2)
	v_pk_fma_f32 v[114:115], v[110:111], v[108:109], v[112:113] op_sel_hi:[1,0,1]
	v_pk_fma_f32 v[108:109], v[110:111], v[108:109], v[112:113] neg_lo:[0,0,1] neg_hi:[0,0,1]
	v_mov_b32_e32 v109, v115
	s_delay_alu instid0(VALU_DEP_1)
	v_pk_add_f32 v[104:105], v[104:105], v[108:109]
	s_and_not1_b32 exec_lo, exec_lo, s0
	s_cbranch_execnz .LBB113_322
; %bb.323:
	s_or_b32 exec_lo, exec_lo, s0
.LBB113_324:
	s_delay_alu instid0(SALU_CYCLE_1) | instskip(SKIP_4) | instid1(VALU_DEP_1)
	s_or_b32 exec_lo, exec_lo, s24
	v_mov_b32_e32 v106, 0
	ds_load_b64 v[106:107], v106 offset:136
	s_wait_dscnt 0x0
	v_pk_mul_f32 v[108:109], v[104:105], v[106:107] op_sel:[1,1] op_sel_hi:[0,1]
	v_pk_fma_f32 v[110:111], v[104:105], v[106:107], v[108:109] op_sel_hi:[1,0,1]
	v_pk_fma_f32 v[104:105], v[104:105], v[106:107], v[108:109] neg_lo:[0,0,1] neg_hi:[0,0,1]
	s_delay_alu instid0(VALU_DEP_2)
	v_mov_b32_e32 v105, v111
	scratch_store_b64 off, v[104:105], off offset:136
.LBB113_325:
	s_wait_xcnt 0x0
	s_or_b32 exec_lo, exec_lo, s23
	scratch_load_b64 v[104:105], off, off offset:128
	v_cmp_lt_u32_e64 s0, 16, v0
	s_wait_loadcnt 0x0
	ds_store_b64 v1, v[104:105]
	s_wait_storecnt_dscnt 0x0
	s_barrier_signal -1
	s_barrier_wait -1
	s_wait_xcnt 0x0
	s_and_saveexec_b32 s22, s0
	s_cbranch_execz .LBB113_335
; %bb.326:
	s_and_not1_b32 vcc_lo, exec_lo, s3
	s_cbranch_vccnz .LBB113_328
; %bb.327:
	scratch_load_b64 v[104:105], v59, off
	ds_load_b64 v[106:107], v1
	s_wait_loadcnt_dscnt 0x0
	v_pk_mul_f32 v[108:109], v[106:107], v[104:105] op_sel:[1,1] op_sel_hi:[0,1]
	s_delay_alu instid0(VALU_DEP_1) | instskip(SKIP_1) | instid1(VALU_DEP_2)
	v_pk_fma_f32 v[110:111], v[106:107], v[104:105], v[108:109] op_sel_hi:[1,0,1]
	v_pk_fma_f32 v[104:105], v[106:107], v[104:105], v[108:109] neg_lo:[0,0,1] neg_hi:[0,0,1]
	v_mov_b32_e32 v105, v111
	s_cbranch_execz .LBB113_329
	s_branch .LBB113_330
.LBB113_328:
                                        ; implicit-def: $vgpr104_vgpr105
.LBB113_329:
	ds_load_b64 v[104:105], v1
.LBB113_330:
	s_and_saveexec_b32 s23, s1
	s_cbranch_execz .LBB113_334
; %bb.331:
	v_subrev_nc_u32_e32 v106, 17, v0
	s_movk_i32 s24, 0x218
	s_mov_b32 s1, 0
.LBB113_332:                            ; =>This Inner Loop Header: Depth=1
	scratch_load_b64 v[108:109], off, s21
	v_dual_mov_b32 v107, s24 :: v_dual_add_nc_u32 v106, -1, v106
	s_add_co_i32 s24, s24, 8
	s_wait_xcnt 0x0
	s_add_co_i32 s21, s21, 8
	ds_load_b64 v[110:111], v107
	v_cmp_eq_u32_e32 vcc_lo, 0, v106
	s_or_b32 s1, vcc_lo, s1
	s_wait_loadcnt_dscnt 0x0
	v_pk_mul_f32 v[112:113], v[110:111], v[108:109] op_sel:[1,1] op_sel_hi:[0,1]
	s_delay_alu instid0(VALU_DEP_1) | instskip(SKIP_1) | instid1(VALU_DEP_2)
	v_pk_fma_f32 v[114:115], v[110:111], v[108:109], v[112:113] op_sel_hi:[1,0,1]
	v_pk_fma_f32 v[108:109], v[110:111], v[108:109], v[112:113] neg_lo:[0,0,1] neg_hi:[0,0,1]
	v_mov_b32_e32 v109, v115
	s_delay_alu instid0(VALU_DEP_1)
	v_pk_add_f32 v[104:105], v[104:105], v[108:109]
	s_and_not1_b32 exec_lo, exec_lo, s1
	s_cbranch_execnz .LBB113_332
; %bb.333:
	s_or_b32 exec_lo, exec_lo, s1
.LBB113_334:
	s_delay_alu instid0(SALU_CYCLE_1) | instskip(SKIP_4) | instid1(VALU_DEP_1)
	s_or_b32 exec_lo, exec_lo, s23
	v_mov_b32_e32 v106, 0
	ds_load_b64 v[106:107], v106 offset:128
	s_wait_dscnt 0x0
	v_pk_mul_f32 v[108:109], v[104:105], v[106:107] op_sel:[1,1] op_sel_hi:[0,1]
	v_pk_fma_f32 v[110:111], v[104:105], v[106:107], v[108:109] op_sel_hi:[1,0,1]
	v_pk_fma_f32 v[104:105], v[104:105], v[106:107], v[108:109] neg_lo:[0,0,1] neg_hi:[0,0,1]
	s_delay_alu instid0(VALU_DEP_2)
	v_mov_b32_e32 v105, v111
	scratch_store_b64 off, v[104:105], off offset:128
.LBB113_335:
	s_wait_xcnt 0x0
	s_or_b32 exec_lo, exec_lo, s22
	scratch_load_b64 v[104:105], off, off offset:120
	v_cmp_lt_u32_e64 s1, 15, v0
	s_wait_loadcnt 0x0
	ds_store_b64 v1, v[104:105]
	s_wait_storecnt_dscnt 0x0
	s_barrier_signal -1
	s_barrier_wait -1
	s_wait_xcnt 0x0
	s_and_saveexec_b32 s21, s1
	s_cbranch_execz .LBB113_345
; %bb.336:
	s_and_not1_b32 vcc_lo, exec_lo, s3
	s_cbranch_vccnz .LBB113_338
; %bb.337:
	scratch_load_b64 v[104:105], v59, off
	ds_load_b64 v[106:107], v1
	s_wait_loadcnt_dscnt 0x0
	v_pk_mul_f32 v[108:109], v[106:107], v[104:105] op_sel:[1,1] op_sel_hi:[0,1]
	s_delay_alu instid0(VALU_DEP_1) | instskip(SKIP_1) | instid1(VALU_DEP_2)
	v_pk_fma_f32 v[110:111], v[106:107], v[104:105], v[108:109] op_sel_hi:[1,0,1]
	v_pk_fma_f32 v[104:105], v[106:107], v[104:105], v[108:109] neg_lo:[0,0,1] neg_hi:[0,0,1]
	v_mov_b32_e32 v105, v111
	s_cbranch_execz .LBB113_339
	s_branch .LBB113_340
.LBB113_338:
                                        ; implicit-def: $vgpr104_vgpr105
.LBB113_339:
	ds_load_b64 v[104:105], v1
.LBB113_340:
	s_and_saveexec_b32 s22, s0
	s_cbranch_execz .LBB113_344
; %bb.341:
	v_add_nc_u32_e32 v106, -16, v0
	s_movk_i32 s23, 0x210
	s_mov_b32 s0, 0
.LBB113_342:                            ; =>This Inner Loop Header: Depth=1
	scratch_load_b64 v[108:109], off, s20
	v_dual_mov_b32 v107, s23 :: v_dual_add_nc_u32 v106, -1, v106
	s_add_co_i32 s23, s23, 8
	s_wait_xcnt 0x0
	s_add_co_i32 s20, s20, 8
	ds_load_b64 v[110:111], v107
	v_cmp_eq_u32_e32 vcc_lo, 0, v106
	s_or_b32 s0, vcc_lo, s0
	s_wait_loadcnt_dscnt 0x0
	v_pk_mul_f32 v[112:113], v[110:111], v[108:109] op_sel:[1,1] op_sel_hi:[0,1]
	s_delay_alu instid0(VALU_DEP_1) | instskip(SKIP_1) | instid1(VALU_DEP_2)
	v_pk_fma_f32 v[114:115], v[110:111], v[108:109], v[112:113] op_sel_hi:[1,0,1]
	v_pk_fma_f32 v[108:109], v[110:111], v[108:109], v[112:113] neg_lo:[0,0,1] neg_hi:[0,0,1]
	v_mov_b32_e32 v109, v115
	s_delay_alu instid0(VALU_DEP_1)
	v_pk_add_f32 v[104:105], v[104:105], v[108:109]
	s_and_not1_b32 exec_lo, exec_lo, s0
	s_cbranch_execnz .LBB113_342
; %bb.343:
	s_or_b32 exec_lo, exec_lo, s0
.LBB113_344:
	s_delay_alu instid0(SALU_CYCLE_1) | instskip(SKIP_4) | instid1(VALU_DEP_1)
	s_or_b32 exec_lo, exec_lo, s22
	v_mov_b32_e32 v106, 0
	ds_load_b64 v[106:107], v106 offset:120
	s_wait_dscnt 0x0
	v_pk_mul_f32 v[108:109], v[104:105], v[106:107] op_sel:[1,1] op_sel_hi:[0,1]
	v_pk_fma_f32 v[110:111], v[104:105], v[106:107], v[108:109] op_sel_hi:[1,0,1]
	v_pk_fma_f32 v[104:105], v[104:105], v[106:107], v[108:109] neg_lo:[0,0,1] neg_hi:[0,0,1]
	s_delay_alu instid0(VALU_DEP_2)
	v_mov_b32_e32 v105, v111
	scratch_store_b64 off, v[104:105], off offset:120
.LBB113_345:
	s_wait_xcnt 0x0
	s_or_b32 exec_lo, exec_lo, s21
	scratch_load_b64 v[104:105], off, off offset:112
	v_cmp_lt_u32_e64 s0, 14, v0
	s_wait_loadcnt 0x0
	ds_store_b64 v1, v[104:105]
	s_wait_storecnt_dscnt 0x0
	s_barrier_signal -1
	s_barrier_wait -1
	s_wait_xcnt 0x0
	s_and_saveexec_b32 s20, s0
	s_cbranch_execz .LBB113_355
; %bb.346:
	s_and_not1_b32 vcc_lo, exec_lo, s3
	s_cbranch_vccnz .LBB113_348
; %bb.347:
	scratch_load_b64 v[104:105], v59, off
	ds_load_b64 v[106:107], v1
	s_wait_loadcnt_dscnt 0x0
	v_pk_mul_f32 v[108:109], v[106:107], v[104:105] op_sel:[1,1] op_sel_hi:[0,1]
	s_delay_alu instid0(VALU_DEP_1) | instskip(SKIP_1) | instid1(VALU_DEP_2)
	v_pk_fma_f32 v[110:111], v[106:107], v[104:105], v[108:109] op_sel_hi:[1,0,1]
	v_pk_fma_f32 v[104:105], v[106:107], v[104:105], v[108:109] neg_lo:[0,0,1] neg_hi:[0,0,1]
	v_mov_b32_e32 v105, v111
	s_cbranch_execz .LBB113_349
	s_branch .LBB113_350
.LBB113_348:
                                        ; implicit-def: $vgpr104_vgpr105
.LBB113_349:
	ds_load_b64 v[104:105], v1
.LBB113_350:
	s_and_saveexec_b32 s21, s1
	s_cbranch_execz .LBB113_354
; %bb.351:
	v_add_nc_u32_e32 v106, -15, v0
	s_movk_i32 s22, 0x208
	s_mov_b32 s1, 0
.LBB113_352:                            ; =>This Inner Loop Header: Depth=1
	scratch_load_b64 v[108:109], off, s19
	v_dual_mov_b32 v107, s22 :: v_dual_add_nc_u32 v106, -1, v106
	s_add_co_i32 s22, s22, 8
	s_wait_xcnt 0x0
	s_add_co_i32 s19, s19, 8
	ds_load_b64 v[110:111], v107
	v_cmp_eq_u32_e32 vcc_lo, 0, v106
	s_or_b32 s1, vcc_lo, s1
	s_wait_loadcnt_dscnt 0x0
	v_pk_mul_f32 v[112:113], v[110:111], v[108:109] op_sel:[1,1] op_sel_hi:[0,1]
	s_delay_alu instid0(VALU_DEP_1) | instskip(SKIP_1) | instid1(VALU_DEP_2)
	v_pk_fma_f32 v[114:115], v[110:111], v[108:109], v[112:113] op_sel_hi:[1,0,1]
	v_pk_fma_f32 v[108:109], v[110:111], v[108:109], v[112:113] neg_lo:[0,0,1] neg_hi:[0,0,1]
	v_mov_b32_e32 v109, v115
	s_delay_alu instid0(VALU_DEP_1)
	v_pk_add_f32 v[104:105], v[104:105], v[108:109]
	s_and_not1_b32 exec_lo, exec_lo, s1
	s_cbranch_execnz .LBB113_352
; %bb.353:
	s_or_b32 exec_lo, exec_lo, s1
.LBB113_354:
	s_delay_alu instid0(SALU_CYCLE_1) | instskip(SKIP_4) | instid1(VALU_DEP_1)
	s_or_b32 exec_lo, exec_lo, s21
	v_mov_b32_e32 v106, 0
	ds_load_b64 v[106:107], v106 offset:112
	s_wait_dscnt 0x0
	v_pk_mul_f32 v[108:109], v[104:105], v[106:107] op_sel:[1,1] op_sel_hi:[0,1]
	v_pk_fma_f32 v[110:111], v[104:105], v[106:107], v[108:109] op_sel_hi:[1,0,1]
	v_pk_fma_f32 v[104:105], v[104:105], v[106:107], v[108:109] neg_lo:[0,0,1] neg_hi:[0,0,1]
	s_delay_alu instid0(VALU_DEP_2)
	v_mov_b32_e32 v105, v111
	scratch_store_b64 off, v[104:105], off offset:112
.LBB113_355:
	s_wait_xcnt 0x0
	s_or_b32 exec_lo, exec_lo, s20
	scratch_load_b64 v[104:105], off, off offset:104
	v_cmp_lt_u32_e64 s1, 13, v0
	s_wait_loadcnt 0x0
	ds_store_b64 v1, v[104:105]
	s_wait_storecnt_dscnt 0x0
	s_barrier_signal -1
	s_barrier_wait -1
	s_wait_xcnt 0x0
	s_and_saveexec_b32 s19, s1
	s_cbranch_execz .LBB113_365
; %bb.356:
	s_and_not1_b32 vcc_lo, exec_lo, s3
	s_cbranch_vccnz .LBB113_358
; %bb.357:
	scratch_load_b64 v[104:105], v59, off
	ds_load_b64 v[106:107], v1
	s_wait_loadcnt_dscnt 0x0
	v_pk_mul_f32 v[108:109], v[106:107], v[104:105] op_sel:[1,1] op_sel_hi:[0,1]
	s_delay_alu instid0(VALU_DEP_1) | instskip(SKIP_1) | instid1(VALU_DEP_2)
	v_pk_fma_f32 v[110:111], v[106:107], v[104:105], v[108:109] op_sel_hi:[1,0,1]
	v_pk_fma_f32 v[104:105], v[106:107], v[104:105], v[108:109] neg_lo:[0,0,1] neg_hi:[0,0,1]
	v_mov_b32_e32 v105, v111
	s_cbranch_execz .LBB113_359
	s_branch .LBB113_360
.LBB113_358:
                                        ; implicit-def: $vgpr104_vgpr105
.LBB113_359:
	ds_load_b64 v[104:105], v1
.LBB113_360:
	s_and_saveexec_b32 s20, s0
	s_cbranch_execz .LBB113_364
; %bb.361:
	v_add_nc_u32_e32 v106, -14, v0
	s_movk_i32 s21, 0x200
	s_mov_b32 s0, 0
.LBB113_362:                            ; =>This Inner Loop Header: Depth=1
	scratch_load_b64 v[108:109], off, s18
	v_dual_mov_b32 v107, s21 :: v_dual_add_nc_u32 v106, -1, v106
	s_add_co_i32 s21, s21, 8
	s_wait_xcnt 0x0
	s_add_co_i32 s18, s18, 8
	ds_load_b64 v[110:111], v107
	v_cmp_eq_u32_e32 vcc_lo, 0, v106
	s_or_b32 s0, vcc_lo, s0
	s_wait_loadcnt_dscnt 0x0
	v_pk_mul_f32 v[112:113], v[110:111], v[108:109] op_sel:[1,1] op_sel_hi:[0,1]
	s_delay_alu instid0(VALU_DEP_1) | instskip(SKIP_1) | instid1(VALU_DEP_2)
	v_pk_fma_f32 v[114:115], v[110:111], v[108:109], v[112:113] op_sel_hi:[1,0,1]
	v_pk_fma_f32 v[108:109], v[110:111], v[108:109], v[112:113] neg_lo:[0,0,1] neg_hi:[0,0,1]
	v_mov_b32_e32 v109, v115
	s_delay_alu instid0(VALU_DEP_1)
	v_pk_add_f32 v[104:105], v[104:105], v[108:109]
	s_and_not1_b32 exec_lo, exec_lo, s0
	s_cbranch_execnz .LBB113_362
; %bb.363:
	s_or_b32 exec_lo, exec_lo, s0
.LBB113_364:
	s_delay_alu instid0(SALU_CYCLE_1) | instskip(SKIP_4) | instid1(VALU_DEP_1)
	s_or_b32 exec_lo, exec_lo, s20
	v_mov_b32_e32 v106, 0
	ds_load_b64 v[106:107], v106 offset:104
	s_wait_dscnt 0x0
	v_pk_mul_f32 v[108:109], v[104:105], v[106:107] op_sel:[1,1] op_sel_hi:[0,1]
	v_pk_fma_f32 v[110:111], v[104:105], v[106:107], v[108:109] op_sel_hi:[1,0,1]
	v_pk_fma_f32 v[104:105], v[104:105], v[106:107], v[108:109] neg_lo:[0,0,1] neg_hi:[0,0,1]
	s_delay_alu instid0(VALU_DEP_2)
	v_mov_b32_e32 v105, v111
	scratch_store_b64 off, v[104:105], off offset:104
.LBB113_365:
	s_wait_xcnt 0x0
	s_or_b32 exec_lo, exec_lo, s19
	scratch_load_b64 v[104:105], off, off offset:96
	v_cmp_lt_u32_e64 s0, 12, v0
	s_wait_loadcnt 0x0
	ds_store_b64 v1, v[104:105]
	s_wait_storecnt_dscnt 0x0
	s_barrier_signal -1
	s_barrier_wait -1
	s_wait_xcnt 0x0
	s_and_saveexec_b32 s18, s0
	s_cbranch_execz .LBB113_375
; %bb.366:
	s_and_not1_b32 vcc_lo, exec_lo, s3
	s_cbranch_vccnz .LBB113_368
; %bb.367:
	scratch_load_b64 v[104:105], v59, off
	ds_load_b64 v[106:107], v1
	s_wait_loadcnt_dscnt 0x0
	v_pk_mul_f32 v[108:109], v[106:107], v[104:105] op_sel:[1,1] op_sel_hi:[0,1]
	s_delay_alu instid0(VALU_DEP_1) | instskip(SKIP_1) | instid1(VALU_DEP_2)
	v_pk_fma_f32 v[110:111], v[106:107], v[104:105], v[108:109] op_sel_hi:[1,0,1]
	v_pk_fma_f32 v[104:105], v[106:107], v[104:105], v[108:109] neg_lo:[0,0,1] neg_hi:[0,0,1]
	v_mov_b32_e32 v105, v111
	s_cbranch_execz .LBB113_369
	s_branch .LBB113_370
.LBB113_368:
                                        ; implicit-def: $vgpr104_vgpr105
.LBB113_369:
	ds_load_b64 v[104:105], v1
.LBB113_370:
	s_and_saveexec_b32 s19, s1
	s_cbranch_execz .LBB113_374
; %bb.371:
	v_add_nc_u32_e32 v106, -13, v0
	s_movk_i32 s20, 0x1f8
	s_mov_b32 s1, 0
.LBB113_372:                            ; =>This Inner Loop Header: Depth=1
	scratch_load_b64 v[108:109], off, s17
	v_dual_mov_b32 v107, s20 :: v_dual_add_nc_u32 v106, -1, v106
	s_add_co_i32 s20, s20, 8
	s_wait_xcnt 0x0
	s_add_co_i32 s17, s17, 8
	ds_load_b64 v[110:111], v107
	v_cmp_eq_u32_e32 vcc_lo, 0, v106
	s_or_b32 s1, vcc_lo, s1
	s_wait_loadcnt_dscnt 0x0
	v_pk_mul_f32 v[112:113], v[110:111], v[108:109] op_sel:[1,1] op_sel_hi:[0,1]
	s_delay_alu instid0(VALU_DEP_1) | instskip(SKIP_1) | instid1(VALU_DEP_2)
	v_pk_fma_f32 v[114:115], v[110:111], v[108:109], v[112:113] op_sel_hi:[1,0,1]
	v_pk_fma_f32 v[108:109], v[110:111], v[108:109], v[112:113] neg_lo:[0,0,1] neg_hi:[0,0,1]
	v_mov_b32_e32 v109, v115
	s_delay_alu instid0(VALU_DEP_1)
	v_pk_add_f32 v[104:105], v[104:105], v[108:109]
	s_and_not1_b32 exec_lo, exec_lo, s1
	s_cbranch_execnz .LBB113_372
; %bb.373:
	s_or_b32 exec_lo, exec_lo, s1
.LBB113_374:
	s_delay_alu instid0(SALU_CYCLE_1) | instskip(SKIP_4) | instid1(VALU_DEP_1)
	s_or_b32 exec_lo, exec_lo, s19
	v_mov_b32_e32 v106, 0
	ds_load_b64 v[106:107], v106 offset:96
	s_wait_dscnt 0x0
	v_pk_mul_f32 v[108:109], v[104:105], v[106:107] op_sel:[1,1] op_sel_hi:[0,1]
	v_pk_fma_f32 v[110:111], v[104:105], v[106:107], v[108:109] op_sel_hi:[1,0,1]
	v_pk_fma_f32 v[104:105], v[104:105], v[106:107], v[108:109] neg_lo:[0,0,1] neg_hi:[0,0,1]
	s_delay_alu instid0(VALU_DEP_2)
	v_mov_b32_e32 v105, v111
	scratch_store_b64 off, v[104:105], off offset:96
.LBB113_375:
	s_wait_xcnt 0x0
	s_or_b32 exec_lo, exec_lo, s18
	scratch_load_b64 v[104:105], off, off offset:88
	v_cmp_lt_u32_e64 s1, 11, v0
	s_wait_loadcnt 0x0
	ds_store_b64 v1, v[104:105]
	s_wait_storecnt_dscnt 0x0
	s_barrier_signal -1
	s_barrier_wait -1
	s_wait_xcnt 0x0
	s_and_saveexec_b32 s17, s1
	s_cbranch_execz .LBB113_385
; %bb.376:
	s_and_not1_b32 vcc_lo, exec_lo, s3
	s_cbranch_vccnz .LBB113_378
; %bb.377:
	scratch_load_b64 v[104:105], v59, off
	ds_load_b64 v[106:107], v1
	s_wait_loadcnt_dscnt 0x0
	v_pk_mul_f32 v[108:109], v[106:107], v[104:105] op_sel:[1,1] op_sel_hi:[0,1]
	s_delay_alu instid0(VALU_DEP_1) | instskip(SKIP_1) | instid1(VALU_DEP_2)
	v_pk_fma_f32 v[110:111], v[106:107], v[104:105], v[108:109] op_sel_hi:[1,0,1]
	v_pk_fma_f32 v[104:105], v[106:107], v[104:105], v[108:109] neg_lo:[0,0,1] neg_hi:[0,0,1]
	v_mov_b32_e32 v105, v111
	s_cbranch_execz .LBB113_379
	s_branch .LBB113_380
.LBB113_378:
                                        ; implicit-def: $vgpr104_vgpr105
.LBB113_379:
	ds_load_b64 v[104:105], v1
.LBB113_380:
	s_and_saveexec_b32 s18, s0
	s_cbranch_execz .LBB113_384
; %bb.381:
	v_add_nc_u32_e32 v106, -12, v0
	s_movk_i32 s19, 0x1f0
	s_mov_b32 s0, 0
.LBB113_382:                            ; =>This Inner Loop Header: Depth=1
	scratch_load_b64 v[108:109], off, s16
	v_dual_mov_b32 v107, s19 :: v_dual_add_nc_u32 v106, -1, v106
	s_add_co_i32 s19, s19, 8
	s_wait_xcnt 0x0
	s_add_co_i32 s16, s16, 8
	ds_load_b64 v[110:111], v107
	v_cmp_eq_u32_e32 vcc_lo, 0, v106
	s_or_b32 s0, vcc_lo, s0
	s_wait_loadcnt_dscnt 0x0
	v_pk_mul_f32 v[112:113], v[110:111], v[108:109] op_sel:[1,1] op_sel_hi:[0,1]
	s_delay_alu instid0(VALU_DEP_1) | instskip(SKIP_1) | instid1(VALU_DEP_2)
	v_pk_fma_f32 v[114:115], v[110:111], v[108:109], v[112:113] op_sel_hi:[1,0,1]
	v_pk_fma_f32 v[108:109], v[110:111], v[108:109], v[112:113] neg_lo:[0,0,1] neg_hi:[0,0,1]
	v_mov_b32_e32 v109, v115
	s_delay_alu instid0(VALU_DEP_1)
	v_pk_add_f32 v[104:105], v[104:105], v[108:109]
	s_and_not1_b32 exec_lo, exec_lo, s0
	s_cbranch_execnz .LBB113_382
; %bb.383:
	s_or_b32 exec_lo, exec_lo, s0
.LBB113_384:
	s_delay_alu instid0(SALU_CYCLE_1) | instskip(SKIP_4) | instid1(VALU_DEP_1)
	s_or_b32 exec_lo, exec_lo, s18
	v_mov_b32_e32 v106, 0
	ds_load_b64 v[106:107], v106 offset:88
	s_wait_dscnt 0x0
	v_pk_mul_f32 v[108:109], v[104:105], v[106:107] op_sel:[1,1] op_sel_hi:[0,1]
	v_pk_fma_f32 v[110:111], v[104:105], v[106:107], v[108:109] op_sel_hi:[1,0,1]
	v_pk_fma_f32 v[104:105], v[104:105], v[106:107], v[108:109] neg_lo:[0,0,1] neg_hi:[0,0,1]
	s_delay_alu instid0(VALU_DEP_2)
	v_mov_b32_e32 v105, v111
	scratch_store_b64 off, v[104:105], off offset:88
.LBB113_385:
	s_wait_xcnt 0x0
	s_or_b32 exec_lo, exec_lo, s17
	scratch_load_b64 v[104:105], off, off offset:80
	v_cmp_lt_u32_e64 s0, 10, v0
	s_wait_loadcnt 0x0
	ds_store_b64 v1, v[104:105]
	s_wait_storecnt_dscnt 0x0
	s_barrier_signal -1
	s_barrier_wait -1
	s_wait_xcnt 0x0
	s_and_saveexec_b32 s16, s0
	s_cbranch_execz .LBB113_395
; %bb.386:
	s_and_not1_b32 vcc_lo, exec_lo, s3
	s_cbranch_vccnz .LBB113_388
; %bb.387:
	scratch_load_b64 v[104:105], v59, off
	ds_load_b64 v[106:107], v1
	s_wait_loadcnt_dscnt 0x0
	v_pk_mul_f32 v[108:109], v[106:107], v[104:105] op_sel:[1,1] op_sel_hi:[0,1]
	s_delay_alu instid0(VALU_DEP_1) | instskip(SKIP_1) | instid1(VALU_DEP_2)
	v_pk_fma_f32 v[110:111], v[106:107], v[104:105], v[108:109] op_sel_hi:[1,0,1]
	v_pk_fma_f32 v[104:105], v[106:107], v[104:105], v[108:109] neg_lo:[0,0,1] neg_hi:[0,0,1]
	v_mov_b32_e32 v105, v111
	s_cbranch_execz .LBB113_389
	s_branch .LBB113_390
.LBB113_388:
                                        ; implicit-def: $vgpr104_vgpr105
.LBB113_389:
	ds_load_b64 v[104:105], v1
.LBB113_390:
	s_and_saveexec_b32 s17, s1
	s_cbranch_execz .LBB113_394
; %bb.391:
	v_add_nc_u32_e32 v106, -11, v0
	s_movk_i32 s18, 0x1e8
	s_mov_b32 s1, 0
.LBB113_392:                            ; =>This Inner Loop Header: Depth=1
	scratch_load_b64 v[108:109], off, s15
	v_dual_mov_b32 v107, s18 :: v_dual_add_nc_u32 v106, -1, v106
	s_add_co_i32 s18, s18, 8
	s_wait_xcnt 0x0
	s_add_co_i32 s15, s15, 8
	ds_load_b64 v[110:111], v107
	v_cmp_eq_u32_e32 vcc_lo, 0, v106
	s_or_b32 s1, vcc_lo, s1
	s_wait_loadcnt_dscnt 0x0
	v_pk_mul_f32 v[112:113], v[110:111], v[108:109] op_sel:[1,1] op_sel_hi:[0,1]
	s_delay_alu instid0(VALU_DEP_1) | instskip(SKIP_1) | instid1(VALU_DEP_2)
	v_pk_fma_f32 v[114:115], v[110:111], v[108:109], v[112:113] op_sel_hi:[1,0,1]
	v_pk_fma_f32 v[108:109], v[110:111], v[108:109], v[112:113] neg_lo:[0,0,1] neg_hi:[0,0,1]
	v_mov_b32_e32 v109, v115
	s_delay_alu instid0(VALU_DEP_1)
	v_pk_add_f32 v[104:105], v[104:105], v[108:109]
	s_and_not1_b32 exec_lo, exec_lo, s1
	s_cbranch_execnz .LBB113_392
; %bb.393:
	s_or_b32 exec_lo, exec_lo, s1
.LBB113_394:
	s_delay_alu instid0(SALU_CYCLE_1) | instskip(SKIP_4) | instid1(VALU_DEP_1)
	s_or_b32 exec_lo, exec_lo, s17
	v_mov_b32_e32 v106, 0
	ds_load_b64 v[106:107], v106 offset:80
	s_wait_dscnt 0x0
	v_pk_mul_f32 v[108:109], v[104:105], v[106:107] op_sel:[1,1] op_sel_hi:[0,1]
	v_pk_fma_f32 v[110:111], v[104:105], v[106:107], v[108:109] op_sel_hi:[1,0,1]
	v_pk_fma_f32 v[104:105], v[104:105], v[106:107], v[108:109] neg_lo:[0,0,1] neg_hi:[0,0,1]
	s_delay_alu instid0(VALU_DEP_2)
	v_mov_b32_e32 v105, v111
	scratch_store_b64 off, v[104:105], off offset:80
.LBB113_395:
	s_wait_xcnt 0x0
	s_or_b32 exec_lo, exec_lo, s16
	scratch_load_b64 v[104:105], off, off offset:72
	v_cmp_lt_u32_e64 s1, 9, v0
	s_wait_loadcnt 0x0
	ds_store_b64 v1, v[104:105]
	s_wait_storecnt_dscnt 0x0
	s_barrier_signal -1
	s_barrier_wait -1
	s_wait_xcnt 0x0
	s_and_saveexec_b32 s15, s1
	s_cbranch_execz .LBB113_405
; %bb.396:
	s_and_not1_b32 vcc_lo, exec_lo, s3
	s_cbranch_vccnz .LBB113_398
; %bb.397:
	scratch_load_b64 v[104:105], v59, off
	ds_load_b64 v[106:107], v1
	s_wait_loadcnt_dscnt 0x0
	v_pk_mul_f32 v[108:109], v[106:107], v[104:105] op_sel:[1,1] op_sel_hi:[0,1]
	s_delay_alu instid0(VALU_DEP_1) | instskip(SKIP_1) | instid1(VALU_DEP_2)
	v_pk_fma_f32 v[110:111], v[106:107], v[104:105], v[108:109] op_sel_hi:[1,0,1]
	v_pk_fma_f32 v[104:105], v[106:107], v[104:105], v[108:109] neg_lo:[0,0,1] neg_hi:[0,0,1]
	v_mov_b32_e32 v105, v111
	s_cbranch_execz .LBB113_399
	s_branch .LBB113_400
.LBB113_398:
                                        ; implicit-def: $vgpr104_vgpr105
.LBB113_399:
	ds_load_b64 v[104:105], v1
.LBB113_400:
	s_and_saveexec_b32 s16, s0
	s_cbranch_execz .LBB113_404
; %bb.401:
	v_add_nc_u32_e32 v106, -10, v0
	s_movk_i32 s17, 0x1e0
	s_mov_b32 s0, 0
.LBB113_402:                            ; =>This Inner Loop Header: Depth=1
	scratch_load_b64 v[108:109], off, s14
	v_dual_mov_b32 v107, s17 :: v_dual_add_nc_u32 v106, -1, v106
	s_add_co_i32 s17, s17, 8
	s_wait_xcnt 0x0
	s_add_co_i32 s14, s14, 8
	ds_load_b64 v[110:111], v107
	v_cmp_eq_u32_e32 vcc_lo, 0, v106
	s_or_b32 s0, vcc_lo, s0
	s_wait_loadcnt_dscnt 0x0
	v_pk_mul_f32 v[112:113], v[110:111], v[108:109] op_sel:[1,1] op_sel_hi:[0,1]
	s_delay_alu instid0(VALU_DEP_1) | instskip(SKIP_1) | instid1(VALU_DEP_2)
	v_pk_fma_f32 v[114:115], v[110:111], v[108:109], v[112:113] op_sel_hi:[1,0,1]
	v_pk_fma_f32 v[108:109], v[110:111], v[108:109], v[112:113] neg_lo:[0,0,1] neg_hi:[0,0,1]
	v_mov_b32_e32 v109, v115
	s_delay_alu instid0(VALU_DEP_1)
	v_pk_add_f32 v[104:105], v[104:105], v[108:109]
	s_and_not1_b32 exec_lo, exec_lo, s0
	s_cbranch_execnz .LBB113_402
; %bb.403:
	s_or_b32 exec_lo, exec_lo, s0
.LBB113_404:
	s_delay_alu instid0(SALU_CYCLE_1) | instskip(SKIP_4) | instid1(VALU_DEP_1)
	s_or_b32 exec_lo, exec_lo, s16
	v_mov_b32_e32 v106, 0
	ds_load_b64 v[106:107], v106 offset:72
	s_wait_dscnt 0x0
	v_pk_mul_f32 v[108:109], v[104:105], v[106:107] op_sel:[1,1] op_sel_hi:[0,1]
	v_pk_fma_f32 v[110:111], v[104:105], v[106:107], v[108:109] op_sel_hi:[1,0,1]
	v_pk_fma_f32 v[104:105], v[104:105], v[106:107], v[108:109] neg_lo:[0,0,1] neg_hi:[0,0,1]
	s_delay_alu instid0(VALU_DEP_2)
	v_mov_b32_e32 v105, v111
	scratch_store_b64 off, v[104:105], off offset:72
.LBB113_405:
	s_wait_xcnt 0x0
	s_or_b32 exec_lo, exec_lo, s15
	scratch_load_b64 v[104:105], off, off offset:64
	v_cmp_lt_u32_e64 s0, 8, v0
	s_wait_loadcnt 0x0
	ds_store_b64 v1, v[104:105]
	s_wait_storecnt_dscnt 0x0
	s_barrier_signal -1
	s_barrier_wait -1
	s_wait_xcnt 0x0
	s_and_saveexec_b32 s14, s0
	s_cbranch_execz .LBB113_415
; %bb.406:
	s_and_not1_b32 vcc_lo, exec_lo, s3
	s_cbranch_vccnz .LBB113_408
; %bb.407:
	scratch_load_b64 v[104:105], v59, off
	ds_load_b64 v[106:107], v1
	s_wait_loadcnt_dscnt 0x0
	v_pk_mul_f32 v[108:109], v[106:107], v[104:105] op_sel:[1,1] op_sel_hi:[0,1]
	s_delay_alu instid0(VALU_DEP_1) | instskip(SKIP_1) | instid1(VALU_DEP_2)
	v_pk_fma_f32 v[110:111], v[106:107], v[104:105], v[108:109] op_sel_hi:[1,0,1]
	v_pk_fma_f32 v[104:105], v[106:107], v[104:105], v[108:109] neg_lo:[0,0,1] neg_hi:[0,0,1]
	v_mov_b32_e32 v105, v111
	s_cbranch_execz .LBB113_409
	s_branch .LBB113_410
.LBB113_408:
                                        ; implicit-def: $vgpr104_vgpr105
.LBB113_409:
	ds_load_b64 v[104:105], v1
.LBB113_410:
	s_and_saveexec_b32 s15, s1
	s_cbranch_execz .LBB113_414
; %bb.411:
	v_add_nc_u32_e32 v106, -9, v0
	s_movk_i32 s16, 0x1d8
	s_mov_b32 s1, 0
.LBB113_412:                            ; =>This Inner Loop Header: Depth=1
	scratch_load_b64 v[108:109], off, s13
	v_dual_mov_b32 v107, s16 :: v_dual_add_nc_u32 v106, -1, v106
	s_add_co_i32 s16, s16, 8
	s_wait_xcnt 0x0
	s_add_co_i32 s13, s13, 8
	ds_load_b64 v[110:111], v107
	v_cmp_eq_u32_e32 vcc_lo, 0, v106
	s_or_b32 s1, vcc_lo, s1
	s_wait_loadcnt_dscnt 0x0
	v_pk_mul_f32 v[112:113], v[110:111], v[108:109] op_sel:[1,1] op_sel_hi:[0,1]
	s_delay_alu instid0(VALU_DEP_1) | instskip(SKIP_1) | instid1(VALU_DEP_2)
	v_pk_fma_f32 v[114:115], v[110:111], v[108:109], v[112:113] op_sel_hi:[1,0,1]
	v_pk_fma_f32 v[108:109], v[110:111], v[108:109], v[112:113] neg_lo:[0,0,1] neg_hi:[0,0,1]
	v_mov_b32_e32 v109, v115
	s_delay_alu instid0(VALU_DEP_1)
	v_pk_add_f32 v[104:105], v[104:105], v[108:109]
	s_and_not1_b32 exec_lo, exec_lo, s1
	s_cbranch_execnz .LBB113_412
; %bb.413:
	s_or_b32 exec_lo, exec_lo, s1
.LBB113_414:
	s_delay_alu instid0(SALU_CYCLE_1) | instskip(SKIP_4) | instid1(VALU_DEP_1)
	s_or_b32 exec_lo, exec_lo, s15
	v_mov_b32_e32 v106, 0
	ds_load_b64 v[106:107], v106 offset:64
	s_wait_dscnt 0x0
	v_pk_mul_f32 v[108:109], v[104:105], v[106:107] op_sel:[1,1] op_sel_hi:[0,1]
	v_pk_fma_f32 v[110:111], v[104:105], v[106:107], v[108:109] op_sel_hi:[1,0,1]
	v_pk_fma_f32 v[104:105], v[104:105], v[106:107], v[108:109] neg_lo:[0,0,1] neg_hi:[0,0,1]
	s_delay_alu instid0(VALU_DEP_2)
	v_mov_b32_e32 v105, v111
	scratch_store_b64 off, v[104:105], off offset:64
.LBB113_415:
	s_wait_xcnt 0x0
	s_or_b32 exec_lo, exec_lo, s14
	scratch_load_b64 v[104:105], off, off offset:56
	v_cmp_lt_u32_e64 s1, 7, v0
	s_wait_loadcnt 0x0
	ds_store_b64 v1, v[104:105]
	s_wait_storecnt_dscnt 0x0
	s_barrier_signal -1
	s_barrier_wait -1
	s_wait_xcnt 0x0
	s_and_saveexec_b32 s13, s1
	s_cbranch_execz .LBB113_425
; %bb.416:
	s_and_not1_b32 vcc_lo, exec_lo, s3
	s_cbranch_vccnz .LBB113_418
; %bb.417:
	scratch_load_b64 v[104:105], v59, off
	ds_load_b64 v[106:107], v1
	s_wait_loadcnt_dscnt 0x0
	v_pk_mul_f32 v[108:109], v[106:107], v[104:105] op_sel:[1,1] op_sel_hi:[0,1]
	s_delay_alu instid0(VALU_DEP_1) | instskip(SKIP_1) | instid1(VALU_DEP_2)
	v_pk_fma_f32 v[110:111], v[106:107], v[104:105], v[108:109] op_sel_hi:[1,0,1]
	v_pk_fma_f32 v[104:105], v[106:107], v[104:105], v[108:109] neg_lo:[0,0,1] neg_hi:[0,0,1]
	v_mov_b32_e32 v105, v111
	s_cbranch_execz .LBB113_419
	s_branch .LBB113_420
.LBB113_418:
                                        ; implicit-def: $vgpr104_vgpr105
.LBB113_419:
	ds_load_b64 v[104:105], v1
.LBB113_420:
	s_and_saveexec_b32 s14, s0
	s_cbranch_execz .LBB113_424
; %bb.421:
	v_add_nc_u32_e32 v106, -8, v0
	s_movk_i32 s15, 0x1d0
	s_mov_b32 s0, 0
.LBB113_422:                            ; =>This Inner Loop Header: Depth=1
	scratch_load_b64 v[108:109], off, s12
	v_dual_mov_b32 v107, s15 :: v_dual_add_nc_u32 v106, -1, v106
	s_add_co_i32 s15, s15, 8
	s_wait_xcnt 0x0
	s_add_co_i32 s12, s12, 8
	ds_load_b64 v[110:111], v107
	v_cmp_eq_u32_e32 vcc_lo, 0, v106
	s_or_b32 s0, vcc_lo, s0
	s_wait_loadcnt_dscnt 0x0
	v_pk_mul_f32 v[112:113], v[110:111], v[108:109] op_sel:[1,1] op_sel_hi:[0,1]
	s_delay_alu instid0(VALU_DEP_1) | instskip(SKIP_1) | instid1(VALU_DEP_2)
	v_pk_fma_f32 v[114:115], v[110:111], v[108:109], v[112:113] op_sel_hi:[1,0,1]
	v_pk_fma_f32 v[108:109], v[110:111], v[108:109], v[112:113] neg_lo:[0,0,1] neg_hi:[0,0,1]
	v_mov_b32_e32 v109, v115
	s_delay_alu instid0(VALU_DEP_1)
	v_pk_add_f32 v[104:105], v[104:105], v[108:109]
	s_and_not1_b32 exec_lo, exec_lo, s0
	s_cbranch_execnz .LBB113_422
; %bb.423:
	s_or_b32 exec_lo, exec_lo, s0
.LBB113_424:
	s_delay_alu instid0(SALU_CYCLE_1) | instskip(SKIP_4) | instid1(VALU_DEP_1)
	s_or_b32 exec_lo, exec_lo, s14
	v_mov_b32_e32 v106, 0
	ds_load_b64 v[106:107], v106 offset:56
	s_wait_dscnt 0x0
	v_pk_mul_f32 v[108:109], v[104:105], v[106:107] op_sel:[1,1] op_sel_hi:[0,1]
	v_pk_fma_f32 v[110:111], v[104:105], v[106:107], v[108:109] op_sel_hi:[1,0,1]
	v_pk_fma_f32 v[104:105], v[104:105], v[106:107], v[108:109] neg_lo:[0,0,1] neg_hi:[0,0,1]
	s_delay_alu instid0(VALU_DEP_2)
	v_mov_b32_e32 v105, v111
	scratch_store_b64 off, v[104:105], off offset:56
.LBB113_425:
	s_wait_xcnt 0x0
	s_or_b32 exec_lo, exec_lo, s13
	scratch_load_b64 v[104:105], off, off offset:48
	v_cmp_lt_u32_e64 s0, 6, v0
	s_wait_loadcnt 0x0
	ds_store_b64 v1, v[104:105]
	s_wait_storecnt_dscnt 0x0
	s_barrier_signal -1
	s_barrier_wait -1
	s_wait_xcnt 0x0
	s_and_saveexec_b32 s12, s0
	s_cbranch_execz .LBB113_435
; %bb.426:
	s_and_not1_b32 vcc_lo, exec_lo, s3
	s_cbranch_vccnz .LBB113_428
; %bb.427:
	scratch_load_b64 v[104:105], v59, off
	ds_load_b64 v[106:107], v1
	s_wait_loadcnt_dscnt 0x0
	v_pk_mul_f32 v[108:109], v[106:107], v[104:105] op_sel:[1,1] op_sel_hi:[0,1]
	s_delay_alu instid0(VALU_DEP_1) | instskip(SKIP_1) | instid1(VALU_DEP_2)
	v_pk_fma_f32 v[110:111], v[106:107], v[104:105], v[108:109] op_sel_hi:[1,0,1]
	v_pk_fma_f32 v[104:105], v[106:107], v[104:105], v[108:109] neg_lo:[0,0,1] neg_hi:[0,0,1]
	v_mov_b32_e32 v105, v111
	s_cbranch_execz .LBB113_429
	s_branch .LBB113_430
.LBB113_428:
                                        ; implicit-def: $vgpr104_vgpr105
.LBB113_429:
	ds_load_b64 v[104:105], v1
.LBB113_430:
	s_and_saveexec_b32 s13, s1
	s_cbranch_execz .LBB113_434
; %bb.431:
	v_add_nc_u32_e32 v106, -7, v0
	s_movk_i32 s14, 0x1c8
	s_mov_b32 s1, 0
.LBB113_432:                            ; =>This Inner Loop Header: Depth=1
	scratch_load_b64 v[108:109], off, s11
	v_dual_mov_b32 v107, s14 :: v_dual_add_nc_u32 v106, -1, v106
	s_add_co_i32 s14, s14, 8
	s_wait_xcnt 0x0
	s_add_co_i32 s11, s11, 8
	ds_load_b64 v[110:111], v107
	v_cmp_eq_u32_e32 vcc_lo, 0, v106
	s_or_b32 s1, vcc_lo, s1
	s_wait_loadcnt_dscnt 0x0
	v_pk_mul_f32 v[112:113], v[110:111], v[108:109] op_sel:[1,1] op_sel_hi:[0,1]
	s_delay_alu instid0(VALU_DEP_1) | instskip(SKIP_1) | instid1(VALU_DEP_2)
	v_pk_fma_f32 v[114:115], v[110:111], v[108:109], v[112:113] op_sel_hi:[1,0,1]
	v_pk_fma_f32 v[108:109], v[110:111], v[108:109], v[112:113] neg_lo:[0,0,1] neg_hi:[0,0,1]
	v_mov_b32_e32 v109, v115
	s_delay_alu instid0(VALU_DEP_1)
	v_pk_add_f32 v[104:105], v[104:105], v[108:109]
	s_and_not1_b32 exec_lo, exec_lo, s1
	s_cbranch_execnz .LBB113_432
; %bb.433:
	s_or_b32 exec_lo, exec_lo, s1
.LBB113_434:
	s_delay_alu instid0(SALU_CYCLE_1) | instskip(SKIP_4) | instid1(VALU_DEP_1)
	s_or_b32 exec_lo, exec_lo, s13
	v_mov_b32_e32 v106, 0
	ds_load_b64 v[106:107], v106 offset:48
	s_wait_dscnt 0x0
	v_pk_mul_f32 v[108:109], v[104:105], v[106:107] op_sel:[1,1] op_sel_hi:[0,1]
	v_pk_fma_f32 v[110:111], v[104:105], v[106:107], v[108:109] op_sel_hi:[1,0,1]
	v_pk_fma_f32 v[104:105], v[104:105], v[106:107], v[108:109] neg_lo:[0,0,1] neg_hi:[0,0,1]
	s_delay_alu instid0(VALU_DEP_2)
	v_mov_b32_e32 v105, v111
	scratch_store_b64 off, v[104:105], off offset:48
.LBB113_435:
	s_wait_xcnt 0x0
	s_or_b32 exec_lo, exec_lo, s12
	scratch_load_b64 v[104:105], off, off offset:40
	v_cmp_lt_u32_e64 s1, 5, v0
	s_wait_loadcnt 0x0
	ds_store_b64 v1, v[104:105]
	s_wait_storecnt_dscnt 0x0
	s_barrier_signal -1
	s_barrier_wait -1
	s_wait_xcnt 0x0
	s_and_saveexec_b32 s11, s1
	s_cbranch_execz .LBB113_445
; %bb.436:
	s_and_not1_b32 vcc_lo, exec_lo, s3
	s_cbranch_vccnz .LBB113_438
; %bb.437:
	scratch_load_b64 v[104:105], v59, off
	ds_load_b64 v[106:107], v1
	s_wait_loadcnt_dscnt 0x0
	v_pk_mul_f32 v[108:109], v[106:107], v[104:105] op_sel:[1,1] op_sel_hi:[0,1]
	s_delay_alu instid0(VALU_DEP_1) | instskip(SKIP_1) | instid1(VALU_DEP_2)
	v_pk_fma_f32 v[110:111], v[106:107], v[104:105], v[108:109] op_sel_hi:[1,0,1]
	v_pk_fma_f32 v[104:105], v[106:107], v[104:105], v[108:109] neg_lo:[0,0,1] neg_hi:[0,0,1]
	v_mov_b32_e32 v105, v111
	s_cbranch_execz .LBB113_439
	s_branch .LBB113_440
.LBB113_438:
                                        ; implicit-def: $vgpr104_vgpr105
.LBB113_439:
	ds_load_b64 v[104:105], v1
.LBB113_440:
	s_and_saveexec_b32 s12, s0
	s_cbranch_execz .LBB113_444
; %bb.441:
	v_add_nc_u32_e32 v106, -6, v0
	s_movk_i32 s13, 0x1c0
	s_mov_b32 s0, 0
.LBB113_442:                            ; =>This Inner Loop Header: Depth=1
	scratch_load_b64 v[108:109], off, s10
	v_dual_mov_b32 v107, s13 :: v_dual_add_nc_u32 v106, -1, v106
	s_add_co_i32 s13, s13, 8
	s_wait_xcnt 0x0
	s_add_co_i32 s10, s10, 8
	ds_load_b64 v[110:111], v107
	v_cmp_eq_u32_e32 vcc_lo, 0, v106
	s_or_b32 s0, vcc_lo, s0
	s_wait_loadcnt_dscnt 0x0
	v_pk_mul_f32 v[112:113], v[110:111], v[108:109] op_sel:[1,1] op_sel_hi:[0,1]
	s_delay_alu instid0(VALU_DEP_1) | instskip(SKIP_1) | instid1(VALU_DEP_2)
	v_pk_fma_f32 v[114:115], v[110:111], v[108:109], v[112:113] op_sel_hi:[1,0,1]
	v_pk_fma_f32 v[108:109], v[110:111], v[108:109], v[112:113] neg_lo:[0,0,1] neg_hi:[0,0,1]
	v_mov_b32_e32 v109, v115
	s_delay_alu instid0(VALU_DEP_1)
	v_pk_add_f32 v[104:105], v[104:105], v[108:109]
	s_and_not1_b32 exec_lo, exec_lo, s0
	s_cbranch_execnz .LBB113_442
; %bb.443:
	s_or_b32 exec_lo, exec_lo, s0
.LBB113_444:
	s_delay_alu instid0(SALU_CYCLE_1) | instskip(SKIP_4) | instid1(VALU_DEP_1)
	s_or_b32 exec_lo, exec_lo, s12
	v_mov_b32_e32 v106, 0
	ds_load_b64 v[106:107], v106 offset:40
	s_wait_dscnt 0x0
	v_pk_mul_f32 v[108:109], v[104:105], v[106:107] op_sel:[1,1] op_sel_hi:[0,1]
	v_pk_fma_f32 v[110:111], v[104:105], v[106:107], v[108:109] op_sel_hi:[1,0,1]
	v_pk_fma_f32 v[104:105], v[104:105], v[106:107], v[108:109] neg_lo:[0,0,1] neg_hi:[0,0,1]
	s_delay_alu instid0(VALU_DEP_2)
	v_mov_b32_e32 v105, v111
	scratch_store_b64 off, v[104:105], off offset:40
.LBB113_445:
	s_wait_xcnt 0x0
	s_or_b32 exec_lo, exec_lo, s11
	scratch_load_b64 v[104:105], off, off offset:32
	v_cmp_lt_u32_e64 s0, 4, v0
	s_wait_loadcnt 0x0
	ds_store_b64 v1, v[104:105]
	s_wait_storecnt_dscnt 0x0
	s_barrier_signal -1
	s_barrier_wait -1
	s_wait_xcnt 0x0
	s_and_saveexec_b32 s10, s0
	s_cbranch_execz .LBB113_455
; %bb.446:
	s_and_not1_b32 vcc_lo, exec_lo, s3
	s_cbranch_vccnz .LBB113_448
; %bb.447:
	scratch_load_b64 v[104:105], v59, off
	ds_load_b64 v[106:107], v1
	s_wait_loadcnt_dscnt 0x0
	v_pk_mul_f32 v[108:109], v[106:107], v[104:105] op_sel:[1,1] op_sel_hi:[0,1]
	s_delay_alu instid0(VALU_DEP_1) | instskip(SKIP_1) | instid1(VALU_DEP_2)
	v_pk_fma_f32 v[110:111], v[106:107], v[104:105], v[108:109] op_sel_hi:[1,0,1]
	v_pk_fma_f32 v[104:105], v[106:107], v[104:105], v[108:109] neg_lo:[0,0,1] neg_hi:[0,0,1]
	v_mov_b32_e32 v105, v111
	s_cbranch_execz .LBB113_449
	s_branch .LBB113_450
.LBB113_448:
                                        ; implicit-def: $vgpr104_vgpr105
.LBB113_449:
	ds_load_b64 v[104:105], v1
.LBB113_450:
	s_and_saveexec_b32 s11, s1
	s_cbranch_execz .LBB113_454
; %bb.451:
	v_add_nc_u32_e32 v106, -5, v0
	s_movk_i32 s12, 0x1b8
	s_mov_b32 s1, 0
.LBB113_452:                            ; =>This Inner Loop Header: Depth=1
	scratch_load_b64 v[108:109], off, s9
	v_dual_mov_b32 v107, s12 :: v_dual_add_nc_u32 v106, -1, v106
	s_add_co_i32 s12, s12, 8
	s_wait_xcnt 0x0
	s_add_co_i32 s9, s9, 8
	ds_load_b64 v[110:111], v107
	v_cmp_eq_u32_e32 vcc_lo, 0, v106
	s_or_b32 s1, vcc_lo, s1
	s_wait_loadcnt_dscnt 0x0
	v_pk_mul_f32 v[112:113], v[110:111], v[108:109] op_sel:[1,1] op_sel_hi:[0,1]
	s_delay_alu instid0(VALU_DEP_1) | instskip(SKIP_1) | instid1(VALU_DEP_2)
	v_pk_fma_f32 v[114:115], v[110:111], v[108:109], v[112:113] op_sel_hi:[1,0,1]
	v_pk_fma_f32 v[108:109], v[110:111], v[108:109], v[112:113] neg_lo:[0,0,1] neg_hi:[0,0,1]
	v_mov_b32_e32 v109, v115
	s_delay_alu instid0(VALU_DEP_1)
	v_pk_add_f32 v[104:105], v[104:105], v[108:109]
	s_and_not1_b32 exec_lo, exec_lo, s1
	s_cbranch_execnz .LBB113_452
; %bb.453:
	s_or_b32 exec_lo, exec_lo, s1
.LBB113_454:
	s_delay_alu instid0(SALU_CYCLE_1) | instskip(SKIP_4) | instid1(VALU_DEP_1)
	s_or_b32 exec_lo, exec_lo, s11
	v_mov_b32_e32 v106, 0
	ds_load_b64 v[106:107], v106 offset:32
	s_wait_dscnt 0x0
	v_pk_mul_f32 v[108:109], v[104:105], v[106:107] op_sel:[1,1] op_sel_hi:[0,1]
	v_pk_fma_f32 v[110:111], v[104:105], v[106:107], v[108:109] op_sel_hi:[1,0,1]
	v_pk_fma_f32 v[104:105], v[104:105], v[106:107], v[108:109] neg_lo:[0,0,1] neg_hi:[0,0,1]
	s_delay_alu instid0(VALU_DEP_2)
	v_mov_b32_e32 v105, v111
	scratch_store_b64 off, v[104:105], off offset:32
.LBB113_455:
	s_wait_xcnt 0x0
	s_or_b32 exec_lo, exec_lo, s10
	scratch_load_b64 v[104:105], off, off offset:24
	v_cmp_lt_u32_e64 s1, 3, v0
	s_wait_loadcnt 0x0
	ds_store_b64 v1, v[104:105]
	s_wait_storecnt_dscnt 0x0
	s_barrier_signal -1
	s_barrier_wait -1
	s_wait_xcnt 0x0
	s_and_saveexec_b32 s9, s1
	s_cbranch_execz .LBB113_465
; %bb.456:
	s_and_not1_b32 vcc_lo, exec_lo, s3
	s_cbranch_vccnz .LBB113_458
; %bb.457:
	scratch_load_b64 v[104:105], v59, off
	ds_load_b64 v[106:107], v1
	s_wait_loadcnt_dscnt 0x0
	v_pk_mul_f32 v[108:109], v[106:107], v[104:105] op_sel:[1,1] op_sel_hi:[0,1]
	s_delay_alu instid0(VALU_DEP_1) | instskip(SKIP_1) | instid1(VALU_DEP_2)
	v_pk_fma_f32 v[110:111], v[106:107], v[104:105], v[108:109] op_sel_hi:[1,0,1]
	v_pk_fma_f32 v[104:105], v[106:107], v[104:105], v[108:109] neg_lo:[0,0,1] neg_hi:[0,0,1]
	v_mov_b32_e32 v105, v111
	s_cbranch_execz .LBB113_459
	s_branch .LBB113_460
.LBB113_458:
                                        ; implicit-def: $vgpr104_vgpr105
.LBB113_459:
	ds_load_b64 v[104:105], v1
.LBB113_460:
	s_and_saveexec_b32 s10, s0
	s_cbranch_execz .LBB113_464
; %bb.461:
	v_add_nc_u32_e32 v106, -4, v0
	s_movk_i32 s11, 0x1b0
	s_mov_b32 s0, 0
.LBB113_462:                            ; =>This Inner Loop Header: Depth=1
	scratch_load_b64 v[108:109], off, s2
	v_dual_mov_b32 v107, s11 :: v_dual_add_nc_u32 v106, -1, v106
	s_add_co_i32 s11, s11, 8
	s_wait_xcnt 0x0
	s_add_co_i32 s2, s2, 8
	ds_load_b64 v[110:111], v107
	v_cmp_eq_u32_e32 vcc_lo, 0, v106
	s_or_b32 s0, vcc_lo, s0
	s_wait_loadcnt_dscnt 0x0
	v_pk_mul_f32 v[112:113], v[110:111], v[108:109] op_sel:[1,1] op_sel_hi:[0,1]
	s_delay_alu instid0(VALU_DEP_1) | instskip(SKIP_1) | instid1(VALU_DEP_2)
	v_pk_fma_f32 v[114:115], v[110:111], v[108:109], v[112:113] op_sel_hi:[1,0,1]
	v_pk_fma_f32 v[108:109], v[110:111], v[108:109], v[112:113] neg_lo:[0,0,1] neg_hi:[0,0,1]
	v_mov_b32_e32 v109, v115
	s_delay_alu instid0(VALU_DEP_1)
	v_pk_add_f32 v[104:105], v[104:105], v[108:109]
	s_and_not1_b32 exec_lo, exec_lo, s0
	s_cbranch_execnz .LBB113_462
; %bb.463:
	s_or_b32 exec_lo, exec_lo, s0
.LBB113_464:
	s_delay_alu instid0(SALU_CYCLE_1) | instskip(SKIP_4) | instid1(VALU_DEP_1)
	s_or_b32 exec_lo, exec_lo, s10
	v_mov_b32_e32 v106, 0
	ds_load_b64 v[106:107], v106 offset:24
	s_wait_dscnt 0x0
	v_pk_mul_f32 v[108:109], v[104:105], v[106:107] op_sel:[1,1] op_sel_hi:[0,1]
	v_pk_fma_f32 v[110:111], v[104:105], v[106:107], v[108:109] op_sel_hi:[1,0,1]
	v_pk_fma_f32 v[104:105], v[104:105], v[106:107], v[108:109] neg_lo:[0,0,1] neg_hi:[0,0,1]
	s_delay_alu instid0(VALU_DEP_2)
	v_mov_b32_e32 v105, v111
	scratch_store_b64 off, v[104:105], off offset:24
.LBB113_465:
	s_wait_xcnt 0x0
	s_or_b32 exec_lo, exec_lo, s9
	scratch_load_b64 v[104:105], off, off offset:16
	v_cmp_lt_u32_e64 s2, 2, v0
	s_wait_loadcnt 0x0
	ds_store_b64 v1, v[104:105]
	s_wait_storecnt_dscnt 0x0
	s_barrier_signal -1
	s_barrier_wait -1
	s_wait_xcnt 0x0
	s_and_saveexec_b32 s0, s2
	s_cbranch_execz .LBB113_475
; %bb.466:
	s_and_not1_b32 vcc_lo, exec_lo, s3
	s_cbranch_vccnz .LBB113_468
; %bb.467:
	scratch_load_b64 v[104:105], v59, off
	ds_load_b64 v[106:107], v1
	s_wait_loadcnt_dscnt 0x0
	v_pk_mul_f32 v[108:109], v[106:107], v[104:105] op_sel:[1,1] op_sel_hi:[0,1]
	s_delay_alu instid0(VALU_DEP_1) | instskip(SKIP_1) | instid1(VALU_DEP_2)
	v_pk_fma_f32 v[110:111], v[106:107], v[104:105], v[108:109] op_sel_hi:[1,0,1]
	v_pk_fma_f32 v[104:105], v[106:107], v[104:105], v[108:109] neg_lo:[0,0,1] neg_hi:[0,0,1]
	v_mov_b32_e32 v105, v111
	s_cbranch_execz .LBB113_469
	s_branch .LBB113_470
.LBB113_468:
                                        ; implicit-def: $vgpr104_vgpr105
.LBB113_469:
	ds_load_b64 v[104:105], v1
.LBB113_470:
	s_and_saveexec_b32 s9, s1
	s_cbranch_execz .LBB113_474
; %bb.471:
	v_add_nc_u32_e32 v106, -3, v0
	s_movk_i32 s10, 0x1a8
	s_mov_b32 s1, 0
.LBB113_472:                            ; =>This Inner Loop Header: Depth=1
	scratch_load_b64 v[108:109], off, s8
	v_dual_mov_b32 v107, s10 :: v_dual_add_nc_u32 v106, -1, v106
	s_add_co_i32 s10, s10, 8
	s_wait_xcnt 0x0
	s_add_co_i32 s8, s8, 8
	ds_load_b64 v[110:111], v107
	v_cmp_eq_u32_e32 vcc_lo, 0, v106
	s_or_b32 s1, vcc_lo, s1
	s_wait_loadcnt_dscnt 0x0
	v_pk_mul_f32 v[112:113], v[110:111], v[108:109] op_sel:[1,1] op_sel_hi:[0,1]
	s_delay_alu instid0(VALU_DEP_1) | instskip(SKIP_1) | instid1(VALU_DEP_2)
	v_pk_fma_f32 v[114:115], v[110:111], v[108:109], v[112:113] op_sel_hi:[1,0,1]
	v_pk_fma_f32 v[108:109], v[110:111], v[108:109], v[112:113] neg_lo:[0,0,1] neg_hi:[0,0,1]
	v_mov_b32_e32 v109, v115
	s_delay_alu instid0(VALU_DEP_1)
	v_pk_add_f32 v[104:105], v[104:105], v[108:109]
	s_and_not1_b32 exec_lo, exec_lo, s1
	s_cbranch_execnz .LBB113_472
; %bb.473:
	s_or_b32 exec_lo, exec_lo, s1
.LBB113_474:
	s_delay_alu instid0(SALU_CYCLE_1) | instskip(SKIP_4) | instid1(VALU_DEP_1)
	s_or_b32 exec_lo, exec_lo, s9
	v_mov_b32_e32 v106, 0
	ds_load_b64 v[106:107], v106 offset:16
	s_wait_dscnt 0x0
	v_pk_mul_f32 v[108:109], v[104:105], v[106:107] op_sel:[1,1] op_sel_hi:[0,1]
	v_pk_fma_f32 v[110:111], v[104:105], v[106:107], v[108:109] op_sel_hi:[1,0,1]
	v_pk_fma_f32 v[104:105], v[104:105], v[106:107], v[108:109] neg_lo:[0,0,1] neg_hi:[0,0,1]
	s_delay_alu instid0(VALU_DEP_2)
	v_mov_b32_e32 v105, v111
	scratch_store_b64 off, v[104:105], off offset:16
.LBB113_475:
	s_wait_xcnt 0x0
	s_or_b32 exec_lo, exec_lo, s0
	scratch_load_b64 v[104:105], off, off offset:8
	v_cmp_lt_u32_e64 s0, 1, v0
	s_wait_loadcnt 0x0
	ds_store_b64 v1, v[104:105]
	s_wait_storecnt_dscnt 0x0
	s_barrier_signal -1
	s_barrier_wait -1
	s_wait_xcnt 0x0
	s_and_saveexec_b32 s1, s0
	s_cbranch_execz .LBB113_485
; %bb.476:
	s_and_not1_b32 vcc_lo, exec_lo, s3
	s_cbranch_vccnz .LBB113_478
; %bb.477:
	scratch_load_b64 v[104:105], v59, off
	ds_load_b64 v[106:107], v1
	s_wait_loadcnt_dscnt 0x0
	v_pk_mul_f32 v[108:109], v[106:107], v[104:105] op_sel:[1,1] op_sel_hi:[0,1]
	s_delay_alu instid0(VALU_DEP_1) | instskip(SKIP_1) | instid1(VALU_DEP_2)
	v_pk_fma_f32 v[110:111], v[106:107], v[104:105], v[108:109] op_sel_hi:[1,0,1]
	v_pk_fma_f32 v[104:105], v[106:107], v[104:105], v[108:109] neg_lo:[0,0,1] neg_hi:[0,0,1]
	v_mov_b32_e32 v105, v111
	s_cbranch_execz .LBB113_479
	s_branch .LBB113_480
.LBB113_478:
                                        ; implicit-def: $vgpr104_vgpr105
.LBB113_479:
	ds_load_b64 v[104:105], v1
.LBB113_480:
	s_and_saveexec_b32 s8, s2
	s_cbranch_execz .LBB113_484
; %bb.481:
	v_add_nc_u32_e32 v106, -2, v0
	s_movk_i32 s9, 0x1a0
	s_mov_b32 s2, 0
.LBB113_482:                            ; =>This Inner Loop Header: Depth=1
	scratch_load_b64 v[108:109], off, s5
	v_dual_mov_b32 v107, s9 :: v_dual_add_nc_u32 v106, -1, v106
	s_add_co_i32 s9, s9, 8
	s_wait_xcnt 0x0
	s_add_co_i32 s5, s5, 8
	ds_load_b64 v[110:111], v107
	v_cmp_eq_u32_e32 vcc_lo, 0, v106
	s_or_b32 s2, vcc_lo, s2
	s_wait_loadcnt_dscnt 0x0
	v_pk_mul_f32 v[112:113], v[110:111], v[108:109] op_sel:[1,1] op_sel_hi:[0,1]
	s_delay_alu instid0(VALU_DEP_1) | instskip(SKIP_1) | instid1(VALU_DEP_2)
	v_pk_fma_f32 v[114:115], v[110:111], v[108:109], v[112:113] op_sel_hi:[1,0,1]
	v_pk_fma_f32 v[108:109], v[110:111], v[108:109], v[112:113] neg_lo:[0,0,1] neg_hi:[0,0,1]
	v_mov_b32_e32 v109, v115
	s_delay_alu instid0(VALU_DEP_1)
	v_pk_add_f32 v[104:105], v[104:105], v[108:109]
	s_and_not1_b32 exec_lo, exec_lo, s2
	s_cbranch_execnz .LBB113_482
; %bb.483:
	s_or_b32 exec_lo, exec_lo, s2
.LBB113_484:
	s_delay_alu instid0(SALU_CYCLE_1) | instskip(SKIP_4) | instid1(VALU_DEP_1)
	s_or_b32 exec_lo, exec_lo, s8
	v_mov_b32_e32 v106, 0
	ds_load_b64 v[106:107], v106 offset:8
	s_wait_dscnt 0x0
	v_pk_mul_f32 v[108:109], v[104:105], v[106:107] op_sel:[1,1] op_sel_hi:[0,1]
	v_pk_fma_f32 v[110:111], v[104:105], v[106:107], v[108:109] op_sel_hi:[1,0,1]
	v_pk_fma_f32 v[104:105], v[104:105], v[106:107], v[108:109] neg_lo:[0,0,1] neg_hi:[0,0,1]
	s_delay_alu instid0(VALU_DEP_2)
	v_mov_b32_e32 v105, v111
	scratch_store_b64 off, v[104:105], off offset:8
.LBB113_485:
	s_wait_xcnt 0x0
	s_or_b32 exec_lo, exec_lo, s1
	scratch_load_b64 v[104:105], off, off
	s_mov_b32 s2, 0
	s_mov_b32 s1, 0
	s_mov_b32 s8, exec_lo
                                        ; implicit-def: $vgpr148
                                        ; implicit-def: $sgpr5
	s_wait_loadcnt 0x0
	ds_store_b64 v1, v[104:105]
	s_wait_storecnt_dscnt 0x0
	s_barrier_signal -1
	s_barrier_wait -1
	s_wait_xcnt 0x0
	v_cmpx_ne_u32_e32 0, v0
	s_cbranch_execz .LBB113_495
; %bb.486:
	s_and_not1_b32 vcc_lo, exec_lo, s3
	s_cbranch_vccnz .LBB113_488
; %bb.487:
	scratch_load_b64 v[106:107], v59, off
	ds_load_b64 v[108:109], v1
	s_wait_loadcnt_dscnt 0x0
	v_dual_mul_f32 v104, v109, v107 :: v_dual_mul_f32 v105, v108, v107
	s_delay_alu instid0(VALU_DEP_1)
	v_dual_fma_f32 v104, v108, v106, -v104 :: v_dual_fmac_f32 v105, v109, v106
	s_and_not1_b32 vcc_lo, exec_lo, s1
	s_cbranch_vccz .LBB113_489
	s_branch .LBB113_490
.LBB113_488:
                                        ; implicit-def: $vgpr104
.LBB113_489:
	ds_load_b64 v[104:105], v1
.LBB113_490:
	s_and_saveexec_b32 s1, s0
	s_cbranch_execz .LBB113_494
; %bb.491:
	v_add_nc_u32_e32 v106, -1, v0
	s_movk_i32 s5, 0x198
	s_mov_b32 s0, 0
.LBB113_492:                            ; =>This Inner Loop Header: Depth=1
	scratch_load_b64 v[108:109], off, s4
	v_mov_b32_e32 v107, s5
	s_add_co_i32 s5, s5, 8
	s_wait_xcnt 0x0
	s_add_co_i32 s4, s4, 8
	v_add_nc_u32_e32 v106, -1, v106
	ds_load_b64 v[110:111], v107
	v_cmp_eq_u32_e32 vcc_lo, 0, v106
	s_or_b32 s0, vcc_lo, s0
	s_wait_loadcnt_dscnt 0x0
	v_dual_mul_f32 v107, v111, v109 :: v_dual_mul_f32 v109, v110, v109
	s_delay_alu instid0(VALU_DEP_1) | instskip(NEXT) | instid1(VALU_DEP_1)
	v_dual_fma_f32 v107, v110, v108, -v107 :: v_dual_fmac_f32 v109, v111, v108
	v_dual_add_f32 v104, v104, v107 :: v_dual_add_f32 v105, v105, v109
	s_and_not1_b32 exec_lo, exec_lo, s0
	s_cbranch_execnz .LBB113_492
; %bb.493:
	s_or_b32 exec_lo, exec_lo, s0
.LBB113_494:
	s_delay_alu instid0(SALU_CYCLE_1)
	s_or_b32 exec_lo, exec_lo, s1
	v_mov_b32_e32 v106, 0
	s_mov_b32 s1, exec_lo
	s_or_b32 s5, 0, 4
	ds_load_b64 v[106:107], v106
	s_wait_dscnt 0x0
	v_dual_mul_f32 v108, v105, v107 :: v_dual_mul_f32 v148, v104, v107
	s_delay_alu instid0(VALU_DEP_1) | instskip(NEXT) | instid1(VALU_DEP_2)
	v_fma_f32 v104, v104, v106, -v108
	v_fmac_f32_e32 v148, v105, v106
	scratch_store_b32 off, v104, off
.LBB113_495:
	s_wait_xcnt 0x0
	s_or_b32 exec_lo, exec_lo, s8
	s_delay_alu instid0(SALU_CYCLE_1)
	s_and_b32 vcc_lo, exec_lo, s2
	s_cbranch_vccz .LBB113_981
.LBB113_496:
	scratch_load_b64 v[104:105], off, off offset:8
	v_cmp_eq_u32_e64 s0, 0, v0
	s_wait_loadcnt 0x0
	ds_store_b64 v1, v[104:105]
	s_wait_storecnt_dscnt 0x0
	s_barrier_signal -1
	s_barrier_wait -1
	s_wait_xcnt 0x0
	s_and_saveexec_b32 s2, s0
	s_cbranch_execz .LBB113_502
; %bb.497:
	s_and_b32 vcc_lo, exec_lo, s3
	s_cbranch_vccz .LBB113_499
; %bb.498:
	scratch_load_b64 v[104:105], v59, off
	ds_load_b64 v[106:107], v1
	s_wait_loadcnt_dscnt 0x0
	v_pk_mul_f32 v[108:109], v[106:107], v[104:105] op_sel:[1,1] op_sel_hi:[0,1]
	v_pk_mul_f32 v[110:111], v[106:107], v[104:105] op_sel_hi:[1,0]
	s_delay_alu instid0(VALU_DEP_2) | instskip(NEXT) | instid1(VALU_DEP_2)
	v_pk_fma_f32 v[104:105], v[106:107], v[104:105], v[108:109] op_sel_hi:[1,0,1]
	v_sub_f32_e32 v104, v110, v108
	s_cbranch_execz .LBB113_500
	s_branch .LBB113_501
.LBB113_499:
                                        ; implicit-def: $vgpr105
.LBB113_500:
	ds_load_b64 v[104:105], v1
.LBB113_501:
	s_wait_dscnt 0x0
	v_dual_mov_b32 v106, 0 :: v_dual_mov_b32 v108, v105
	v_mov_b32_e32 v109, v104
	ds_load_b64 v[106:107], v106 offset:8
	s_wait_dscnt 0x0
	v_pk_mul_f32 v[108:109], v[108:109], v[106:107] op_sel:[0,1]
	s_delay_alu instid0(VALU_DEP_1) | instskip(SKIP_1) | instid1(VALU_DEP_2)
	v_pk_fma_f32 v[110:111], v[104:105], v[106:107], v[108:109] op_sel_hi:[1,0,1]
	v_pk_fma_f32 v[104:105], v[104:105], v[106:107], v[108:109] neg_lo:[0,0,1] neg_hi:[0,0,1]
	v_mov_b32_e32 v105, v111
	scratch_store_b64 off, v[104:105], off offset:8
.LBB113_502:
	s_wait_xcnt 0x0
	s_or_b32 exec_lo, exec_lo, s2
	scratch_load_b64 v[104:105], off, off offset:16
	v_cndmask_b32_e64 v106, 0, 1, s3
	s_mov_b32 s2, exec_lo
	s_wait_loadcnt 0x0
	ds_store_b64 v1, v[104:105]
	s_wait_storecnt_dscnt 0x0
	s_barrier_signal -1
	s_barrier_wait -1
	s_wait_xcnt 0x0
	v_cmpx_gt_u32_e32 2, v0
	s_cbranch_execz .LBB113_510
; %bb.503:
	s_and_not1_b32 vcc_lo, exec_lo, s3
	s_cbranch_vccnz .LBB113_505
; %bb.504:
	scratch_load_b64 v[104:105], v59, off
	ds_load_b64 v[108:109], v1
	s_wait_loadcnt_dscnt 0x0
	v_pk_mul_f32 v[110:111], v[108:109], v[104:105] op_sel:[1,1] op_sel_hi:[0,1]
	s_delay_alu instid0(VALU_DEP_1) | instskip(SKIP_1) | instid1(VALU_DEP_2)
	v_pk_fma_f32 v[112:113], v[108:109], v[104:105], v[110:111] op_sel_hi:[1,0,1]
	v_pk_fma_f32 v[104:105], v[108:109], v[104:105], v[110:111] neg_lo:[0,0,1] neg_hi:[0,0,1]
	v_mov_b32_e32 v105, v113
	s_cbranch_execz .LBB113_506
	s_branch .LBB113_507
.LBB113_505:
                                        ; implicit-def: $vgpr104_vgpr105
.LBB113_506:
	ds_load_b64 v[104:105], v1
.LBB113_507:
	s_and_saveexec_b32 s3, s0
	s_cbranch_execz .LBB113_509
; %bb.508:
	scratch_load_b64 v[108:109], off, off offset:8
	v_mov_b32_e32 v107, 0
	ds_load_b64 v[110:111], v107 offset:408
	s_wait_loadcnt_dscnt 0x0
	v_pk_mul_f32 v[112:113], v[110:111], v[108:109] op_sel:[1,1] op_sel_hi:[0,1]
	s_delay_alu instid0(VALU_DEP_1) | instskip(SKIP_1) | instid1(VALU_DEP_2)
	v_pk_fma_f32 v[114:115], v[110:111], v[108:109], v[112:113] op_sel_hi:[1,0,1]
	v_pk_fma_f32 v[108:109], v[110:111], v[108:109], v[112:113] neg_lo:[0,0,1] neg_hi:[0,0,1]
	v_mov_b32_e32 v109, v115
	s_delay_alu instid0(VALU_DEP_1)
	v_pk_add_f32 v[104:105], v[104:105], v[108:109]
.LBB113_509:
	s_or_b32 exec_lo, exec_lo, s3
	v_mov_b32_e32 v107, 0
	ds_load_b64 v[108:109], v107 offset:16
	s_wait_dscnt 0x0
	v_pk_mul_f32 v[110:111], v[104:105], v[108:109] op_sel:[1,1] op_sel_hi:[0,1]
	s_delay_alu instid0(VALU_DEP_1) | instskip(SKIP_1) | instid1(VALU_DEP_2)
	v_pk_fma_f32 v[112:113], v[104:105], v[108:109], v[110:111] op_sel_hi:[1,0,1]
	v_pk_fma_f32 v[104:105], v[104:105], v[108:109], v[110:111] neg_lo:[0,0,1] neg_hi:[0,0,1]
	v_mov_b32_e32 v105, v113
	scratch_store_b64 off, v[104:105], off offset:16
.LBB113_510:
	s_wait_xcnt 0x0
	s_or_b32 exec_lo, exec_lo, s2
	scratch_load_b64 v[104:105], off, off offset:24
	s_mov_b32 s2, exec_lo
	s_wait_loadcnt 0x0
	ds_store_b64 v1, v[104:105]
	s_wait_storecnt_dscnt 0x0
	s_barrier_signal -1
	s_barrier_wait -1
	s_wait_xcnt 0x0
	v_cmpx_gt_u32_e32 3, v0
	s_cbranch_execz .LBB113_520
; %bb.511:
	v_cmp_ne_u32_e32 vcc_lo, 1, v106
	s_cbranch_vccnz .LBB113_513
; %bb.512:
	scratch_load_b64 v[104:105], v59, off
	ds_load_b64 v[108:109], v1
	s_wait_loadcnt_dscnt 0x0
	v_pk_mul_f32 v[110:111], v[108:109], v[104:105] op_sel:[1,1] op_sel_hi:[0,1]
	s_delay_alu instid0(VALU_DEP_1) | instskip(SKIP_1) | instid1(VALU_DEP_2)
	v_pk_fma_f32 v[112:113], v[108:109], v[104:105], v[110:111] op_sel_hi:[1,0,1]
	v_pk_fma_f32 v[104:105], v[108:109], v[104:105], v[110:111] neg_lo:[0,0,1] neg_hi:[0,0,1]
	v_mov_b32_e32 v105, v113
	s_cbranch_execz .LBB113_514
	s_branch .LBB113_515
.LBB113_513:
                                        ; implicit-def: $vgpr104_vgpr105
.LBB113_514:
	ds_load_b64 v[104:105], v1
.LBB113_515:
	s_mov_b32 s3, exec_lo
	v_cmpx_ne_u32_e32 2, v0
	s_cbranch_execz .LBB113_519
; %bb.516:
	scratch_load_b64 v[108:109], v59, off offset:8
	ds_load_b64 v[110:111], v1 offset:8
	s_wait_loadcnt_dscnt 0x0
	v_pk_mul_f32 v[112:113], v[110:111], v[108:109] op_sel:[1,1] op_sel_hi:[0,1]
	s_delay_alu instid0(VALU_DEP_1) | instskip(SKIP_1) | instid1(VALU_DEP_2)
	v_pk_fma_f32 v[114:115], v[110:111], v[108:109], v[112:113] op_sel_hi:[1,0,1]
	v_pk_fma_f32 v[108:109], v[110:111], v[108:109], v[112:113] neg_lo:[0,0,1] neg_hi:[0,0,1]
	v_mov_b32_e32 v109, v115
	s_delay_alu instid0(VALU_DEP_1)
	v_pk_add_f32 v[104:105], v[104:105], v[108:109]
	s_and_saveexec_b32 s4, s0
	s_cbranch_execz .LBB113_518
; %bb.517:
	scratch_load_b64 v[108:109], off, off offset:16
	v_mov_b32_e32 v107, 0
	ds_load_b64 v[110:111], v107 offset:416
	s_wait_loadcnt_dscnt 0x0
	v_pk_mul_f32 v[112:113], v[110:111], v[108:109] op_sel:[1,1] op_sel_hi:[0,1]
	s_delay_alu instid0(VALU_DEP_1) | instskip(SKIP_1) | instid1(VALU_DEP_2)
	v_pk_fma_f32 v[114:115], v[110:111], v[108:109], v[112:113] op_sel_hi:[1,0,1]
	v_pk_fma_f32 v[108:109], v[110:111], v[108:109], v[112:113] neg_lo:[0,0,1] neg_hi:[0,0,1]
	v_mov_b32_e32 v109, v115
	s_delay_alu instid0(VALU_DEP_1)
	v_pk_add_f32 v[104:105], v[104:105], v[108:109]
.LBB113_518:
	s_or_b32 exec_lo, exec_lo, s4
.LBB113_519:
	s_delay_alu instid0(SALU_CYCLE_1) | instskip(SKIP_4) | instid1(VALU_DEP_1)
	s_or_b32 exec_lo, exec_lo, s3
	v_mov_b32_e32 v107, 0
	ds_load_b64 v[108:109], v107 offset:24
	s_wait_dscnt 0x0
	v_pk_mul_f32 v[110:111], v[104:105], v[108:109] op_sel:[1,1] op_sel_hi:[0,1]
	v_pk_fma_f32 v[112:113], v[104:105], v[108:109], v[110:111] op_sel_hi:[1,0,1]
	v_pk_fma_f32 v[104:105], v[104:105], v[108:109], v[110:111] neg_lo:[0,0,1] neg_hi:[0,0,1]
	s_delay_alu instid0(VALU_DEP_2)
	v_mov_b32_e32 v105, v113
	scratch_store_b64 off, v[104:105], off offset:24
.LBB113_520:
	s_wait_xcnt 0x0
	s_or_b32 exec_lo, exec_lo, s2
	scratch_load_b64 v[104:105], off, off offset:32
	s_mov_b32 s0, exec_lo
	s_wait_loadcnt 0x0
	ds_store_b64 v1, v[104:105]
	s_wait_storecnt_dscnt 0x0
	s_barrier_signal -1
	s_barrier_wait -1
	s_wait_xcnt 0x0
	v_cmpx_gt_u32_e32 4, v0
	s_cbranch_execz .LBB113_530
; %bb.521:
	v_cmp_ne_u32_e32 vcc_lo, 1, v106
	s_cbranch_vccnz .LBB113_523
; %bb.522:
	scratch_load_b64 v[104:105], v59, off
	ds_load_b64 v[108:109], v1
	s_wait_loadcnt_dscnt 0x0
	v_pk_mul_f32 v[110:111], v[108:109], v[104:105] op_sel:[1,1] op_sel_hi:[0,1]
	s_delay_alu instid0(VALU_DEP_1) | instskip(SKIP_1) | instid1(VALU_DEP_2)
	v_pk_fma_f32 v[112:113], v[108:109], v[104:105], v[110:111] op_sel_hi:[1,0,1]
	v_pk_fma_f32 v[104:105], v[108:109], v[104:105], v[110:111] neg_lo:[0,0,1] neg_hi:[0,0,1]
	v_mov_b32_e32 v105, v113
	s_cbranch_execz .LBB113_524
	s_branch .LBB113_525
.LBB113_523:
                                        ; implicit-def: $vgpr104_vgpr105
.LBB113_524:
	ds_load_b64 v[104:105], v1
.LBB113_525:
	s_mov_b32 s2, exec_lo
	v_cmpx_ne_u32_e32 3, v0
	s_cbranch_execz .LBB113_529
; %bb.526:
	v_add_nc_u32_e32 v107, 0x198, v58
	v_add3_u32 v108, 0, v58, 8
	v_mov_b32_e32 v109, v0
	s_mov_b32 s3, 0
.LBB113_527:                            ; =>This Inner Loop Header: Depth=1
	scratch_load_b64 v[110:111], v108, off
	ds_load_b64 v[112:113], v107
	s_wait_xcnt 0x0
	v_dual_add_nc_u32 v107, 8, v107 :: v_dual_add_nc_u32 v108, 8, v108
	s_wait_loadcnt_dscnt 0x0
	v_pk_mul_f32 v[114:115], v[112:113], v[110:111] op_sel:[1,1] op_sel_hi:[0,1]
	s_delay_alu instid0(VALU_DEP_1) | instskip(SKIP_2) | instid1(VALU_DEP_3)
	v_pk_fma_f32 v[116:117], v[112:113], v[110:111], v[114:115] op_sel_hi:[1,0,1]
	v_add_nc_u32_e32 v109, 1, v109
	v_pk_fma_f32 v[110:111], v[112:113], v[110:111], v[114:115] neg_lo:[0,0,1] neg_hi:[0,0,1]
	v_mov_b32_e32 v111, v117
	s_delay_alu instid0(VALU_DEP_3) | instskip(NEXT) | instid1(VALU_DEP_2)
	v_cmp_lt_u32_e32 vcc_lo, 2, v109
	v_pk_add_f32 v[104:105], v[104:105], v[110:111]
	s_or_b32 s3, vcc_lo, s3
	s_delay_alu instid0(SALU_CYCLE_1)
	s_and_not1_b32 exec_lo, exec_lo, s3
	s_cbranch_execnz .LBB113_527
; %bb.528:
	s_or_b32 exec_lo, exec_lo, s3
.LBB113_529:
	s_delay_alu instid0(SALU_CYCLE_1) | instskip(SKIP_4) | instid1(VALU_DEP_1)
	s_or_b32 exec_lo, exec_lo, s2
	v_mov_b32_e32 v107, 0
	ds_load_b64 v[108:109], v107 offset:32
	s_wait_dscnt 0x0
	v_pk_mul_f32 v[110:111], v[104:105], v[108:109] op_sel:[1,1] op_sel_hi:[0,1]
	v_pk_fma_f32 v[112:113], v[104:105], v[108:109], v[110:111] op_sel_hi:[1,0,1]
	v_pk_fma_f32 v[104:105], v[104:105], v[108:109], v[110:111] neg_lo:[0,0,1] neg_hi:[0,0,1]
	s_delay_alu instid0(VALU_DEP_2)
	v_mov_b32_e32 v105, v113
	scratch_store_b64 off, v[104:105], off offset:32
.LBB113_530:
	s_wait_xcnt 0x0
	s_or_b32 exec_lo, exec_lo, s0
	scratch_load_b64 v[104:105], off, off offset:40
	s_mov_b32 s0, exec_lo
	s_wait_loadcnt 0x0
	ds_store_b64 v1, v[104:105]
	s_wait_storecnt_dscnt 0x0
	s_barrier_signal -1
	s_barrier_wait -1
	s_wait_xcnt 0x0
	v_cmpx_gt_u32_e32 5, v0
	s_cbranch_execz .LBB113_540
; %bb.531:
	v_cmp_ne_u32_e32 vcc_lo, 1, v106
	s_cbranch_vccnz .LBB113_533
; %bb.532:
	scratch_load_b64 v[104:105], v59, off
	ds_load_b64 v[108:109], v1
	s_wait_loadcnt_dscnt 0x0
	v_pk_mul_f32 v[110:111], v[108:109], v[104:105] op_sel:[1,1] op_sel_hi:[0,1]
	s_delay_alu instid0(VALU_DEP_1) | instskip(SKIP_1) | instid1(VALU_DEP_2)
	v_pk_fma_f32 v[112:113], v[108:109], v[104:105], v[110:111] op_sel_hi:[1,0,1]
	v_pk_fma_f32 v[104:105], v[108:109], v[104:105], v[110:111] neg_lo:[0,0,1] neg_hi:[0,0,1]
	v_mov_b32_e32 v105, v113
	s_cbranch_execz .LBB113_534
	s_branch .LBB113_535
.LBB113_533:
                                        ; implicit-def: $vgpr104_vgpr105
.LBB113_534:
	ds_load_b64 v[104:105], v1
.LBB113_535:
	s_mov_b32 s2, exec_lo
	v_cmpx_ne_u32_e32 4, v0
	s_cbranch_execz .LBB113_539
; %bb.536:
	v_add_nc_u32_e32 v107, 0x198, v58
	v_add3_u32 v108, 0, v58, 8
	v_mov_b32_e32 v109, v0
	s_mov_b32 s3, 0
.LBB113_537:                            ; =>This Inner Loop Header: Depth=1
	scratch_load_b64 v[110:111], v108, off
	ds_load_b64 v[112:113], v107
	s_wait_xcnt 0x0
	v_dual_add_nc_u32 v107, 8, v107 :: v_dual_add_nc_u32 v108, 8, v108
	s_wait_loadcnt_dscnt 0x0
	v_pk_mul_f32 v[114:115], v[112:113], v[110:111] op_sel:[1,1] op_sel_hi:[0,1]
	s_delay_alu instid0(VALU_DEP_1) | instskip(SKIP_2) | instid1(VALU_DEP_3)
	v_pk_fma_f32 v[116:117], v[112:113], v[110:111], v[114:115] op_sel_hi:[1,0,1]
	v_add_nc_u32_e32 v109, 1, v109
	v_pk_fma_f32 v[110:111], v[112:113], v[110:111], v[114:115] neg_lo:[0,0,1] neg_hi:[0,0,1]
	v_mov_b32_e32 v111, v117
	s_delay_alu instid0(VALU_DEP_3) | instskip(NEXT) | instid1(VALU_DEP_2)
	v_cmp_lt_u32_e32 vcc_lo, 3, v109
	v_pk_add_f32 v[104:105], v[104:105], v[110:111]
	s_or_b32 s3, vcc_lo, s3
	s_delay_alu instid0(SALU_CYCLE_1)
	s_and_not1_b32 exec_lo, exec_lo, s3
	s_cbranch_execnz .LBB113_537
; %bb.538:
	s_or_b32 exec_lo, exec_lo, s3
.LBB113_539:
	s_delay_alu instid0(SALU_CYCLE_1) | instskip(SKIP_4) | instid1(VALU_DEP_1)
	s_or_b32 exec_lo, exec_lo, s2
	v_mov_b32_e32 v107, 0
	ds_load_b64 v[108:109], v107 offset:40
	s_wait_dscnt 0x0
	v_pk_mul_f32 v[110:111], v[104:105], v[108:109] op_sel:[1,1] op_sel_hi:[0,1]
	v_pk_fma_f32 v[112:113], v[104:105], v[108:109], v[110:111] op_sel_hi:[1,0,1]
	v_pk_fma_f32 v[104:105], v[104:105], v[108:109], v[110:111] neg_lo:[0,0,1] neg_hi:[0,0,1]
	s_delay_alu instid0(VALU_DEP_2)
	v_mov_b32_e32 v105, v113
	scratch_store_b64 off, v[104:105], off offset:40
.LBB113_540:
	s_wait_xcnt 0x0
	s_or_b32 exec_lo, exec_lo, s0
	scratch_load_b64 v[104:105], off, off offset:48
	s_mov_b32 s0, exec_lo
	s_wait_loadcnt 0x0
	ds_store_b64 v1, v[104:105]
	s_wait_storecnt_dscnt 0x0
	s_barrier_signal -1
	s_barrier_wait -1
	s_wait_xcnt 0x0
	v_cmpx_gt_u32_e32 6, v0
	s_cbranch_execz .LBB113_550
; %bb.541:
	v_cmp_ne_u32_e32 vcc_lo, 1, v106
	s_cbranch_vccnz .LBB113_543
; %bb.542:
	scratch_load_b64 v[104:105], v59, off
	ds_load_b64 v[108:109], v1
	s_wait_loadcnt_dscnt 0x0
	v_pk_mul_f32 v[110:111], v[108:109], v[104:105] op_sel:[1,1] op_sel_hi:[0,1]
	s_delay_alu instid0(VALU_DEP_1) | instskip(SKIP_1) | instid1(VALU_DEP_2)
	v_pk_fma_f32 v[112:113], v[108:109], v[104:105], v[110:111] op_sel_hi:[1,0,1]
	v_pk_fma_f32 v[104:105], v[108:109], v[104:105], v[110:111] neg_lo:[0,0,1] neg_hi:[0,0,1]
	v_mov_b32_e32 v105, v113
	s_cbranch_execz .LBB113_544
	s_branch .LBB113_545
.LBB113_543:
                                        ; implicit-def: $vgpr104_vgpr105
.LBB113_544:
	ds_load_b64 v[104:105], v1
.LBB113_545:
	s_mov_b32 s2, exec_lo
	v_cmpx_ne_u32_e32 5, v0
	s_cbranch_execz .LBB113_549
; %bb.546:
	v_add_nc_u32_e32 v107, 0x198, v58
	v_add3_u32 v108, 0, v58, 8
	v_mov_b32_e32 v109, v0
	s_mov_b32 s3, 0
.LBB113_547:                            ; =>This Inner Loop Header: Depth=1
	scratch_load_b64 v[110:111], v108, off
	ds_load_b64 v[112:113], v107
	s_wait_xcnt 0x0
	v_dual_add_nc_u32 v107, 8, v107 :: v_dual_add_nc_u32 v108, 8, v108
	s_wait_loadcnt_dscnt 0x0
	v_pk_mul_f32 v[114:115], v[112:113], v[110:111] op_sel:[1,1] op_sel_hi:[0,1]
	s_delay_alu instid0(VALU_DEP_1) | instskip(SKIP_2) | instid1(VALU_DEP_3)
	v_pk_fma_f32 v[116:117], v[112:113], v[110:111], v[114:115] op_sel_hi:[1,0,1]
	v_add_nc_u32_e32 v109, 1, v109
	v_pk_fma_f32 v[110:111], v[112:113], v[110:111], v[114:115] neg_lo:[0,0,1] neg_hi:[0,0,1]
	v_mov_b32_e32 v111, v117
	s_delay_alu instid0(VALU_DEP_3) | instskip(NEXT) | instid1(VALU_DEP_2)
	v_cmp_lt_u32_e32 vcc_lo, 4, v109
	v_pk_add_f32 v[104:105], v[104:105], v[110:111]
	s_or_b32 s3, vcc_lo, s3
	s_delay_alu instid0(SALU_CYCLE_1)
	s_and_not1_b32 exec_lo, exec_lo, s3
	s_cbranch_execnz .LBB113_547
; %bb.548:
	s_or_b32 exec_lo, exec_lo, s3
.LBB113_549:
	s_delay_alu instid0(SALU_CYCLE_1) | instskip(SKIP_4) | instid1(VALU_DEP_1)
	s_or_b32 exec_lo, exec_lo, s2
	v_mov_b32_e32 v107, 0
	ds_load_b64 v[108:109], v107 offset:48
	s_wait_dscnt 0x0
	v_pk_mul_f32 v[110:111], v[104:105], v[108:109] op_sel:[1,1] op_sel_hi:[0,1]
	v_pk_fma_f32 v[112:113], v[104:105], v[108:109], v[110:111] op_sel_hi:[1,0,1]
	v_pk_fma_f32 v[104:105], v[104:105], v[108:109], v[110:111] neg_lo:[0,0,1] neg_hi:[0,0,1]
	s_delay_alu instid0(VALU_DEP_2)
	v_mov_b32_e32 v105, v113
	scratch_store_b64 off, v[104:105], off offset:48
.LBB113_550:
	s_wait_xcnt 0x0
	s_or_b32 exec_lo, exec_lo, s0
	scratch_load_b64 v[104:105], off, off offset:56
	s_mov_b32 s0, exec_lo
	s_wait_loadcnt 0x0
	ds_store_b64 v1, v[104:105]
	s_wait_storecnt_dscnt 0x0
	s_barrier_signal -1
	s_barrier_wait -1
	s_wait_xcnt 0x0
	v_cmpx_gt_u32_e32 7, v0
	s_cbranch_execz .LBB113_560
; %bb.551:
	v_cmp_ne_u32_e32 vcc_lo, 1, v106
	s_cbranch_vccnz .LBB113_553
; %bb.552:
	scratch_load_b64 v[104:105], v59, off
	ds_load_b64 v[108:109], v1
	s_wait_loadcnt_dscnt 0x0
	v_pk_mul_f32 v[110:111], v[108:109], v[104:105] op_sel:[1,1] op_sel_hi:[0,1]
	s_delay_alu instid0(VALU_DEP_1) | instskip(SKIP_1) | instid1(VALU_DEP_2)
	v_pk_fma_f32 v[112:113], v[108:109], v[104:105], v[110:111] op_sel_hi:[1,0,1]
	v_pk_fma_f32 v[104:105], v[108:109], v[104:105], v[110:111] neg_lo:[0,0,1] neg_hi:[0,0,1]
	v_mov_b32_e32 v105, v113
	s_cbranch_execz .LBB113_554
	s_branch .LBB113_555
.LBB113_553:
                                        ; implicit-def: $vgpr104_vgpr105
.LBB113_554:
	ds_load_b64 v[104:105], v1
.LBB113_555:
	s_mov_b32 s2, exec_lo
	v_cmpx_ne_u32_e32 6, v0
	s_cbranch_execz .LBB113_559
; %bb.556:
	v_add_nc_u32_e32 v107, 0x198, v58
	v_add3_u32 v108, 0, v58, 8
	v_mov_b32_e32 v109, v0
	s_mov_b32 s3, 0
.LBB113_557:                            ; =>This Inner Loop Header: Depth=1
	scratch_load_b64 v[110:111], v108, off
	ds_load_b64 v[112:113], v107
	s_wait_xcnt 0x0
	v_dual_add_nc_u32 v107, 8, v107 :: v_dual_add_nc_u32 v108, 8, v108
	s_wait_loadcnt_dscnt 0x0
	v_pk_mul_f32 v[114:115], v[112:113], v[110:111] op_sel:[1,1] op_sel_hi:[0,1]
	s_delay_alu instid0(VALU_DEP_1) | instskip(SKIP_2) | instid1(VALU_DEP_3)
	v_pk_fma_f32 v[116:117], v[112:113], v[110:111], v[114:115] op_sel_hi:[1,0,1]
	v_add_nc_u32_e32 v109, 1, v109
	v_pk_fma_f32 v[110:111], v[112:113], v[110:111], v[114:115] neg_lo:[0,0,1] neg_hi:[0,0,1]
	v_mov_b32_e32 v111, v117
	s_delay_alu instid0(VALU_DEP_3) | instskip(NEXT) | instid1(VALU_DEP_2)
	v_cmp_lt_u32_e32 vcc_lo, 5, v109
	v_pk_add_f32 v[104:105], v[104:105], v[110:111]
	s_or_b32 s3, vcc_lo, s3
	s_delay_alu instid0(SALU_CYCLE_1)
	s_and_not1_b32 exec_lo, exec_lo, s3
	s_cbranch_execnz .LBB113_557
; %bb.558:
	s_or_b32 exec_lo, exec_lo, s3
.LBB113_559:
	s_delay_alu instid0(SALU_CYCLE_1) | instskip(SKIP_4) | instid1(VALU_DEP_1)
	s_or_b32 exec_lo, exec_lo, s2
	v_mov_b32_e32 v107, 0
	ds_load_b64 v[108:109], v107 offset:56
	s_wait_dscnt 0x0
	v_pk_mul_f32 v[110:111], v[104:105], v[108:109] op_sel:[1,1] op_sel_hi:[0,1]
	v_pk_fma_f32 v[112:113], v[104:105], v[108:109], v[110:111] op_sel_hi:[1,0,1]
	v_pk_fma_f32 v[104:105], v[104:105], v[108:109], v[110:111] neg_lo:[0,0,1] neg_hi:[0,0,1]
	s_delay_alu instid0(VALU_DEP_2)
	v_mov_b32_e32 v105, v113
	scratch_store_b64 off, v[104:105], off offset:56
.LBB113_560:
	s_wait_xcnt 0x0
	s_or_b32 exec_lo, exec_lo, s0
	scratch_load_b64 v[104:105], off, off offset:64
	s_mov_b32 s0, exec_lo
	s_wait_loadcnt 0x0
	ds_store_b64 v1, v[104:105]
	s_wait_storecnt_dscnt 0x0
	s_barrier_signal -1
	s_barrier_wait -1
	s_wait_xcnt 0x0
	v_cmpx_gt_u32_e32 8, v0
	s_cbranch_execz .LBB113_570
; %bb.561:
	v_cmp_ne_u32_e32 vcc_lo, 1, v106
	s_cbranch_vccnz .LBB113_563
; %bb.562:
	scratch_load_b64 v[104:105], v59, off
	ds_load_b64 v[108:109], v1
	s_wait_loadcnt_dscnt 0x0
	v_pk_mul_f32 v[110:111], v[108:109], v[104:105] op_sel:[1,1] op_sel_hi:[0,1]
	s_delay_alu instid0(VALU_DEP_1) | instskip(SKIP_1) | instid1(VALU_DEP_2)
	v_pk_fma_f32 v[112:113], v[108:109], v[104:105], v[110:111] op_sel_hi:[1,0,1]
	v_pk_fma_f32 v[104:105], v[108:109], v[104:105], v[110:111] neg_lo:[0,0,1] neg_hi:[0,0,1]
	v_mov_b32_e32 v105, v113
	s_cbranch_execz .LBB113_564
	s_branch .LBB113_565
.LBB113_563:
                                        ; implicit-def: $vgpr104_vgpr105
.LBB113_564:
	ds_load_b64 v[104:105], v1
.LBB113_565:
	s_mov_b32 s2, exec_lo
	v_cmpx_ne_u32_e32 7, v0
	s_cbranch_execz .LBB113_569
; %bb.566:
	v_add_nc_u32_e32 v107, 0x198, v58
	v_add3_u32 v108, 0, v58, 8
	v_mov_b32_e32 v109, v0
	s_mov_b32 s3, 0
.LBB113_567:                            ; =>This Inner Loop Header: Depth=1
	scratch_load_b64 v[110:111], v108, off
	ds_load_b64 v[112:113], v107
	s_wait_xcnt 0x0
	v_dual_add_nc_u32 v107, 8, v107 :: v_dual_add_nc_u32 v108, 8, v108
	s_wait_loadcnt_dscnt 0x0
	v_pk_mul_f32 v[114:115], v[112:113], v[110:111] op_sel:[1,1] op_sel_hi:[0,1]
	s_delay_alu instid0(VALU_DEP_1) | instskip(SKIP_2) | instid1(VALU_DEP_3)
	v_pk_fma_f32 v[116:117], v[112:113], v[110:111], v[114:115] op_sel_hi:[1,0,1]
	v_add_nc_u32_e32 v109, 1, v109
	v_pk_fma_f32 v[110:111], v[112:113], v[110:111], v[114:115] neg_lo:[0,0,1] neg_hi:[0,0,1]
	v_mov_b32_e32 v111, v117
	s_delay_alu instid0(VALU_DEP_3) | instskip(NEXT) | instid1(VALU_DEP_2)
	v_cmp_lt_u32_e32 vcc_lo, 6, v109
	v_pk_add_f32 v[104:105], v[104:105], v[110:111]
	s_or_b32 s3, vcc_lo, s3
	s_delay_alu instid0(SALU_CYCLE_1)
	s_and_not1_b32 exec_lo, exec_lo, s3
	s_cbranch_execnz .LBB113_567
; %bb.568:
	s_or_b32 exec_lo, exec_lo, s3
.LBB113_569:
	s_delay_alu instid0(SALU_CYCLE_1) | instskip(SKIP_4) | instid1(VALU_DEP_1)
	s_or_b32 exec_lo, exec_lo, s2
	v_mov_b32_e32 v107, 0
	ds_load_b64 v[108:109], v107 offset:64
	s_wait_dscnt 0x0
	v_pk_mul_f32 v[110:111], v[104:105], v[108:109] op_sel:[1,1] op_sel_hi:[0,1]
	v_pk_fma_f32 v[112:113], v[104:105], v[108:109], v[110:111] op_sel_hi:[1,0,1]
	v_pk_fma_f32 v[104:105], v[104:105], v[108:109], v[110:111] neg_lo:[0,0,1] neg_hi:[0,0,1]
	s_delay_alu instid0(VALU_DEP_2)
	v_mov_b32_e32 v105, v113
	scratch_store_b64 off, v[104:105], off offset:64
.LBB113_570:
	s_wait_xcnt 0x0
	s_or_b32 exec_lo, exec_lo, s0
	scratch_load_b64 v[104:105], off, off offset:72
	s_mov_b32 s0, exec_lo
	s_wait_loadcnt 0x0
	ds_store_b64 v1, v[104:105]
	s_wait_storecnt_dscnt 0x0
	s_barrier_signal -1
	s_barrier_wait -1
	s_wait_xcnt 0x0
	v_cmpx_gt_u32_e32 9, v0
	s_cbranch_execz .LBB113_580
; %bb.571:
	v_cmp_ne_u32_e32 vcc_lo, 1, v106
	s_cbranch_vccnz .LBB113_573
; %bb.572:
	scratch_load_b64 v[104:105], v59, off
	ds_load_b64 v[108:109], v1
	s_wait_loadcnt_dscnt 0x0
	v_pk_mul_f32 v[110:111], v[108:109], v[104:105] op_sel:[1,1] op_sel_hi:[0,1]
	s_delay_alu instid0(VALU_DEP_1) | instskip(SKIP_1) | instid1(VALU_DEP_2)
	v_pk_fma_f32 v[112:113], v[108:109], v[104:105], v[110:111] op_sel_hi:[1,0,1]
	v_pk_fma_f32 v[104:105], v[108:109], v[104:105], v[110:111] neg_lo:[0,0,1] neg_hi:[0,0,1]
	v_mov_b32_e32 v105, v113
	s_cbranch_execz .LBB113_574
	s_branch .LBB113_575
.LBB113_573:
                                        ; implicit-def: $vgpr104_vgpr105
.LBB113_574:
	ds_load_b64 v[104:105], v1
.LBB113_575:
	s_mov_b32 s2, exec_lo
	v_cmpx_ne_u32_e32 8, v0
	s_cbranch_execz .LBB113_579
; %bb.576:
	v_add_nc_u32_e32 v107, 0x198, v58
	v_add3_u32 v108, 0, v58, 8
	v_mov_b32_e32 v109, v0
	s_mov_b32 s3, 0
.LBB113_577:                            ; =>This Inner Loop Header: Depth=1
	scratch_load_b64 v[110:111], v108, off
	ds_load_b64 v[112:113], v107
	s_wait_xcnt 0x0
	v_dual_add_nc_u32 v107, 8, v107 :: v_dual_add_nc_u32 v108, 8, v108
	s_wait_loadcnt_dscnt 0x0
	v_pk_mul_f32 v[114:115], v[112:113], v[110:111] op_sel:[1,1] op_sel_hi:[0,1]
	s_delay_alu instid0(VALU_DEP_1) | instskip(SKIP_2) | instid1(VALU_DEP_3)
	v_pk_fma_f32 v[116:117], v[112:113], v[110:111], v[114:115] op_sel_hi:[1,0,1]
	v_add_nc_u32_e32 v109, 1, v109
	v_pk_fma_f32 v[110:111], v[112:113], v[110:111], v[114:115] neg_lo:[0,0,1] neg_hi:[0,0,1]
	v_mov_b32_e32 v111, v117
	s_delay_alu instid0(VALU_DEP_3) | instskip(NEXT) | instid1(VALU_DEP_2)
	v_cmp_lt_u32_e32 vcc_lo, 7, v109
	v_pk_add_f32 v[104:105], v[104:105], v[110:111]
	s_or_b32 s3, vcc_lo, s3
	s_delay_alu instid0(SALU_CYCLE_1)
	s_and_not1_b32 exec_lo, exec_lo, s3
	s_cbranch_execnz .LBB113_577
; %bb.578:
	s_or_b32 exec_lo, exec_lo, s3
.LBB113_579:
	s_delay_alu instid0(SALU_CYCLE_1) | instskip(SKIP_4) | instid1(VALU_DEP_1)
	s_or_b32 exec_lo, exec_lo, s2
	v_mov_b32_e32 v107, 0
	ds_load_b64 v[108:109], v107 offset:72
	s_wait_dscnt 0x0
	v_pk_mul_f32 v[110:111], v[104:105], v[108:109] op_sel:[1,1] op_sel_hi:[0,1]
	v_pk_fma_f32 v[112:113], v[104:105], v[108:109], v[110:111] op_sel_hi:[1,0,1]
	v_pk_fma_f32 v[104:105], v[104:105], v[108:109], v[110:111] neg_lo:[0,0,1] neg_hi:[0,0,1]
	s_delay_alu instid0(VALU_DEP_2)
	v_mov_b32_e32 v105, v113
	scratch_store_b64 off, v[104:105], off offset:72
.LBB113_580:
	s_wait_xcnt 0x0
	s_or_b32 exec_lo, exec_lo, s0
	scratch_load_b64 v[104:105], off, off offset:80
	s_mov_b32 s0, exec_lo
	s_wait_loadcnt 0x0
	ds_store_b64 v1, v[104:105]
	s_wait_storecnt_dscnt 0x0
	s_barrier_signal -1
	s_barrier_wait -1
	s_wait_xcnt 0x0
	v_cmpx_gt_u32_e32 10, v0
	s_cbranch_execz .LBB113_590
; %bb.581:
	v_cmp_ne_u32_e32 vcc_lo, 1, v106
	s_cbranch_vccnz .LBB113_583
; %bb.582:
	scratch_load_b64 v[104:105], v59, off
	ds_load_b64 v[108:109], v1
	s_wait_loadcnt_dscnt 0x0
	v_pk_mul_f32 v[110:111], v[108:109], v[104:105] op_sel:[1,1] op_sel_hi:[0,1]
	s_delay_alu instid0(VALU_DEP_1) | instskip(SKIP_1) | instid1(VALU_DEP_2)
	v_pk_fma_f32 v[112:113], v[108:109], v[104:105], v[110:111] op_sel_hi:[1,0,1]
	v_pk_fma_f32 v[104:105], v[108:109], v[104:105], v[110:111] neg_lo:[0,0,1] neg_hi:[0,0,1]
	v_mov_b32_e32 v105, v113
	s_cbranch_execz .LBB113_584
	s_branch .LBB113_585
.LBB113_583:
                                        ; implicit-def: $vgpr104_vgpr105
.LBB113_584:
	ds_load_b64 v[104:105], v1
.LBB113_585:
	s_mov_b32 s2, exec_lo
	v_cmpx_ne_u32_e32 9, v0
	s_cbranch_execz .LBB113_589
; %bb.586:
	v_add_nc_u32_e32 v107, 0x198, v58
	v_add3_u32 v108, 0, v58, 8
	v_mov_b32_e32 v109, v0
	s_mov_b32 s3, 0
.LBB113_587:                            ; =>This Inner Loop Header: Depth=1
	scratch_load_b64 v[110:111], v108, off
	ds_load_b64 v[112:113], v107
	s_wait_xcnt 0x0
	v_dual_add_nc_u32 v107, 8, v107 :: v_dual_add_nc_u32 v108, 8, v108
	s_wait_loadcnt_dscnt 0x0
	v_pk_mul_f32 v[114:115], v[112:113], v[110:111] op_sel:[1,1] op_sel_hi:[0,1]
	s_delay_alu instid0(VALU_DEP_1) | instskip(SKIP_2) | instid1(VALU_DEP_3)
	v_pk_fma_f32 v[116:117], v[112:113], v[110:111], v[114:115] op_sel_hi:[1,0,1]
	v_add_nc_u32_e32 v109, 1, v109
	v_pk_fma_f32 v[110:111], v[112:113], v[110:111], v[114:115] neg_lo:[0,0,1] neg_hi:[0,0,1]
	v_mov_b32_e32 v111, v117
	s_delay_alu instid0(VALU_DEP_3) | instskip(NEXT) | instid1(VALU_DEP_2)
	v_cmp_lt_u32_e32 vcc_lo, 8, v109
	v_pk_add_f32 v[104:105], v[104:105], v[110:111]
	s_or_b32 s3, vcc_lo, s3
	s_delay_alu instid0(SALU_CYCLE_1)
	s_and_not1_b32 exec_lo, exec_lo, s3
	s_cbranch_execnz .LBB113_587
; %bb.588:
	s_or_b32 exec_lo, exec_lo, s3
.LBB113_589:
	s_delay_alu instid0(SALU_CYCLE_1) | instskip(SKIP_4) | instid1(VALU_DEP_1)
	s_or_b32 exec_lo, exec_lo, s2
	v_mov_b32_e32 v107, 0
	ds_load_b64 v[108:109], v107 offset:80
	s_wait_dscnt 0x0
	v_pk_mul_f32 v[110:111], v[104:105], v[108:109] op_sel:[1,1] op_sel_hi:[0,1]
	v_pk_fma_f32 v[112:113], v[104:105], v[108:109], v[110:111] op_sel_hi:[1,0,1]
	v_pk_fma_f32 v[104:105], v[104:105], v[108:109], v[110:111] neg_lo:[0,0,1] neg_hi:[0,0,1]
	s_delay_alu instid0(VALU_DEP_2)
	v_mov_b32_e32 v105, v113
	scratch_store_b64 off, v[104:105], off offset:80
.LBB113_590:
	s_wait_xcnt 0x0
	s_or_b32 exec_lo, exec_lo, s0
	scratch_load_b64 v[104:105], off, off offset:88
	s_mov_b32 s0, exec_lo
	s_wait_loadcnt 0x0
	ds_store_b64 v1, v[104:105]
	s_wait_storecnt_dscnt 0x0
	s_barrier_signal -1
	s_barrier_wait -1
	s_wait_xcnt 0x0
	v_cmpx_gt_u32_e32 11, v0
	s_cbranch_execz .LBB113_600
; %bb.591:
	v_cmp_ne_u32_e32 vcc_lo, 1, v106
	s_cbranch_vccnz .LBB113_593
; %bb.592:
	scratch_load_b64 v[104:105], v59, off
	ds_load_b64 v[108:109], v1
	s_wait_loadcnt_dscnt 0x0
	v_pk_mul_f32 v[110:111], v[108:109], v[104:105] op_sel:[1,1] op_sel_hi:[0,1]
	s_delay_alu instid0(VALU_DEP_1) | instskip(SKIP_1) | instid1(VALU_DEP_2)
	v_pk_fma_f32 v[112:113], v[108:109], v[104:105], v[110:111] op_sel_hi:[1,0,1]
	v_pk_fma_f32 v[104:105], v[108:109], v[104:105], v[110:111] neg_lo:[0,0,1] neg_hi:[0,0,1]
	v_mov_b32_e32 v105, v113
	s_cbranch_execz .LBB113_594
	s_branch .LBB113_595
.LBB113_593:
                                        ; implicit-def: $vgpr104_vgpr105
.LBB113_594:
	ds_load_b64 v[104:105], v1
.LBB113_595:
	s_mov_b32 s2, exec_lo
	v_cmpx_ne_u32_e32 10, v0
	s_cbranch_execz .LBB113_599
; %bb.596:
	v_add_nc_u32_e32 v107, 0x198, v58
	v_add3_u32 v108, 0, v58, 8
	v_mov_b32_e32 v109, v0
	s_mov_b32 s3, 0
.LBB113_597:                            ; =>This Inner Loop Header: Depth=1
	scratch_load_b64 v[110:111], v108, off
	ds_load_b64 v[112:113], v107
	s_wait_xcnt 0x0
	v_dual_add_nc_u32 v107, 8, v107 :: v_dual_add_nc_u32 v108, 8, v108
	s_wait_loadcnt_dscnt 0x0
	v_pk_mul_f32 v[114:115], v[112:113], v[110:111] op_sel:[1,1] op_sel_hi:[0,1]
	s_delay_alu instid0(VALU_DEP_1) | instskip(SKIP_2) | instid1(VALU_DEP_3)
	v_pk_fma_f32 v[116:117], v[112:113], v[110:111], v[114:115] op_sel_hi:[1,0,1]
	v_add_nc_u32_e32 v109, 1, v109
	v_pk_fma_f32 v[110:111], v[112:113], v[110:111], v[114:115] neg_lo:[0,0,1] neg_hi:[0,0,1]
	v_mov_b32_e32 v111, v117
	s_delay_alu instid0(VALU_DEP_3) | instskip(NEXT) | instid1(VALU_DEP_2)
	v_cmp_lt_u32_e32 vcc_lo, 9, v109
	v_pk_add_f32 v[104:105], v[104:105], v[110:111]
	s_or_b32 s3, vcc_lo, s3
	s_delay_alu instid0(SALU_CYCLE_1)
	s_and_not1_b32 exec_lo, exec_lo, s3
	s_cbranch_execnz .LBB113_597
; %bb.598:
	s_or_b32 exec_lo, exec_lo, s3
.LBB113_599:
	s_delay_alu instid0(SALU_CYCLE_1) | instskip(SKIP_4) | instid1(VALU_DEP_1)
	s_or_b32 exec_lo, exec_lo, s2
	v_mov_b32_e32 v107, 0
	ds_load_b64 v[108:109], v107 offset:88
	s_wait_dscnt 0x0
	v_pk_mul_f32 v[110:111], v[104:105], v[108:109] op_sel:[1,1] op_sel_hi:[0,1]
	v_pk_fma_f32 v[112:113], v[104:105], v[108:109], v[110:111] op_sel_hi:[1,0,1]
	v_pk_fma_f32 v[104:105], v[104:105], v[108:109], v[110:111] neg_lo:[0,0,1] neg_hi:[0,0,1]
	s_delay_alu instid0(VALU_DEP_2)
	v_mov_b32_e32 v105, v113
	scratch_store_b64 off, v[104:105], off offset:88
.LBB113_600:
	s_wait_xcnt 0x0
	s_or_b32 exec_lo, exec_lo, s0
	scratch_load_b64 v[104:105], off, off offset:96
	s_mov_b32 s0, exec_lo
	s_wait_loadcnt 0x0
	ds_store_b64 v1, v[104:105]
	s_wait_storecnt_dscnt 0x0
	s_barrier_signal -1
	s_barrier_wait -1
	s_wait_xcnt 0x0
	v_cmpx_gt_u32_e32 12, v0
	s_cbranch_execz .LBB113_610
; %bb.601:
	v_cmp_ne_u32_e32 vcc_lo, 1, v106
	s_cbranch_vccnz .LBB113_603
; %bb.602:
	scratch_load_b64 v[104:105], v59, off
	ds_load_b64 v[108:109], v1
	s_wait_loadcnt_dscnt 0x0
	v_pk_mul_f32 v[110:111], v[108:109], v[104:105] op_sel:[1,1] op_sel_hi:[0,1]
	s_delay_alu instid0(VALU_DEP_1) | instskip(SKIP_1) | instid1(VALU_DEP_2)
	v_pk_fma_f32 v[112:113], v[108:109], v[104:105], v[110:111] op_sel_hi:[1,0,1]
	v_pk_fma_f32 v[104:105], v[108:109], v[104:105], v[110:111] neg_lo:[0,0,1] neg_hi:[0,0,1]
	v_mov_b32_e32 v105, v113
	s_cbranch_execz .LBB113_604
	s_branch .LBB113_605
.LBB113_603:
                                        ; implicit-def: $vgpr104_vgpr105
.LBB113_604:
	ds_load_b64 v[104:105], v1
.LBB113_605:
	s_mov_b32 s2, exec_lo
	v_cmpx_ne_u32_e32 11, v0
	s_cbranch_execz .LBB113_609
; %bb.606:
	v_add_nc_u32_e32 v107, 0x198, v58
	v_add3_u32 v108, 0, v58, 8
	v_mov_b32_e32 v109, v0
	s_mov_b32 s3, 0
.LBB113_607:                            ; =>This Inner Loop Header: Depth=1
	scratch_load_b64 v[110:111], v108, off
	ds_load_b64 v[112:113], v107
	s_wait_xcnt 0x0
	v_dual_add_nc_u32 v107, 8, v107 :: v_dual_add_nc_u32 v108, 8, v108
	s_wait_loadcnt_dscnt 0x0
	v_pk_mul_f32 v[114:115], v[112:113], v[110:111] op_sel:[1,1] op_sel_hi:[0,1]
	s_delay_alu instid0(VALU_DEP_1) | instskip(SKIP_2) | instid1(VALU_DEP_3)
	v_pk_fma_f32 v[116:117], v[112:113], v[110:111], v[114:115] op_sel_hi:[1,0,1]
	v_add_nc_u32_e32 v109, 1, v109
	v_pk_fma_f32 v[110:111], v[112:113], v[110:111], v[114:115] neg_lo:[0,0,1] neg_hi:[0,0,1]
	v_mov_b32_e32 v111, v117
	s_delay_alu instid0(VALU_DEP_3) | instskip(NEXT) | instid1(VALU_DEP_2)
	v_cmp_lt_u32_e32 vcc_lo, 10, v109
	v_pk_add_f32 v[104:105], v[104:105], v[110:111]
	s_or_b32 s3, vcc_lo, s3
	s_delay_alu instid0(SALU_CYCLE_1)
	s_and_not1_b32 exec_lo, exec_lo, s3
	s_cbranch_execnz .LBB113_607
; %bb.608:
	s_or_b32 exec_lo, exec_lo, s3
.LBB113_609:
	s_delay_alu instid0(SALU_CYCLE_1) | instskip(SKIP_4) | instid1(VALU_DEP_1)
	s_or_b32 exec_lo, exec_lo, s2
	v_mov_b32_e32 v107, 0
	ds_load_b64 v[108:109], v107 offset:96
	s_wait_dscnt 0x0
	v_pk_mul_f32 v[110:111], v[104:105], v[108:109] op_sel:[1,1] op_sel_hi:[0,1]
	v_pk_fma_f32 v[112:113], v[104:105], v[108:109], v[110:111] op_sel_hi:[1,0,1]
	v_pk_fma_f32 v[104:105], v[104:105], v[108:109], v[110:111] neg_lo:[0,0,1] neg_hi:[0,0,1]
	s_delay_alu instid0(VALU_DEP_2)
	v_mov_b32_e32 v105, v113
	scratch_store_b64 off, v[104:105], off offset:96
.LBB113_610:
	s_wait_xcnt 0x0
	s_or_b32 exec_lo, exec_lo, s0
	scratch_load_b64 v[104:105], off, off offset:104
	s_mov_b32 s0, exec_lo
	s_wait_loadcnt 0x0
	ds_store_b64 v1, v[104:105]
	s_wait_storecnt_dscnt 0x0
	s_barrier_signal -1
	s_barrier_wait -1
	s_wait_xcnt 0x0
	v_cmpx_gt_u32_e32 13, v0
	s_cbranch_execz .LBB113_620
; %bb.611:
	v_cmp_ne_u32_e32 vcc_lo, 1, v106
	s_cbranch_vccnz .LBB113_613
; %bb.612:
	scratch_load_b64 v[104:105], v59, off
	ds_load_b64 v[108:109], v1
	s_wait_loadcnt_dscnt 0x0
	v_pk_mul_f32 v[110:111], v[108:109], v[104:105] op_sel:[1,1] op_sel_hi:[0,1]
	s_delay_alu instid0(VALU_DEP_1) | instskip(SKIP_1) | instid1(VALU_DEP_2)
	v_pk_fma_f32 v[112:113], v[108:109], v[104:105], v[110:111] op_sel_hi:[1,0,1]
	v_pk_fma_f32 v[104:105], v[108:109], v[104:105], v[110:111] neg_lo:[0,0,1] neg_hi:[0,0,1]
	v_mov_b32_e32 v105, v113
	s_cbranch_execz .LBB113_614
	s_branch .LBB113_615
.LBB113_613:
                                        ; implicit-def: $vgpr104_vgpr105
.LBB113_614:
	ds_load_b64 v[104:105], v1
.LBB113_615:
	s_mov_b32 s2, exec_lo
	v_cmpx_ne_u32_e32 12, v0
	s_cbranch_execz .LBB113_619
; %bb.616:
	v_add_nc_u32_e32 v107, 0x198, v58
	v_add3_u32 v108, 0, v58, 8
	v_mov_b32_e32 v109, v0
	s_mov_b32 s3, 0
.LBB113_617:                            ; =>This Inner Loop Header: Depth=1
	scratch_load_b64 v[110:111], v108, off
	ds_load_b64 v[112:113], v107
	s_wait_xcnt 0x0
	v_dual_add_nc_u32 v107, 8, v107 :: v_dual_add_nc_u32 v108, 8, v108
	s_wait_loadcnt_dscnt 0x0
	v_pk_mul_f32 v[114:115], v[112:113], v[110:111] op_sel:[1,1] op_sel_hi:[0,1]
	s_delay_alu instid0(VALU_DEP_1) | instskip(SKIP_2) | instid1(VALU_DEP_3)
	v_pk_fma_f32 v[116:117], v[112:113], v[110:111], v[114:115] op_sel_hi:[1,0,1]
	v_add_nc_u32_e32 v109, 1, v109
	v_pk_fma_f32 v[110:111], v[112:113], v[110:111], v[114:115] neg_lo:[0,0,1] neg_hi:[0,0,1]
	v_mov_b32_e32 v111, v117
	s_delay_alu instid0(VALU_DEP_3) | instskip(NEXT) | instid1(VALU_DEP_2)
	v_cmp_lt_u32_e32 vcc_lo, 11, v109
	v_pk_add_f32 v[104:105], v[104:105], v[110:111]
	s_or_b32 s3, vcc_lo, s3
	s_delay_alu instid0(SALU_CYCLE_1)
	s_and_not1_b32 exec_lo, exec_lo, s3
	s_cbranch_execnz .LBB113_617
; %bb.618:
	s_or_b32 exec_lo, exec_lo, s3
.LBB113_619:
	s_delay_alu instid0(SALU_CYCLE_1) | instskip(SKIP_4) | instid1(VALU_DEP_1)
	s_or_b32 exec_lo, exec_lo, s2
	v_mov_b32_e32 v107, 0
	ds_load_b64 v[108:109], v107 offset:104
	s_wait_dscnt 0x0
	v_pk_mul_f32 v[110:111], v[104:105], v[108:109] op_sel:[1,1] op_sel_hi:[0,1]
	v_pk_fma_f32 v[112:113], v[104:105], v[108:109], v[110:111] op_sel_hi:[1,0,1]
	v_pk_fma_f32 v[104:105], v[104:105], v[108:109], v[110:111] neg_lo:[0,0,1] neg_hi:[0,0,1]
	s_delay_alu instid0(VALU_DEP_2)
	v_mov_b32_e32 v105, v113
	scratch_store_b64 off, v[104:105], off offset:104
.LBB113_620:
	s_wait_xcnt 0x0
	s_or_b32 exec_lo, exec_lo, s0
	scratch_load_b64 v[104:105], off, off offset:112
	s_mov_b32 s0, exec_lo
	s_wait_loadcnt 0x0
	ds_store_b64 v1, v[104:105]
	s_wait_storecnt_dscnt 0x0
	s_barrier_signal -1
	s_barrier_wait -1
	s_wait_xcnt 0x0
	v_cmpx_gt_u32_e32 14, v0
	s_cbranch_execz .LBB113_630
; %bb.621:
	v_cmp_ne_u32_e32 vcc_lo, 1, v106
	s_cbranch_vccnz .LBB113_623
; %bb.622:
	scratch_load_b64 v[104:105], v59, off
	ds_load_b64 v[108:109], v1
	s_wait_loadcnt_dscnt 0x0
	v_pk_mul_f32 v[110:111], v[108:109], v[104:105] op_sel:[1,1] op_sel_hi:[0,1]
	s_delay_alu instid0(VALU_DEP_1) | instskip(SKIP_1) | instid1(VALU_DEP_2)
	v_pk_fma_f32 v[112:113], v[108:109], v[104:105], v[110:111] op_sel_hi:[1,0,1]
	v_pk_fma_f32 v[104:105], v[108:109], v[104:105], v[110:111] neg_lo:[0,0,1] neg_hi:[0,0,1]
	v_mov_b32_e32 v105, v113
	s_cbranch_execz .LBB113_624
	s_branch .LBB113_625
.LBB113_623:
                                        ; implicit-def: $vgpr104_vgpr105
.LBB113_624:
	ds_load_b64 v[104:105], v1
.LBB113_625:
	s_mov_b32 s2, exec_lo
	v_cmpx_ne_u32_e32 13, v0
	s_cbranch_execz .LBB113_629
; %bb.626:
	v_add_nc_u32_e32 v107, 0x198, v58
	v_add3_u32 v108, 0, v58, 8
	v_mov_b32_e32 v109, v0
	s_mov_b32 s3, 0
.LBB113_627:                            ; =>This Inner Loop Header: Depth=1
	scratch_load_b64 v[110:111], v108, off
	ds_load_b64 v[112:113], v107
	s_wait_xcnt 0x0
	v_dual_add_nc_u32 v107, 8, v107 :: v_dual_add_nc_u32 v108, 8, v108
	s_wait_loadcnt_dscnt 0x0
	v_pk_mul_f32 v[114:115], v[112:113], v[110:111] op_sel:[1,1] op_sel_hi:[0,1]
	s_delay_alu instid0(VALU_DEP_1) | instskip(SKIP_2) | instid1(VALU_DEP_3)
	v_pk_fma_f32 v[116:117], v[112:113], v[110:111], v[114:115] op_sel_hi:[1,0,1]
	v_add_nc_u32_e32 v109, 1, v109
	v_pk_fma_f32 v[110:111], v[112:113], v[110:111], v[114:115] neg_lo:[0,0,1] neg_hi:[0,0,1]
	v_mov_b32_e32 v111, v117
	s_delay_alu instid0(VALU_DEP_3) | instskip(NEXT) | instid1(VALU_DEP_2)
	v_cmp_lt_u32_e32 vcc_lo, 12, v109
	v_pk_add_f32 v[104:105], v[104:105], v[110:111]
	s_or_b32 s3, vcc_lo, s3
	s_delay_alu instid0(SALU_CYCLE_1)
	s_and_not1_b32 exec_lo, exec_lo, s3
	s_cbranch_execnz .LBB113_627
; %bb.628:
	s_or_b32 exec_lo, exec_lo, s3
.LBB113_629:
	s_delay_alu instid0(SALU_CYCLE_1) | instskip(SKIP_4) | instid1(VALU_DEP_1)
	s_or_b32 exec_lo, exec_lo, s2
	v_mov_b32_e32 v107, 0
	ds_load_b64 v[108:109], v107 offset:112
	s_wait_dscnt 0x0
	v_pk_mul_f32 v[110:111], v[104:105], v[108:109] op_sel:[1,1] op_sel_hi:[0,1]
	v_pk_fma_f32 v[112:113], v[104:105], v[108:109], v[110:111] op_sel_hi:[1,0,1]
	v_pk_fma_f32 v[104:105], v[104:105], v[108:109], v[110:111] neg_lo:[0,0,1] neg_hi:[0,0,1]
	s_delay_alu instid0(VALU_DEP_2)
	v_mov_b32_e32 v105, v113
	scratch_store_b64 off, v[104:105], off offset:112
.LBB113_630:
	s_wait_xcnt 0x0
	s_or_b32 exec_lo, exec_lo, s0
	scratch_load_b64 v[104:105], off, off offset:120
	s_mov_b32 s0, exec_lo
	s_wait_loadcnt 0x0
	ds_store_b64 v1, v[104:105]
	s_wait_storecnt_dscnt 0x0
	s_barrier_signal -1
	s_barrier_wait -1
	s_wait_xcnt 0x0
	v_cmpx_gt_u32_e32 15, v0
	s_cbranch_execz .LBB113_640
; %bb.631:
	v_cmp_ne_u32_e32 vcc_lo, 1, v106
	s_cbranch_vccnz .LBB113_633
; %bb.632:
	scratch_load_b64 v[104:105], v59, off
	ds_load_b64 v[108:109], v1
	s_wait_loadcnt_dscnt 0x0
	v_pk_mul_f32 v[110:111], v[108:109], v[104:105] op_sel:[1,1] op_sel_hi:[0,1]
	s_delay_alu instid0(VALU_DEP_1) | instskip(SKIP_1) | instid1(VALU_DEP_2)
	v_pk_fma_f32 v[112:113], v[108:109], v[104:105], v[110:111] op_sel_hi:[1,0,1]
	v_pk_fma_f32 v[104:105], v[108:109], v[104:105], v[110:111] neg_lo:[0,0,1] neg_hi:[0,0,1]
	v_mov_b32_e32 v105, v113
	s_cbranch_execz .LBB113_634
	s_branch .LBB113_635
.LBB113_633:
                                        ; implicit-def: $vgpr104_vgpr105
.LBB113_634:
	ds_load_b64 v[104:105], v1
.LBB113_635:
	s_mov_b32 s2, exec_lo
	v_cmpx_ne_u32_e32 14, v0
	s_cbranch_execz .LBB113_639
; %bb.636:
	v_add_nc_u32_e32 v107, 0x198, v58
	v_add3_u32 v108, 0, v58, 8
	v_mov_b32_e32 v109, v0
	s_mov_b32 s3, 0
.LBB113_637:                            ; =>This Inner Loop Header: Depth=1
	scratch_load_b64 v[110:111], v108, off
	ds_load_b64 v[112:113], v107
	s_wait_xcnt 0x0
	v_dual_add_nc_u32 v107, 8, v107 :: v_dual_add_nc_u32 v108, 8, v108
	s_wait_loadcnt_dscnt 0x0
	v_pk_mul_f32 v[114:115], v[112:113], v[110:111] op_sel:[1,1] op_sel_hi:[0,1]
	s_delay_alu instid0(VALU_DEP_1) | instskip(SKIP_2) | instid1(VALU_DEP_3)
	v_pk_fma_f32 v[116:117], v[112:113], v[110:111], v[114:115] op_sel_hi:[1,0,1]
	v_add_nc_u32_e32 v109, 1, v109
	v_pk_fma_f32 v[110:111], v[112:113], v[110:111], v[114:115] neg_lo:[0,0,1] neg_hi:[0,0,1]
	v_mov_b32_e32 v111, v117
	s_delay_alu instid0(VALU_DEP_3) | instskip(NEXT) | instid1(VALU_DEP_2)
	v_cmp_lt_u32_e32 vcc_lo, 13, v109
	v_pk_add_f32 v[104:105], v[104:105], v[110:111]
	s_or_b32 s3, vcc_lo, s3
	s_delay_alu instid0(SALU_CYCLE_1)
	s_and_not1_b32 exec_lo, exec_lo, s3
	s_cbranch_execnz .LBB113_637
; %bb.638:
	s_or_b32 exec_lo, exec_lo, s3
.LBB113_639:
	s_delay_alu instid0(SALU_CYCLE_1) | instskip(SKIP_4) | instid1(VALU_DEP_1)
	s_or_b32 exec_lo, exec_lo, s2
	v_mov_b32_e32 v107, 0
	ds_load_b64 v[108:109], v107 offset:120
	s_wait_dscnt 0x0
	v_pk_mul_f32 v[110:111], v[104:105], v[108:109] op_sel:[1,1] op_sel_hi:[0,1]
	v_pk_fma_f32 v[112:113], v[104:105], v[108:109], v[110:111] op_sel_hi:[1,0,1]
	v_pk_fma_f32 v[104:105], v[104:105], v[108:109], v[110:111] neg_lo:[0,0,1] neg_hi:[0,0,1]
	s_delay_alu instid0(VALU_DEP_2)
	v_mov_b32_e32 v105, v113
	scratch_store_b64 off, v[104:105], off offset:120
.LBB113_640:
	s_wait_xcnt 0x0
	s_or_b32 exec_lo, exec_lo, s0
	scratch_load_b64 v[104:105], off, off offset:128
	s_mov_b32 s0, exec_lo
	s_wait_loadcnt 0x0
	ds_store_b64 v1, v[104:105]
	s_wait_storecnt_dscnt 0x0
	s_barrier_signal -1
	s_barrier_wait -1
	s_wait_xcnt 0x0
	v_cmpx_gt_u32_e32 16, v0
	s_cbranch_execz .LBB113_650
; %bb.641:
	v_cmp_ne_u32_e32 vcc_lo, 1, v106
	s_cbranch_vccnz .LBB113_643
; %bb.642:
	scratch_load_b64 v[104:105], v59, off
	ds_load_b64 v[108:109], v1
	s_wait_loadcnt_dscnt 0x0
	v_pk_mul_f32 v[110:111], v[108:109], v[104:105] op_sel:[1,1] op_sel_hi:[0,1]
	s_delay_alu instid0(VALU_DEP_1) | instskip(SKIP_1) | instid1(VALU_DEP_2)
	v_pk_fma_f32 v[112:113], v[108:109], v[104:105], v[110:111] op_sel_hi:[1,0,1]
	v_pk_fma_f32 v[104:105], v[108:109], v[104:105], v[110:111] neg_lo:[0,0,1] neg_hi:[0,0,1]
	v_mov_b32_e32 v105, v113
	s_cbranch_execz .LBB113_644
	s_branch .LBB113_645
.LBB113_643:
                                        ; implicit-def: $vgpr104_vgpr105
.LBB113_644:
	ds_load_b64 v[104:105], v1
.LBB113_645:
	s_mov_b32 s2, exec_lo
	v_cmpx_ne_u32_e32 15, v0
	s_cbranch_execz .LBB113_649
; %bb.646:
	v_add_nc_u32_e32 v107, 0x198, v58
	v_add3_u32 v108, 0, v58, 8
	v_mov_b32_e32 v109, v0
	s_mov_b32 s3, 0
.LBB113_647:                            ; =>This Inner Loop Header: Depth=1
	scratch_load_b64 v[110:111], v108, off
	ds_load_b64 v[112:113], v107
	s_wait_xcnt 0x0
	v_dual_add_nc_u32 v107, 8, v107 :: v_dual_add_nc_u32 v108, 8, v108
	s_wait_loadcnt_dscnt 0x0
	v_pk_mul_f32 v[114:115], v[112:113], v[110:111] op_sel:[1,1] op_sel_hi:[0,1]
	s_delay_alu instid0(VALU_DEP_1) | instskip(SKIP_2) | instid1(VALU_DEP_3)
	v_pk_fma_f32 v[116:117], v[112:113], v[110:111], v[114:115] op_sel_hi:[1,0,1]
	v_add_nc_u32_e32 v109, 1, v109
	v_pk_fma_f32 v[110:111], v[112:113], v[110:111], v[114:115] neg_lo:[0,0,1] neg_hi:[0,0,1]
	v_mov_b32_e32 v111, v117
	s_delay_alu instid0(VALU_DEP_3) | instskip(NEXT) | instid1(VALU_DEP_2)
	v_cmp_lt_u32_e32 vcc_lo, 14, v109
	v_pk_add_f32 v[104:105], v[104:105], v[110:111]
	s_or_b32 s3, vcc_lo, s3
	s_delay_alu instid0(SALU_CYCLE_1)
	s_and_not1_b32 exec_lo, exec_lo, s3
	s_cbranch_execnz .LBB113_647
; %bb.648:
	s_or_b32 exec_lo, exec_lo, s3
.LBB113_649:
	s_delay_alu instid0(SALU_CYCLE_1) | instskip(SKIP_4) | instid1(VALU_DEP_1)
	s_or_b32 exec_lo, exec_lo, s2
	v_mov_b32_e32 v107, 0
	ds_load_b64 v[108:109], v107 offset:128
	s_wait_dscnt 0x0
	v_pk_mul_f32 v[110:111], v[104:105], v[108:109] op_sel:[1,1] op_sel_hi:[0,1]
	v_pk_fma_f32 v[112:113], v[104:105], v[108:109], v[110:111] op_sel_hi:[1,0,1]
	v_pk_fma_f32 v[104:105], v[104:105], v[108:109], v[110:111] neg_lo:[0,0,1] neg_hi:[0,0,1]
	s_delay_alu instid0(VALU_DEP_2)
	v_mov_b32_e32 v105, v113
	scratch_store_b64 off, v[104:105], off offset:128
.LBB113_650:
	s_wait_xcnt 0x0
	s_or_b32 exec_lo, exec_lo, s0
	scratch_load_b64 v[104:105], off, off offset:136
	s_mov_b32 s0, exec_lo
	s_wait_loadcnt 0x0
	ds_store_b64 v1, v[104:105]
	s_wait_storecnt_dscnt 0x0
	s_barrier_signal -1
	s_barrier_wait -1
	s_wait_xcnt 0x0
	v_cmpx_gt_u32_e32 17, v0
	s_cbranch_execz .LBB113_660
; %bb.651:
	v_cmp_ne_u32_e32 vcc_lo, 1, v106
	s_cbranch_vccnz .LBB113_653
; %bb.652:
	scratch_load_b64 v[104:105], v59, off
	ds_load_b64 v[108:109], v1
	s_wait_loadcnt_dscnt 0x0
	v_pk_mul_f32 v[110:111], v[108:109], v[104:105] op_sel:[1,1] op_sel_hi:[0,1]
	s_delay_alu instid0(VALU_DEP_1) | instskip(SKIP_1) | instid1(VALU_DEP_2)
	v_pk_fma_f32 v[112:113], v[108:109], v[104:105], v[110:111] op_sel_hi:[1,0,1]
	v_pk_fma_f32 v[104:105], v[108:109], v[104:105], v[110:111] neg_lo:[0,0,1] neg_hi:[0,0,1]
	v_mov_b32_e32 v105, v113
	s_cbranch_execz .LBB113_654
	s_branch .LBB113_655
.LBB113_653:
                                        ; implicit-def: $vgpr104_vgpr105
.LBB113_654:
	ds_load_b64 v[104:105], v1
.LBB113_655:
	s_mov_b32 s2, exec_lo
	v_cmpx_ne_u32_e32 16, v0
	s_cbranch_execz .LBB113_659
; %bb.656:
	v_add_nc_u32_e32 v107, 0x198, v58
	v_add3_u32 v108, 0, v58, 8
	v_mov_b32_e32 v109, v0
	s_mov_b32 s3, 0
.LBB113_657:                            ; =>This Inner Loop Header: Depth=1
	scratch_load_b64 v[110:111], v108, off
	ds_load_b64 v[112:113], v107
	s_wait_xcnt 0x0
	v_dual_add_nc_u32 v107, 8, v107 :: v_dual_add_nc_u32 v108, 8, v108
	s_wait_loadcnt_dscnt 0x0
	v_pk_mul_f32 v[114:115], v[112:113], v[110:111] op_sel:[1,1] op_sel_hi:[0,1]
	s_delay_alu instid0(VALU_DEP_1) | instskip(SKIP_2) | instid1(VALU_DEP_3)
	v_pk_fma_f32 v[116:117], v[112:113], v[110:111], v[114:115] op_sel_hi:[1,0,1]
	v_add_nc_u32_e32 v109, 1, v109
	v_pk_fma_f32 v[110:111], v[112:113], v[110:111], v[114:115] neg_lo:[0,0,1] neg_hi:[0,0,1]
	v_mov_b32_e32 v111, v117
	s_delay_alu instid0(VALU_DEP_3) | instskip(NEXT) | instid1(VALU_DEP_2)
	v_cmp_lt_u32_e32 vcc_lo, 15, v109
	v_pk_add_f32 v[104:105], v[104:105], v[110:111]
	s_or_b32 s3, vcc_lo, s3
	s_delay_alu instid0(SALU_CYCLE_1)
	s_and_not1_b32 exec_lo, exec_lo, s3
	s_cbranch_execnz .LBB113_657
; %bb.658:
	s_or_b32 exec_lo, exec_lo, s3
.LBB113_659:
	s_delay_alu instid0(SALU_CYCLE_1) | instskip(SKIP_4) | instid1(VALU_DEP_1)
	s_or_b32 exec_lo, exec_lo, s2
	v_mov_b32_e32 v107, 0
	ds_load_b64 v[108:109], v107 offset:136
	s_wait_dscnt 0x0
	v_pk_mul_f32 v[110:111], v[104:105], v[108:109] op_sel:[1,1] op_sel_hi:[0,1]
	v_pk_fma_f32 v[112:113], v[104:105], v[108:109], v[110:111] op_sel_hi:[1,0,1]
	v_pk_fma_f32 v[104:105], v[104:105], v[108:109], v[110:111] neg_lo:[0,0,1] neg_hi:[0,0,1]
	s_delay_alu instid0(VALU_DEP_2)
	v_mov_b32_e32 v105, v113
	scratch_store_b64 off, v[104:105], off offset:136
.LBB113_660:
	s_wait_xcnt 0x0
	s_or_b32 exec_lo, exec_lo, s0
	scratch_load_b64 v[104:105], off, off offset:144
	s_mov_b32 s0, exec_lo
	s_wait_loadcnt 0x0
	ds_store_b64 v1, v[104:105]
	s_wait_storecnt_dscnt 0x0
	s_barrier_signal -1
	s_barrier_wait -1
	s_wait_xcnt 0x0
	v_cmpx_gt_u32_e32 18, v0
	s_cbranch_execz .LBB113_670
; %bb.661:
	v_cmp_ne_u32_e32 vcc_lo, 1, v106
	s_cbranch_vccnz .LBB113_663
; %bb.662:
	scratch_load_b64 v[104:105], v59, off
	ds_load_b64 v[108:109], v1
	s_wait_loadcnt_dscnt 0x0
	v_pk_mul_f32 v[110:111], v[108:109], v[104:105] op_sel:[1,1] op_sel_hi:[0,1]
	s_delay_alu instid0(VALU_DEP_1) | instskip(SKIP_1) | instid1(VALU_DEP_2)
	v_pk_fma_f32 v[112:113], v[108:109], v[104:105], v[110:111] op_sel_hi:[1,0,1]
	v_pk_fma_f32 v[104:105], v[108:109], v[104:105], v[110:111] neg_lo:[0,0,1] neg_hi:[0,0,1]
	v_mov_b32_e32 v105, v113
	s_cbranch_execz .LBB113_664
	s_branch .LBB113_665
.LBB113_663:
                                        ; implicit-def: $vgpr104_vgpr105
.LBB113_664:
	ds_load_b64 v[104:105], v1
.LBB113_665:
	s_mov_b32 s2, exec_lo
	v_cmpx_ne_u32_e32 17, v0
	s_cbranch_execz .LBB113_669
; %bb.666:
	v_add_nc_u32_e32 v107, 0x198, v58
	v_add3_u32 v108, 0, v58, 8
	v_mov_b32_e32 v109, v0
	s_mov_b32 s3, 0
.LBB113_667:                            ; =>This Inner Loop Header: Depth=1
	scratch_load_b64 v[110:111], v108, off
	ds_load_b64 v[112:113], v107
	s_wait_xcnt 0x0
	v_dual_add_nc_u32 v107, 8, v107 :: v_dual_add_nc_u32 v108, 8, v108
	s_wait_loadcnt_dscnt 0x0
	v_pk_mul_f32 v[114:115], v[112:113], v[110:111] op_sel:[1,1] op_sel_hi:[0,1]
	s_delay_alu instid0(VALU_DEP_1) | instskip(SKIP_2) | instid1(VALU_DEP_3)
	v_pk_fma_f32 v[116:117], v[112:113], v[110:111], v[114:115] op_sel_hi:[1,0,1]
	v_add_nc_u32_e32 v109, 1, v109
	v_pk_fma_f32 v[110:111], v[112:113], v[110:111], v[114:115] neg_lo:[0,0,1] neg_hi:[0,0,1]
	v_mov_b32_e32 v111, v117
	s_delay_alu instid0(VALU_DEP_3) | instskip(NEXT) | instid1(VALU_DEP_2)
	v_cmp_lt_u32_e32 vcc_lo, 16, v109
	v_pk_add_f32 v[104:105], v[104:105], v[110:111]
	s_or_b32 s3, vcc_lo, s3
	s_delay_alu instid0(SALU_CYCLE_1)
	s_and_not1_b32 exec_lo, exec_lo, s3
	s_cbranch_execnz .LBB113_667
; %bb.668:
	s_or_b32 exec_lo, exec_lo, s3
.LBB113_669:
	s_delay_alu instid0(SALU_CYCLE_1) | instskip(SKIP_4) | instid1(VALU_DEP_1)
	s_or_b32 exec_lo, exec_lo, s2
	v_mov_b32_e32 v107, 0
	ds_load_b64 v[108:109], v107 offset:144
	s_wait_dscnt 0x0
	v_pk_mul_f32 v[110:111], v[104:105], v[108:109] op_sel:[1,1] op_sel_hi:[0,1]
	v_pk_fma_f32 v[112:113], v[104:105], v[108:109], v[110:111] op_sel_hi:[1,0,1]
	v_pk_fma_f32 v[104:105], v[104:105], v[108:109], v[110:111] neg_lo:[0,0,1] neg_hi:[0,0,1]
	s_delay_alu instid0(VALU_DEP_2)
	v_mov_b32_e32 v105, v113
	scratch_store_b64 off, v[104:105], off offset:144
.LBB113_670:
	s_wait_xcnt 0x0
	s_or_b32 exec_lo, exec_lo, s0
	scratch_load_b64 v[104:105], off, off offset:152
	s_mov_b32 s0, exec_lo
	s_wait_loadcnt 0x0
	ds_store_b64 v1, v[104:105]
	s_wait_storecnt_dscnt 0x0
	s_barrier_signal -1
	s_barrier_wait -1
	s_wait_xcnt 0x0
	v_cmpx_gt_u32_e32 19, v0
	s_cbranch_execz .LBB113_680
; %bb.671:
	v_cmp_ne_u32_e32 vcc_lo, 1, v106
	s_cbranch_vccnz .LBB113_673
; %bb.672:
	scratch_load_b64 v[104:105], v59, off
	ds_load_b64 v[108:109], v1
	s_wait_loadcnt_dscnt 0x0
	v_pk_mul_f32 v[110:111], v[108:109], v[104:105] op_sel:[1,1] op_sel_hi:[0,1]
	s_delay_alu instid0(VALU_DEP_1) | instskip(SKIP_1) | instid1(VALU_DEP_2)
	v_pk_fma_f32 v[112:113], v[108:109], v[104:105], v[110:111] op_sel_hi:[1,0,1]
	v_pk_fma_f32 v[104:105], v[108:109], v[104:105], v[110:111] neg_lo:[0,0,1] neg_hi:[0,0,1]
	v_mov_b32_e32 v105, v113
	s_cbranch_execz .LBB113_674
	s_branch .LBB113_675
.LBB113_673:
                                        ; implicit-def: $vgpr104_vgpr105
.LBB113_674:
	ds_load_b64 v[104:105], v1
.LBB113_675:
	s_mov_b32 s2, exec_lo
	v_cmpx_ne_u32_e32 18, v0
	s_cbranch_execz .LBB113_679
; %bb.676:
	v_add_nc_u32_e32 v107, 0x198, v58
	v_add3_u32 v108, 0, v58, 8
	v_mov_b32_e32 v109, v0
	s_mov_b32 s3, 0
.LBB113_677:                            ; =>This Inner Loop Header: Depth=1
	scratch_load_b64 v[110:111], v108, off
	ds_load_b64 v[112:113], v107
	s_wait_xcnt 0x0
	v_dual_add_nc_u32 v107, 8, v107 :: v_dual_add_nc_u32 v108, 8, v108
	s_wait_loadcnt_dscnt 0x0
	v_pk_mul_f32 v[114:115], v[112:113], v[110:111] op_sel:[1,1] op_sel_hi:[0,1]
	s_delay_alu instid0(VALU_DEP_1) | instskip(SKIP_2) | instid1(VALU_DEP_3)
	v_pk_fma_f32 v[116:117], v[112:113], v[110:111], v[114:115] op_sel_hi:[1,0,1]
	v_add_nc_u32_e32 v109, 1, v109
	v_pk_fma_f32 v[110:111], v[112:113], v[110:111], v[114:115] neg_lo:[0,0,1] neg_hi:[0,0,1]
	v_mov_b32_e32 v111, v117
	s_delay_alu instid0(VALU_DEP_3) | instskip(NEXT) | instid1(VALU_DEP_2)
	v_cmp_lt_u32_e32 vcc_lo, 17, v109
	v_pk_add_f32 v[104:105], v[104:105], v[110:111]
	s_or_b32 s3, vcc_lo, s3
	s_delay_alu instid0(SALU_CYCLE_1)
	s_and_not1_b32 exec_lo, exec_lo, s3
	s_cbranch_execnz .LBB113_677
; %bb.678:
	s_or_b32 exec_lo, exec_lo, s3
.LBB113_679:
	s_delay_alu instid0(SALU_CYCLE_1) | instskip(SKIP_4) | instid1(VALU_DEP_1)
	s_or_b32 exec_lo, exec_lo, s2
	v_mov_b32_e32 v107, 0
	ds_load_b64 v[108:109], v107 offset:152
	s_wait_dscnt 0x0
	v_pk_mul_f32 v[110:111], v[104:105], v[108:109] op_sel:[1,1] op_sel_hi:[0,1]
	v_pk_fma_f32 v[112:113], v[104:105], v[108:109], v[110:111] op_sel_hi:[1,0,1]
	v_pk_fma_f32 v[104:105], v[104:105], v[108:109], v[110:111] neg_lo:[0,0,1] neg_hi:[0,0,1]
	s_delay_alu instid0(VALU_DEP_2)
	v_mov_b32_e32 v105, v113
	scratch_store_b64 off, v[104:105], off offset:152
.LBB113_680:
	s_wait_xcnt 0x0
	s_or_b32 exec_lo, exec_lo, s0
	scratch_load_b64 v[104:105], off, off offset:160
	s_mov_b32 s0, exec_lo
	s_wait_loadcnt 0x0
	ds_store_b64 v1, v[104:105]
	s_wait_storecnt_dscnt 0x0
	s_barrier_signal -1
	s_barrier_wait -1
	s_wait_xcnt 0x0
	v_cmpx_gt_u32_e32 20, v0
	s_cbranch_execz .LBB113_690
; %bb.681:
	v_cmp_ne_u32_e32 vcc_lo, 1, v106
	s_cbranch_vccnz .LBB113_683
; %bb.682:
	scratch_load_b64 v[104:105], v59, off
	ds_load_b64 v[108:109], v1
	s_wait_loadcnt_dscnt 0x0
	v_pk_mul_f32 v[110:111], v[108:109], v[104:105] op_sel:[1,1] op_sel_hi:[0,1]
	s_delay_alu instid0(VALU_DEP_1) | instskip(SKIP_1) | instid1(VALU_DEP_2)
	v_pk_fma_f32 v[112:113], v[108:109], v[104:105], v[110:111] op_sel_hi:[1,0,1]
	v_pk_fma_f32 v[104:105], v[108:109], v[104:105], v[110:111] neg_lo:[0,0,1] neg_hi:[0,0,1]
	v_mov_b32_e32 v105, v113
	s_cbranch_execz .LBB113_684
	s_branch .LBB113_685
.LBB113_683:
                                        ; implicit-def: $vgpr104_vgpr105
.LBB113_684:
	ds_load_b64 v[104:105], v1
.LBB113_685:
	s_mov_b32 s2, exec_lo
	v_cmpx_ne_u32_e32 19, v0
	s_cbranch_execz .LBB113_689
; %bb.686:
	v_add_nc_u32_e32 v107, 0x198, v58
	v_add3_u32 v108, 0, v58, 8
	v_mov_b32_e32 v109, v0
	s_mov_b32 s3, 0
.LBB113_687:                            ; =>This Inner Loop Header: Depth=1
	scratch_load_b64 v[110:111], v108, off
	ds_load_b64 v[112:113], v107
	s_wait_xcnt 0x0
	v_dual_add_nc_u32 v107, 8, v107 :: v_dual_add_nc_u32 v108, 8, v108
	s_wait_loadcnt_dscnt 0x0
	v_pk_mul_f32 v[114:115], v[112:113], v[110:111] op_sel:[1,1] op_sel_hi:[0,1]
	s_delay_alu instid0(VALU_DEP_1) | instskip(SKIP_2) | instid1(VALU_DEP_3)
	v_pk_fma_f32 v[116:117], v[112:113], v[110:111], v[114:115] op_sel_hi:[1,0,1]
	v_add_nc_u32_e32 v109, 1, v109
	v_pk_fma_f32 v[110:111], v[112:113], v[110:111], v[114:115] neg_lo:[0,0,1] neg_hi:[0,0,1]
	v_mov_b32_e32 v111, v117
	s_delay_alu instid0(VALU_DEP_3) | instskip(NEXT) | instid1(VALU_DEP_2)
	v_cmp_lt_u32_e32 vcc_lo, 18, v109
	v_pk_add_f32 v[104:105], v[104:105], v[110:111]
	s_or_b32 s3, vcc_lo, s3
	s_delay_alu instid0(SALU_CYCLE_1)
	s_and_not1_b32 exec_lo, exec_lo, s3
	s_cbranch_execnz .LBB113_687
; %bb.688:
	s_or_b32 exec_lo, exec_lo, s3
.LBB113_689:
	s_delay_alu instid0(SALU_CYCLE_1) | instskip(SKIP_4) | instid1(VALU_DEP_1)
	s_or_b32 exec_lo, exec_lo, s2
	v_mov_b32_e32 v107, 0
	ds_load_b64 v[108:109], v107 offset:160
	s_wait_dscnt 0x0
	v_pk_mul_f32 v[110:111], v[104:105], v[108:109] op_sel:[1,1] op_sel_hi:[0,1]
	v_pk_fma_f32 v[112:113], v[104:105], v[108:109], v[110:111] op_sel_hi:[1,0,1]
	v_pk_fma_f32 v[104:105], v[104:105], v[108:109], v[110:111] neg_lo:[0,0,1] neg_hi:[0,0,1]
	s_delay_alu instid0(VALU_DEP_2)
	v_mov_b32_e32 v105, v113
	scratch_store_b64 off, v[104:105], off offset:160
.LBB113_690:
	s_wait_xcnt 0x0
	s_or_b32 exec_lo, exec_lo, s0
	scratch_load_b64 v[104:105], off, off offset:168
	s_mov_b32 s0, exec_lo
	s_wait_loadcnt 0x0
	ds_store_b64 v1, v[104:105]
	s_wait_storecnt_dscnt 0x0
	s_barrier_signal -1
	s_barrier_wait -1
	s_wait_xcnt 0x0
	v_cmpx_gt_u32_e32 21, v0
	s_cbranch_execz .LBB113_700
; %bb.691:
	v_cmp_ne_u32_e32 vcc_lo, 1, v106
	s_cbranch_vccnz .LBB113_693
; %bb.692:
	scratch_load_b64 v[104:105], v59, off
	ds_load_b64 v[108:109], v1
	s_wait_loadcnt_dscnt 0x0
	v_pk_mul_f32 v[110:111], v[108:109], v[104:105] op_sel:[1,1] op_sel_hi:[0,1]
	s_delay_alu instid0(VALU_DEP_1) | instskip(SKIP_1) | instid1(VALU_DEP_2)
	v_pk_fma_f32 v[112:113], v[108:109], v[104:105], v[110:111] op_sel_hi:[1,0,1]
	v_pk_fma_f32 v[104:105], v[108:109], v[104:105], v[110:111] neg_lo:[0,0,1] neg_hi:[0,0,1]
	v_mov_b32_e32 v105, v113
	s_cbranch_execz .LBB113_694
	s_branch .LBB113_695
.LBB113_693:
                                        ; implicit-def: $vgpr104_vgpr105
.LBB113_694:
	ds_load_b64 v[104:105], v1
.LBB113_695:
	s_mov_b32 s2, exec_lo
	v_cmpx_ne_u32_e32 20, v0
	s_cbranch_execz .LBB113_699
; %bb.696:
	v_add_nc_u32_e32 v107, 0x198, v58
	v_add3_u32 v108, 0, v58, 8
	v_mov_b32_e32 v109, v0
	s_mov_b32 s3, 0
.LBB113_697:                            ; =>This Inner Loop Header: Depth=1
	scratch_load_b64 v[110:111], v108, off
	ds_load_b64 v[112:113], v107
	s_wait_xcnt 0x0
	v_dual_add_nc_u32 v107, 8, v107 :: v_dual_add_nc_u32 v108, 8, v108
	s_wait_loadcnt_dscnt 0x0
	v_pk_mul_f32 v[114:115], v[112:113], v[110:111] op_sel:[1,1] op_sel_hi:[0,1]
	s_delay_alu instid0(VALU_DEP_1) | instskip(SKIP_2) | instid1(VALU_DEP_3)
	v_pk_fma_f32 v[116:117], v[112:113], v[110:111], v[114:115] op_sel_hi:[1,0,1]
	v_add_nc_u32_e32 v109, 1, v109
	v_pk_fma_f32 v[110:111], v[112:113], v[110:111], v[114:115] neg_lo:[0,0,1] neg_hi:[0,0,1]
	v_mov_b32_e32 v111, v117
	s_delay_alu instid0(VALU_DEP_3) | instskip(NEXT) | instid1(VALU_DEP_2)
	v_cmp_lt_u32_e32 vcc_lo, 19, v109
	v_pk_add_f32 v[104:105], v[104:105], v[110:111]
	s_or_b32 s3, vcc_lo, s3
	s_delay_alu instid0(SALU_CYCLE_1)
	s_and_not1_b32 exec_lo, exec_lo, s3
	s_cbranch_execnz .LBB113_697
; %bb.698:
	s_or_b32 exec_lo, exec_lo, s3
.LBB113_699:
	s_delay_alu instid0(SALU_CYCLE_1) | instskip(SKIP_4) | instid1(VALU_DEP_1)
	s_or_b32 exec_lo, exec_lo, s2
	v_mov_b32_e32 v107, 0
	ds_load_b64 v[108:109], v107 offset:168
	s_wait_dscnt 0x0
	v_pk_mul_f32 v[110:111], v[104:105], v[108:109] op_sel:[1,1] op_sel_hi:[0,1]
	v_pk_fma_f32 v[112:113], v[104:105], v[108:109], v[110:111] op_sel_hi:[1,0,1]
	v_pk_fma_f32 v[104:105], v[104:105], v[108:109], v[110:111] neg_lo:[0,0,1] neg_hi:[0,0,1]
	s_delay_alu instid0(VALU_DEP_2)
	v_mov_b32_e32 v105, v113
	scratch_store_b64 off, v[104:105], off offset:168
.LBB113_700:
	s_wait_xcnt 0x0
	s_or_b32 exec_lo, exec_lo, s0
	scratch_load_b64 v[104:105], off, off offset:176
	s_mov_b32 s0, exec_lo
	s_wait_loadcnt 0x0
	ds_store_b64 v1, v[104:105]
	s_wait_storecnt_dscnt 0x0
	s_barrier_signal -1
	s_barrier_wait -1
	s_wait_xcnt 0x0
	v_cmpx_gt_u32_e32 22, v0
	s_cbranch_execz .LBB113_710
; %bb.701:
	v_cmp_ne_u32_e32 vcc_lo, 1, v106
	s_cbranch_vccnz .LBB113_703
; %bb.702:
	scratch_load_b64 v[104:105], v59, off
	ds_load_b64 v[108:109], v1
	s_wait_loadcnt_dscnt 0x0
	v_pk_mul_f32 v[110:111], v[108:109], v[104:105] op_sel:[1,1] op_sel_hi:[0,1]
	s_delay_alu instid0(VALU_DEP_1) | instskip(SKIP_1) | instid1(VALU_DEP_2)
	v_pk_fma_f32 v[112:113], v[108:109], v[104:105], v[110:111] op_sel_hi:[1,0,1]
	v_pk_fma_f32 v[104:105], v[108:109], v[104:105], v[110:111] neg_lo:[0,0,1] neg_hi:[0,0,1]
	v_mov_b32_e32 v105, v113
	s_cbranch_execz .LBB113_704
	s_branch .LBB113_705
.LBB113_703:
                                        ; implicit-def: $vgpr104_vgpr105
.LBB113_704:
	ds_load_b64 v[104:105], v1
.LBB113_705:
	s_mov_b32 s2, exec_lo
	v_cmpx_ne_u32_e32 21, v0
	s_cbranch_execz .LBB113_709
; %bb.706:
	v_add_nc_u32_e32 v107, 0x198, v58
	v_add3_u32 v108, 0, v58, 8
	v_mov_b32_e32 v109, v0
	s_mov_b32 s3, 0
.LBB113_707:                            ; =>This Inner Loop Header: Depth=1
	scratch_load_b64 v[110:111], v108, off
	ds_load_b64 v[112:113], v107
	s_wait_xcnt 0x0
	v_dual_add_nc_u32 v107, 8, v107 :: v_dual_add_nc_u32 v108, 8, v108
	s_wait_loadcnt_dscnt 0x0
	v_pk_mul_f32 v[114:115], v[112:113], v[110:111] op_sel:[1,1] op_sel_hi:[0,1]
	s_delay_alu instid0(VALU_DEP_1) | instskip(SKIP_2) | instid1(VALU_DEP_3)
	v_pk_fma_f32 v[116:117], v[112:113], v[110:111], v[114:115] op_sel_hi:[1,0,1]
	v_add_nc_u32_e32 v109, 1, v109
	v_pk_fma_f32 v[110:111], v[112:113], v[110:111], v[114:115] neg_lo:[0,0,1] neg_hi:[0,0,1]
	v_mov_b32_e32 v111, v117
	s_delay_alu instid0(VALU_DEP_3) | instskip(NEXT) | instid1(VALU_DEP_2)
	v_cmp_lt_u32_e32 vcc_lo, 20, v109
	v_pk_add_f32 v[104:105], v[104:105], v[110:111]
	s_or_b32 s3, vcc_lo, s3
	s_delay_alu instid0(SALU_CYCLE_1)
	s_and_not1_b32 exec_lo, exec_lo, s3
	s_cbranch_execnz .LBB113_707
; %bb.708:
	s_or_b32 exec_lo, exec_lo, s3
.LBB113_709:
	s_delay_alu instid0(SALU_CYCLE_1) | instskip(SKIP_4) | instid1(VALU_DEP_1)
	s_or_b32 exec_lo, exec_lo, s2
	v_mov_b32_e32 v107, 0
	ds_load_b64 v[108:109], v107 offset:176
	s_wait_dscnt 0x0
	v_pk_mul_f32 v[110:111], v[104:105], v[108:109] op_sel:[1,1] op_sel_hi:[0,1]
	v_pk_fma_f32 v[112:113], v[104:105], v[108:109], v[110:111] op_sel_hi:[1,0,1]
	v_pk_fma_f32 v[104:105], v[104:105], v[108:109], v[110:111] neg_lo:[0,0,1] neg_hi:[0,0,1]
	s_delay_alu instid0(VALU_DEP_2)
	v_mov_b32_e32 v105, v113
	scratch_store_b64 off, v[104:105], off offset:176
.LBB113_710:
	s_wait_xcnt 0x0
	s_or_b32 exec_lo, exec_lo, s0
	scratch_load_b64 v[104:105], off, off offset:184
	s_mov_b32 s0, exec_lo
	s_wait_loadcnt 0x0
	ds_store_b64 v1, v[104:105]
	s_wait_storecnt_dscnt 0x0
	s_barrier_signal -1
	s_barrier_wait -1
	s_wait_xcnt 0x0
	v_cmpx_gt_u32_e32 23, v0
	s_cbranch_execz .LBB113_720
; %bb.711:
	v_cmp_ne_u32_e32 vcc_lo, 1, v106
	s_cbranch_vccnz .LBB113_713
; %bb.712:
	scratch_load_b64 v[104:105], v59, off
	ds_load_b64 v[108:109], v1
	s_wait_loadcnt_dscnt 0x0
	v_pk_mul_f32 v[110:111], v[108:109], v[104:105] op_sel:[1,1] op_sel_hi:[0,1]
	s_delay_alu instid0(VALU_DEP_1) | instskip(SKIP_1) | instid1(VALU_DEP_2)
	v_pk_fma_f32 v[112:113], v[108:109], v[104:105], v[110:111] op_sel_hi:[1,0,1]
	v_pk_fma_f32 v[104:105], v[108:109], v[104:105], v[110:111] neg_lo:[0,0,1] neg_hi:[0,0,1]
	v_mov_b32_e32 v105, v113
	s_cbranch_execz .LBB113_714
	s_branch .LBB113_715
.LBB113_713:
                                        ; implicit-def: $vgpr104_vgpr105
.LBB113_714:
	ds_load_b64 v[104:105], v1
.LBB113_715:
	s_mov_b32 s2, exec_lo
	v_cmpx_ne_u32_e32 22, v0
	s_cbranch_execz .LBB113_719
; %bb.716:
	v_add_nc_u32_e32 v107, 0x198, v58
	v_add3_u32 v108, 0, v58, 8
	v_mov_b32_e32 v109, v0
	s_mov_b32 s3, 0
.LBB113_717:                            ; =>This Inner Loop Header: Depth=1
	scratch_load_b64 v[110:111], v108, off
	ds_load_b64 v[112:113], v107
	s_wait_xcnt 0x0
	v_dual_add_nc_u32 v107, 8, v107 :: v_dual_add_nc_u32 v108, 8, v108
	s_wait_loadcnt_dscnt 0x0
	v_pk_mul_f32 v[114:115], v[112:113], v[110:111] op_sel:[1,1] op_sel_hi:[0,1]
	s_delay_alu instid0(VALU_DEP_1) | instskip(SKIP_2) | instid1(VALU_DEP_3)
	v_pk_fma_f32 v[116:117], v[112:113], v[110:111], v[114:115] op_sel_hi:[1,0,1]
	v_add_nc_u32_e32 v109, 1, v109
	v_pk_fma_f32 v[110:111], v[112:113], v[110:111], v[114:115] neg_lo:[0,0,1] neg_hi:[0,0,1]
	v_mov_b32_e32 v111, v117
	s_delay_alu instid0(VALU_DEP_3) | instskip(NEXT) | instid1(VALU_DEP_2)
	v_cmp_lt_u32_e32 vcc_lo, 21, v109
	v_pk_add_f32 v[104:105], v[104:105], v[110:111]
	s_or_b32 s3, vcc_lo, s3
	s_delay_alu instid0(SALU_CYCLE_1)
	s_and_not1_b32 exec_lo, exec_lo, s3
	s_cbranch_execnz .LBB113_717
; %bb.718:
	s_or_b32 exec_lo, exec_lo, s3
.LBB113_719:
	s_delay_alu instid0(SALU_CYCLE_1) | instskip(SKIP_4) | instid1(VALU_DEP_1)
	s_or_b32 exec_lo, exec_lo, s2
	v_mov_b32_e32 v107, 0
	ds_load_b64 v[108:109], v107 offset:184
	s_wait_dscnt 0x0
	v_pk_mul_f32 v[110:111], v[104:105], v[108:109] op_sel:[1,1] op_sel_hi:[0,1]
	v_pk_fma_f32 v[112:113], v[104:105], v[108:109], v[110:111] op_sel_hi:[1,0,1]
	v_pk_fma_f32 v[104:105], v[104:105], v[108:109], v[110:111] neg_lo:[0,0,1] neg_hi:[0,0,1]
	s_delay_alu instid0(VALU_DEP_2)
	v_mov_b32_e32 v105, v113
	scratch_store_b64 off, v[104:105], off offset:184
.LBB113_720:
	s_wait_xcnt 0x0
	s_or_b32 exec_lo, exec_lo, s0
	scratch_load_b64 v[104:105], off, off offset:192
	s_mov_b32 s0, exec_lo
	s_wait_loadcnt 0x0
	ds_store_b64 v1, v[104:105]
	s_wait_storecnt_dscnt 0x0
	s_barrier_signal -1
	s_barrier_wait -1
	s_wait_xcnt 0x0
	v_cmpx_gt_u32_e32 24, v0
	s_cbranch_execz .LBB113_730
; %bb.721:
	v_cmp_ne_u32_e32 vcc_lo, 1, v106
	s_cbranch_vccnz .LBB113_723
; %bb.722:
	scratch_load_b64 v[104:105], v59, off
	ds_load_b64 v[108:109], v1
	s_wait_loadcnt_dscnt 0x0
	v_pk_mul_f32 v[110:111], v[108:109], v[104:105] op_sel:[1,1] op_sel_hi:[0,1]
	s_delay_alu instid0(VALU_DEP_1) | instskip(SKIP_1) | instid1(VALU_DEP_2)
	v_pk_fma_f32 v[112:113], v[108:109], v[104:105], v[110:111] op_sel_hi:[1,0,1]
	v_pk_fma_f32 v[104:105], v[108:109], v[104:105], v[110:111] neg_lo:[0,0,1] neg_hi:[0,0,1]
	v_mov_b32_e32 v105, v113
	s_cbranch_execz .LBB113_724
	s_branch .LBB113_725
.LBB113_723:
                                        ; implicit-def: $vgpr104_vgpr105
.LBB113_724:
	ds_load_b64 v[104:105], v1
.LBB113_725:
	s_mov_b32 s2, exec_lo
	v_cmpx_ne_u32_e32 23, v0
	s_cbranch_execz .LBB113_729
; %bb.726:
	v_add_nc_u32_e32 v107, 0x198, v58
	v_add3_u32 v108, 0, v58, 8
	v_mov_b32_e32 v109, v0
	s_mov_b32 s3, 0
.LBB113_727:                            ; =>This Inner Loop Header: Depth=1
	scratch_load_b64 v[110:111], v108, off
	ds_load_b64 v[112:113], v107
	s_wait_xcnt 0x0
	v_dual_add_nc_u32 v107, 8, v107 :: v_dual_add_nc_u32 v108, 8, v108
	s_wait_loadcnt_dscnt 0x0
	v_pk_mul_f32 v[114:115], v[112:113], v[110:111] op_sel:[1,1] op_sel_hi:[0,1]
	s_delay_alu instid0(VALU_DEP_1) | instskip(SKIP_2) | instid1(VALU_DEP_3)
	v_pk_fma_f32 v[116:117], v[112:113], v[110:111], v[114:115] op_sel_hi:[1,0,1]
	v_add_nc_u32_e32 v109, 1, v109
	v_pk_fma_f32 v[110:111], v[112:113], v[110:111], v[114:115] neg_lo:[0,0,1] neg_hi:[0,0,1]
	v_mov_b32_e32 v111, v117
	s_delay_alu instid0(VALU_DEP_3) | instskip(NEXT) | instid1(VALU_DEP_2)
	v_cmp_lt_u32_e32 vcc_lo, 22, v109
	v_pk_add_f32 v[104:105], v[104:105], v[110:111]
	s_or_b32 s3, vcc_lo, s3
	s_delay_alu instid0(SALU_CYCLE_1)
	s_and_not1_b32 exec_lo, exec_lo, s3
	s_cbranch_execnz .LBB113_727
; %bb.728:
	s_or_b32 exec_lo, exec_lo, s3
.LBB113_729:
	s_delay_alu instid0(SALU_CYCLE_1) | instskip(SKIP_4) | instid1(VALU_DEP_1)
	s_or_b32 exec_lo, exec_lo, s2
	v_mov_b32_e32 v107, 0
	ds_load_b64 v[108:109], v107 offset:192
	s_wait_dscnt 0x0
	v_pk_mul_f32 v[110:111], v[104:105], v[108:109] op_sel:[1,1] op_sel_hi:[0,1]
	v_pk_fma_f32 v[112:113], v[104:105], v[108:109], v[110:111] op_sel_hi:[1,0,1]
	v_pk_fma_f32 v[104:105], v[104:105], v[108:109], v[110:111] neg_lo:[0,0,1] neg_hi:[0,0,1]
	s_delay_alu instid0(VALU_DEP_2)
	v_mov_b32_e32 v105, v113
	scratch_store_b64 off, v[104:105], off offset:192
.LBB113_730:
	s_wait_xcnt 0x0
	s_or_b32 exec_lo, exec_lo, s0
	scratch_load_b64 v[104:105], off, off offset:200
	s_mov_b32 s0, exec_lo
	s_wait_loadcnt 0x0
	ds_store_b64 v1, v[104:105]
	s_wait_storecnt_dscnt 0x0
	s_barrier_signal -1
	s_barrier_wait -1
	s_wait_xcnt 0x0
	v_cmpx_gt_u32_e32 25, v0
	s_cbranch_execz .LBB113_740
; %bb.731:
	v_cmp_ne_u32_e32 vcc_lo, 1, v106
	s_cbranch_vccnz .LBB113_733
; %bb.732:
	scratch_load_b64 v[104:105], v59, off
	ds_load_b64 v[108:109], v1
	s_wait_loadcnt_dscnt 0x0
	v_pk_mul_f32 v[110:111], v[108:109], v[104:105] op_sel:[1,1] op_sel_hi:[0,1]
	s_delay_alu instid0(VALU_DEP_1) | instskip(SKIP_1) | instid1(VALU_DEP_2)
	v_pk_fma_f32 v[112:113], v[108:109], v[104:105], v[110:111] op_sel_hi:[1,0,1]
	v_pk_fma_f32 v[104:105], v[108:109], v[104:105], v[110:111] neg_lo:[0,0,1] neg_hi:[0,0,1]
	v_mov_b32_e32 v105, v113
	s_cbranch_execz .LBB113_734
	s_branch .LBB113_735
.LBB113_733:
                                        ; implicit-def: $vgpr104_vgpr105
.LBB113_734:
	ds_load_b64 v[104:105], v1
.LBB113_735:
	s_mov_b32 s2, exec_lo
	v_cmpx_ne_u32_e32 24, v0
	s_cbranch_execz .LBB113_739
; %bb.736:
	v_add_nc_u32_e32 v107, 0x198, v58
	v_add3_u32 v108, 0, v58, 8
	v_mov_b32_e32 v109, v0
	s_mov_b32 s3, 0
.LBB113_737:                            ; =>This Inner Loop Header: Depth=1
	scratch_load_b64 v[110:111], v108, off
	ds_load_b64 v[112:113], v107
	s_wait_xcnt 0x0
	v_dual_add_nc_u32 v107, 8, v107 :: v_dual_add_nc_u32 v108, 8, v108
	s_wait_loadcnt_dscnt 0x0
	v_pk_mul_f32 v[114:115], v[112:113], v[110:111] op_sel:[1,1] op_sel_hi:[0,1]
	s_delay_alu instid0(VALU_DEP_1) | instskip(SKIP_2) | instid1(VALU_DEP_3)
	v_pk_fma_f32 v[116:117], v[112:113], v[110:111], v[114:115] op_sel_hi:[1,0,1]
	v_add_nc_u32_e32 v109, 1, v109
	v_pk_fma_f32 v[110:111], v[112:113], v[110:111], v[114:115] neg_lo:[0,0,1] neg_hi:[0,0,1]
	v_mov_b32_e32 v111, v117
	s_delay_alu instid0(VALU_DEP_3) | instskip(NEXT) | instid1(VALU_DEP_2)
	v_cmp_lt_u32_e32 vcc_lo, 23, v109
	v_pk_add_f32 v[104:105], v[104:105], v[110:111]
	s_or_b32 s3, vcc_lo, s3
	s_delay_alu instid0(SALU_CYCLE_1)
	s_and_not1_b32 exec_lo, exec_lo, s3
	s_cbranch_execnz .LBB113_737
; %bb.738:
	s_or_b32 exec_lo, exec_lo, s3
.LBB113_739:
	s_delay_alu instid0(SALU_CYCLE_1) | instskip(SKIP_4) | instid1(VALU_DEP_1)
	s_or_b32 exec_lo, exec_lo, s2
	v_mov_b32_e32 v107, 0
	ds_load_b64 v[108:109], v107 offset:200
	s_wait_dscnt 0x0
	v_pk_mul_f32 v[110:111], v[104:105], v[108:109] op_sel:[1,1] op_sel_hi:[0,1]
	v_pk_fma_f32 v[112:113], v[104:105], v[108:109], v[110:111] op_sel_hi:[1,0,1]
	v_pk_fma_f32 v[104:105], v[104:105], v[108:109], v[110:111] neg_lo:[0,0,1] neg_hi:[0,0,1]
	s_delay_alu instid0(VALU_DEP_2)
	v_mov_b32_e32 v105, v113
	scratch_store_b64 off, v[104:105], off offset:200
.LBB113_740:
	s_wait_xcnt 0x0
	s_or_b32 exec_lo, exec_lo, s0
	scratch_load_b64 v[104:105], off, off offset:208
	s_mov_b32 s0, exec_lo
	s_wait_loadcnt 0x0
	ds_store_b64 v1, v[104:105]
	s_wait_storecnt_dscnt 0x0
	s_barrier_signal -1
	s_barrier_wait -1
	s_wait_xcnt 0x0
	v_cmpx_gt_u32_e32 26, v0
	s_cbranch_execz .LBB113_750
; %bb.741:
	v_cmp_ne_u32_e32 vcc_lo, 1, v106
	s_cbranch_vccnz .LBB113_743
; %bb.742:
	scratch_load_b64 v[104:105], v59, off
	ds_load_b64 v[108:109], v1
	s_wait_loadcnt_dscnt 0x0
	v_pk_mul_f32 v[110:111], v[108:109], v[104:105] op_sel:[1,1] op_sel_hi:[0,1]
	s_delay_alu instid0(VALU_DEP_1) | instskip(SKIP_1) | instid1(VALU_DEP_2)
	v_pk_fma_f32 v[112:113], v[108:109], v[104:105], v[110:111] op_sel_hi:[1,0,1]
	v_pk_fma_f32 v[104:105], v[108:109], v[104:105], v[110:111] neg_lo:[0,0,1] neg_hi:[0,0,1]
	v_mov_b32_e32 v105, v113
	s_cbranch_execz .LBB113_744
	s_branch .LBB113_745
.LBB113_743:
                                        ; implicit-def: $vgpr104_vgpr105
.LBB113_744:
	ds_load_b64 v[104:105], v1
.LBB113_745:
	s_mov_b32 s2, exec_lo
	v_cmpx_ne_u32_e32 25, v0
	s_cbranch_execz .LBB113_749
; %bb.746:
	v_add_nc_u32_e32 v107, 0x198, v58
	v_add3_u32 v108, 0, v58, 8
	v_mov_b32_e32 v109, v0
	s_mov_b32 s3, 0
.LBB113_747:                            ; =>This Inner Loop Header: Depth=1
	scratch_load_b64 v[110:111], v108, off
	ds_load_b64 v[112:113], v107
	s_wait_xcnt 0x0
	v_dual_add_nc_u32 v107, 8, v107 :: v_dual_add_nc_u32 v108, 8, v108
	s_wait_loadcnt_dscnt 0x0
	v_pk_mul_f32 v[114:115], v[112:113], v[110:111] op_sel:[1,1] op_sel_hi:[0,1]
	s_delay_alu instid0(VALU_DEP_1) | instskip(SKIP_2) | instid1(VALU_DEP_3)
	v_pk_fma_f32 v[116:117], v[112:113], v[110:111], v[114:115] op_sel_hi:[1,0,1]
	v_add_nc_u32_e32 v109, 1, v109
	v_pk_fma_f32 v[110:111], v[112:113], v[110:111], v[114:115] neg_lo:[0,0,1] neg_hi:[0,0,1]
	v_mov_b32_e32 v111, v117
	s_delay_alu instid0(VALU_DEP_3) | instskip(NEXT) | instid1(VALU_DEP_2)
	v_cmp_lt_u32_e32 vcc_lo, 24, v109
	v_pk_add_f32 v[104:105], v[104:105], v[110:111]
	s_or_b32 s3, vcc_lo, s3
	s_delay_alu instid0(SALU_CYCLE_1)
	s_and_not1_b32 exec_lo, exec_lo, s3
	s_cbranch_execnz .LBB113_747
; %bb.748:
	s_or_b32 exec_lo, exec_lo, s3
.LBB113_749:
	s_delay_alu instid0(SALU_CYCLE_1) | instskip(SKIP_4) | instid1(VALU_DEP_1)
	s_or_b32 exec_lo, exec_lo, s2
	v_mov_b32_e32 v107, 0
	ds_load_b64 v[108:109], v107 offset:208
	s_wait_dscnt 0x0
	v_pk_mul_f32 v[110:111], v[104:105], v[108:109] op_sel:[1,1] op_sel_hi:[0,1]
	v_pk_fma_f32 v[112:113], v[104:105], v[108:109], v[110:111] op_sel_hi:[1,0,1]
	v_pk_fma_f32 v[104:105], v[104:105], v[108:109], v[110:111] neg_lo:[0,0,1] neg_hi:[0,0,1]
	s_delay_alu instid0(VALU_DEP_2)
	v_mov_b32_e32 v105, v113
	scratch_store_b64 off, v[104:105], off offset:208
.LBB113_750:
	s_wait_xcnt 0x0
	s_or_b32 exec_lo, exec_lo, s0
	scratch_load_b64 v[104:105], off, off offset:216
	s_mov_b32 s0, exec_lo
	s_wait_loadcnt 0x0
	ds_store_b64 v1, v[104:105]
	s_wait_storecnt_dscnt 0x0
	s_barrier_signal -1
	s_barrier_wait -1
	s_wait_xcnt 0x0
	v_cmpx_gt_u32_e32 27, v0
	s_cbranch_execz .LBB113_760
; %bb.751:
	v_cmp_ne_u32_e32 vcc_lo, 1, v106
	s_cbranch_vccnz .LBB113_753
; %bb.752:
	scratch_load_b64 v[104:105], v59, off
	ds_load_b64 v[108:109], v1
	s_wait_loadcnt_dscnt 0x0
	v_pk_mul_f32 v[110:111], v[108:109], v[104:105] op_sel:[1,1] op_sel_hi:[0,1]
	s_delay_alu instid0(VALU_DEP_1) | instskip(SKIP_1) | instid1(VALU_DEP_2)
	v_pk_fma_f32 v[112:113], v[108:109], v[104:105], v[110:111] op_sel_hi:[1,0,1]
	v_pk_fma_f32 v[104:105], v[108:109], v[104:105], v[110:111] neg_lo:[0,0,1] neg_hi:[0,0,1]
	v_mov_b32_e32 v105, v113
	s_cbranch_execz .LBB113_754
	s_branch .LBB113_755
.LBB113_753:
                                        ; implicit-def: $vgpr104_vgpr105
.LBB113_754:
	ds_load_b64 v[104:105], v1
.LBB113_755:
	s_mov_b32 s2, exec_lo
	v_cmpx_ne_u32_e32 26, v0
	s_cbranch_execz .LBB113_759
; %bb.756:
	v_add_nc_u32_e32 v107, 0x198, v58
	v_add3_u32 v108, 0, v58, 8
	v_mov_b32_e32 v109, v0
	s_mov_b32 s3, 0
.LBB113_757:                            ; =>This Inner Loop Header: Depth=1
	scratch_load_b64 v[110:111], v108, off
	ds_load_b64 v[112:113], v107
	s_wait_xcnt 0x0
	v_dual_add_nc_u32 v107, 8, v107 :: v_dual_add_nc_u32 v108, 8, v108
	s_wait_loadcnt_dscnt 0x0
	v_pk_mul_f32 v[114:115], v[112:113], v[110:111] op_sel:[1,1] op_sel_hi:[0,1]
	s_delay_alu instid0(VALU_DEP_1) | instskip(SKIP_2) | instid1(VALU_DEP_3)
	v_pk_fma_f32 v[116:117], v[112:113], v[110:111], v[114:115] op_sel_hi:[1,0,1]
	v_add_nc_u32_e32 v109, 1, v109
	v_pk_fma_f32 v[110:111], v[112:113], v[110:111], v[114:115] neg_lo:[0,0,1] neg_hi:[0,0,1]
	v_mov_b32_e32 v111, v117
	s_delay_alu instid0(VALU_DEP_3) | instskip(NEXT) | instid1(VALU_DEP_2)
	v_cmp_lt_u32_e32 vcc_lo, 25, v109
	v_pk_add_f32 v[104:105], v[104:105], v[110:111]
	s_or_b32 s3, vcc_lo, s3
	s_delay_alu instid0(SALU_CYCLE_1)
	s_and_not1_b32 exec_lo, exec_lo, s3
	s_cbranch_execnz .LBB113_757
; %bb.758:
	s_or_b32 exec_lo, exec_lo, s3
.LBB113_759:
	s_delay_alu instid0(SALU_CYCLE_1) | instskip(SKIP_4) | instid1(VALU_DEP_1)
	s_or_b32 exec_lo, exec_lo, s2
	v_mov_b32_e32 v107, 0
	ds_load_b64 v[108:109], v107 offset:216
	s_wait_dscnt 0x0
	v_pk_mul_f32 v[110:111], v[104:105], v[108:109] op_sel:[1,1] op_sel_hi:[0,1]
	v_pk_fma_f32 v[112:113], v[104:105], v[108:109], v[110:111] op_sel_hi:[1,0,1]
	v_pk_fma_f32 v[104:105], v[104:105], v[108:109], v[110:111] neg_lo:[0,0,1] neg_hi:[0,0,1]
	s_delay_alu instid0(VALU_DEP_2)
	v_mov_b32_e32 v105, v113
	scratch_store_b64 off, v[104:105], off offset:216
.LBB113_760:
	s_wait_xcnt 0x0
	s_or_b32 exec_lo, exec_lo, s0
	scratch_load_b64 v[104:105], off, off offset:224
	s_mov_b32 s0, exec_lo
	s_wait_loadcnt 0x0
	ds_store_b64 v1, v[104:105]
	s_wait_storecnt_dscnt 0x0
	s_barrier_signal -1
	s_barrier_wait -1
	s_wait_xcnt 0x0
	v_cmpx_gt_u32_e32 28, v0
	s_cbranch_execz .LBB113_770
; %bb.761:
	v_cmp_ne_u32_e32 vcc_lo, 1, v106
	s_cbranch_vccnz .LBB113_763
; %bb.762:
	scratch_load_b64 v[104:105], v59, off
	ds_load_b64 v[108:109], v1
	s_wait_loadcnt_dscnt 0x0
	v_pk_mul_f32 v[110:111], v[108:109], v[104:105] op_sel:[1,1] op_sel_hi:[0,1]
	s_delay_alu instid0(VALU_DEP_1) | instskip(SKIP_1) | instid1(VALU_DEP_2)
	v_pk_fma_f32 v[112:113], v[108:109], v[104:105], v[110:111] op_sel_hi:[1,0,1]
	v_pk_fma_f32 v[104:105], v[108:109], v[104:105], v[110:111] neg_lo:[0,0,1] neg_hi:[0,0,1]
	v_mov_b32_e32 v105, v113
	s_cbranch_execz .LBB113_764
	s_branch .LBB113_765
.LBB113_763:
                                        ; implicit-def: $vgpr104_vgpr105
.LBB113_764:
	ds_load_b64 v[104:105], v1
.LBB113_765:
	s_mov_b32 s2, exec_lo
	v_cmpx_ne_u32_e32 27, v0
	s_cbranch_execz .LBB113_769
; %bb.766:
	v_add_nc_u32_e32 v107, 0x198, v58
	v_add3_u32 v108, 0, v58, 8
	v_mov_b32_e32 v109, v0
	s_mov_b32 s3, 0
.LBB113_767:                            ; =>This Inner Loop Header: Depth=1
	scratch_load_b64 v[110:111], v108, off
	ds_load_b64 v[112:113], v107
	s_wait_xcnt 0x0
	v_dual_add_nc_u32 v107, 8, v107 :: v_dual_add_nc_u32 v108, 8, v108
	s_wait_loadcnt_dscnt 0x0
	v_pk_mul_f32 v[114:115], v[112:113], v[110:111] op_sel:[1,1] op_sel_hi:[0,1]
	s_delay_alu instid0(VALU_DEP_1) | instskip(SKIP_2) | instid1(VALU_DEP_3)
	v_pk_fma_f32 v[116:117], v[112:113], v[110:111], v[114:115] op_sel_hi:[1,0,1]
	v_add_nc_u32_e32 v109, 1, v109
	v_pk_fma_f32 v[110:111], v[112:113], v[110:111], v[114:115] neg_lo:[0,0,1] neg_hi:[0,0,1]
	v_mov_b32_e32 v111, v117
	s_delay_alu instid0(VALU_DEP_3) | instskip(NEXT) | instid1(VALU_DEP_2)
	v_cmp_lt_u32_e32 vcc_lo, 26, v109
	v_pk_add_f32 v[104:105], v[104:105], v[110:111]
	s_or_b32 s3, vcc_lo, s3
	s_delay_alu instid0(SALU_CYCLE_1)
	s_and_not1_b32 exec_lo, exec_lo, s3
	s_cbranch_execnz .LBB113_767
; %bb.768:
	s_or_b32 exec_lo, exec_lo, s3
.LBB113_769:
	s_delay_alu instid0(SALU_CYCLE_1) | instskip(SKIP_4) | instid1(VALU_DEP_1)
	s_or_b32 exec_lo, exec_lo, s2
	v_mov_b32_e32 v107, 0
	ds_load_b64 v[108:109], v107 offset:224
	s_wait_dscnt 0x0
	v_pk_mul_f32 v[110:111], v[104:105], v[108:109] op_sel:[1,1] op_sel_hi:[0,1]
	v_pk_fma_f32 v[112:113], v[104:105], v[108:109], v[110:111] op_sel_hi:[1,0,1]
	v_pk_fma_f32 v[104:105], v[104:105], v[108:109], v[110:111] neg_lo:[0,0,1] neg_hi:[0,0,1]
	s_delay_alu instid0(VALU_DEP_2)
	v_mov_b32_e32 v105, v113
	scratch_store_b64 off, v[104:105], off offset:224
.LBB113_770:
	s_wait_xcnt 0x0
	s_or_b32 exec_lo, exec_lo, s0
	scratch_load_b64 v[104:105], off, off offset:232
	s_mov_b32 s0, exec_lo
	s_wait_loadcnt 0x0
	ds_store_b64 v1, v[104:105]
	s_wait_storecnt_dscnt 0x0
	s_barrier_signal -1
	s_barrier_wait -1
	s_wait_xcnt 0x0
	v_cmpx_gt_u32_e32 29, v0
	s_cbranch_execz .LBB113_780
; %bb.771:
	v_cmp_ne_u32_e32 vcc_lo, 1, v106
	s_cbranch_vccnz .LBB113_773
; %bb.772:
	scratch_load_b64 v[104:105], v59, off
	ds_load_b64 v[108:109], v1
	s_wait_loadcnt_dscnt 0x0
	v_pk_mul_f32 v[110:111], v[108:109], v[104:105] op_sel:[1,1] op_sel_hi:[0,1]
	s_delay_alu instid0(VALU_DEP_1) | instskip(SKIP_1) | instid1(VALU_DEP_2)
	v_pk_fma_f32 v[112:113], v[108:109], v[104:105], v[110:111] op_sel_hi:[1,0,1]
	v_pk_fma_f32 v[104:105], v[108:109], v[104:105], v[110:111] neg_lo:[0,0,1] neg_hi:[0,0,1]
	v_mov_b32_e32 v105, v113
	s_cbranch_execz .LBB113_774
	s_branch .LBB113_775
.LBB113_773:
                                        ; implicit-def: $vgpr104_vgpr105
.LBB113_774:
	ds_load_b64 v[104:105], v1
.LBB113_775:
	s_mov_b32 s2, exec_lo
	v_cmpx_ne_u32_e32 28, v0
	s_cbranch_execz .LBB113_779
; %bb.776:
	v_add_nc_u32_e32 v107, 0x198, v58
	v_add3_u32 v108, 0, v58, 8
	v_mov_b32_e32 v109, v0
	s_mov_b32 s3, 0
.LBB113_777:                            ; =>This Inner Loop Header: Depth=1
	scratch_load_b64 v[110:111], v108, off
	ds_load_b64 v[112:113], v107
	s_wait_xcnt 0x0
	v_dual_add_nc_u32 v107, 8, v107 :: v_dual_add_nc_u32 v108, 8, v108
	s_wait_loadcnt_dscnt 0x0
	v_pk_mul_f32 v[114:115], v[112:113], v[110:111] op_sel:[1,1] op_sel_hi:[0,1]
	s_delay_alu instid0(VALU_DEP_1) | instskip(SKIP_2) | instid1(VALU_DEP_3)
	v_pk_fma_f32 v[116:117], v[112:113], v[110:111], v[114:115] op_sel_hi:[1,0,1]
	v_add_nc_u32_e32 v109, 1, v109
	v_pk_fma_f32 v[110:111], v[112:113], v[110:111], v[114:115] neg_lo:[0,0,1] neg_hi:[0,0,1]
	v_mov_b32_e32 v111, v117
	s_delay_alu instid0(VALU_DEP_3) | instskip(NEXT) | instid1(VALU_DEP_2)
	v_cmp_lt_u32_e32 vcc_lo, 27, v109
	v_pk_add_f32 v[104:105], v[104:105], v[110:111]
	s_or_b32 s3, vcc_lo, s3
	s_delay_alu instid0(SALU_CYCLE_1)
	s_and_not1_b32 exec_lo, exec_lo, s3
	s_cbranch_execnz .LBB113_777
; %bb.778:
	s_or_b32 exec_lo, exec_lo, s3
.LBB113_779:
	s_delay_alu instid0(SALU_CYCLE_1) | instskip(SKIP_4) | instid1(VALU_DEP_1)
	s_or_b32 exec_lo, exec_lo, s2
	v_mov_b32_e32 v107, 0
	ds_load_b64 v[108:109], v107 offset:232
	s_wait_dscnt 0x0
	v_pk_mul_f32 v[110:111], v[104:105], v[108:109] op_sel:[1,1] op_sel_hi:[0,1]
	v_pk_fma_f32 v[112:113], v[104:105], v[108:109], v[110:111] op_sel_hi:[1,0,1]
	v_pk_fma_f32 v[104:105], v[104:105], v[108:109], v[110:111] neg_lo:[0,0,1] neg_hi:[0,0,1]
	s_delay_alu instid0(VALU_DEP_2)
	v_mov_b32_e32 v105, v113
	scratch_store_b64 off, v[104:105], off offset:232
.LBB113_780:
	s_wait_xcnt 0x0
	s_or_b32 exec_lo, exec_lo, s0
	scratch_load_b64 v[104:105], off, off offset:240
	s_mov_b32 s0, exec_lo
	s_wait_loadcnt 0x0
	ds_store_b64 v1, v[104:105]
	s_wait_storecnt_dscnt 0x0
	s_barrier_signal -1
	s_barrier_wait -1
	s_wait_xcnt 0x0
	v_cmpx_gt_u32_e32 30, v0
	s_cbranch_execz .LBB113_790
; %bb.781:
	v_cmp_ne_u32_e32 vcc_lo, 1, v106
	s_cbranch_vccnz .LBB113_783
; %bb.782:
	scratch_load_b64 v[104:105], v59, off
	ds_load_b64 v[108:109], v1
	s_wait_loadcnt_dscnt 0x0
	v_pk_mul_f32 v[110:111], v[108:109], v[104:105] op_sel:[1,1] op_sel_hi:[0,1]
	s_delay_alu instid0(VALU_DEP_1) | instskip(SKIP_1) | instid1(VALU_DEP_2)
	v_pk_fma_f32 v[112:113], v[108:109], v[104:105], v[110:111] op_sel_hi:[1,0,1]
	v_pk_fma_f32 v[104:105], v[108:109], v[104:105], v[110:111] neg_lo:[0,0,1] neg_hi:[0,0,1]
	v_mov_b32_e32 v105, v113
	s_cbranch_execz .LBB113_784
	s_branch .LBB113_785
.LBB113_783:
                                        ; implicit-def: $vgpr104_vgpr105
.LBB113_784:
	ds_load_b64 v[104:105], v1
.LBB113_785:
	s_mov_b32 s2, exec_lo
	v_cmpx_ne_u32_e32 29, v0
	s_cbranch_execz .LBB113_789
; %bb.786:
	v_add_nc_u32_e32 v107, 0x198, v58
	v_add3_u32 v108, 0, v58, 8
	v_mov_b32_e32 v109, v0
	s_mov_b32 s3, 0
.LBB113_787:                            ; =>This Inner Loop Header: Depth=1
	scratch_load_b64 v[110:111], v108, off
	ds_load_b64 v[112:113], v107
	s_wait_xcnt 0x0
	v_dual_add_nc_u32 v107, 8, v107 :: v_dual_add_nc_u32 v108, 8, v108
	s_wait_loadcnt_dscnt 0x0
	v_pk_mul_f32 v[114:115], v[112:113], v[110:111] op_sel:[1,1] op_sel_hi:[0,1]
	s_delay_alu instid0(VALU_DEP_1) | instskip(SKIP_2) | instid1(VALU_DEP_3)
	v_pk_fma_f32 v[116:117], v[112:113], v[110:111], v[114:115] op_sel_hi:[1,0,1]
	v_add_nc_u32_e32 v109, 1, v109
	v_pk_fma_f32 v[110:111], v[112:113], v[110:111], v[114:115] neg_lo:[0,0,1] neg_hi:[0,0,1]
	v_mov_b32_e32 v111, v117
	s_delay_alu instid0(VALU_DEP_3) | instskip(NEXT) | instid1(VALU_DEP_2)
	v_cmp_lt_u32_e32 vcc_lo, 28, v109
	v_pk_add_f32 v[104:105], v[104:105], v[110:111]
	s_or_b32 s3, vcc_lo, s3
	s_delay_alu instid0(SALU_CYCLE_1)
	s_and_not1_b32 exec_lo, exec_lo, s3
	s_cbranch_execnz .LBB113_787
; %bb.788:
	s_or_b32 exec_lo, exec_lo, s3
.LBB113_789:
	s_delay_alu instid0(SALU_CYCLE_1) | instskip(SKIP_4) | instid1(VALU_DEP_1)
	s_or_b32 exec_lo, exec_lo, s2
	v_mov_b32_e32 v107, 0
	ds_load_b64 v[108:109], v107 offset:240
	s_wait_dscnt 0x0
	v_pk_mul_f32 v[110:111], v[104:105], v[108:109] op_sel:[1,1] op_sel_hi:[0,1]
	v_pk_fma_f32 v[112:113], v[104:105], v[108:109], v[110:111] op_sel_hi:[1,0,1]
	v_pk_fma_f32 v[104:105], v[104:105], v[108:109], v[110:111] neg_lo:[0,0,1] neg_hi:[0,0,1]
	s_delay_alu instid0(VALU_DEP_2)
	v_mov_b32_e32 v105, v113
	scratch_store_b64 off, v[104:105], off offset:240
.LBB113_790:
	s_wait_xcnt 0x0
	s_or_b32 exec_lo, exec_lo, s0
	scratch_load_b64 v[104:105], off, off offset:248
	s_mov_b32 s0, exec_lo
	s_wait_loadcnt 0x0
	ds_store_b64 v1, v[104:105]
	s_wait_storecnt_dscnt 0x0
	s_barrier_signal -1
	s_barrier_wait -1
	s_wait_xcnt 0x0
	v_cmpx_gt_u32_e32 31, v0
	s_cbranch_execz .LBB113_800
; %bb.791:
	v_cmp_ne_u32_e32 vcc_lo, 1, v106
	s_cbranch_vccnz .LBB113_793
; %bb.792:
	scratch_load_b64 v[104:105], v59, off
	ds_load_b64 v[108:109], v1
	s_wait_loadcnt_dscnt 0x0
	v_pk_mul_f32 v[110:111], v[108:109], v[104:105] op_sel:[1,1] op_sel_hi:[0,1]
	s_delay_alu instid0(VALU_DEP_1) | instskip(SKIP_1) | instid1(VALU_DEP_2)
	v_pk_fma_f32 v[112:113], v[108:109], v[104:105], v[110:111] op_sel_hi:[1,0,1]
	v_pk_fma_f32 v[104:105], v[108:109], v[104:105], v[110:111] neg_lo:[0,0,1] neg_hi:[0,0,1]
	v_mov_b32_e32 v105, v113
	s_cbranch_execz .LBB113_794
	s_branch .LBB113_795
.LBB113_793:
                                        ; implicit-def: $vgpr104_vgpr105
.LBB113_794:
	ds_load_b64 v[104:105], v1
.LBB113_795:
	s_mov_b32 s2, exec_lo
	v_cmpx_ne_u32_e32 30, v0
	s_cbranch_execz .LBB113_799
; %bb.796:
	v_add_nc_u32_e32 v107, 0x198, v58
	v_add3_u32 v108, 0, v58, 8
	v_mov_b32_e32 v109, v0
	s_mov_b32 s3, 0
.LBB113_797:                            ; =>This Inner Loop Header: Depth=1
	scratch_load_b64 v[110:111], v108, off
	ds_load_b64 v[112:113], v107
	s_wait_xcnt 0x0
	v_dual_add_nc_u32 v107, 8, v107 :: v_dual_add_nc_u32 v108, 8, v108
	s_wait_loadcnt_dscnt 0x0
	v_pk_mul_f32 v[114:115], v[112:113], v[110:111] op_sel:[1,1] op_sel_hi:[0,1]
	s_delay_alu instid0(VALU_DEP_1) | instskip(SKIP_2) | instid1(VALU_DEP_3)
	v_pk_fma_f32 v[116:117], v[112:113], v[110:111], v[114:115] op_sel_hi:[1,0,1]
	v_add_nc_u32_e32 v109, 1, v109
	v_pk_fma_f32 v[110:111], v[112:113], v[110:111], v[114:115] neg_lo:[0,0,1] neg_hi:[0,0,1]
	v_mov_b32_e32 v111, v117
	s_delay_alu instid0(VALU_DEP_3) | instskip(NEXT) | instid1(VALU_DEP_2)
	v_cmp_lt_u32_e32 vcc_lo, 29, v109
	v_pk_add_f32 v[104:105], v[104:105], v[110:111]
	s_or_b32 s3, vcc_lo, s3
	s_delay_alu instid0(SALU_CYCLE_1)
	s_and_not1_b32 exec_lo, exec_lo, s3
	s_cbranch_execnz .LBB113_797
; %bb.798:
	s_or_b32 exec_lo, exec_lo, s3
.LBB113_799:
	s_delay_alu instid0(SALU_CYCLE_1) | instskip(SKIP_4) | instid1(VALU_DEP_1)
	s_or_b32 exec_lo, exec_lo, s2
	v_mov_b32_e32 v107, 0
	ds_load_b64 v[108:109], v107 offset:248
	s_wait_dscnt 0x0
	v_pk_mul_f32 v[110:111], v[104:105], v[108:109] op_sel:[1,1] op_sel_hi:[0,1]
	v_pk_fma_f32 v[112:113], v[104:105], v[108:109], v[110:111] op_sel_hi:[1,0,1]
	v_pk_fma_f32 v[104:105], v[104:105], v[108:109], v[110:111] neg_lo:[0,0,1] neg_hi:[0,0,1]
	s_delay_alu instid0(VALU_DEP_2)
	v_mov_b32_e32 v105, v113
	scratch_store_b64 off, v[104:105], off offset:248
.LBB113_800:
	s_wait_xcnt 0x0
	s_or_b32 exec_lo, exec_lo, s0
	scratch_load_b64 v[104:105], off, off offset:256
	s_mov_b32 s0, exec_lo
	s_wait_loadcnt 0x0
	ds_store_b64 v1, v[104:105]
	s_wait_storecnt_dscnt 0x0
	s_barrier_signal -1
	s_barrier_wait -1
	s_wait_xcnt 0x0
	v_cmpx_gt_u32_e32 32, v0
	s_cbranch_execz .LBB113_810
; %bb.801:
	v_cmp_ne_u32_e32 vcc_lo, 1, v106
	s_cbranch_vccnz .LBB113_803
; %bb.802:
	scratch_load_b64 v[104:105], v59, off
	ds_load_b64 v[108:109], v1
	s_wait_loadcnt_dscnt 0x0
	v_pk_mul_f32 v[110:111], v[108:109], v[104:105] op_sel:[1,1] op_sel_hi:[0,1]
	s_delay_alu instid0(VALU_DEP_1) | instskip(SKIP_1) | instid1(VALU_DEP_2)
	v_pk_fma_f32 v[112:113], v[108:109], v[104:105], v[110:111] op_sel_hi:[1,0,1]
	v_pk_fma_f32 v[104:105], v[108:109], v[104:105], v[110:111] neg_lo:[0,0,1] neg_hi:[0,0,1]
	v_mov_b32_e32 v105, v113
	s_cbranch_execz .LBB113_804
	s_branch .LBB113_805
.LBB113_803:
                                        ; implicit-def: $vgpr104_vgpr105
.LBB113_804:
	ds_load_b64 v[104:105], v1
.LBB113_805:
	s_mov_b32 s2, exec_lo
	v_cmpx_ne_u32_e32 31, v0
	s_cbranch_execz .LBB113_809
; %bb.806:
	v_add_nc_u32_e32 v107, 0x198, v58
	v_add3_u32 v108, 0, v58, 8
	v_mov_b32_e32 v109, v0
	s_mov_b32 s3, 0
.LBB113_807:                            ; =>This Inner Loop Header: Depth=1
	scratch_load_b64 v[110:111], v108, off
	ds_load_b64 v[112:113], v107
	s_wait_xcnt 0x0
	v_dual_add_nc_u32 v107, 8, v107 :: v_dual_add_nc_u32 v108, 8, v108
	s_wait_loadcnt_dscnt 0x0
	v_pk_mul_f32 v[114:115], v[112:113], v[110:111] op_sel:[1,1] op_sel_hi:[0,1]
	s_delay_alu instid0(VALU_DEP_1) | instskip(SKIP_2) | instid1(VALU_DEP_3)
	v_pk_fma_f32 v[116:117], v[112:113], v[110:111], v[114:115] op_sel_hi:[1,0,1]
	v_add_nc_u32_e32 v109, 1, v109
	v_pk_fma_f32 v[110:111], v[112:113], v[110:111], v[114:115] neg_lo:[0,0,1] neg_hi:[0,0,1]
	v_mov_b32_e32 v111, v117
	s_delay_alu instid0(VALU_DEP_3) | instskip(NEXT) | instid1(VALU_DEP_2)
	v_cmp_lt_u32_e32 vcc_lo, 30, v109
	v_pk_add_f32 v[104:105], v[104:105], v[110:111]
	s_or_b32 s3, vcc_lo, s3
	s_delay_alu instid0(SALU_CYCLE_1)
	s_and_not1_b32 exec_lo, exec_lo, s3
	s_cbranch_execnz .LBB113_807
; %bb.808:
	s_or_b32 exec_lo, exec_lo, s3
.LBB113_809:
	s_delay_alu instid0(SALU_CYCLE_1) | instskip(SKIP_4) | instid1(VALU_DEP_1)
	s_or_b32 exec_lo, exec_lo, s2
	v_mov_b32_e32 v107, 0
	ds_load_b64 v[108:109], v107 offset:256
	s_wait_dscnt 0x0
	v_pk_mul_f32 v[110:111], v[104:105], v[108:109] op_sel:[1,1] op_sel_hi:[0,1]
	v_pk_fma_f32 v[112:113], v[104:105], v[108:109], v[110:111] op_sel_hi:[1,0,1]
	v_pk_fma_f32 v[104:105], v[104:105], v[108:109], v[110:111] neg_lo:[0,0,1] neg_hi:[0,0,1]
	s_delay_alu instid0(VALU_DEP_2)
	v_mov_b32_e32 v105, v113
	scratch_store_b64 off, v[104:105], off offset:256
.LBB113_810:
	s_wait_xcnt 0x0
	s_or_b32 exec_lo, exec_lo, s0
	scratch_load_b64 v[104:105], off, off offset:264
	s_mov_b32 s0, exec_lo
	s_wait_loadcnt 0x0
	ds_store_b64 v1, v[104:105]
	s_wait_storecnt_dscnt 0x0
	s_barrier_signal -1
	s_barrier_wait -1
	s_wait_xcnt 0x0
	v_cmpx_gt_u32_e32 33, v0
	s_cbranch_execz .LBB113_820
; %bb.811:
	v_cmp_ne_u32_e32 vcc_lo, 1, v106
	s_cbranch_vccnz .LBB113_813
; %bb.812:
	scratch_load_b64 v[104:105], v59, off
	ds_load_b64 v[108:109], v1
	s_wait_loadcnt_dscnt 0x0
	v_pk_mul_f32 v[110:111], v[108:109], v[104:105] op_sel:[1,1] op_sel_hi:[0,1]
	s_delay_alu instid0(VALU_DEP_1) | instskip(SKIP_1) | instid1(VALU_DEP_2)
	v_pk_fma_f32 v[112:113], v[108:109], v[104:105], v[110:111] op_sel_hi:[1,0,1]
	v_pk_fma_f32 v[104:105], v[108:109], v[104:105], v[110:111] neg_lo:[0,0,1] neg_hi:[0,0,1]
	v_mov_b32_e32 v105, v113
	s_cbranch_execz .LBB113_814
	s_branch .LBB113_815
.LBB113_813:
                                        ; implicit-def: $vgpr104_vgpr105
.LBB113_814:
	ds_load_b64 v[104:105], v1
.LBB113_815:
	s_mov_b32 s2, exec_lo
	v_cmpx_ne_u32_e32 32, v0
	s_cbranch_execz .LBB113_819
; %bb.816:
	v_add_nc_u32_e32 v107, 0x198, v58
	v_add3_u32 v108, 0, v58, 8
	v_mov_b32_e32 v109, v0
	s_mov_b32 s3, 0
.LBB113_817:                            ; =>This Inner Loop Header: Depth=1
	scratch_load_b64 v[110:111], v108, off
	ds_load_b64 v[112:113], v107
	s_wait_xcnt 0x0
	v_dual_add_nc_u32 v107, 8, v107 :: v_dual_add_nc_u32 v108, 8, v108
	s_wait_loadcnt_dscnt 0x0
	v_pk_mul_f32 v[114:115], v[112:113], v[110:111] op_sel:[1,1] op_sel_hi:[0,1]
	s_delay_alu instid0(VALU_DEP_1) | instskip(SKIP_2) | instid1(VALU_DEP_3)
	v_pk_fma_f32 v[116:117], v[112:113], v[110:111], v[114:115] op_sel_hi:[1,0,1]
	v_add_nc_u32_e32 v109, 1, v109
	v_pk_fma_f32 v[110:111], v[112:113], v[110:111], v[114:115] neg_lo:[0,0,1] neg_hi:[0,0,1]
	v_mov_b32_e32 v111, v117
	s_delay_alu instid0(VALU_DEP_3) | instskip(NEXT) | instid1(VALU_DEP_2)
	v_cmp_lt_u32_e32 vcc_lo, 31, v109
	v_pk_add_f32 v[104:105], v[104:105], v[110:111]
	s_or_b32 s3, vcc_lo, s3
	s_delay_alu instid0(SALU_CYCLE_1)
	s_and_not1_b32 exec_lo, exec_lo, s3
	s_cbranch_execnz .LBB113_817
; %bb.818:
	s_or_b32 exec_lo, exec_lo, s3
.LBB113_819:
	s_delay_alu instid0(SALU_CYCLE_1) | instskip(SKIP_4) | instid1(VALU_DEP_1)
	s_or_b32 exec_lo, exec_lo, s2
	v_mov_b32_e32 v107, 0
	ds_load_b64 v[108:109], v107 offset:264
	s_wait_dscnt 0x0
	v_pk_mul_f32 v[110:111], v[104:105], v[108:109] op_sel:[1,1] op_sel_hi:[0,1]
	v_pk_fma_f32 v[112:113], v[104:105], v[108:109], v[110:111] op_sel_hi:[1,0,1]
	v_pk_fma_f32 v[104:105], v[104:105], v[108:109], v[110:111] neg_lo:[0,0,1] neg_hi:[0,0,1]
	s_delay_alu instid0(VALU_DEP_2)
	v_mov_b32_e32 v105, v113
	scratch_store_b64 off, v[104:105], off offset:264
.LBB113_820:
	s_wait_xcnt 0x0
	s_or_b32 exec_lo, exec_lo, s0
	scratch_load_b64 v[104:105], off, off offset:272
	s_mov_b32 s0, exec_lo
	s_wait_loadcnt 0x0
	ds_store_b64 v1, v[104:105]
	s_wait_storecnt_dscnt 0x0
	s_barrier_signal -1
	s_barrier_wait -1
	s_wait_xcnt 0x0
	v_cmpx_gt_u32_e32 34, v0
	s_cbranch_execz .LBB113_830
; %bb.821:
	v_cmp_ne_u32_e32 vcc_lo, 1, v106
	s_cbranch_vccnz .LBB113_823
; %bb.822:
	scratch_load_b64 v[104:105], v59, off
	ds_load_b64 v[108:109], v1
	s_wait_loadcnt_dscnt 0x0
	v_pk_mul_f32 v[110:111], v[108:109], v[104:105] op_sel:[1,1] op_sel_hi:[0,1]
	s_delay_alu instid0(VALU_DEP_1) | instskip(SKIP_1) | instid1(VALU_DEP_2)
	v_pk_fma_f32 v[112:113], v[108:109], v[104:105], v[110:111] op_sel_hi:[1,0,1]
	v_pk_fma_f32 v[104:105], v[108:109], v[104:105], v[110:111] neg_lo:[0,0,1] neg_hi:[0,0,1]
	v_mov_b32_e32 v105, v113
	s_cbranch_execz .LBB113_824
	s_branch .LBB113_825
.LBB113_823:
                                        ; implicit-def: $vgpr104_vgpr105
.LBB113_824:
	ds_load_b64 v[104:105], v1
.LBB113_825:
	s_mov_b32 s2, exec_lo
	v_cmpx_ne_u32_e32 33, v0
	s_cbranch_execz .LBB113_829
; %bb.826:
	v_add_nc_u32_e32 v107, 0x198, v58
	v_add3_u32 v108, 0, v58, 8
	v_mov_b32_e32 v109, v0
	s_mov_b32 s3, 0
.LBB113_827:                            ; =>This Inner Loop Header: Depth=1
	scratch_load_b64 v[110:111], v108, off
	ds_load_b64 v[112:113], v107
	s_wait_xcnt 0x0
	v_dual_add_nc_u32 v107, 8, v107 :: v_dual_add_nc_u32 v108, 8, v108
	s_wait_loadcnt_dscnt 0x0
	v_pk_mul_f32 v[114:115], v[112:113], v[110:111] op_sel:[1,1] op_sel_hi:[0,1]
	s_delay_alu instid0(VALU_DEP_1) | instskip(SKIP_2) | instid1(VALU_DEP_3)
	v_pk_fma_f32 v[116:117], v[112:113], v[110:111], v[114:115] op_sel_hi:[1,0,1]
	v_add_nc_u32_e32 v109, 1, v109
	v_pk_fma_f32 v[110:111], v[112:113], v[110:111], v[114:115] neg_lo:[0,0,1] neg_hi:[0,0,1]
	v_mov_b32_e32 v111, v117
	s_delay_alu instid0(VALU_DEP_3) | instskip(NEXT) | instid1(VALU_DEP_2)
	v_cmp_lt_u32_e32 vcc_lo, 32, v109
	v_pk_add_f32 v[104:105], v[104:105], v[110:111]
	s_or_b32 s3, vcc_lo, s3
	s_delay_alu instid0(SALU_CYCLE_1)
	s_and_not1_b32 exec_lo, exec_lo, s3
	s_cbranch_execnz .LBB113_827
; %bb.828:
	s_or_b32 exec_lo, exec_lo, s3
.LBB113_829:
	s_delay_alu instid0(SALU_CYCLE_1) | instskip(SKIP_4) | instid1(VALU_DEP_1)
	s_or_b32 exec_lo, exec_lo, s2
	v_mov_b32_e32 v107, 0
	ds_load_b64 v[108:109], v107 offset:272
	s_wait_dscnt 0x0
	v_pk_mul_f32 v[110:111], v[104:105], v[108:109] op_sel:[1,1] op_sel_hi:[0,1]
	v_pk_fma_f32 v[112:113], v[104:105], v[108:109], v[110:111] op_sel_hi:[1,0,1]
	v_pk_fma_f32 v[104:105], v[104:105], v[108:109], v[110:111] neg_lo:[0,0,1] neg_hi:[0,0,1]
	s_delay_alu instid0(VALU_DEP_2)
	v_mov_b32_e32 v105, v113
	scratch_store_b64 off, v[104:105], off offset:272
.LBB113_830:
	s_wait_xcnt 0x0
	s_or_b32 exec_lo, exec_lo, s0
	scratch_load_b64 v[104:105], off, off offset:280
	s_mov_b32 s0, exec_lo
	s_wait_loadcnt 0x0
	ds_store_b64 v1, v[104:105]
	s_wait_storecnt_dscnt 0x0
	s_barrier_signal -1
	s_barrier_wait -1
	s_wait_xcnt 0x0
	v_cmpx_gt_u32_e32 35, v0
	s_cbranch_execz .LBB113_840
; %bb.831:
	v_cmp_ne_u32_e32 vcc_lo, 1, v106
	s_cbranch_vccnz .LBB113_833
; %bb.832:
	scratch_load_b64 v[104:105], v59, off
	ds_load_b64 v[108:109], v1
	s_wait_loadcnt_dscnt 0x0
	v_pk_mul_f32 v[110:111], v[108:109], v[104:105] op_sel:[1,1] op_sel_hi:[0,1]
	s_delay_alu instid0(VALU_DEP_1) | instskip(SKIP_1) | instid1(VALU_DEP_2)
	v_pk_fma_f32 v[112:113], v[108:109], v[104:105], v[110:111] op_sel_hi:[1,0,1]
	v_pk_fma_f32 v[104:105], v[108:109], v[104:105], v[110:111] neg_lo:[0,0,1] neg_hi:[0,0,1]
	v_mov_b32_e32 v105, v113
	s_cbranch_execz .LBB113_834
	s_branch .LBB113_835
.LBB113_833:
                                        ; implicit-def: $vgpr104_vgpr105
.LBB113_834:
	ds_load_b64 v[104:105], v1
.LBB113_835:
	s_mov_b32 s2, exec_lo
	v_cmpx_ne_u32_e32 34, v0
	s_cbranch_execz .LBB113_839
; %bb.836:
	v_add_nc_u32_e32 v107, 0x198, v58
	v_add3_u32 v108, 0, v58, 8
	v_mov_b32_e32 v109, v0
	s_mov_b32 s3, 0
.LBB113_837:                            ; =>This Inner Loop Header: Depth=1
	scratch_load_b64 v[110:111], v108, off
	ds_load_b64 v[112:113], v107
	s_wait_xcnt 0x0
	v_dual_add_nc_u32 v107, 8, v107 :: v_dual_add_nc_u32 v108, 8, v108
	s_wait_loadcnt_dscnt 0x0
	v_pk_mul_f32 v[114:115], v[112:113], v[110:111] op_sel:[1,1] op_sel_hi:[0,1]
	s_delay_alu instid0(VALU_DEP_1) | instskip(SKIP_2) | instid1(VALU_DEP_3)
	v_pk_fma_f32 v[116:117], v[112:113], v[110:111], v[114:115] op_sel_hi:[1,0,1]
	v_add_nc_u32_e32 v109, 1, v109
	v_pk_fma_f32 v[110:111], v[112:113], v[110:111], v[114:115] neg_lo:[0,0,1] neg_hi:[0,0,1]
	v_mov_b32_e32 v111, v117
	s_delay_alu instid0(VALU_DEP_3) | instskip(NEXT) | instid1(VALU_DEP_2)
	v_cmp_lt_u32_e32 vcc_lo, 33, v109
	v_pk_add_f32 v[104:105], v[104:105], v[110:111]
	s_or_b32 s3, vcc_lo, s3
	s_delay_alu instid0(SALU_CYCLE_1)
	s_and_not1_b32 exec_lo, exec_lo, s3
	s_cbranch_execnz .LBB113_837
; %bb.838:
	s_or_b32 exec_lo, exec_lo, s3
.LBB113_839:
	s_delay_alu instid0(SALU_CYCLE_1) | instskip(SKIP_4) | instid1(VALU_DEP_1)
	s_or_b32 exec_lo, exec_lo, s2
	v_mov_b32_e32 v107, 0
	ds_load_b64 v[108:109], v107 offset:280
	s_wait_dscnt 0x0
	v_pk_mul_f32 v[110:111], v[104:105], v[108:109] op_sel:[1,1] op_sel_hi:[0,1]
	v_pk_fma_f32 v[112:113], v[104:105], v[108:109], v[110:111] op_sel_hi:[1,0,1]
	v_pk_fma_f32 v[104:105], v[104:105], v[108:109], v[110:111] neg_lo:[0,0,1] neg_hi:[0,0,1]
	s_delay_alu instid0(VALU_DEP_2)
	v_mov_b32_e32 v105, v113
	scratch_store_b64 off, v[104:105], off offset:280
.LBB113_840:
	s_wait_xcnt 0x0
	s_or_b32 exec_lo, exec_lo, s0
	scratch_load_b64 v[104:105], off, off offset:288
	s_mov_b32 s0, exec_lo
	s_wait_loadcnt 0x0
	ds_store_b64 v1, v[104:105]
	s_wait_storecnt_dscnt 0x0
	s_barrier_signal -1
	s_barrier_wait -1
	s_wait_xcnt 0x0
	v_cmpx_gt_u32_e32 36, v0
	s_cbranch_execz .LBB113_850
; %bb.841:
	v_cmp_ne_u32_e32 vcc_lo, 1, v106
	s_cbranch_vccnz .LBB113_843
; %bb.842:
	scratch_load_b64 v[104:105], v59, off
	ds_load_b64 v[108:109], v1
	s_wait_loadcnt_dscnt 0x0
	v_pk_mul_f32 v[110:111], v[108:109], v[104:105] op_sel:[1,1] op_sel_hi:[0,1]
	s_delay_alu instid0(VALU_DEP_1) | instskip(SKIP_1) | instid1(VALU_DEP_2)
	v_pk_fma_f32 v[112:113], v[108:109], v[104:105], v[110:111] op_sel_hi:[1,0,1]
	v_pk_fma_f32 v[104:105], v[108:109], v[104:105], v[110:111] neg_lo:[0,0,1] neg_hi:[0,0,1]
	v_mov_b32_e32 v105, v113
	s_cbranch_execz .LBB113_844
	s_branch .LBB113_845
.LBB113_843:
                                        ; implicit-def: $vgpr104_vgpr105
.LBB113_844:
	ds_load_b64 v[104:105], v1
.LBB113_845:
	s_mov_b32 s2, exec_lo
	v_cmpx_ne_u32_e32 35, v0
	s_cbranch_execz .LBB113_849
; %bb.846:
	v_add_nc_u32_e32 v107, 0x198, v58
	v_add3_u32 v108, 0, v58, 8
	v_mov_b32_e32 v109, v0
	s_mov_b32 s3, 0
.LBB113_847:                            ; =>This Inner Loop Header: Depth=1
	scratch_load_b64 v[110:111], v108, off
	ds_load_b64 v[112:113], v107
	s_wait_xcnt 0x0
	v_dual_add_nc_u32 v107, 8, v107 :: v_dual_add_nc_u32 v108, 8, v108
	s_wait_loadcnt_dscnt 0x0
	v_pk_mul_f32 v[114:115], v[112:113], v[110:111] op_sel:[1,1] op_sel_hi:[0,1]
	s_delay_alu instid0(VALU_DEP_1) | instskip(SKIP_2) | instid1(VALU_DEP_3)
	v_pk_fma_f32 v[116:117], v[112:113], v[110:111], v[114:115] op_sel_hi:[1,0,1]
	v_add_nc_u32_e32 v109, 1, v109
	v_pk_fma_f32 v[110:111], v[112:113], v[110:111], v[114:115] neg_lo:[0,0,1] neg_hi:[0,0,1]
	v_mov_b32_e32 v111, v117
	s_delay_alu instid0(VALU_DEP_3) | instskip(NEXT) | instid1(VALU_DEP_2)
	v_cmp_lt_u32_e32 vcc_lo, 34, v109
	v_pk_add_f32 v[104:105], v[104:105], v[110:111]
	s_or_b32 s3, vcc_lo, s3
	s_delay_alu instid0(SALU_CYCLE_1)
	s_and_not1_b32 exec_lo, exec_lo, s3
	s_cbranch_execnz .LBB113_847
; %bb.848:
	s_or_b32 exec_lo, exec_lo, s3
.LBB113_849:
	s_delay_alu instid0(SALU_CYCLE_1) | instskip(SKIP_4) | instid1(VALU_DEP_1)
	s_or_b32 exec_lo, exec_lo, s2
	v_mov_b32_e32 v107, 0
	ds_load_b64 v[108:109], v107 offset:288
	s_wait_dscnt 0x0
	v_pk_mul_f32 v[110:111], v[104:105], v[108:109] op_sel:[1,1] op_sel_hi:[0,1]
	v_pk_fma_f32 v[112:113], v[104:105], v[108:109], v[110:111] op_sel_hi:[1,0,1]
	v_pk_fma_f32 v[104:105], v[104:105], v[108:109], v[110:111] neg_lo:[0,0,1] neg_hi:[0,0,1]
	s_delay_alu instid0(VALU_DEP_2)
	v_mov_b32_e32 v105, v113
	scratch_store_b64 off, v[104:105], off offset:288
.LBB113_850:
	s_wait_xcnt 0x0
	s_or_b32 exec_lo, exec_lo, s0
	scratch_load_b64 v[104:105], off, off offset:296
	s_mov_b32 s0, exec_lo
	s_wait_loadcnt 0x0
	ds_store_b64 v1, v[104:105]
	s_wait_storecnt_dscnt 0x0
	s_barrier_signal -1
	s_barrier_wait -1
	s_wait_xcnt 0x0
	v_cmpx_gt_u32_e32 37, v0
	s_cbranch_execz .LBB113_860
; %bb.851:
	v_cmp_ne_u32_e32 vcc_lo, 1, v106
	s_cbranch_vccnz .LBB113_853
; %bb.852:
	scratch_load_b64 v[104:105], v59, off
	ds_load_b64 v[108:109], v1
	s_wait_loadcnt_dscnt 0x0
	v_pk_mul_f32 v[110:111], v[108:109], v[104:105] op_sel:[1,1] op_sel_hi:[0,1]
	s_delay_alu instid0(VALU_DEP_1) | instskip(SKIP_1) | instid1(VALU_DEP_2)
	v_pk_fma_f32 v[112:113], v[108:109], v[104:105], v[110:111] op_sel_hi:[1,0,1]
	v_pk_fma_f32 v[104:105], v[108:109], v[104:105], v[110:111] neg_lo:[0,0,1] neg_hi:[0,0,1]
	v_mov_b32_e32 v105, v113
	s_cbranch_execz .LBB113_854
	s_branch .LBB113_855
.LBB113_853:
                                        ; implicit-def: $vgpr104_vgpr105
.LBB113_854:
	ds_load_b64 v[104:105], v1
.LBB113_855:
	s_mov_b32 s2, exec_lo
	v_cmpx_ne_u32_e32 36, v0
	s_cbranch_execz .LBB113_859
; %bb.856:
	v_add_nc_u32_e32 v107, 0x198, v58
	v_add3_u32 v108, 0, v58, 8
	v_mov_b32_e32 v109, v0
	s_mov_b32 s3, 0
.LBB113_857:                            ; =>This Inner Loop Header: Depth=1
	scratch_load_b64 v[110:111], v108, off
	ds_load_b64 v[112:113], v107
	s_wait_xcnt 0x0
	v_dual_add_nc_u32 v107, 8, v107 :: v_dual_add_nc_u32 v108, 8, v108
	s_wait_loadcnt_dscnt 0x0
	v_pk_mul_f32 v[114:115], v[112:113], v[110:111] op_sel:[1,1] op_sel_hi:[0,1]
	s_delay_alu instid0(VALU_DEP_1) | instskip(SKIP_2) | instid1(VALU_DEP_3)
	v_pk_fma_f32 v[116:117], v[112:113], v[110:111], v[114:115] op_sel_hi:[1,0,1]
	v_add_nc_u32_e32 v109, 1, v109
	v_pk_fma_f32 v[110:111], v[112:113], v[110:111], v[114:115] neg_lo:[0,0,1] neg_hi:[0,0,1]
	v_mov_b32_e32 v111, v117
	s_delay_alu instid0(VALU_DEP_3) | instskip(NEXT) | instid1(VALU_DEP_2)
	v_cmp_lt_u32_e32 vcc_lo, 35, v109
	v_pk_add_f32 v[104:105], v[104:105], v[110:111]
	s_or_b32 s3, vcc_lo, s3
	s_delay_alu instid0(SALU_CYCLE_1)
	s_and_not1_b32 exec_lo, exec_lo, s3
	s_cbranch_execnz .LBB113_857
; %bb.858:
	s_or_b32 exec_lo, exec_lo, s3
.LBB113_859:
	s_delay_alu instid0(SALU_CYCLE_1) | instskip(SKIP_4) | instid1(VALU_DEP_1)
	s_or_b32 exec_lo, exec_lo, s2
	v_mov_b32_e32 v107, 0
	ds_load_b64 v[108:109], v107 offset:296
	s_wait_dscnt 0x0
	v_pk_mul_f32 v[110:111], v[104:105], v[108:109] op_sel:[1,1] op_sel_hi:[0,1]
	v_pk_fma_f32 v[112:113], v[104:105], v[108:109], v[110:111] op_sel_hi:[1,0,1]
	v_pk_fma_f32 v[104:105], v[104:105], v[108:109], v[110:111] neg_lo:[0,0,1] neg_hi:[0,0,1]
	s_delay_alu instid0(VALU_DEP_2)
	v_mov_b32_e32 v105, v113
	scratch_store_b64 off, v[104:105], off offset:296
.LBB113_860:
	s_wait_xcnt 0x0
	s_or_b32 exec_lo, exec_lo, s0
	scratch_load_b64 v[104:105], off, off offset:304
	s_mov_b32 s0, exec_lo
	s_wait_loadcnt 0x0
	ds_store_b64 v1, v[104:105]
	s_wait_storecnt_dscnt 0x0
	s_barrier_signal -1
	s_barrier_wait -1
	s_wait_xcnt 0x0
	v_cmpx_gt_u32_e32 38, v0
	s_cbranch_execz .LBB113_870
; %bb.861:
	v_cmp_ne_u32_e32 vcc_lo, 1, v106
	s_cbranch_vccnz .LBB113_863
; %bb.862:
	scratch_load_b64 v[104:105], v59, off
	ds_load_b64 v[108:109], v1
	s_wait_loadcnt_dscnt 0x0
	v_pk_mul_f32 v[110:111], v[108:109], v[104:105] op_sel:[1,1] op_sel_hi:[0,1]
	s_delay_alu instid0(VALU_DEP_1) | instskip(SKIP_1) | instid1(VALU_DEP_2)
	v_pk_fma_f32 v[112:113], v[108:109], v[104:105], v[110:111] op_sel_hi:[1,0,1]
	v_pk_fma_f32 v[104:105], v[108:109], v[104:105], v[110:111] neg_lo:[0,0,1] neg_hi:[0,0,1]
	v_mov_b32_e32 v105, v113
	s_cbranch_execz .LBB113_864
	s_branch .LBB113_865
.LBB113_863:
                                        ; implicit-def: $vgpr104_vgpr105
.LBB113_864:
	ds_load_b64 v[104:105], v1
.LBB113_865:
	s_mov_b32 s2, exec_lo
	v_cmpx_ne_u32_e32 37, v0
	s_cbranch_execz .LBB113_869
; %bb.866:
	v_add_nc_u32_e32 v107, 0x198, v58
	v_add3_u32 v108, 0, v58, 8
	v_mov_b32_e32 v109, v0
	s_mov_b32 s3, 0
.LBB113_867:                            ; =>This Inner Loop Header: Depth=1
	scratch_load_b64 v[110:111], v108, off
	ds_load_b64 v[112:113], v107
	s_wait_xcnt 0x0
	v_dual_add_nc_u32 v107, 8, v107 :: v_dual_add_nc_u32 v108, 8, v108
	s_wait_loadcnt_dscnt 0x0
	v_pk_mul_f32 v[114:115], v[112:113], v[110:111] op_sel:[1,1] op_sel_hi:[0,1]
	s_delay_alu instid0(VALU_DEP_1) | instskip(SKIP_2) | instid1(VALU_DEP_3)
	v_pk_fma_f32 v[116:117], v[112:113], v[110:111], v[114:115] op_sel_hi:[1,0,1]
	v_add_nc_u32_e32 v109, 1, v109
	v_pk_fma_f32 v[110:111], v[112:113], v[110:111], v[114:115] neg_lo:[0,0,1] neg_hi:[0,0,1]
	v_mov_b32_e32 v111, v117
	s_delay_alu instid0(VALU_DEP_3) | instskip(NEXT) | instid1(VALU_DEP_2)
	v_cmp_lt_u32_e32 vcc_lo, 36, v109
	v_pk_add_f32 v[104:105], v[104:105], v[110:111]
	s_or_b32 s3, vcc_lo, s3
	s_delay_alu instid0(SALU_CYCLE_1)
	s_and_not1_b32 exec_lo, exec_lo, s3
	s_cbranch_execnz .LBB113_867
; %bb.868:
	s_or_b32 exec_lo, exec_lo, s3
.LBB113_869:
	s_delay_alu instid0(SALU_CYCLE_1) | instskip(SKIP_4) | instid1(VALU_DEP_1)
	s_or_b32 exec_lo, exec_lo, s2
	v_mov_b32_e32 v107, 0
	ds_load_b64 v[108:109], v107 offset:304
	s_wait_dscnt 0x0
	v_pk_mul_f32 v[110:111], v[104:105], v[108:109] op_sel:[1,1] op_sel_hi:[0,1]
	v_pk_fma_f32 v[112:113], v[104:105], v[108:109], v[110:111] op_sel_hi:[1,0,1]
	v_pk_fma_f32 v[104:105], v[104:105], v[108:109], v[110:111] neg_lo:[0,0,1] neg_hi:[0,0,1]
	s_delay_alu instid0(VALU_DEP_2)
	v_mov_b32_e32 v105, v113
	scratch_store_b64 off, v[104:105], off offset:304
.LBB113_870:
	s_wait_xcnt 0x0
	s_or_b32 exec_lo, exec_lo, s0
	scratch_load_b64 v[104:105], off, off offset:312
	s_mov_b32 s0, exec_lo
	s_wait_loadcnt 0x0
	ds_store_b64 v1, v[104:105]
	s_wait_storecnt_dscnt 0x0
	s_barrier_signal -1
	s_barrier_wait -1
	s_wait_xcnt 0x0
	v_cmpx_gt_u32_e32 39, v0
	s_cbranch_execz .LBB113_880
; %bb.871:
	v_cmp_ne_u32_e32 vcc_lo, 1, v106
	s_cbranch_vccnz .LBB113_873
; %bb.872:
	scratch_load_b64 v[104:105], v59, off
	ds_load_b64 v[108:109], v1
	s_wait_loadcnt_dscnt 0x0
	v_pk_mul_f32 v[110:111], v[108:109], v[104:105] op_sel:[1,1] op_sel_hi:[0,1]
	s_delay_alu instid0(VALU_DEP_1) | instskip(SKIP_1) | instid1(VALU_DEP_2)
	v_pk_fma_f32 v[112:113], v[108:109], v[104:105], v[110:111] op_sel_hi:[1,0,1]
	v_pk_fma_f32 v[104:105], v[108:109], v[104:105], v[110:111] neg_lo:[0,0,1] neg_hi:[0,0,1]
	v_mov_b32_e32 v105, v113
	s_cbranch_execz .LBB113_874
	s_branch .LBB113_875
.LBB113_873:
                                        ; implicit-def: $vgpr104_vgpr105
.LBB113_874:
	ds_load_b64 v[104:105], v1
.LBB113_875:
	s_mov_b32 s2, exec_lo
	v_cmpx_ne_u32_e32 38, v0
	s_cbranch_execz .LBB113_879
; %bb.876:
	v_add_nc_u32_e32 v107, 0x198, v58
	v_add3_u32 v108, 0, v58, 8
	v_mov_b32_e32 v109, v0
	s_mov_b32 s3, 0
.LBB113_877:                            ; =>This Inner Loop Header: Depth=1
	scratch_load_b64 v[110:111], v108, off
	ds_load_b64 v[112:113], v107
	s_wait_xcnt 0x0
	v_dual_add_nc_u32 v107, 8, v107 :: v_dual_add_nc_u32 v108, 8, v108
	s_wait_loadcnt_dscnt 0x0
	v_pk_mul_f32 v[114:115], v[112:113], v[110:111] op_sel:[1,1] op_sel_hi:[0,1]
	s_delay_alu instid0(VALU_DEP_1) | instskip(SKIP_2) | instid1(VALU_DEP_3)
	v_pk_fma_f32 v[116:117], v[112:113], v[110:111], v[114:115] op_sel_hi:[1,0,1]
	v_add_nc_u32_e32 v109, 1, v109
	v_pk_fma_f32 v[110:111], v[112:113], v[110:111], v[114:115] neg_lo:[0,0,1] neg_hi:[0,0,1]
	v_mov_b32_e32 v111, v117
	s_delay_alu instid0(VALU_DEP_3) | instskip(NEXT) | instid1(VALU_DEP_2)
	v_cmp_lt_u32_e32 vcc_lo, 37, v109
	v_pk_add_f32 v[104:105], v[104:105], v[110:111]
	s_or_b32 s3, vcc_lo, s3
	s_delay_alu instid0(SALU_CYCLE_1)
	s_and_not1_b32 exec_lo, exec_lo, s3
	s_cbranch_execnz .LBB113_877
; %bb.878:
	s_or_b32 exec_lo, exec_lo, s3
.LBB113_879:
	s_delay_alu instid0(SALU_CYCLE_1) | instskip(SKIP_4) | instid1(VALU_DEP_1)
	s_or_b32 exec_lo, exec_lo, s2
	v_mov_b32_e32 v107, 0
	ds_load_b64 v[108:109], v107 offset:312
	s_wait_dscnt 0x0
	v_pk_mul_f32 v[110:111], v[104:105], v[108:109] op_sel:[1,1] op_sel_hi:[0,1]
	v_pk_fma_f32 v[112:113], v[104:105], v[108:109], v[110:111] op_sel_hi:[1,0,1]
	v_pk_fma_f32 v[104:105], v[104:105], v[108:109], v[110:111] neg_lo:[0,0,1] neg_hi:[0,0,1]
	s_delay_alu instid0(VALU_DEP_2)
	v_mov_b32_e32 v105, v113
	scratch_store_b64 off, v[104:105], off offset:312
.LBB113_880:
	s_wait_xcnt 0x0
	s_or_b32 exec_lo, exec_lo, s0
	scratch_load_b64 v[104:105], off, off offset:320
	s_mov_b32 s0, exec_lo
	s_wait_loadcnt 0x0
	ds_store_b64 v1, v[104:105]
	s_wait_storecnt_dscnt 0x0
	s_barrier_signal -1
	s_barrier_wait -1
	s_wait_xcnt 0x0
	v_cmpx_gt_u32_e32 40, v0
	s_cbranch_execz .LBB113_890
; %bb.881:
	v_cmp_ne_u32_e32 vcc_lo, 1, v106
	s_cbranch_vccnz .LBB113_883
; %bb.882:
	scratch_load_b64 v[104:105], v59, off
	ds_load_b64 v[108:109], v1
	s_wait_loadcnt_dscnt 0x0
	v_pk_mul_f32 v[110:111], v[108:109], v[104:105] op_sel:[1,1] op_sel_hi:[0,1]
	s_delay_alu instid0(VALU_DEP_1) | instskip(SKIP_1) | instid1(VALU_DEP_2)
	v_pk_fma_f32 v[112:113], v[108:109], v[104:105], v[110:111] op_sel_hi:[1,0,1]
	v_pk_fma_f32 v[104:105], v[108:109], v[104:105], v[110:111] neg_lo:[0,0,1] neg_hi:[0,0,1]
	v_mov_b32_e32 v105, v113
	s_cbranch_execz .LBB113_884
	s_branch .LBB113_885
.LBB113_883:
                                        ; implicit-def: $vgpr104_vgpr105
.LBB113_884:
	ds_load_b64 v[104:105], v1
.LBB113_885:
	s_mov_b32 s2, exec_lo
	v_cmpx_ne_u32_e32 39, v0
	s_cbranch_execz .LBB113_889
; %bb.886:
	v_add_nc_u32_e32 v107, 0x198, v58
	v_add3_u32 v108, 0, v58, 8
	v_mov_b32_e32 v109, v0
	s_mov_b32 s3, 0
.LBB113_887:                            ; =>This Inner Loop Header: Depth=1
	scratch_load_b64 v[110:111], v108, off
	ds_load_b64 v[112:113], v107
	s_wait_xcnt 0x0
	v_dual_add_nc_u32 v107, 8, v107 :: v_dual_add_nc_u32 v108, 8, v108
	s_wait_loadcnt_dscnt 0x0
	v_pk_mul_f32 v[114:115], v[112:113], v[110:111] op_sel:[1,1] op_sel_hi:[0,1]
	s_delay_alu instid0(VALU_DEP_1) | instskip(SKIP_2) | instid1(VALU_DEP_3)
	v_pk_fma_f32 v[116:117], v[112:113], v[110:111], v[114:115] op_sel_hi:[1,0,1]
	v_add_nc_u32_e32 v109, 1, v109
	v_pk_fma_f32 v[110:111], v[112:113], v[110:111], v[114:115] neg_lo:[0,0,1] neg_hi:[0,0,1]
	v_mov_b32_e32 v111, v117
	s_delay_alu instid0(VALU_DEP_3) | instskip(NEXT) | instid1(VALU_DEP_2)
	v_cmp_lt_u32_e32 vcc_lo, 38, v109
	v_pk_add_f32 v[104:105], v[104:105], v[110:111]
	s_or_b32 s3, vcc_lo, s3
	s_delay_alu instid0(SALU_CYCLE_1)
	s_and_not1_b32 exec_lo, exec_lo, s3
	s_cbranch_execnz .LBB113_887
; %bb.888:
	s_or_b32 exec_lo, exec_lo, s3
.LBB113_889:
	s_delay_alu instid0(SALU_CYCLE_1) | instskip(SKIP_4) | instid1(VALU_DEP_1)
	s_or_b32 exec_lo, exec_lo, s2
	v_mov_b32_e32 v107, 0
	ds_load_b64 v[108:109], v107 offset:320
	s_wait_dscnt 0x0
	v_pk_mul_f32 v[110:111], v[104:105], v[108:109] op_sel:[1,1] op_sel_hi:[0,1]
	v_pk_fma_f32 v[112:113], v[104:105], v[108:109], v[110:111] op_sel_hi:[1,0,1]
	v_pk_fma_f32 v[104:105], v[104:105], v[108:109], v[110:111] neg_lo:[0,0,1] neg_hi:[0,0,1]
	s_delay_alu instid0(VALU_DEP_2)
	v_mov_b32_e32 v105, v113
	scratch_store_b64 off, v[104:105], off offset:320
.LBB113_890:
	s_wait_xcnt 0x0
	s_or_b32 exec_lo, exec_lo, s0
	scratch_load_b64 v[104:105], off, off offset:328
	s_mov_b32 s0, exec_lo
	s_wait_loadcnt 0x0
	ds_store_b64 v1, v[104:105]
	s_wait_storecnt_dscnt 0x0
	s_barrier_signal -1
	s_barrier_wait -1
	s_wait_xcnt 0x0
	v_cmpx_gt_u32_e32 41, v0
	s_cbranch_execz .LBB113_900
; %bb.891:
	v_cmp_ne_u32_e32 vcc_lo, 1, v106
	s_cbranch_vccnz .LBB113_893
; %bb.892:
	scratch_load_b64 v[104:105], v59, off
	ds_load_b64 v[108:109], v1
	s_wait_loadcnt_dscnt 0x0
	v_pk_mul_f32 v[110:111], v[108:109], v[104:105] op_sel:[1,1] op_sel_hi:[0,1]
	s_delay_alu instid0(VALU_DEP_1) | instskip(SKIP_1) | instid1(VALU_DEP_2)
	v_pk_fma_f32 v[112:113], v[108:109], v[104:105], v[110:111] op_sel_hi:[1,0,1]
	v_pk_fma_f32 v[104:105], v[108:109], v[104:105], v[110:111] neg_lo:[0,0,1] neg_hi:[0,0,1]
	v_mov_b32_e32 v105, v113
	s_cbranch_execz .LBB113_894
	s_branch .LBB113_895
.LBB113_893:
                                        ; implicit-def: $vgpr104_vgpr105
.LBB113_894:
	ds_load_b64 v[104:105], v1
.LBB113_895:
	s_mov_b32 s2, exec_lo
	v_cmpx_ne_u32_e32 40, v0
	s_cbranch_execz .LBB113_899
; %bb.896:
	v_add_nc_u32_e32 v107, 0x198, v58
	v_add3_u32 v108, 0, v58, 8
	v_mov_b32_e32 v109, v0
	s_mov_b32 s3, 0
.LBB113_897:                            ; =>This Inner Loop Header: Depth=1
	scratch_load_b64 v[110:111], v108, off
	ds_load_b64 v[112:113], v107
	s_wait_xcnt 0x0
	v_dual_add_nc_u32 v107, 8, v107 :: v_dual_add_nc_u32 v108, 8, v108
	s_wait_loadcnt_dscnt 0x0
	v_pk_mul_f32 v[114:115], v[112:113], v[110:111] op_sel:[1,1] op_sel_hi:[0,1]
	s_delay_alu instid0(VALU_DEP_1) | instskip(SKIP_2) | instid1(VALU_DEP_3)
	v_pk_fma_f32 v[116:117], v[112:113], v[110:111], v[114:115] op_sel_hi:[1,0,1]
	v_add_nc_u32_e32 v109, 1, v109
	v_pk_fma_f32 v[110:111], v[112:113], v[110:111], v[114:115] neg_lo:[0,0,1] neg_hi:[0,0,1]
	v_mov_b32_e32 v111, v117
	s_delay_alu instid0(VALU_DEP_3) | instskip(NEXT) | instid1(VALU_DEP_2)
	v_cmp_lt_u32_e32 vcc_lo, 39, v109
	v_pk_add_f32 v[104:105], v[104:105], v[110:111]
	s_or_b32 s3, vcc_lo, s3
	s_delay_alu instid0(SALU_CYCLE_1)
	s_and_not1_b32 exec_lo, exec_lo, s3
	s_cbranch_execnz .LBB113_897
; %bb.898:
	s_or_b32 exec_lo, exec_lo, s3
.LBB113_899:
	s_delay_alu instid0(SALU_CYCLE_1) | instskip(SKIP_4) | instid1(VALU_DEP_1)
	s_or_b32 exec_lo, exec_lo, s2
	v_mov_b32_e32 v107, 0
	ds_load_b64 v[108:109], v107 offset:328
	s_wait_dscnt 0x0
	v_pk_mul_f32 v[110:111], v[104:105], v[108:109] op_sel:[1,1] op_sel_hi:[0,1]
	v_pk_fma_f32 v[112:113], v[104:105], v[108:109], v[110:111] op_sel_hi:[1,0,1]
	v_pk_fma_f32 v[104:105], v[104:105], v[108:109], v[110:111] neg_lo:[0,0,1] neg_hi:[0,0,1]
	s_delay_alu instid0(VALU_DEP_2)
	v_mov_b32_e32 v105, v113
	scratch_store_b64 off, v[104:105], off offset:328
.LBB113_900:
	s_wait_xcnt 0x0
	s_or_b32 exec_lo, exec_lo, s0
	scratch_load_b64 v[104:105], off, off offset:336
	s_mov_b32 s0, exec_lo
	s_wait_loadcnt 0x0
	ds_store_b64 v1, v[104:105]
	s_wait_storecnt_dscnt 0x0
	s_barrier_signal -1
	s_barrier_wait -1
	s_wait_xcnt 0x0
	v_cmpx_gt_u32_e32 42, v0
	s_cbranch_execz .LBB113_910
; %bb.901:
	v_cmp_ne_u32_e32 vcc_lo, 1, v106
	s_cbranch_vccnz .LBB113_903
; %bb.902:
	scratch_load_b64 v[104:105], v59, off
	ds_load_b64 v[108:109], v1
	s_wait_loadcnt_dscnt 0x0
	v_pk_mul_f32 v[110:111], v[108:109], v[104:105] op_sel:[1,1] op_sel_hi:[0,1]
	s_delay_alu instid0(VALU_DEP_1) | instskip(SKIP_1) | instid1(VALU_DEP_2)
	v_pk_fma_f32 v[112:113], v[108:109], v[104:105], v[110:111] op_sel_hi:[1,0,1]
	v_pk_fma_f32 v[104:105], v[108:109], v[104:105], v[110:111] neg_lo:[0,0,1] neg_hi:[0,0,1]
	v_mov_b32_e32 v105, v113
	s_cbranch_execz .LBB113_904
	s_branch .LBB113_905
.LBB113_903:
                                        ; implicit-def: $vgpr104_vgpr105
.LBB113_904:
	ds_load_b64 v[104:105], v1
.LBB113_905:
	s_mov_b32 s2, exec_lo
	v_cmpx_ne_u32_e32 41, v0
	s_cbranch_execz .LBB113_909
; %bb.906:
	v_add_nc_u32_e32 v107, 0x198, v58
	v_add3_u32 v108, 0, v58, 8
	v_mov_b32_e32 v109, v0
	s_mov_b32 s3, 0
.LBB113_907:                            ; =>This Inner Loop Header: Depth=1
	scratch_load_b64 v[110:111], v108, off
	ds_load_b64 v[112:113], v107
	s_wait_xcnt 0x0
	v_dual_add_nc_u32 v107, 8, v107 :: v_dual_add_nc_u32 v108, 8, v108
	s_wait_loadcnt_dscnt 0x0
	v_pk_mul_f32 v[114:115], v[112:113], v[110:111] op_sel:[1,1] op_sel_hi:[0,1]
	s_delay_alu instid0(VALU_DEP_1) | instskip(SKIP_2) | instid1(VALU_DEP_3)
	v_pk_fma_f32 v[116:117], v[112:113], v[110:111], v[114:115] op_sel_hi:[1,0,1]
	v_add_nc_u32_e32 v109, 1, v109
	v_pk_fma_f32 v[110:111], v[112:113], v[110:111], v[114:115] neg_lo:[0,0,1] neg_hi:[0,0,1]
	v_mov_b32_e32 v111, v117
	s_delay_alu instid0(VALU_DEP_3) | instskip(NEXT) | instid1(VALU_DEP_2)
	v_cmp_lt_u32_e32 vcc_lo, 40, v109
	v_pk_add_f32 v[104:105], v[104:105], v[110:111]
	s_or_b32 s3, vcc_lo, s3
	s_delay_alu instid0(SALU_CYCLE_1)
	s_and_not1_b32 exec_lo, exec_lo, s3
	s_cbranch_execnz .LBB113_907
; %bb.908:
	s_or_b32 exec_lo, exec_lo, s3
.LBB113_909:
	s_delay_alu instid0(SALU_CYCLE_1) | instskip(SKIP_4) | instid1(VALU_DEP_1)
	s_or_b32 exec_lo, exec_lo, s2
	v_mov_b32_e32 v107, 0
	ds_load_b64 v[108:109], v107 offset:336
	s_wait_dscnt 0x0
	v_pk_mul_f32 v[110:111], v[104:105], v[108:109] op_sel:[1,1] op_sel_hi:[0,1]
	v_pk_fma_f32 v[112:113], v[104:105], v[108:109], v[110:111] op_sel_hi:[1,0,1]
	v_pk_fma_f32 v[104:105], v[104:105], v[108:109], v[110:111] neg_lo:[0,0,1] neg_hi:[0,0,1]
	s_delay_alu instid0(VALU_DEP_2)
	v_mov_b32_e32 v105, v113
	scratch_store_b64 off, v[104:105], off offset:336
.LBB113_910:
	s_wait_xcnt 0x0
	s_or_b32 exec_lo, exec_lo, s0
	scratch_load_b64 v[104:105], off, off offset:344
	s_mov_b32 s0, exec_lo
	s_wait_loadcnt 0x0
	ds_store_b64 v1, v[104:105]
	s_wait_storecnt_dscnt 0x0
	s_barrier_signal -1
	s_barrier_wait -1
	s_wait_xcnt 0x0
	v_cmpx_gt_u32_e32 43, v0
	s_cbranch_execz .LBB113_920
; %bb.911:
	v_cmp_ne_u32_e32 vcc_lo, 1, v106
	s_cbranch_vccnz .LBB113_913
; %bb.912:
	scratch_load_b64 v[104:105], v59, off
	ds_load_b64 v[108:109], v1
	s_wait_loadcnt_dscnt 0x0
	v_pk_mul_f32 v[110:111], v[108:109], v[104:105] op_sel:[1,1] op_sel_hi:[0,1]
	s_delay_alu instid0(VALU_DEP_1) | instskip(SKIP_1) | instid1(VALU_DEP_2)
	v_pk_fma_f32 v[112:113], v[108:109], v[104:105], v[110:111] op_sel_hi:[1,0,1]
	v_pk_fma_f32 v[104:105], v[108:109], v[104:105], v[110:111] neg_lo:[0,0,1] neg_hi:[0,0,1]
	v_mov_b32_e32 v105, v113
	s_cbranch_execz .LBB113_914
	s_branch .LBB113_915
.LBB113_913:
                                        ; implicit-def: $vgpr104_vgpr105
.LBB113_914:
	ds_load_b64 v[104:105], v1
.LBB113_915:
	s_mov_b32 s2, exec_lo
	v_cmpx_ne_u32_e32 42, v0
	s_cbranch_execz .LBB113_919
; %bb.916:
	v_add_nc_u32_e32 v107, 0x198, v58
	v_add3_u32 v108, 0, v58, 8
	v_mov_b32_e32 v109, v0
	s_mov_b32 s3, 0
.LBB113_917:                            ; =>This Inner Loop Header: Depth=1
	scratch_load_b64 v[110:111], v108, off
	ds_load_b64 v[112:113], v107
	s_wait_xcnt 0x0
	v_dual_add_nc_u32 v107, 8, v107 :: v_dual_add_nc_u32 v108, 8, v108
	s_wait_loadcnt_dscnt 0x0
	v_pk_mul_f32 v[114:115], v[112:113], v[110:111] op_sel:[1,1] op_sel_hi:[0,1]
	s_delay_alu instid0(VALU_DEP_1) | instskip(SKIP_2) | instid1(VALU_DEP_3)
	v_pk_fma_f32 v[116:117], v[112:113], v[110:111], v[114:115] op_sel_hi:[1,0,1]
	v_add_nc_u32_e32 v109, 1, v109
	v_pk_fma_f32 v[110:111], v[112:113], v[110:111], v[114:115] neg_lo:[0,0,1] neg_hi:[0,0,1]
	v_mov_b32_e32 v111, v117
	s_delay_alu instid0(VALU_DEP_3) | instskip(NEXT) | instid1(VALU_DEP_2)
	v_cmp_lt_u32_e32 vcc_lo, 41, v109
	v_pk_add_f32 v[104:105], v[104:105], v[110:111]
	s_or_b32 s3, vcc_lo, s3
	s_delay_alu instid0(SALU_CYCLE_1)
	s_and_not1_b32 exec_lo, exec_lo, s3
	s_cbranch_execnz .LBB113_917
; %bb.918:
	s_or_b32 exec_lo, exec_lo, s3
.LBB113_919:
	s_delay_alu instid0(SALU_CYCLE_1) | instskip(SKIP_4) | instid1(VALU_DEP_1)
	s_or_b32 exec_lo, exec_lo, s2
	v_mov_b32_e32 v107, 0
	ds_load_b64 v[108:109], v107 offset:344
	s_wait_dscnt 0x0
	v_pk_mul_f32 v[110:111], v[104:105], v[108:109] op_sel:[1,1] op_sel_hi:[0,1]
	v_pk_fma_f32 v[112:113], v[104:105], v[108:109], v[110:111] op_sel_hi:[1,0,1]
	v_pk_fma_f32 v[104:105], v[104:105], v[108:109], v[110:111] neg_lo:[0,0,1] neg_hi:[0,0,1]
	s_delay_alu instid0(VALU_DEP_2)
	v_mov_b32_e32 v105, v113
	scratch_store_b64 off, v[104:105], off offset:344
.LBB113_920:
	s_wait_xcnt 0x0
	s_or_b32 exec_lo, exec_lo, s0
	scratch_load_b64 v[104:105], off, off offset:352
	s_mov_b32 s0, exec_lo
	s_wait_loadcnt 0x0
	ds_store_b64 v1, v[104:105]
	s_wait_storecnt_dscnt 0x0
	s_barrier_signal -1
	s_barrier_wait -1
	s_wait_xcnt 0x0
	v_cmpx_gt_u32_e32 44, v0
	s_cbranch_execz .LBB113_930
; %bb.921:
	v_cmp_ne_u32_e32 vcc_lo, 1, v106
	s_cbranch_vccnz .LBB113_923
; %bb.922:
	scratch_load_b64 v[104:105], v59, off
	ds_load_b64 v[108:109], v1
	s_wait_loadcnt_dscnt 0x0
	v_pk_mul_f32 v[110:111], v[108:109], v[104:105] op_sel:[1,1] op_sel_hi:[0,1]
	s_delay_alu instid0(VALU_DEP_1) | instskip(SKIP_1) | instid1(VALU_DEP_2)
	v_pk_fma_f32 v[112:113], v[108:109], v[104:105], v[110:111] op_sel_hi:[1,0,1]
	v_pk_fma_f32 v[104:105], v[108:109], v[104:105], v[110:111] neg_lo:[0,0,1] neg_hi:[0,0,1]
	v_mov_b32_e32 v105, v113
	s_cbranch_execz .LBB113_924
	s_branch .LBB113_925
.LBB113_923:
                                        ; implicit-def: $vgpr104_vgpr105
.LBB113_924:
	ds_load_b64 v[104:105], v1
.LBB113_925:
	s_mov_b32 s2, exec_lo
	v_cmpx_ne_u32_e32 43, v0
	s_cbranch_execz .LBB113_929
; %bb.926:
	v_add_nc_u32_e32 v107, 0x198, v58
	v_add3_u32 v108, 0, v58, 8
	v_mov_b32_e32 v109, v0
	s_mov_b32 s3, 0
.LBB113_927:                            ; =>This Inner Loop Header: Depth=1
	scratch_load_b64 v[110:111], v108, off
	ds_load_b64 v[112:113], v107
	s_wait_xcnt 0x0
	v_dual_add_nc_u32 v107, 8, v107 :: v_dual_add_nc_u32 v108, 8, v108
	s_wait_loadcnt_dscnt 0x0
	v_pk_mul_f32 v[114:115], v[112:113], v[110:111] op_sel:[1,1] op_sel_hi:[0,1]
	s_delay_alu instid0(VALU_DEP_1) | instskip(SKIP_2) | instid1(VALU_DEP_3)
	v_pk_fma_f32 v[116:117], v[112:113], v[110:111], v[114:115] op_sel_hi:[1,0,1]
	v_add_nc_u32_e32 v109, 1, v109
	v_pk_fma_f32 v[110:111], v[112:113], v[110:111], v[114:115] neg_lo:[0,0,1] neg_hi:[0,0,1]
	v_mov_b32_e32 v111, v117
	s_delay_alu instid0(VALU_DEP_3) | instskip(NEXT) | instid1(VALU_DEP_2)
	v_cmp_lt_u32_e32 vcc_lo, 42, v109
	v_pk_add_f32 v[104:105], v[104:105], v[110:111]
	s_or_b32 s3, vcc_lo, s3
	s_delay_alu instid0(SALU_CYCLE_1)
	s_and_not1_b32 exec_lo, exec_lo, s3
	s_cbranch_execnz .LBB113_927
; %bb.928:
	s_or_b32 exec_lo, exec_lo, s3
.LBB113_929:
	s_delay_alu instid0(SALU_CYCLE_1) | instskip(SKIP_4) | instid1(VALU_DEP_1)
	s_or_b32 exec_lo, exec_lo, s2
	v_mov_b32_e32 v107, 0
	ds_load_b64 v[108:109], v107 offset:352
	s_wait_dscnt 0x0
	v_pk_mul_f32 v[110:111], v[104:105], v[108:109] op_sel:[1,1] op_sel_hi:[0,1]
	v_pk_fma_f32 v[112:113], v[104:105], v[108:109], v[110:111] op_sel_hi:[1,0,1]
	v_pk_fma_f32 v[104:105], v[104:105], v[108:109], v[110:111] neg_lo:[0,0,1] neg_hi:[0,0,1]
	s_delay_alu instid0(VALU_DEP_2)
	v_mov_b32_e32 v105, v113
	scratch_store_b64 off, v[104:105], off offset:352
.LBB113_930:
	s_wait_xcnt 0x0
	s_or_b32 exec_lo, exec_lo, s0
	scratch_load_b64 v[104:105], off, off offset:360
	s_mov_b32 s0, exec_lo
	s_wait_loadcnt 0x0
	ds_store_b64 v1, v[104:105]
	s_wait_storecnt_dscnt 0x0
	s_barrier_signal -1
	s_barrier_wait -1
	s_wait_xcnt 0x0
	v_cmpx_gt_u32_e32 45, v0
	s_cbranch_execz .LBB113_940
; %bb.931:
	v_cmp_ne_u32_e32 vcc_lo, 1, v106
	s_cbranch_vccnz .LBB113_933
; %bb.932:
	scratch_load_b64 v[104:105], v59, off
	ds_load_b64 v[108:109], v1
	s_wait_loadcnt_dscnt 0x0
	v_pk_mul_f32 v[110:111], v[108:109], v[104:105] op_sel:[1,1] op_sel_hi:[0,1]
	s_delay_alu instid0(VALU_DEP_1) | instskip(SKIP_1) | instid1(VALU_DEP_2)
	v_pk_fma_f32 v[112:113], v[108:109], v[104:105], v[110:111] op_sel_hi:[1,0,1]
	v_pk_fma_f32 v[104:105], v[108:109], v[104:105], v[110:111] neg_lo:[0,0,1] neg_hi:[0,0,1]
	v_mov_b32_e32 v105, v113
	s_cbranch_execz .LBB113_934
	s_branch .LBB113_935
.LBB113_933:
                                        ; implicit-def: $vgpr104_vgpr105
.LBB113_934:
	ds_load_b64 v[104:105], v1
.LBB113_935:
	s_mov_b32 s2, exec_lo
	v_cmpx_ne_u32_e32 44, v0
	s_cbranch_execz .LBB113_939
; %bb.936:
	v_add_nc_u32_e32 v107, 0x198, v58
	v_add3_u32 v108, 0, v58, 8
	v_mov_b32_e32 v109, v0
	s_mov_b32 s3, 0
.LBB113_937:                            ; =>This Inner Loop Header: Depth=1
	scratch_load_b64 v[110:111], v108, off
	ds_load_b64 v[112:113], v107
	s_wait_xcnt 0x0
	v_dual_add_nc_u32 v107, 8, v107 :: v_dual_add_nc_u32 v108, 8, v108
	s_wait_loadcnt_dscnt 0x0
	v_pk_mul_f32 v[114:115], v[112:113], v[110:111] op_sel:[1,1] op_sel_hi:[0,1]
	s_delay_alu instid0(VALU_DEP_1) | instskip(SKIP_2) | instid1(VALU_DEP_3)
	v_pk_fma_f32 v[116:117], v[112:113], v[110:111], v[114:115] op_sel_hi:[1,0,1]
	v_add_nc_u32_e32 v109, 1, v109
	v_pk_fma_f32 v[110:111], v[112:113], v[110:111], v[114:115] neg_lo:[0,0,1] neg_hi:[0,0,1]
	v_mov_b32_e32 v111, v117
	s_delay_alu instid0(VALU_DEP_3) | instskip(NEXT) | instid1(VALU_DEP_2)
	v_cmp_lt_u32_e32 vcc_lo, 43, v109
	v_pk_add_f32 v[104:105], v[104:105], v[110:111]
	s_or_b32 s3, vcc_lo, s3
	s_delay_alu instid0(SALU_CYCLE_1)
	s_and_not1_b32 exec_lo, exec_lo, s3
	s_cbranch_execnz .LBB113_937
; %bb.938:
	s_or_b32 exec_lo, exec_lo, s3
.LBB113_939:
	s_delay_alu instid0(SALU_CYCLE_1) | instskip(SKIP_4) | instid1(VALU_DEP_1)
	s_or_b32 exec_lo, exec_lo, s2
	v_mov_b32_e32 v107, 0
	ds_load_b64 v[108:109], v107 offset:360
	s_wait_dscnt 0x0
	v_pk_mul_f32 v[110:111], v[104:105], v[108:109] op_sel:[1,1] op_sel_hi:[0,1]
	v_pk_fma_f32 v[112:113], v[104:105], v[108:109], v[110:111] op_sel_hi:[1,0,1]
	v_pk_fma_f32 v[104:105], v[104:105], v[108:109], v[110:111] neg_lo:[0,0,1] neg_hi:[0,0,1]
	s_delay_alu instid0(VALU_DEP_2)
	v_mov_b32_e32 v105, v113
	scratch_store_b64 off, v[104:105], off offset:360
.LBB113_940:
	s_wait_xcnt 0x0
	s_or_b32 exec_lo, exec_lo, s0
	scratch_load_b64 v[104:105], off, off offset:368
	s_mov_b32 s0, exec_lo
	s_wait_loadcnt 0x0
	ds_store_b64 v1, v[104:105]
	s_wait_storecnt_dscnt 0x0
	s_barrier_signal -1
	s_barrier_wait -1
	s_wait_xcnt 0x0
	v_cmpx_gt_u32_e32 46, v0
	s_cbranch_execz .LBB113_950
; %bb.941:
	v_cmp_ne_u32_e32 vcc_lo, 1, v106
	s_cbranch_vccnz .LBB113_943
; %bb.942:
	scratch_load_b64 v[104:105], v59, off
	ds_load_b64 v[108:109], v1
	s_wait_loadcnt_dscnt 0x0
	v_pk_mul_f32 v[110:111], v[108:109], v[104:105] op_sel:[1,1] op_sel_hi:[0,1]
	s_delay_alu instid0(VALU_DEP_1) | instskip(SKIP_1) | instid1(VALU_DEP_2)
	v_pk_fma_f32 v[112:113], v[108:109], v[104:105], v[110:111] op_sel_hi:[1,0,1]
	v_pk_fma_f32 v[104:105], v[108:109], v[104:105], v[110:111] neg_lo:[0,0,1] neg_hi:[0,0,1]
	v_mov_b32_e32 v105, v113
	s_cbranch_execz .LBB113_944
	s_branch .LBB113_945
.LBB113_943:
                                        ; implicit-def: $vgpr104_vgpr105
.LBB113_944:
	ds_load_b64 v[104:105], v1
.LBB113_945:
	s_mov_b32 s2, exec_lo
	v_cmpx_ne_u32_e32 45, v0
	s_cbranch_execz .LBB113_949
; %bb.946:
	v_add_nc_u32_e32 v107, 0x198, v58
	v_add3_u32 v108, 0, v58, 8
	v_mov_b32_e32 v109, v0
	s_mov_b32 s3, 0
.LBB113_947:                            ; =>This Inner Loop Header: Depth=1
	scratch_load_b64 v[110:111], v108, off
	ds_load_b64 v[112:113], v107
	s_wait_xcnt 0x0
	v_dual_add_nc_u32 v107, 8, v107 :: v_dual_add_nc_u32 v108, 8, v108
	s_wait_loadcnt_dscnt 0x0
	v_pk_mul_f32 v[114:115], v[112:113], v[110:111] op_sel:[1,1] op_sel_hi:[0,1]
	s_delay_alu instid0(VALU_DEP_1) | instskip(SKIP_2) | instid1(VALU_DEP_3)
	v_pk_fma_f32 v[116:117], v[112:113], v[110:111], v[114:115] op_sel_hi:[1,0,1]
	v_add_nc_u32_e32 v109, 1, v109
	v_pk_fma_f32 v[110:111], v[112:113], v[110:111], v[114:115] neg_lo:[0,0,1] neg_hi:[0,0,1]
	v_mov_b32_e32 v111, v117
	s_delay_alu instid0(VALU_DEP_3) | instskip(NEXT) | instid1(VALU_DEP_2)
	v_cmp_lt_u32_e32 vcc_lo, 44, v109
	v_pk_add_f32 v[104:105], v[104:105], v[110:111]
	s_or_b32 s3, vcc_lo, s3
	s_delay_alu instid0(SALU_CYCLE_1)
	s_and_not1_b32 exec_lo, exec_lo, s3
	s_cbranch_execnz .LBB113_947
; %bb.948:
	s_or_b32 exec_lo, exec_lo, s3
.LBB113_949:
	s_delay_alu instid0(SALU_CYCLE_1) | instskip(SKIP_4) | instid1(VALU_DEP_1)
	s_or_b32 exec_lo, exec_lo, s2
	v_mov_b32_e32 v107, 0
	ds_load_b64 v[108:109], v107 offset:368
	s_wait_dscnt 0x0
	v_pk_mul_f32 v[110:111], v[104:105], v[108:109] op_sel:[1,1] op_sel_hi:[0,1]
	v_pk_fma_f32 v[112:113], v[104:105], v[108:109], v[110:111] op_sel_hi:[1,0,1]
	v_pk_fma_f32 v[104:105], v[104:105], v[108:109], v[110:111] neg_lo:[0,0,1] neg_hi:[0,0,1]
	s_delay_alu instid0(VALU_DEP_2)
	v_mov_b32_e32 v105, v113
	scratch_store_b64 off, v[104:105], off offset:368
.LBB113_950:
	s_wait_xcnt 0x0
	s_or_b32 exec_lo, exec_lo, s0
	scratch_load_b64 v[104:105], off, off offset:376
	s_mov_b32 s0, exec_lo
	s_wait_loadcnt 0x0
	ds_store_b64 v1, v[104:105]
	s_wait_storecnt_dscnt 0x0
	s_barrier_signal -1
	s_barrier_wait -1
	s_wait_xcnt 0x0
	v_cmpx_gt_u32_e32 47, v0
	s_cbranch_execz .LBB113_960
; %bb.951:
	v_cmp_ne_u32_e32 vcc_lo, 1, v106
	s_cbranch_vccnz .LBB113_953
; %bb.952:
	scratch_load_b64 v[104:105], v59, off
	ds_load_b64 v[108:109], v1
	s_wait_loadcnt_dscnt 0x0
	v_pk_mul_f32 v[110:111], v[108:109], v[104:105] op_sel:[1,1] op_sel_hi:[0,1]
	s_delay_alu instid0(VALU_DEP_1) | instskip(SKIP_1) | instid1(VALU_DEP_2)
	v_pk_fma_f32 v[112:113], v[108:109], v[104:105], v[110:111] op_sel_hi:[1,0,1]
	v_pk_fma_f32 v[104:105], v[108:109], v[104:105], v[110:111] neg_lo:[0,0,1] neg_hi:[0,0,1]
	v_mov_b32_e32 v105, v113
	s_cbranch_execz .LBB113_954
	s_branch .LBB113_955
.LBB113_953:
                                        ; implicit-def: $vgpr104_vgpr105
.LBB113_954:
	ds_load_b64 v[104:105], v1
.LBB113_955:
	s_mov_b32 s2, exec_lo
	v_cmpx_ne_u32_e32 46, v0
	s_cbranch_execz .LBB113_959
; %bb.956:
	v_add_nc_u32_e32 v107, 0x198, v58
	v_add3_u32 v108, 0, v58, 8
	v_mov_b32_e32 v109, v0
	s_mov_b32 s3, 0
.LBB113_957:                            ; =>This Inner Loop Header: Depth=1
	scratch_load_b64 v[110:111], v108, off
	ds_load_b64 v[112:113], v107
	s_wait_xcnt 0x0
	v_dual_add_nc_u32 v107, 8, v107 :: v_dual_add_nc_u32 v108, 8, v108
	s_wait_loadcnt_dscnt 0x0
	v_pk_mul_f32 v[114:115], v[112:113], v[110:111] op_sel:[1,1] op_sel_hi:[0,1]
	s_delay_alu instid0(VALU_DEP_1) | instskip(SKIP_2) | instid1(VALU_DEP_3)
	v_pk_fma_f32 v[116:117], v[112:113], v[110:111], v[114:115] op_sel_hi:[1,0,1]
	v_add_nc_u32_e32 v109, 1, v109
	v_pk_fma_f32 v[110:111], v[112:113], v[110:111], v[114:115] neg_lo:[0,0,1] neg_hi:[0,0,1]
	v_mov_b32_e32 v111, v117
	s_delay_alu instid0(VALU_DEP_3) | instskip(NEXT) | instid1(VALU_DEP_2)
	v_cmp_lt_u32_e32 vcc_lo, 45, v109
	v_pk_add_f32 v[104:105], v[104:105], v[110:111]
	s_or_b32 s3, vcc_lo, s3
	s_delay_alu instid0(SALU_CYCLE_1)
	s_and_not1_b32 exec_lo, exec_lo, s3
	s_cbranch_execnz .LBB113_957
; %bb.958:
	s_or_b32 exec_lo, exec_lo, s3
.LBB113_959:
	s_delay_alu instid0(SALU_CYCLE_1) | instskip(SKIP_4) | instid1(VALU_DEP_1)
	s_or_b32 exec_lo, exec_lo, s2
	v_mov_b32_e32 v107, 0
	ds_load_b64 v[108:109], v107 offset:376
	s_wait_dscnt 0x0
	v_pk_mul_f32 v[110:111], v[104:105], v[108:109] op_sel:[1,1] op_sel_hi:[0,1]
	v_pk_fma_f32 v[112:113], v[104:105], v[108:109], v[110:111] op_sel_hi:[1,0,1]
	v_pk_fma_f32 v[104:105], v[104:105], v[108:109], v[110:111] neg_lo:[0,0,1] neg_hi:[0,0,1]
	s_delay_alu instid0(VALU_DEP_2)
	v_mov_b32_e32 v105, v113
	scratch_store_b64 off, v[104:105], off offset:376
.LBB113_960:
	s_wait_xcnt 0x0
	s_or_b32 exec_lo, exec_lo, s0
	scratch_load_b64 v[104:105], off, off offset:384
	v_cmp_gt_u32_e64 s0, 48, v0
	s_wait_loadcnt 0x0
	ds_store_b64 v1, v[104:105]
	s_wait_storecnt_dscnt 0x0
	s_barrier_signal -1
	s_barrier_wait -1
	s_wait_xcnt 0x0
	s_and_saveexec_b32 s2, s0
	s_cbranch_execz .LBB113_970
; %bb.961:
	v_cmp_ne_u32_e32 vcc_lo, 1, v106
	s_cbranch_vccnz .LBB113_963
; %bb.962:
	scratch_load_b64 v[104:105], v59, off
	ds_load_b64 v[108:109], v1
	s_wait_loadcnt_dscnt 0x0
	v_pk_mul_f32 v[110:111], v[108:109], v[104:105] op_sel:[1,1] op_sel_hi:[0,1]
	s_delay_alu instid0(VALU_DEP_1) | instskip(SKIP_1) | instid1(VALU_DEP_2)
	v_pk_fma_f32 v[112:113], v[108:109], v[104:105], v[110:111] op_sel_hi:[1,0,1]
	v_pk_fma_f32 v[104:105], v[108:109], v[104:105], v[110:111] neg_lo:[0,0,1] neg_hi:[0,0,1]
	v_mov_b32_e32 v105, v113
	s_cbranch_execz .LBB113_964
	s_branch .LBB113_965
.LBB113_963:
                                        ; implicit-def: $vgpr104_vgpr105
.LBB113_964:
	ds_load_b64 v[104:105], v1
.LBB113_965:
	s_mov_b32 s3, exec_lo
	v_cmpx_ne_u32_e32 47, v0
	s_cbranch_execz .LBB113_969
; %bb.966:
	v_add_nc_u32_e32 v107, 0x198, v58
	v_add3_u32 v108, 0, v58, 8
	v_mov_b32_e32 v109, v0
	s_mov_b32 s4, 0
.LBB113_967:                            ; =>This Inner Loop Header: Depth=1
	scratch_load_b64 v[110:111], v108, off
	ds_load_b64 v[112:113], v107
	s_wait_xcnt 0x0
	v_dual_add_nc_u32 v107, 8, v107 :: v_dual_add_nc_u32 v108, 8, v108
	s_wait_loadcnt_dscnt 0x0
	v_pk_mul_f32 v[114:115], v[112:113], v[110:111] op_sel:[1,1] op_sel_hi:[0,1]
	s_delay_alu instid0(VALU_DEP_1) | instskip(SKIP_2) | instid1(VALU_DEP_3)
	v_pk_fma_f32 v[116:117], v[112:113], v[110:111], v[114:115] op_sel_hi:[1,0,1]
	v_add_nc_u32_e32 v109, 1, v109
	v_pk_fma_f32 v[110:111], v[112:113], v[110:111], v[114:115] neg_lo:[0,0,1] neg_hi:[0,0,1]
	v_mov_b32_e32 v111, v117
	s_delay_alu instid0(VALU_DEP_3) | instskip(NEXT) | instid1(VALU_DEP_2)
	v_cmp_lt_u32_e32 vcc_lo, 46, v109
	v_pk_add_f32 v[104:105], v[104:105], v[110:111]
	s_or_b32 s4, vcc_lo, s4
	s_delay_alu instid0(SALU_CYCLE_1)
	s_and_not1_b32 exec_lo, exec_lo, s4
	s_cbranch_execnz .LBB113_967
; %bb.968:
	s_or_b32 exec_lo, exec_lo, s4
.LBB113_969:
	s_delay_alu instid0(SALU_CYCLE_1) | instskip(SKIP_4) | instid1(VALU_DEP_1)
	s_or_b32 exec_lo, exec_lo, s3
	v_mov_b32_e32 v107, 0
	ds_load_b64 v[108:109], v107 offset:384
	s_wait_dscnt 0x0
	v_pk_mul_f32 v[110:111], v[104:105], v[108:109] op_sel:[1,1] op_sel_hi:[0,1]
	v_pk_fma_f32 v[112:113], v[104:105], v[108:109], v[110:111] op_sel_hi:[1,0,1]
	v_pk_fma_f32 v[104:105], v[104:105], v[108:109], v[110:111] neg_lo:[0,0,1] neg_hi:[0,0,1]
	s_delay_alu instid0(VALU_DEP_2)
	v_mov_b32_e32 v105, v113
	scratch_store_b64 off, v[104:105], off offset:384
.LBB113_970:
	s_wait_xcnt 0x0
	s_or_b32 exec_lo, exec_lo, s2
	scratch_load_b64 v[104:105], off, off offset:392
	s_mov_b32 s2, exec_lo
                                        ; implicit-def: $vgpr148
                                        ; implicit-def: $sgpr5
	s_wait_loadcnt 0x0
	ds_store_b64 v1, v[104:105]
	s_wait_storecnt_dscnt 0x0
	s_barrier_signal -1
	s_barrier_wait -1
	s_wait_xcnt 0x0
	v_cmpx_ne_u32_e32 49, v0
	s_cbranch_execz .LBB113_980
; %bb.971:
	v_cmp_ne_u32_e32 vcc_lo, 1, v106
	s_cbranch_vccnz .LBB113_973
; %bb.972:
	scratch_load_b64 v[106:107], v59, off
	ds_load_b64 v[108:109], v1
	s_wait_loadcnt_dscnt 0x0
	v_dual_mul_f32 v59, v109, v107 :: v_dual_mul_f32 v105, v108, v107
	s_delay_alu instid0(VALU_DEP_1)
	v_dual_fma_f32 v104, v108, v106, -v59 :: v_dual_fmac_f32 v105, v109, v106
	s_cbranch_execz .LBB113_974
	s_branch .LBB113_975
.LBB113_973:
                                        ; implicit-def: $vgpr105
.LBB113_974:
	ds_load_b64 v[104:105], v1
.LBB113_975:
	s_and_saveexec_b32 s3, s0
	s_cbranch_execz .LBB113_979
; %bb.976:
	v_add_nc_u32_e32 v1, 0x198, v58
	v_add3_u32 v58, 0, v58, 8
	s_mov_b32 s0, 0
.LBB113_977:                            ; =>This Inner Loop Header: Depth=1
	scratch_load_b64 v[106:107], v58, off
	ds_load_b64 v[108:109], v1
	s_wait_loadcnt_dscnt 0x0
	v_dual_add_nc_u32 v1, 8, v1 :: v_dual_mul_f32 v59, v109, v107
	v_dual_mul_f32 v107, v108, v107 :: v_dual_add_nc_u32 v0, 1, v0
	s_delay_alu instid0(VALU_DEP_2) | instskip(NEXT) | instid1(VALU_DEP_2)
	v_fma_f32 v59, v108, v106, -v59
	v_fmac_f32_e32 v107, v109, v106
	s_delay_alu instid0(VALU_DEP_3) | instskip(NEXT) | instid1(VALU_DEP_3)
	v_cmp_lt_u32_e32 vcc_lo, 47, v0
	v_dual_add_nc_u32 v58, 8, v58 :: v_dual_add_f32 v104, v104, v59
	s_delay_alu instid0(VALU_DEP_3) | instskip(SKIP_1) | instid1(SALU_CYCLE_1)
	v_add_f32_e32 v105, v105, v107
	s_or_b32 s0, vcc_lo, s0
	s_and_not1_b32 exec_lo, exec_lo, s0
	s_cbranch_execnz .LBB113_977
; %bb.978:
	s_or_b32 exec_lo, exec_lo, s0
.LBB113_979:
	s_delay_alu instid0(SALU_CYCLE_1)
	s_or_b32 exec_lo, exec_lo, s3
	v_mov_b32_e32 v0, 0
	s_movk_i32 s5, 0x18c
	s_or_b32 s1, s1, exec_lo
	ds_load_b64 v[0:1], v0 offset:392
	s_wait_dscnt 0x0
	v_dual_mul_f32 v58, v105, v1 :: v_dual_mul_f32 v148, v104, v1
	s_delay_alu instid0(VALU_DEP_1)
	v_dual_fma_f32 v1, v104, v0, -v58 :: v_dual_fmac_f32 v148, v105, v0
	scratch_store_b32 off, v1, off offset:392
.LBB113_980:
	s_wait_xcnt 0x0
	s_or_b32 exec_lo, exec_lo, s2
.LBB113_981:
	v_lshl_add_u64 v[146:147], v[6:7], 3, s[6:7]
	v_lshl_add_u64 v[144:145], v[8:9], 3, s[6:7]
	;; [unrolled: 1-line block ×48, first 2 shown]
	s_and_saveexec_b32 s0, s1
	s_cbranch_execz .LBB113_983
; %bb.982:
	scratch_store_b32 off, v148, s5
.LBB113_983:
	s_wait_xcnt 0x0
	s_or_b32 exec_lo, exec_lo, s0
	scratch_load_b64 v[54:55], off, off
	s_wait_loadcnt 0x0
	flat_store_b64 v[2:3], v[54:55]
	scratch_load_b64 v[2:3], off, off offset:8
	s_wait_loadcnt 0x0
	flat_store_b64 v[4:5], v[2:3]
	scratch_load_b64 v[2:3], off, off offset:16
	;; [unrolled: 3-line block ×49, first 2 shown]
	s_wait_loadcnt 0x0
	flat_store_b64 v[0:1], v[2:3]
.LBB113_984:
	s_sendmsg sendmsg(MSG_DEALLOC_VGPRS)
	s_endpgm
	.section	.rodata,"a",@progbits
	.p2align	6, 0x0
	.amdhsa_kernel _ZN9rocsolver6v33100L18trti2_kernel_smallILi50E19rocblas_complex_numIfEPKPS3_EEv13rocblas_fill_17rocblas_diagonal_T1_iil
		.amdhsa_group_segment_fixed_size 800
		.amdhsa_private_segment_fixed_size 416
		.amdhsa_kernarg_size 32
		.amdhsa_user_sgpr_count 2
		.amdhsa_user_sgpr_dispatch_ptr 0
		.amdhsa_user_sgpr_queue_ptr 0
		.amdhsa_user_sgpr_kernarg_segment_ptr 1
		.amdhsa_user_sgpr_dispatch_id 0
		.amdhsa_user_sgpr_kernarg_preload_length 0
		.amdhsa_user_sgpr_kernarg_preload_offset 0
		.amdhsa_user_sgpr_private_segment_size 0
		.amdhsa_wavefront_size32 1
		.amdhsa_uses_dynamic_stack 0
		.amdhsa_enable_private_segment 1
		.amdhsa_system_sgpr_workgroup_id_x 1
		.amdhsa_system_sgpr_workgroup_id_y 0
		.amdhsa_system_sgpr_workgroup_id_z 0
		.amdhsa_system_sgpr_workgroup_info 0
		.amdhsa_system_vgpr_workitem_id 0
		.amdhsa_next_free_vgpr 149
		.amdhsa_next_free_sgpr 56
		.amdhsa_named_barrier_count 0
		.amdhsa_reserve_vcc 1
		.amdhsa_float_round_mode_32 0
		.amdhsa_float_round_mode_16_64 0
		.amdhsa_float_denorm_mode_32 3
		.amdhsa_float_denorm_mode_16_64 3
		.amdhsa_fp16_overflow 0
		.amdhsa_memory_ordered 1
		.amdhsa_forward_progress 1
		.amdhsa_inst_pref_size 255
		.amdhsa_round_robin_scheduling 0
		.amdhsa_exception_fp_ieee_invalid_op 0
		.amdhsa_exception_fp_denorm_src 0
		.amdhsa_exception_fp_ieee_div_zero 0
		.amdhsa_exception_fp_ieee_overflow 0
		.amdhsa_exception_fp_ieee_underflow 0
		.amdhsa_exception_fp_ieee_inexact 0
		.amdhsa_exception_int_div_zero 0
	.end_amdhsa_kernel
	.section	.text._ZN9rocsolver6v33100L18trti2_kernel_smallILi50E19rocblas_complex_numIfEPKPS3_EEv13rocblas_fill_17rocblas_diagonal_T1_iil,"axG",@progbits,_ZN9rocsolver6v33100L18trti2_kernel_smallILi50E19rocblas_complex_numIfEPKPS3_EEv13rocblas_fill_17rocblas_diagonal_T1_iil,comdat
.Lfunc_end113:
	.size	_ZN9rocsolver6v33100L18trti2_kernel_smallILi50E19rocblas_complex_numIfEPKPS3_EEv13rocblas_fill_17rocblas_diagonal_T1_iil, .Lfunc_end113-_ZN9rocsolver6v33100L18trti2_kernel_smallILi50E19rocblas_complex_numIfEPKPS3_EEv13rocblas_fill_17rocblas_diagonal_T1_iil
                                        ; -- End function
	.set _ZN9rocsolver6v33100L18trti2_kernel_smallILi50E19rocblas_complex_numIfEPKPS3_EEv13rocblas_fill_17rocblas_diagonal_T1_iil.num_vgpr, 149
	.set _ZN9rocsolver6v33100L18trti2_kernel_smallILi50E19rocblas_complex_numIfEPKPS3_EEv13rocblas_fill_17rocblas_diagonal_T1_iil.num_agpr, 0
	.set _ZN9rocsolver6v33100L18trti2_kernel_smallILi50E19rocblas_complex_numIfEPKPS3_EEv13rocblas_fill_17rocblas_diagonal_T1_iil.numbered_sgpr, 56
	.set _ZN9rocsolver6v33100L18trti2_kernel_smallILi50E19rocblas_complex_numIfEPKPS3_EEv13rocblas_fill_17rocblas_diagonal_T1_iil.num_named_barrier, 0
	.set _ZN9rocsolver6v33100L18trti2_kernel_smallILi50E19rocblas_complex_numIfEPKPS3_EEv13rocblas_fill_17rocblas_diagonal_T1_iil.private_seg_size, 416
	.set _ZN9rocsolver6v33100L18trti2_kernel_smallILi50E19rocblas_complex_numIfEPKPS3_EEv13rocblas_fill_17rocblas_diagonal_T1_iil.uses_vcc, 1
	.set _ZN9rocsolver6v33100L18trti2_kernel_smallILi50E19rocblas_complex_numIfEPKPS3_EEv13rocblas_fill_17rocblas_diagonal_T1_iil.uses_flat_scratch, 0
	.set _ZN9rocsolver6v33100L18trti2_kernel_smallILi50E19rocblas_complex_numIfEPKPS3_EEv13rocblas_fill_17rocblas_diagonal_T1_iil.has_dyn_sized_stack, 0
	.set _ZN9rocsolver6v33100L18trti2_kernel_smallILi50E19rocblas_complex_numIfEPKPS3_EEv13rocblas_fill_17rocblas_diagonal_T1_iil.has_recursion, 0
	.set _ZN9rocsolver6v33100L18trti2_kernel_smallILi50E19rocblas_complex_numIfEPKPS3_EEv13rocblas_fill_17rocblas_diagonal_T1_iil.has_indirect_call, 0
	.section	.AMDGPU.csdata,"",@progbits
; Kernel info:
; codeLenInByte = 38616
; TotalNumSgprs: 58
; NumVgprs: 149
; ScratchSize: 416
; MemoryBound: 0
; FloatMode: 240
; IeeeMode: 1
; LDSByteSize: 800 bytes/workgroup (compile time only)
; SGPRBlocks: 0
; VGPRBlocks: 9
; NumSGPRsForWavesPerEU: 58
; NumVGPRsForWavesPerEU: 149
; NamedBarCnt: 0
; Occupancy: 6
; WaveLimiterHint : 1
; COMPUTE_PGM_RSRC2:SCRATCH_EN: 1
; COMPUTE_PGM_RSRC2:USER_SGPR: 2
; COMPUTE_PGM_RSRC2:TRAP_HANDLER: 0
; COMPUTE_PGM_RSRC2:TGID_X_EN: 1
; COMPUTE_PGM_RSRC2:TGID_Y_EN: 0
; COMPUTE_PGM_RSRC2:TGID_Z_EN: 0
; COMPUTE_PGM_RSRC2:TIDIG_COMP_CNT: 0
	.section	.text._ZN9rocsolver6v33100L18trti2_kernel_smallILi51E19rocblas_complex_numIfEPKPS3_EEv13rocblas_fill_17rocblas_diagonal_T1_iil,"axG",@progbits,_ZN9rocsolver6v33100L18trti2_kernel_smallILi51E19rocblas_complex_numIfEPKPS3_EEv13rocblas_fill_17rocblas_diagonal_T1_iil,comdat
	.globl	_ZN9rocsolver6v33100L18trti2_kernel_smallILi51E19rocblas_complex_numIfEPKPS3_EEv13rocblas_fill_17rocblas_diagonal_T1_iil ; -- Begin function _ZN9rocsolver6v33100L18trti2_kernel_smallILi51E19rocblas_complex_numIfEPKPS3_EEv13rocblas_fill_17rocblas_diagonal_T1_iil
	.p2align	8
	.type	_ZN9rocsolver6v33100L18trti2_kernel_smallILi51E19rocblas_complex_numIfEPKPS3_EEv13rocblas_fill_17rocblas_diagonal_T1_iil,@function
_ZN9rocsolver6v33100L18trti2_kernel_smallILi51E19rocblas_complex_numIfEPKPS3_EEv13rocblas_fill_17rocblas_diagonal_T1_iil: ; @_ZN9rocsolver6v33100L18trti2_kernel_smallILi51E19rocblas_complex_numIfEPKPS3_EEv13rocblas_fill_17rocblas_diagonal_T1_iil
; %bb.0:
	s_mov_b32 s2, exec_lo
	v_cmpx_gt_u32_e32 51, v0
	s_cbranch_execz .LBB114_1004
; %bb.1:
	s_clause 0x1
	s_load_b64 s[8:9], s[0:1], 0x10
	s_load_b128 s[4:7], s[0:1], 0x0
	s_wait_xcnt 0x0
	s_bfe_u32 s0, ttmp6, 0x4000c
	s_and_b32 s1, ttmp6, 15
	s_add_co_i32 s0, s0, 1
	s_getreg_b32 s2, hwreg(HW_REG_IB_STS2, 6, 4)
	s_mul_i32 s0, ttmp9, s0
	v_dual_mov_b32 v59, 0 :: v_dual_lshlrev_b32 v58, 3, v0
	s_add_co_i32 s0, s1, s0
	s_wait_kmcnt 0x0
	s_ashr_i32 s1, s8, 31
	s_cmp_eq_u32 s2, 0
	s_cselect_b32 s2, ttmp9, s0
	s_mov_b32 s0, s8
	s_ashr_i32 s3, s2, 31
	s_lshl_b64 s[0:1], s[0:1], 3
	s_lshl_b64 s[2:3], s[2:3], 3
	s_delay_alu instid0(SALU_CYCLE_1)
	s_add_nc_u64 s[2:3], s[6:7], s[2:3]
	s_load_b64 s[2:3], s[2:3], 0x0
	s_wait_kmcnt 0x0
	s_add_nc_u64 s[2:3], s[2:3], s[0:1]
	s_mov_b32 s0, s9
	flat_load_b64 v[6:7], v0, s[2:3] scale_offset
	v_add_nc_u64_e32 v[2:3], s[2:3], v[58:59]
	s_ashr_i32 s1, s9, 31
	s_cmp_lg_u32 s5, 0x84
	s_cselect_b32 s5, -1, 0
	s_delay_alu instid0(SALU_CYCLE_1) | instskip(NEXT) | instid1(VALU_DEP_1)
	s_and_b32 vcc_lo, exec_lo, s5
	v_lshl_add_u64 v[4:5], s[0:1], 3, v[2:3]
	s_mov_b32 s0, -1
	s_wait_loadcnt_dscnt 0x0
	scratch_store_b64 off, v[6:7], off
	flat_load_b64 v[8:9], v[4:5]
	s_wait_xcnt 0x1
	v_add3_u32 v6, s9, s9, v0
	s_wait_loadcnt_dscnt 0x0
	scratch_store_b64 off, v[8:9], off offset:8
	flat_load_b64 v[10:11], v6, s[2:3] scale_offset
	s_wait_xcnt 0x1
	v_add_nc_u32_e32 v8, s9, v6
	s_wait_loadcnt_dscnt 0x0
	scratch_store_b64 off, v[10:11], off offset:16
	flat_load_b64 v[12:13], v8, s[2:3] scale_offset
	s_wait_xcnt 0x1
	v_add_nc_u32_e32 v10, s9, v8
	;; [unrolled: 5-line block ×48, first 2 shown]
	s_wait_loadcnt_dscnt 0x0
	scratch_store_b64 off, v[106:107], off offset:392
	flat_load_b64 v[106:107], v104, s[2:3] scale_offset
	s_wait_loadcnt_dscnt 0x0
	scratch_store_b64 off, v[106:107], off offset:400
	s_cbranch_vccz .LBB114_7
; %bb.2:
	scratch_load_b64 v[106:107], v0, off scale_offset
                                        ; implicit-def: $vgpr111
                                        ; implicit-def: $vgpr108
	s_wait_loadcnt 0x0
	v_cmp_ngt_f32_e64 s0, |v106|, |v107|
	s_wait_xcnt 0x0
	s_and_saveexec_b32 s1, s0
	s_delay_alu instid0(SALU_CYCLE_1)
	s_xor_b32 s0, exec_lo, s1
	s_cbranch_execz .LBB114_4
; %bb.3:
	v_div_scale_f32 v1, null, v107, v107, v106
	v_div_scale_f32 v11, vcc_lo, v106, v107, v106
	s_delay_alu instid0(VALU_DEP_2) | instskip(SKIP_1) | instid1(TRANS32_DEP_1)
	v_rcp_f32_e32 v7, v1
	v_nop
	v_fma_f32 v9, -v1, v7, 1.0
	s_delay_alu instid0(VALU_DEP_1) | instskip(NEXT) | instid1(VALU_DEP_1)
	v_fmac_f32_e32 v7, v9, v7
	v_mul_f32_e32 v9, v11, v7
	s_delay_alu instid0(VALU_DEP_1) | instskip(NEXT) | instid1(VALU_DEP_1)
	v_fma_f32 v13, -v1, v9, v11
	v_fmac_f32_e32 v9, v13, v7
	s_delay_alu instid0(VALU_DEP_1) | instskip(NEXT) | instid1(VALU_DEP_1)
	v_fma_f32 v1, -v1, v9, v11
	v_div_fmas_f32 v1, v1, v7, v9
	s_delay_alu instid0(VALU_DEP_1) | instskip(NEXT) | instid1(VALU_DEP_1)
	v_div_fixup_f32 v1, v1, v107, v106
	v_fmac_f32_e32 v107, v106, v1
	s_delay_alu instid0(VALU_DEP_1) | instskip(NEXT) | instid1(VALU_DEP_1)
	v_div_scale_f32 v7, null, v107, v107, -1.0
	v_rcp_f32_e32 v9, v7
	v_nop
	s_delay_alu instid0(TRANS32_DEP_1) | instskip(NEXT) | instid1(VALU_DEP_1)
	v_fma_f32 v11, -v7, v9, 1.0
	v_fmac_f32_e32 v9, v11, v9
	v_div_scale_f32 v11, vcc_lo, -1.0, v107, -1.0
	s_delay_alu instid0(VALU_DEP_1) | instskip(NEXT) | instid1(VALU_DEP_1)
	v_mul_f32_e32 v13, v11, v9
	v_fma_f32 v15, -v7, v13, v11
	s_delay_alu instid0(VALU_DEP_1) | instskip(NEXT) | instid1(VALU_DEP_1)
	v_fmac_f32_e32 v13, v15, v9
	v_fma_f32 v7, -v7, v13, v11
	s_delay_alu instid0(VALU_DEP_1) | instskip(NEXT) | instid1(VALU_DEP_1)
	v_div_fmas_f32 v7, v7, v9, v13
	v_div_fixup_f32 v111, v7, v107, -1.0
                                        ; implicit-def: $vgpr106_vgpr107
	s_delay_alu instid0(VALU_DEP_1) | instskip(NEXT) | instid1(VALU_DEP_1)
	v_mul_f32_e32 v108, v1, v111
	v_xor_b32_e32 v110, 0x80000000, v108
.LBB114_4:
	s_or_saveexec_b32 s0, s0
	v_lshl_add_u32 v1, v0, 3, 0
	s_xor_b32 exec_lo, exec_lo, s0
	s_cbranch_execz .LBB114_6
; %bb.5:
	v_div_scale_f32 v7, null, v106, v106, v107
	v_div_scale_f32 v13, vcc_lo, v107, v106, v107
	s_delay_alu instid0(VALU_DEP_2) | instskip(SKIP_1) | instid1(TRANS32_DEP_1)
	v_rcp_f32_e32 v9, v7
	v_nop
	v_fma_f32 v11, -v7, v9, 1.0
	s_delay_alu instid0(VALU_DEP_1) | instskip(NEXT) | instid1(VALU_DEP_1)
	v_fmac_f32_e32 v9, v11, v9
	v_mul_f32_e32 v11, v13, v9
	s_delay_alu instid0(VALU_DEP_1) | instskip(NEXT) | instid1(VALU_DEP_1)
	v_fma_f32 v15, -v7, v11, v13
	v_fmac_f32_e32 v11, v15, v9
	s_delay_alu instid0(VALU_DEP_1) | instskip(NEXT) | instid1(VALU_DEP_1)
	v_fma_f32 v7, -v7, v11, v13
	v_div_fmas_f32 v7, v7, v9, v11
	s_delay_alu instid0(VALU_DEP_1) | instskip(NEXT) | instid1(VALU_DEP_1)
	v_div_fixup_f32 v7, v7, v106, v107
	v_fmac_f32_e32 v106, v107, v7
	s_delay_alu instid0(VALU_DEP_1) | instskip(SKIP_1) | instid1(VALU_DEP_2)
	v_div_scale_f32 v9, null, v106, v106, 1.0
	v_div_scale_f32 v15, vcc_lo, 1.0, v106, 1.0
	v_rcp_f32_e32 v11, v9
	v_nop
	s_delay_alu instid0(TRANS32_DEP_1) | instskip(NEXT) | instid1(VALU_DEP_1)
	v_fma_f32 v13, -v9, v11, 1.0
	v_fmac_f32_e32 v11, v13, v11
	s_delay_alu instid0(VALU_DEP_1) | instskip(NEXT) | instid1(VALU_DEP_1)
	v_mul_f32_e32 v13, v15, v11
	v_fma_f32 v17, -v9, v13, v15
	s_delay_alu instid0(VALU_DEP_1) | instskip(NEXT) | instid1(VALU_DEP_1)
	v_fmac_f32_e32 v13, v17, v11
	v_fma_f32 v9, -v9, v13, v15
	s_delay_alu instid0(VALU_DEP_1) | instskip(NEXT) | instid1(VALU_DEP_1)
	v_div_fmas_f32 v9, v9, v11, v13
	v_div_fixup_f32 v110, v9, v106, 1.0
	s_delay_alu instid0(VALU_DEP_1)
	v_xor_b32_e32 v108, 0x80000000, v110
	v_mul_f32_e64 v111, v7, -v110
.LBB114_6:
	s_or_b32 exec_lo, exec_lo, s0
	s_delay_alu instid0(VALU_DEP_1)
	v_xor_b32_e32 v109, 0x80000000, v111
	s_mov_b32 s0, 0
	scratch_store_b64 v1, v[110:111], off
	ds_store_b64 v58, v[108:109]
.LBB114_7:
	s_and_b32 vcc_lo, exec_lo, s0
	s_cbranch_vccz .LBB114_9
; %bb.8:
	s_mov_b64 s[0:1], 0xbf800000
	s_wait_xcnt 0x0
	v_mov_b64_e32 v[106:107], s[0:1]
	ds_store_b64 v58, v[106:107]
.LBB114_9:
	v_dual_ashrrev_i32 v7, 31, v6 :: v_dual_ashrrev_i32 v9, 31, v8
	v_dual_ashrrev_i32 v11, 31, v10 :: v_dual_ashrrev_i32 v13, 31, v12
	;; [unrolled: 1-line block ×24, first 2 shown]
	v_dual_ashrrev_i32 v105, 31, v104 :: v_dual_mov_b32 v59, v58
	s_wait_xcnt 0x0
	v_add_nc_u32_e32 v1, 0x1a0, v58
	s_cmp_eq_u32 s4, 0x79
	s_cbranch_scc1 .LBB114_13
; %bb.10:
	scratch_load_b64 v[106:107], off, off offset:392
	v_cmp_eq_u32_e64 s0, 50, v0
	s_movk_i32 s1, 0x48
	s_movk_i32 s14, 0x50
	;; [unrolled: 1-line block ×40, first 2 shown]
	s_wait_loadcnt 0x0
	ds_store_b64 v1, v[106:107]
	s_wait_storecnt_dscnt 0x0
	s_barrier_signal -1
	s_barrier_wait -1
	s_wait_xcnt 0x0
	s_and_saveexec_b32 s4, s0
	s_cbranch_execz .LBB114_17
; %bb.11:
	s_and_b32 vcc_lo, exec_lo, s5
	s_cbranch_vccz .LBB114_14
; %bb.12:
	scratch_load_b64 v[106:107], v59, off
	ds_load_b64 v[108:109], v1
	s_wait_loadcnt_dscnt 0x0
	v_pk_mul_f32 v[110:111], v[108:109], v[106:107] op_sel:[1,1] op_sel_hi:[0,1]
	v_pk_mul_f32 v[112:113], v[108:109], v[106:107] op_sel_hi:[1,0]
	s_delay_alu instid0(VALU_DEP_2) | instskip(NEXT) | instid1(VALU_DEP_2)
	v_pk_fma_f32 v[106:107], v[108:109], v[106:107], v[110:111] op_sel_hi:[1,0,1]
	v_sub_f32_e32 v106, v112, v110
	s_cbranch_execz .LBB114_15
	s_branch .LBB114_16
.LBB114_13:
	s_mov_b32 s1, 0
                                        ; implicit-def: $vgpr152
                                        ; implicit-def: $sgpr7
	s_cbranch_execnz .LBB114_506
	s_branch .LBB114_1001
.LBB114_14:
                                        ; implicit-def: $vgpr107
.LBB114_15:
	ds_load_b64 v[106:107], v1
.LBB114_16:
	s_wait_dscnt 0x0
	v_dual_mov_b32 v108, 0 :: v_dual_mov_b32 v110, v107
	v_mov_b32_e32 v111, v106
	ds_load_b64 v[108:109], v108 offset:392
	s_wait_dscnt 0x0
	v_pk_mul_f32 v[110:111], v[110:111], v[108:109] op_sel:[0,1]
	s_delay_alu instid0(VALU_DEP_1) | instskip(SKIP_1) | instid1(VALU_DEP_2)
	v_pk_fma_f32 v[112:113], v[106:107], v[108:109], v[110:111] op_sel_hi:[1,0,1]
	v_pk_fma_f32 v[106:107], v[106:107], v[108:109], v[110:111] neg_lo:[0,0,1] neg_hi:[0,0,1]
	v_mov_b32_e32 v107, v113
	scratch_store_b64 off, v[106:107], off offset:392
.LBB114_17:
	s_wait_xcnt 0x0
	s_or_b32 exec_lo, exec_lo, s4
	scratch_load_b64 v[106:107], off, off offset:384
	s_mov_b32 s13, s1
	v_cmp_lt_u32_e64 s1, 48, v0
	s_or_b32 s4, 0, 8
	s_mov_b32 s6, 16
	s_mov_b32 s7, 24
	;; [unrolled: 1-line block ×7, first 2 shown]
	s_wait_loadcnt 0x0
	ds_store_b64 v1, v[106:107]
	s_wait_storecnt_dscnt 0x0
	s_barrier_signal -1
	s_barrier_wait -1
	s_wait_xcnt 0x0
	s_and_saveexec_b32 s54, s1
	s_cbranch_execz .LBB114_25
; %bb.18:
	s_and_not1_b32 vcc_lo, exec_lo, s5
	s_cbranch_vccnz .LBB114_20
; %bb.19:
	scratch_load_b64 v[106:107], v59, off
	ds_load_b64 v[108:109], v1
	s_wait_loadcnt_dscnt 0x0
	v_pk_mul_f32 v[110:111], v[108:109], v[106:107] op_sel:[1,1] op_sel_hi:[0,1]
	s_delay_alu instid0(VALU_DEP_1) | instskip(SKIP_1) | instid1(VALU_DEP_2)
	v_pk_fma_f32 v[112:113], v[108:109], v[106:107], v[110:111] op_sel_hi:[1,0,1]
	v_pk_fma_f32 v[106:107], v[108:109], v[106:107], v[110:111] neg_lo:[0,0,1] neg_hi:[0,0,1]
	v_mov_b32_e32 v107, v113
	s_cbranch_execz .LBB114_21
	s_branch .LBB114_22
.LBB114_20:
                                        ; implicit-def: $vgpr106_vgpr107
.LBB114_21:
	ds_load_b64 v[106:107], v1
.LBB114_22:
	s_and_saveexec_b32 s55, s0
	s_cbranch_execz .LBB114_24
; %bb.23:
	scratch_load_b64 v[108:109], off, off offset:392
	v_mov_b32_e32 v110, 0
	ds_load_b64 v[110:111], v110 offset:808
	s_wait_loadcnt_dscnt 0x0
	v_pk_mul_f32 v[112:113], v[110:111], v[108:109] op_sel:[1,1] op_sel_hi:[0,1]
	s_delay_alu instid0(VALU_DEP_1) | instskip(SKIP_1) | instid1(VALU_DEP_2)
	v_pk_fma_f32 v[114:115], v[110:111], v[108:109], v[112:113] op_sel_hi:[1,0,1]
	v_pk_fma_f32 v[108:109], v[110:111], v[108:109], v[112:113] neg_lo:[0,0,1] neg_hi:[0,0,1]
	v_mov_b32_e32 v109, v115
	s_delay_alu instid0(VALU_DEP_1)
	v_pk_add_f32 v[106:107], v[106:107], v[108:109]
.LBB114_24:
	s_or_b32 exec_lo, exec_lo, s55
	v_mov_b32_e32 v108, 0
	ds_load_b64 v[108:109], v108 offset:384
	s_wait_dscnt 0x0
	v_pk_mul_f32 v[110:111], v[106:107], v[108:109] op_sel:[1,1] op_sel_hi:[0,1]
	s_delay_alu instid0(VALU_DEP_1) | instskip(SKIP_1) | instid1(VALU_DEP_2)
	v_pk_fma_f32 v[112:113], v[106:107], v[108:109], v[110:111] op_sel_hi:[1,0,1]
	v_pk_fma_f32 v[106:107], v[106:107], v[108:109], v[110:111] neg_lo:[0,0,1] neg_hi:[0,0,1]
	v_mov_b32_e32 v107, v113
	scratch_store_b64 off, v[106:107], off offset:384
.LBB114_25:
	s_wait_xcnt 0x0
	s_or_b32 exec_lo, exec_lo, s54
	scratch_load_b64 v[106:107], off, off offset:376
	v_cmp_lt_u32_e64 s0, 47, v0
	s_wait_loadcnt 0x0
	ds_store_b64 v1, v[106:107]
	s_wait_storecnt_dscnt 0x0
	s_barrier_signal -1
	s_barrier_wait -1
	s_wait_xcnt 0x0
	s_and_saveexec_b32 s54, s0
	s_cbranch_execz .LBB114_35
; %bb.26:
	s_and_not1_b32 vcc_lo, exec_lo, s5
	s_cbranch_vccnz .LBB114_28
; %bb.27:
	scratch_load_b64 v[106:107], v59, off
	ds_load_b64 v[108:109], v1
	s_wait_loadcnt_dscnt 0x0
	v_pk_mul_f32 v[110:111], v[108:109], v[106:107] op_sel:[1,1] op_sel_hi:[0,1]
	s_delay_alu instid0(VALU_DEP_1) | instskip(SKIP_1) | instid1(VALU_DEP_2)
	v_pk_fma_f32 v[112:113], v[108:109], v[106:107], v[110:111] op_sel_hi:[1,0,1]
	v_pk_fma_f32 v[106:107], v[108:109], v[106:107], v[110:111] neg_lo:[0,0,1] neg_hi:[0,0,1]
	v_mov_b32_e32 v107, v113
	s_cbranch_execz .LBB114_29
	s_branch .LBB114_30
.LBB114_28:
                                        ; implicit-def: $vgpr106_vgpr107
.LBB114_29:
	ds_load_b64 v[106:107], v1
.LBB114_30:
	s_and_saveexec_b32 s55, s1
	s_cbranch_execz .LBB114_34
; %bb.31:
	v_subrev_nc_u32_e32 v108, 48, v0
	s_movk_i32 s56, 0x320
	s_mov_b32 s1, 0
.LBB114_32:                             ; =>This Inner Loop Header: Depth=1
	scratch_load_b64 v[110:111], off, s53
	v_dual_mov_b32 v109, s56 :: v_dual_add_nc_u32 v108, -1, v108
	s_add_co_i32 s56, s56, 8
	s_wait_xcnt 0x0
	s_add_co_i32 s53, s53, 8
	ds_load_b64 v[112:113], v109
	v_cmp_eq_u32_e32 vcc_lo, 0, v108
	s_or_b32 s1, vcc_lo, s1
	s_wait_loadcnt_dscnt 0x0
	v_pk_mul_f32 v[114:115], v[112:113], v[110:111] op_sel:[1,1] op_sel_hi:[0,1]
	s_delay_alu instid0(VALU_DEP_1) | instskip(SKIP_1) | instid1(VALU_DEP_2)
	v_pk_fma_f32 v[116:117], v[112:113], v[110:111], v[114:115] op_sel_hi:[1,0,1]
	v_pk_fma_f32 v[110:111], v[112:113], v[110:111], v[114:115] neg_lo:[0,0,1] neg_hi:[0,0,1]
	v_mov_b32_e32 v111, v117
	s_delay_alu instid0(VALU_DEP_1)
	v_pk_add_f32 v[106:107], v[106:107], v[110:111]
	s_and_not1_b32 exec_lo, exec_lo, s1
	s_cbranch_execnz .LBB114_32
; %bb.33:
	s_or_b32 exec_lo, exec_lo, s1
.LBB114_34:
	s_delay_alu instid0(SALU_CYCLE_1) | instskip(SKIP_4) | instid1(VALU_DEP_1)
	s_or_b32 exec_lo, exec_lo, s55
	v_mov_b32_e32 v108, 0
	ds_load_b64 v[108:109], v108 offset:376
	s_wait_dscnt 0x0
	v_pk_mul_f32 v[110:111], v[106:107], v[108:109] op_sel:[1,1] op_sel_hi:[0,1]
	v_pk_fma_f32 v[112:113], v[106:107], v[108:109], v[110:111] op_sel_hi:[1,0,1]
	v_pk_fma_f32 v[106:107], v[106:107], v[108:109], v[110:111] neg_lo:[0,0,1] neg_hi:[0,0,1]
	s_delay_alu instid0(VALU_DEP_2)
	v_mov_b32_e32 v107, v113
	scratch_store_b64 off, v[106:107], off offset:376
.LBB114_35:
	s_wait_xcnt 0x0
	s_or_b32 exec_lo, exec_lo, s54
	scratch_load_b64 v[106:107], off, off offset:368
	v_cmp_lt_u32_e64 s1, 46, v0
	s_wait_loadcnt 0x0
	ds_store_b64 v1, v[106:107]
	s_wait_storecnt_dscnt 0x0
	s_barrier_signal -1
	s_barrier_wait -1
	s_wait_xcnt 0x0
	s_and_saveexec_b32 s53, s1
	s_cbranch_execz .LBB114_45
; %bb.36:
	s_and_not1_b32 vcc_lo, exec_lo, s5
	s_cbranch_vccnz .LBB114_38
; %bb.37:
	scratch_load_b64 v[106:107], v59, off
	ds_load_b64 v[108:109], v1
	s_wait_loadcnt_dscnt 0x0
	v_pk_mul_f32 v[110:111], v[108:109], v[106:107] op_sel:[1,1] op_sel_hi:[0,1]
	s_delay_alu instid0(VALU_DEP_1) | instskip(SKIP_1) | instid1(VALU_DEP_2)
	v_pk_fma_f32 v[112:113], v[108:109], v[106:107], v[110:111] op_sel_hi:[1,0,1]
	v_pk_fma_f32 v[106:107], v[108:109], v[106:107], v[110:111] neg_lo:[0,0,1] neg_hi:[0,0,1]
	v_mov_b32_e32 v107, v113
	s_cbranch_execz .LBB114_39
	s_branch .LBB114_40
.LBB114_38:
                                        ; implicit-def: $vgpr106_vgpr107
.LBB114_39:
	ds_load_b64 v[106:107], v1
.LBB114_40:
	s_and_saveexec_b32 s54, s0
	s_cbranch_execz .LBB114_44
; %bb.41:
	v_subrev_nc_u32_e32 v108, 47, v0
	s_movk_i32 s55, 0x318
	s_mov_b32 s0, 0
.LBB114_42:                             ; =>This Inner Loop Header: Depth=1
	scratch_load_b64 v[110:111], off, s52
	v_dual_mov_b32 v109, s55 :: v_dual_add_nc_u32 v108, -1, v108
	s_add_co_i32 s55, s55, 8
	s_wait_xcnt 0x0
	s_add_co_i32 s52, s52, 8
	ds_load_b64 v[112:113], v109
	v_cmp_eq_u32_e32 vcc_lo, 0, v108
	s_or_b32 s0, vcc_lo, s0
	s_wait_loadcnt_dscnt 0x0
	v_pk_mul_f32 v[114:115], v[112:113], v[110:111] op_sel:[1,1] op_sel_hi:[0,1]
	s_delay_alu instid0(VALU_DEP_1) | instskip(SKIP_1) | instid1(VALU_DEP_2)
	v_pk_fma_f32 v[116:117], v[112:113], v[110:111], v[114:115] op_sel_hi:[1,0,1]
	v_pk_fma_f32 v[110:111], v[112:113], v[110:111], v[114:115] neg_lo:[0,0,1] neg_hi:[0,0,1]
	v_mov_b32_e32 v111, v117
	s_delay_alu instid0(VALU_DEP_1)
	v_pk_add_f32 v[106:107], v[106:107], v[110:111]
	s_and_not1_b32 exec_lo, exec_lo, s0
	s_cbranch_execnz .LBB114_42
; %bb.43:
	s_or_b32 exec_lo, exec_lo, s0
.LBB114_44:
	s_delay_alu instid0(SALU_CYCLE_1) | instskip(SKIP_4) | instid1(VALU_DEP_1)
	s_or_b32 exec_lo, exec_lo, s54
	v_mov_b32_e32 v108, 0
	ds_load_b64 v[108:109], v108 offset:368
	s_wait_dscnt 0x0
	v_pk_mul_f32 v[110:111], v[106:107], v[108:109] op_sel:[1,1] op_sel_hi:[0,1]
	v_pk_fma_f32 v[112:113], v[106:107], v[108:109], v[110:111] op_sel_hi:[1,0,1]
	v_pk_fma_f32 v[106:107], v[106:107], v[108:109], v[110:111] neg_lo:[0,0,1] neg_hi:[0,0,1]
	s_delay_alu instid0(VALU_DEP_2)
	v_mov_b32_e32 v107, v113
	scratch_store_b64 off, v[106:107], off offset:368
.LBB114_45:
	s_wait_xcnt 0x0
	s_or_b32 exec_lo, exec_lo, s53
	scratch_load_b64 v[106:107], off, off offset:360
	v_cmp_lt_u32_e64 s0, 45, v0
	s_wait_loadcnt 0x0
	ds_store_b64 v1, v[106:107]
	s_wait_storecnt_dscnt 0x0
	s_barrier_signal -1
	s_barrier_wait -1
	s_wait_xcnt 0x0
	s_and_saveexec_b32 s52, s0
	s_cbranch_execz .LBB114_55
; %bb.46:
	s_and_not1_b32 vcc_lo, exec_lo, s5
	s_cbranch_vccnz .LBB114_48
; %bb.47:
	scratch_load_b64 v[106:107], v59, off
	ds_load_b64 v[108:109], v1
	s_wait_loadcnt_dscnt 0x0
	v_pk_mul_f32 v[110:111], v[108:109], v[106:107] op_sel:[1,1] op_sel_hi:[0,1]
	s_delay_alu instid0(VALU_DEP_1) | instskip(SKIP_1) | instid1(VALU_DEP_2)
	v_pk_fma_f32 v[112:113], v[108:109], v[106:107], v[110:111] op_sel_hi:[1,0,1]
	v_pk_fma_f32 v[106:107], v[108:109], v[106:107], v[110:111] neg_lo:[0,0,1] neg_hi:[0,0,1]
	v_mov_b32_e32 v107, v113
	s_cbranch_execz .LBB114_49
	s_branch .LBB114_50
.LBB114_48:
                                        ; implicit-def: $vgpr106_vgpr107
.LBB114_49:
	ds_load_b64 v[106:107], v1
.LBB114_50:
	s_and_saveexec_b32 s53, s1
	s_cbranch_execz .LBB114_54
; %bb.51:
	v_subrev_nc_u32_e32 v108, 46, v0
	s_movk_i32 s54, 0x310
	s_mov_b32 s1, 0
.LBB114_52:                             ; =>This Inner Loop Header: Depth=1
	scratch_load_b64 v[110:111], off, s51
	v_dual_mov_b32 v109, s54 :: v_dual_add_nc_u32 v108, -1, v108
	s_add_co_i32 s54, s54, 8
	s_wait_xcnt 0x0
	s_add_co_i32 s51, s51, 8
	ds_load_b64 v[112:113], v109
	v_cmp_eq_u32_e32 vcc_lo, 0, v108
	s_or_b32 s1, vcc_lo, s1
	s_wait_loadcnt_dscnt 0x0
	v_pk_mul_f32 v[114:115], v[112:113], v[110:111] op_sel:[1,1] op_sel_hi:[0,1]
	s_delay_alu instid0(VALU_DEP_1) | instskip(SKIP_1) | instid1(VALU_DEP_2)
	v_pk_fma_f32 v[116:117], v[112:113], v[110:111], v[114:115] op_sel_hi:[1,0,1]
	v_pk_fma_f32 v[110:111], v[112:113], v[110:111], v[114:115] neg_lo:[0,0,1] neg_hi:[0,0,1]
	v_mov_b32_e32 v111, v117
	s_delay_alu instid0(VALU_DEP_1)
	v_pk_add_f32 v[106:107], v[106:107], v[110:111]
	s_and_not1_b32 exec_lo, exec_lo, s1
	s_cbranch_execnz .LBB114_52
; %bb.53:
	s_or_b32 exec_lo, exec_lo, s1
.LBB114_54:
	s_delay_alu instid0(SALU_CYCLE_1) | instskip(SKIP_4) | instid1(VALU_DEP_1)
	s_or_b32 exec_lo, exec_lo, s53
	v_mov_b32_e32 v108, 0
	ds_load_b64 v[108:109], v108 offset:360
	s_wait_dscnt 0x0
	v_pk_mul_f32 v[110:111], v[106:107], v[108:109] op_sel:[1,1] op_sel_hi:[0,1]
	v_pk_fma_f32 v[112:113], v[106:107], v[108:109], v[110:111] op_sel_hi:[1,0,1]
	v_pk_fma_f32 v[106:107], v[106:107], v[108:109], v[110:111] neg_lo:[0,0,1] neg_hi:[0,0,1]
	s_delay_alu instid0(VALU_DEP_2)
	v_mov_b32_e32 v107, v113
	scratch_store_b64 off, v[106:107], off offset:360
.LBB114_55:
	s_wait_xcnt 0x0
	s_or_b32 exec_lo, exec_lo, s52
	scratch_load_b64 v[106:107], off, off offset:352
	v_cmp_lt_u32_e64 s1, 44, v0
	s_wait_loadcnt 0x0
	ds_store_b64 v1, v[106:107]
	s_wait_storecnt_dscnt 0x0
	s_barrier_signal -1
	s_barrier_wait -1
	s_wait_xcnt 0x0
	s_and_saveexec_b32 s51, s1
	s_cbranch_execz .LBB114_65
; %bb.56:
	s_and_not1_b32 vcc_lo, exec_lo, s5
	s_cbranch_vccnz .LBB114_58
; %bb.57:
	scratch_load_b64 v[106:107], v59, off
	ds_load_b64 v[108:109], v1
	s_wait_loadcnt_dscnt 0x0
	v_pk_mul_f32 v[110:111], v[108:109], v[106:107] op_sel:[1,1] op_sel_hi:[0,1]
	s_delay_alu instid0(VALU_DEP_1) | instskip(SKIP_1) | instid1(VALU_DEP_2)
	v_pk_fma_f32 v[112:113], v[108:109], v[106:107], v[110:111] op_sel_hi:[1,0,1]
	v_pk_fma_f32 v[106:107], v[108:109], v[106:107], v[110:111] neg_lo:[0,0,1] neg_hi:[0,0,1]
	v_mov_b32_e32 v107, v113
	s_cbranch_execz .LBB114_59
	s_branch .LBB114_60
.LBB114_58:
                                        ; implicit-def: $vgpr106_vgpr107
.LBB114_59:
	ds_load_b64 v[106:107], v1
.LBB114_60:
	s_and_saveexec_b32 s52, s0
	s_cbranch_execz .LBB114_64
; %bb.61:
	v_subrev_nc_u32_e32 v108, 45, v0
	s_movk_i32 s53, 0x308
	s_mov_b32 s0, 0
.LBB114_62:                             ; =>This Inner Loop Header: Depth=1
	scratch_load_b64 v[110:111], off, s50
	v_dual_mov_b32 v109, s53 :: v_dual_add_nc_u32 v108, -1, v108
	s_add_co_i32 s53, s53, 8
	s_wait_xcnt 0x0
	s_add_co_i32 s50, s50, 8
	ds_load_b64 v[112:113], v109
	v_cmp_eq_u32_e32 vcc_lo, 0, v108
	s_or_b32 s0, vcc_lo, s0
	s_wait_loadcnt_dscnt 0x0
	v_pk_mul_f32 v[114:115], v[112:113], v[110:111] op_sel:[1,1] op_sel_hi:[0,1]
	s_delay_alu instid0(VALU_DEP_1) | instskip(SKIP_1) | instid1(VALU_DEP_2)
	v_pk_fma_f32 v[116:117], v[112:113], v[110:111], v[114:115] op_sel_hi:[1,0,1]
	v_pk_fma_f32 v[110:111], v[112:113], v[110:111], v[114:115] neg_lo:[0,0,1] neg_hi:[0,0,1]
	v_mov_b32_e32 v111, v117
	s_delay_alu instid0(VALU_DEP_1)
	v_pk_add_f32 v[106:107], v[106:107], v[110:111]
	s_and_not1_b32 exec_lo, exec_lo, s0
	s_cbranch_execnz .LBB114_62
; %bb.63:
	s_or_b32 exec_lo, exec_lo, s0
.LBB114_64:
	s_delay_alu instid0(SALU_CYCLE_1) | instskip(SKIP_4) | instid1(VALU_DEP_1)
	s_or_b32 exec_lo, exec_lo, s52
	v_mov_b32_e32 v108, 0
	ds_load_b64 v[108:109], v108 offset:352
	s_wait_dscnt 0x0
	v_pk_mul_f32 v[110:111], v[106:107], v[108:109] op_sel:[1,1] op_sel_hi:[0,1]
	v_pk_fma_f32 v[112:113], v[106:107], v[108:109], v[110:111] op_sel_hi:[1,0,1]
	v_pk_fma_f32 v[106:107], v[106:107], v[108:109], v[110:111] neg_lo:[0,0,1] neg_hi:[0,0,1]
	s_delay_alu instid0(VALU_DEP_2)
	v_mov_b32_e32 v107, v113
	scratch_store_b64 off, v[106:107], off offset:352
.LBB114_65:
	s_wait_xcnt 0x0
	s_or_b32 exec_lo, exec_lo, s51
	scratch_load_b64 v[106:107], off, off offset:344
	v_cmp_lt_u32_e64 s0, 43, v0
	s_wait_loadcnt 0x0
	ds_store_b64 v1, v[106:107]
	s_wait_storecnt_dscnt 0x0
	s_barrier_signal -1
	s_barrier_wait -1
	s_wait_xcnt 0x0
	s_and_saveexec_b32 s50, s0
	s_cbranch_execz .LBB114_75
; %bb.66:
	s_and_not1_b32 vcc_lo, exec_lo, s5
	s_cbranch_vccnz .LBB114_68
; %bb.67:
	scratch_load_b64 v[106:107], v59, off
	ds_load_b64 v[108:109], v1
	s_wait_loadcnt_dscnt 0x0
	v_pk_mul_f32 v[110:111], v[108:109], v[106:107] op_sel:[1,1] op_sel_hi:[0,1]
	s_delay_alu instid0(VALU_DEP_1) | instskip(SKIP_1) | instid1(VALU_DEP_2)
	v_pk_fma_f32 v[112:113], v[108:109], v[106:107], v[110:111] op_sel_hi:[1,0,1]
	v_pk_fma_f32 v[106:107], v[108:109], v[106:107], v[110:111] neg_lo:[0,0,1] neg_hi:[0,0,1]
	v_mov_b32_e32 v107, v113
	s_cbranch_execz .LBB114_69
	s_branch .LBB114_70
.LBB114_68:
                                        ; implicit-def: $vgpr106_vgpr107
.LBB114_69:
	ds_load_b64 v[106:107], v1
.LBB114_70:
	s_and_saveexec_b32 s51, s1
	s_cbranch_execz .LBB114_74
; %bb.71:
	v_subrev_nc_u32_e32 v108, 44, v0
	s_movk_i32 s52, 0x300
	s_mov_b32 s1, 0
.LBB114_72:                             ; =>This Inner Loop Header: Depth=1
	scratch_load_b64 v[110:111], off, s49
	v_dual_mov_b32 v109, s52 :: v_dual_add_nc_u32 v108, -1, v108
	s_add_co_i32 s52, s52, 8
	s_wait_xcnt 0x0
	s_add_co_i32 s49, s49, 8
	ds_load_b64 v[112:113], v109
	v_cmp_eq_u32_e32 vcc_lo, 0, v108
	s_or_b32 s1, vcc_lo, s1
	s_wait_loadcnt_dscnt 0x0
	v_pk_mul_f32 v[114:115], v[112:113], v[110:111] op_sel:[1,1] op_sel_hi:[0,1]
	s_delay_alu instid0(VALU_DEP_1) | instskip(SKIP_1) | instid1(VALU_DEP_2)
	v_pk_fma_f32 v[116:117], v[112:113], v[110:111], v[114:115] op_sel_hi:[1,0,1]
	v_pk_fma_f32 v[110:111], v[112:113], v[110:111], v[114:115] neg_lo:[0,0,1] neg_hi:[0,0,1]
	v_mov_b32_e32 v111, v117
	s_delay_alu instid0(VALU_DEP_1)
	v_pk_add_f32 v[106:107], v[106:107], v[110:111]
	s_and_not1_b32 exec_lo, exec_lo, s1
	s_cbranch_execnz .LBB114_72
; %bb.73:
	s_or_b32 exec_lo, exec_lo, s1
.LBB114_74:
	s_delay_alu instid0(SALU_CYCLE_1) | instskip(SKIP_4) | instid1(VALU_DEP_1)
	s_or_b32 exec_lo, exec_lo, s51
	v_mov_b32_e32 v108, 0
	ds_load_b64 v[108:109], v108 offset:344
	s_wait_dscnt 0x0
	v_pk_mul_f32 v[110:111], v[106:107], v[108:109] op_sel:[1,1] op_sel_hi:[0,1]
	v_pk_fma_f32 v[112:113], v[106:107], v[108:109], v[110:111] op_sel_hi:[1,0,1]
	v_pk_fma_f32 v[106:107], v[106:107], v[108:109], v[110:111] neg_lo:[0,0,1] neg_hi:[0,0,1]
	s_delay_alu instid0(VALU_DEP_2)
	v_mov_b32_e32 v107, v113
	scratch_store_b64 off, v[106:107], off offset:344
.LBB114_75:
	s_wait_xcnt 0x0
	s_or_b32 exec_lo, exec_lo, s50
	scratch_load_b64 v[106:107], off, off offset:336
	v_cmp_lt_u32_e64 s1, 42, v0
	s_wait_loadcnt 0x0
	ds_store_b64 v1, v[106:107]
	s_wait_storecnt_dscnt 0x0
	s_barrier_signal -1
	s_barrier_wait -1
	s_wait_xcnt 0x0
	s_and_saveexec_b32 s49, s1
	s_cbranch_execz .LBB114_85
; %bb.76:
	s_and_not1_b32 vcc_lo, exec_lo, s5
	s_cbranch_vccnz .LBB114_78
; %bb.77:
	scratch_load_b64 v[106:107], v59, off
	ds_load_b64 v[108:109], v1
	s_wait_loadcnt_dscnt 0x0
	v_pk_mul_f32 v[110:111], v[108:109], v[106:107] op_sel:[1,1] op_sel_hi:[0,1]
	s_delay_alu instid0(VALU_DEP_1) | instskip(SKIP_1) | instid1(VALU_DEP_2)
	v_pk_fma_f32 v[112:113], v[108:109], v[106:107], v[110:111] op_sel_hi:[1,0,1]
	v_pk_fma_f32 v[106:107], v[108:109], v[106:107], v[110:111] neg_lo:[0,0,1] neg_hi:[0,0,1]
	v_mov_b32_e32 v107, v113
	s_cbranch_execz .LBB114_79
	s_branch .LBB114_80
.LBB114_78:
                                        ; implicit-def: $vgpr106_vgpr107
.LBB114_79:
	ds_load_b64 v[106:107], v1
.LBB114_80:
	s_and_saveexec_b32 s50, s0
	s_cbranch_execz .LBB114_84
; %bb.81:
	v_subrev_nc_u32_e32 v108, 43, v0
	s_movk_i32 s51, 0x2f8
	s_mov_b32 s0, 0
.LBB114_82:                             ; =>This Inner Loop Header: Depth=1
	scratch_load_b64 v[110:111], off, s48
	v_dual_mov_b32 v109, s51 :: v_dual_add_nc_u32 v108, -1, v108
	s_add_co_i32 s51, s51, 8
	s_wait_xcnt 0x0
	s_add_co_i32 s48, s48, 8
	ds_load_b64 v[112:113], v109
	v_cmp_eq_u32_e32 vcc_lo, 0, v108
	s_or_b32 s0, vcc_lo, s0
	s_wait_loadcnt_dscnt 0x0
	v_pk_mul_f32 v[114:115], v[112:113], v[110:111] op_sel:[1,1] op_sel_hi:[0,1]
	s_delay_alu instid0(VALU_DEP_1) | instskip(SKIP_1) | instid1(VALU_DEP_2)
	v_pk_fma_f32 v[116:117], v[112:113], v[110:111], v[114:115] op_sel_hi:[1,0,1]
	v_pk_fma_f32 v[110:111], v[112:113], v[110:111], v[114:115] neg_lo:[0,0,1] neg_hi:[0,0,1]
	v_mov_b32_e32 v111, v117
	s_delay_alu instid0(VALU_DEP_1)
	v_pk_add_f32 v[106:107], v[106:107], v[110:111]
	s_and_not1_b32 exec_lo, exec_lo, s0
	s_cbranch_execnz .LBB114_82
; %bb.83:
	s_or_b32 exec_lo, exec_lo, s0
.LBB114_84:
	s_delay_alu instid0(SALU_CYCLE_1) | instskip(SKIP_4) | instid1(VALU_DEP_1)
	s_or_b32 exec_lo, exec_lo, s50
	v_mov_b32_e32 v108, 0
	ds_load_b64 v[108:109], v108 offset:336
	s_wait_dscnt 0x0
	v_pk_mul_f32 v[110:111], v[106:107], v[108:109] op_sel:[1,1] op_sel_hi:[0,1]
	v_pk_fma_f32 v[112:113], v[106:107], v[108:109], v[110:111] op_sel_hi:[1,0,1]
	v_pk_fma_f32 v[106:107], v[106:107], v[108:109], v[110:111] neg_lo:[0,0,1] neg_hi:[0,0,1]
	s_delay_alu instid0(VALU_DEP_2)
	v_mov_b32_e32 v107, v113
	scratch_store_b64 off, v[106:107], off offset:336
.LBB114_85:
	s_wait_xcnt 0x0
	s_or_b32 exec_lo, exec_lo, s49
	scratch_load_b64 v[106:107], off, off offset:328
	v_cmp_lt_u32_e64 s0, 41, v0
	s_wait_loadcnt 0x0
	ds_store_b64 v1, v[106:107]
	s_wait_storecnt_dscnt 0x0
	s_barrier_signal -1
	s_barrier_wait -1
	s_wait_xcnt 0x0
	s_and_saveexec_b32 s48, s0
	s_cbranch_execz .LBB114_95
; %bb.86:
	s_and_not1_b32 vcc_lo, exec_lo, s5
	s_cbranch_vccnz .LBB114_88
; %bb.87:
	scratch_load_b64 v[106:107], v59, off
	ds_load_b64 v[108:109], v1
	s_wait_loadcnt_dscnt 0x0
	v_pk_mul_f32 v[110:111], v[108:109], v[106:107] op_sel:[1,1] op_sel_hi:[0,1]
	s_delay_alu instid0(VALU_DEP_1) | instskip(SKIP_1) | instid1(VALU_DEP_2)
	v_pk_fma_f32 v[112:113], v[108:109], v[106:107], v[110:111] op_sel_hi:[1,0,1]
	v_pk_fma_f32 v[106:107], v[108:109], v[106:107], v[110:111] neg_lo:[0,0,1] neg_hi:[0,0,1]
	v_mov_b32_e32 v107, v113
	s_cbranch_execz .LBB114_89
	s_branch .LBB114_90
.LBB114_88:
                                        ; implicit-def: $vgpr106_vgpr107
.LBB114_89:
	ds_load_b64 v[106:107], v1
.LBB114_90:
	s_and_saveexec_b32 s49, s1
	s_cbranch_execz .LBB114_94
; %bb.91:
	v_subrev_nc_u32_e32 v108, 42, v0
	s_movk_i32 s50, 0x2f0
	s_mov_b32 s1, 0
.LBB114_92:                             ; =>This Inner Loop Header: Depth=1
	scratch_load_b64 v[110:111], off, s47
	v_dual_mov_b32 v109, s50 :: v_dual_add_nc_u32 v108, -1, v108
	s_add_co_i32 s50, s50, 8
	s_wait_xcnt 0x0
	s_add_co_i32 s47, s47, 8
	ds_load_b64 v[112:113], v109
	v_cmp_eq_u32_e32 vcc_lo, 0, v108
	s_or_b32 s1, vcc_lo, s1
	s_wait_loadcnt_dscnt 0x0
	v_pk_mul_f32 v[114:115], v[112:113], v[110:111] op_sel:[1,1] op_sel_hi:[0,1]
	s_delay_alu instid0(VALU_DEP_1) | instskip(SKIP_1) | instid1(VALU_DEP_2)
	v_pk_fma_f32 v[116:117], v[112:113], v[110:111], v[114:115] op_sel_hi:[1,0,1]
	v_pk_fma_f32 v[110:111], v[112:113], v[110:111], v[114:115] neg_lo:[0,0,1] neg_hi:[0,0,1]
	v_mov_b32_e32 v111, v117
	s_delay_alu instid0(VALU_DEP_1)
	v_pk_add_f32 v[106:107], v[106:107], v[110:111]
	s_and_not1_b32 exec_lo, exec_lo, s1
	s_cbranch_execnz .LBB114_92
; %bb.93:
	s_or_b32 exec_lo, exec_lo, s1
.LBB114_94:
	s_delay_alu instid0(SALU_CYCLE_1) | instskip(SKIP_4) | instid1(VALU_DEP_1)
	s_or_b32 exec_lo, exec_lo, s49
	v_mov_b32_e32 v108, 0
	ds_load_b64 v[108:109], v108 offset:328
	s_wait_dscnt 0x0
	v_pk_mul_f32 v[110:111], v[106:107], v[108:109] op_sel:[1,1] op_sel_hi:[0,1]
	v_pk_fma_f32 v[112:113], v[106:107], v[108:109], v[110:111] op_sel_hi:[1,0,1]
	v_pk_fma_f32 v[106:107], v[106:107], v[108:109], v[110:111] neg_lo:[0,0,1] neg_hi:[0,0,1]
	s_delay_alu instid0(VALU_DEP_2)
	v_mov_b32_e32 v107, v113
	scratch_store_b64 off, v[106:107], off offset:328
.LBB114_95:
	s_wait_xcnt 0x0
	s_or_b32 exec_lo, exec_lo, s48
	scratch_load_b64 v[106:107], off, off offset:320
	v_cmp_lt_u32_e64 s1, 40, v0
	s_wait_loadcnt 0x0
	ds_store_b64 v1, v[106:107]
	s_wait_storecnt_dscnt 0x0
	s_barrier_signal -1
	s_barrier_wait -1
	s_wait_xcnt 0x0
	s_and_saveexec_b32 s47, s1
	s_cbranch_execz .LBB114_105
; %bb.96:
	s_and_not1_b32 vcc_lo, exec_lo, s5
	s_cbranch_vccnz .LBB114_98
; %bb.97:
	scratch_load_b64 v[106:107], v59, off
	ds_load_b64 v[108:109], v1
	s_wait_loadcnt_dscnt 0x0
	v_pk_mul_f32 v[110:111], v[108:109], v[106:107] op_sel:[1,1] op_sel_hi:[0,1]
	s_delay_alu instid0(VALU_DEP_1) | instskip(SKIP_1) | instid1(VALU_DEP_2)
	v_pk_fma_f32 v[112:113], v[108:109], v[106:107], v[110:111] op_sel_hi:[1,0,1]
	v_pk_fma_f32 v[106:107], v[108:109], v[106:107], v[110:111] neg_lo:[0,0,1] neg_hi:[0,0,1]
	v_mov_b32_e32 v107, v113
	s_cbranch_execz .LBB114_99
	s_branch .LBB114_100
.LBB114_98:
                                        ; implicit-def: $vgpr106_vgpr107
.LBB114_99:
	ds_load_b64 v[106:107], v1
.LBB114_100:
	s_and_saveexec_b32 s48, s0
	s_cbranch_execz .LBB114_104
; %bb.101:
	v_subrev_nc_u32_e32 v108, 41, v0
	s_movk_i32 s49, 0x2e8
	s_mov_b32 s0, 0
.LBB114_102:                            ; =>This Inner Loop Header: Depth=1
	scratch_load_b64 v[110:111], off, s46
	v_dual_mov_b32 v109, s49 :: v_dual_add_nc_u32 v108, -1, v108
	s_add_co_i32 s49, s49, 8
	s_wait_xcnt 0x0
	s_add_co_i32 s46, s46, 8
	ds_load_b64 v[112:113], v109
	v_cmp_eq_u32_e32 vcc_lo, 0, v108
	s_or_b32 s0, vcc_lo, s0
	s_wait_loadcnt_dscnt 0x0
	v_pk_mul_f32 v[114:115], v[112:113], v[110:111] op_sel:[1,1] op_sel_hi:[0,1]
	s_delay_alu instid0(VALU_DEP_1) | instskip(SKIP_1) | instid1(VALU_DEP_2)
	v_pk_fma_f32 v[116:117], v[112:113], v[110:111], v[114:115] op_sel_hi:[1,0,1]
	v_pk_fma_f32 v[110:111], v[112:113], v[110:111], v[114:115] neg_lo:[0,0,1] neg_hi:[0,0,1]
	v_mov_b32_e32 v111, v117
	s_delay_alu instid0(VALU_DEP_1)
	v_pk_add_f32 v[106:107], v[106:107], v[110:111]
	s_and_not1_b32 exec_lo, exec_lo, s0
	s_cbranch_execnz .LBB114_102
; %bb.103:
	s_or_b32 exec_lo, exec_lo, s0
.LBB114_104:
	s_delay_alu instid0(SALU_CYCLE_1) | instskip(SKIP_4) | instid1(VALU_DEP_1)
	s_or_b32 exec_lo, exec_lo, s48
	v_mov_b32_e32 v108, 0
	ds_load_b64 v[108:109], v108 offset:320
	s_wait_dscnt 0x0
	v_pk_mul_f32 v[110:111], v[106:107], v[108:109] op_sel:[1,1] op_sel_hi:[0,1]
	v_pk_fma_f32 v[112:113], v[106:107], v[108:109], v[110:111] op_sel_hi:[1,0,1]
	v_pk_fma_f32 v[106:107], v[106:107], v[108:109], v[110:111] neg_lo:[0,0,1] neg_hi:[0,0,1]
	s_delay_alu instid0(VALU_DEP_2)
	v_mov_b32_e32 v107, v113
	scratch_store_b64 off, v[106:107], off offset:320
.LBB114_105:
	s_wait_xcnt 0x0
	s_or_b32 exec_lo, exec_lo, s47
	scratch_load_b64 v[106:107], off, off offset:312
	v_cmp_lt_u32_e64 s0, 39, v0
	s_wait_loadcnt 0x0
	ds_store_b64 v1, v[106:107]
	s_wait_storecnt_dscnt 0x0
	s_barrier_signal -1
	s_barrier_wait -1
	s_wait_xcnt 0x0
	s_and_saveexec_b32 s46, s0
	s_cbranch_execz .LBB114_115
; %bb.106:
	s_and_not1_b32 vcc_lo, exec_lo, s5
	s_cbranch_vccnz .LBB114_108
; %bb.107:
	scratch_load_b64 v[106:107], v59, off
	ds_load_b64 v[108:109], v1
	s_wait_loadcnt_dscnt 0x0
	v_pk_mul_f32 v[110:111], v[108:109], v[106:107] op_sel:[1,1] op_sel_hi:[0,1]
	s_delay_alu instid0(VALU_DEP_1) | instskip(SKIP_1) | instid1(VALU_DEP_2)
	v_pk_fma_f32 v[112:113], v[108:109], v[106:107], v[110:111] op_sel_hi:[1,0,1]
	v_pk_fma_f32 v[106:107], v[108:109], v[106:107], v[110:111] neg_lo:[0,0,1] neg_hi:[0,0,1]
	v_mov_b32_e32 v107, v113
	s_cbranch_execz .LBB114_109
	s_branch .LBB114_110
.LBB114_108:
                                        ; implicit-def: $vgpr106_vgpr107
.LBB114_109:
	ds_load_b64 v[106:107], v1
.LBB114_110:
	s_and_saveexec_b32 s47, s1
	s_cbranch_execz .LBB114_114
; %bb.111:
	v_subrev_nc_u32_e32 v108, 40, v0
	s_movk_i32 s48, 0x2e0
	s_mov_b32 s1, 0
.LBB114_112:                            ; =>This Inner Loop Header: Depth=1
	scratch_load_b64 v[110:111], off, s45
	v_dual_mov_b32 v109, s48 :: v_dual_add_nc_u32 v108, -1, v108
	s_add_co_i32 s48, s48, 8
	s_wait_xcnt 0x0
	s_add_co_i32 s45, s45, 8
	ds_load_b64 v[112:113], v109
	v_cmp_eq_u32_e32 vcc_lo, 0, v108
	s_or_b32 s1, vcc_lo, s1
	s_wait_loadcnt_dscnt 0x0
	v_pk_mul_f32 v[114:115], v[112:113], v[110:111] op_sel:[1,1] op_sel_hi:[0,1]
	s_delay_alu instid0(VALU_DEP_1) | instskip(SKIP_1) | instid1(VALU_DEP_2)
	v_pk_fma_f32 v[116:117], v[112:113], v[110:111], v[114:115] op_sel_hi:[1,0,1]
	v_pk_fma_f32 v[110:111], v[112:113], v[110:111], v[114:115] neg_lo:[0,0,1] neg_hi:[0,0,1]
	v_mov_b32_e32 v111, v117
	s_delay_alu instid0(VALU_DEP_1)
	v_pk_add_f32 v[106:107], v[106:107], v[110:111]
	s_and_not1_b32 exec_lo, exec_lo, s1
	s_cbranch_execnz .LBB114_112
; %bb.113:
	s_or_b32 exec_lo, exec_lo, s1
.LBB114_114:
	s_delay_alu instid0(SALU_CYCLE_1) | instskip(SKIP_4) | instid1(VALU_DEP_1)
	s_or_b32 exec_lo, exec_lo, s47
	v_mov_b32_e32 v108, 0
	ds_load_b64 v[108:109], v108 offset:312
	s_wait_dscnt 0x0
	v_pk_mul_f32 v[110:111], v[106:107], v[108:109] op_sel:[1,1] op_sel_hi:[0,1]
	v_pk_fma_f32 v[112:113], v[106:107], v[108:109], v[110:111] op_sel_hi:[1,0,1]
	v_pk_fma_f32 v[106:107], v[106:107], v[108:109], v[110:111] neg_lo:[0,0,1] neg_hi:[0,0,1]
	s_delay_alu instid0(VALU_DEP_2)
	v_mov_b32_e32 v107, v113
	scratch_store_b64 off, v[106:107], off offset:312
.LBB114_115:
	s_wait_xcnt 0x0
	s_or_b32 exec_lo, exec_lo, s46
	scratch_load_b64 v[106:107], off, off offset:304
	v_cmp_lt_u32_e64 s1, 38, v0
	s_wait_loadcnt 0x0
	ds_store_b64 v1, v[106:107]
	s_wait_storecnt_dscnt 0x0
	s_barrier_signal -1
	s_barrier_wait -1
	s_wait_xcnt 0x0
	s_and_saveexec_b32 s45, s1
	s_cbranch_execz .LBB114_125
; %bb.116:
	s_and_not1_b32 vcc_lo, exec_lo, s5
	s_cbranch_vccnz .LBB114_118
; %bb.117:
	scratch_load_b64 v[106:107], v59, off
	ds_load_b64 v[108:109], v1
	s_wait_loadcnt_dscnt 0x0
	v_pk_mul_f32 v[110:111], v[108:109], v[106:107] op_sel:[1,1] op_sel_hi:[0,1]
	s_delay_alu instid0(VALU_DEP_1) | instskip(SKIP_1) | instid1(VALU_DEP_2)
	v_pk_fma_f32 v[112:113], v[108:109], v[106:107], v[110:111] op_sel_hi:[1,0,1]
	v_pk_fma_f32 v[106:107], v[108:109], v[106:107], v[110:111] neg_lo:[0,0,1] neg_hi:[0,0,1]
	v_mov_b32_e32 v107, v113
	s_cbranch_execz .LBB114_119
	s_branch .LBB114_120
.LBB114_118:
                                        ; implicit-def: $vgpr106_vgpr107
.LBB114_119:
	ds_load_b64 v[106:107], v1
.LBB114_120:
	s_and_saveexec_b32 s46, s0
	s_cbranch_execz .LBB114_124
; %bb.121:
	v_subrev_nc_u32_e32 v108, 39, v0
	s_movk_i32 s47, 0x2d8
	s_mov_b32 s0, 0
.LBB114_122:                            ; =>This Inner Loop Header: Depth=1
	scratch_load_b64 v[110:111], off, s44
	v_dual_mov_b32 v109, s47 :: v_dual_add_nc_u32 v108, -1, v108
	s_add_co_i32 s47, s47, 8
	s_wait_xcnt 0x0
	s_add_co_i32 s44, s44, 8
	ds_load_b64 v[112:113], v109
	v_cmp_eq_u32_e32 vcc_lo, 0, v108
	s_or_b32 s0, vcc_lo, s0
	s_wait_loadcnt_dscnt 0x0
	v_pk_mul_f32 v[114:115], v[112:113], v[110:111] op_sel:[1,1] op_sel_hi:[0,1]
	s_delay_alu instid0(VALU_DEP_1) | instskip(SKIP_1) | instid1(VALU_DEP_2)
	v_pk_fma_f32 v[116:117], v[112:113], v[110:111], v[114:115] op_sel_hi:[1,0,1]
	v_pk_fma_f32 v[110:111], v[112:113], v[110:111], v[114:115] neg_lo:[0,0,1] neg_hi:[0,0,1]
	v_mov_b32_e32 v111, v117
	s_delay_alu instid0(VALU_DEP_1)
	v_pk_add_f32 v[106:107], v[106:107], v[110:111]
	s_and_not1_b32 exec_lo, exec_lo, s0
	s_cbranch_execnz .LBB114_122
; %bb.123:
	s_or_b32 exec_lo, exec_lo, s0
.LBB114_124:
	s_delay_alu instid0(SALU_CYCLE_1) | instskip(SKIP_4) | instid1(VALU_DEP_1)
	s_or_b32 exec_lo, exec_lo, s46
	v_mov_b32_e32 v108, 0
	ds_load_b64 v[108:109], v108 offset:304
	s_wait_dscnt 0x0
	v_pk_mul_f32 v[110:111], v[106:107], v[108:109] op_sel:[1,1] op_sel_hi:[0,1]
	v_pk_fma_f32 v[112:113], v[106:107], v[108:109], v[110:111] op_sel_hi:[1,0,1]
	v_pk_fma_f32 v[106:107], v[106:107], v[108:109], v[110:111] neg_lo:[0,0,1] neg_hi:[0,0,1]
	s_delay_alu instid0(VALU_DEP_2)
	v_mov_b32_e32 v107, v113
	scratch_store_b64 off, v[106:107], off offset:304
.LBB114_125:
	s_wait_xcnt 0x0
	s_or_b32 exec_lo, exec_lo, s45
	scratch_load_b64 v[106:107], off, off offset:296
	v_cmp_lt_u32_e64 s0, 37, v0
	s_wait_loadcnt 0x0
	ds_store_b64 v1, v[106:107]
	s_wait_storecnt_dscnt 0x0
	s_barrier_signal -1
	s_barrier_wait -1
	s_wait_xcnt 0x0
	s_and_saveexec_b32 s44, s0
	s_cbranch_execz .LBB114_135
; %bb.126:
	s_and_not1_b32 vcc_lo, exec_lo, s5
	s_cbranch_vccnz .LBB114_128
; %bb.127:
	scratch_load_b64 v[106:107], v59, off
	ds_load_b64 v[108:109], v1
	s_wait_loadcnt_dscnt 0x0
	v_pk_mul_f32 v[110:111], v[108:109], v[106:107] op_sel:[1,1] op_sel_hi:[0,1]
	s_delay_alu instid0(VALU_DEP_1) | instskip(SKIP_1) | instid1(VALU_DEP_2)
	v_pk_fma_f32 v[112:113], v[108:109], v[106:107], v[110:111] op_sel_hi:[1,0,1]
	v_pk_fma_f32 v[106:107], v[108:109], v[106:107], v[110:111] neg_lo:[0,0,1] neg_hi:[0,0,1]
	v_mov_b32_e32 v107, v113
	s_cbranch_execz .LBB114_129
	s_branch .LBB114_130
.LBB114_128:
                                        ; implicit-def: $vgpr106_vgpr107
.LBB114_129:
	ds_load_b64 v[106:107], v1
.LBB114_130:
	s_and_saveexec_b32 s45, s1
	s_cbranch_execz .LBB114_134
; %bb.131:
	v_subrev_nc_u32_e32 v108, 38, v0
	s_movk_i32 s46, 0x2d0
	s_mov_b32 s1, 0
.LBB114_132:                            ; =>This Inner Loop Header: Depth=1
	scratch_load_b64 v[110:111], off, s43
	v_dual_mov_b32 v109, s46 :: v_dual_add_nc_u32 v108, -1, v108
	s_add_co_i32 s46, s46, 8
	s_wait_xcnt 0x0
	s_add_co_i32 s43, s43, 8
	ds_load_b64 v[112:113], v109
	v_cmp_eq_u32_e32 vcc_lo, 0, v108
	s_or_b32 s1, vcc_lo, s1
	s_wait_loadcnt_dscnt 0x0
	v_pk_mul_f32 v[114:115], v[112:113], v[110:111] op_sel:[1,1] op_sel_hi:[0,1]
	s_delay_alu instid0(VALU_DEP_1) | instskip(SKIP_1) | instid1(VALU_DEP_2)
	v_pk_fma_f32 v[116:117], v[112:113], v[110:111], v[114:115] op_sel_hi:[1,0,1]
	v_pk_fma_f32 v[110:111], v[112:113], v[110:111], v[114:115] neg_lo:[0,0,1] neg_hi:[0,0,1]
	v_mov_b32_e32 v111, v117
	s_delay_alu instid0(VALU_DEP_1)
	v_pk_add_f32 v[106:107], v[106:107], v[110:111]
	s_and_not1_b32 exec_lo, exec_lo, s1
	s_cbranch_execnz .LBB114_132
; %bb.133:
	s_or_b32 exec_lo, exec_lo, s1
.LBB114_134:
	s_delay_alu instid0(SALU_CYCLE_1) | instskip(SKIP_4) | instid1(VALU_DEP_1)
	s_or_b32 exec_lo, exec_lo, s45
	v_mov_b32_e32 v108, 0
	ds_load_b64 v[108:109], v108 offset:296
	s_wait_dscnt 0x0
	v_pk_mul_f32 v[110:111], v[106:107], v[108:109] op_sel:[1,1] op_sel_hi:[0,1]
	v_pk_fma_f32 v[112:113], v[106:107], v[108:109], v[110:111] op_sel_hi:[1,0,1]
	v_pk_fma_f32 v[106:107], v[106:107], v[108:109], v[110:111] neg_lo:[0,0,1] neg_hi:[0,0,1]
	s_delay_alu instid0(VALU_DEP_2)
	v_mov_b32_e32 v107, v113
	scratch_store_b64 off, v[106:107], off offset:296
.LBB114_135:
	s_wait_xcnt 0x0
	s_or_b32 exec_lo, exec_lo, s44
	scratch_load_b64 v[106:107], off, off offset:288
	v_cmp_lt_u32_e64 s1, 36, v0
	s_wait_loadcnt 0x0
	ds_store_b64 v1, v[106:107]
	s_wait_storecnt_dscnt 0x0
	s_barrier_signal -1
	s_barrier_wait -1
	s_wait_xcnt 0x0
	s_and_saveexec_b32 s43, s1
	s_cbranch_execz .LBB114_145
; %bb.136:
	s_and_not1_b32 vcc_lo, exec_lo, s5
	s_cbranch_vccnz .LBB114_138
; %bb.137:
	scratch_load_b64 v[106:107], v59, off
	ds_load_b64 v[108:109], v1
	s_wait_loadcnt_dscnt 0x0
	v_pk_mul_f32 v[110:111], v[108:109], v[106:107] op_sel:[1,1] op_sel_hi:[0,1]
	s_delay_alu instid0(VALU_DEP_1) | instskip(SKIP_1) | instid1(VALU_DEP_2)
	v_pk_fma_f32 v[112:113], v[108:109], v[106:107], v[110:111] op_sel_hi:[1,0,1]
	v_pk_fma_f32 v[106:107], v[108:109], v[106:107], v[110:111] neg_lo:[0,0,1] neg_hi:[0,0,1]
	v_mov_b32_e32 v107, v113
	s_cbranch_execz .LBB114_139
	s_branch .LBB114_140
.LBB114_138:
                                        ; implicit-def: $vgpr106_vgpr107
.LBB114_139:
	ds_load_b64 v[106:107], v1
.LBB114_140:
	s_and_saveexec_b32 s44, s0
	s_cbranch_execz .LBB114_144
; %bb.141:
	v_subrev_nc_u32_e32 v108, 37, v0
	s_movk_i32 s45, 0x2c8
	s_mov_b32 s0, 0
.LBB114_142:                            ; =>This Inner Loop Header: Depth=1
	scratch_load_b64 v[110:111], off, s42
	v_dual_mov_b32 v109, s45 :: v_dual_add_nc_u32 v108, -1, v108
	s_add_co_i32 s45, s45, 8
	s_wait_xcnt 0x0
	s_add_co_i32 s42, s42, 8
	ds_load_b64 v[112:113], v109
	v_cmp_eq_u32_e32 vcc_lo, 0, v108
	s_or_b32 s0, vcc_lo, s0
	s_wait_loadcnt_dscnt 0x0
	v_pk_mul_f32 v[114:115], v[112:113], v[110:111] op_sel:[1,1] op_sel_hi:[0,1]
	s_delay_alu instid0(VALU_DEP_1) | instskip(SKIP_1) | instid1(VALU_DEP_2)
	v_pk_fma_f32 v[116:117], v[112:113], v[110:111], v[114:115] op_sel_hi:[1,0,1]
	v_pk_fma_f32 v[110:111], v[112:113], v[110:111], v[114:115] neg_lo:[0,0,1] neg_hi:[0,0,1]
	v_mov_b32_e32 v111, v117
	s_delay_alu instid0(VALU_DEP_1)
	v_pk_add_f32 v[106:107], v[106:107], v[110:111]
	s_and_not1_b32 exec_lo, exec_lo, s0
	s_cbranch_execnz .LBB114_142
; %bb.143:
	s_or_b32 exec_lo, exec_lo, s0
.LBB114_144:
	s_delay_alu instid0(SALU_CYCLE_1) | instskip(SKIP_4) | instid1(VALU_DEP_1)
	s_or_b32 exec_lo, exec_lo, s44
	v_mov_b32_e32 v108, 0
	ds_load_b64 v[108:109], v108 offset:288
	s_wait_dscnt 0x0
	v_pk_mul_f32 v[110:111], v[106:107], v[108:109] op_sel:[1,1] op_sel_hi:[0,1]
	v_pk_fma_f32 v[112:113], v[106:107], v[108:109], v[110:111] op_sel_hi:[1,0,1]
	v_pk_fma_f32 v[106:107], v[106:107], v[108:109], v[110:111] neg_lo:[0,0,1] neg_hi:[0,0,1]
	s_delay_alu instid0(VALU_DEP_2)
	v_mov_b32_e32 v107, v113
	scratch_store_b64 off, v[106:107], off offset:288
.LBB114_145:
	s_wait_xcnt 0x0
	s_or_b32 exec_lo, exec_lo, s43
	scratch_load_b64 v[106:107], off, off offset:280
	v_cmp_lt_u32_e64 s0, 35, v0
	s_wait_loadcnt 0x0
	ds_store_b64 v1, v[106:107]
	s_wait_storecnt_dscnt 0x0
	s_barrier_signal -1
	s_barrier_wait -1
	s_wait_xcnt 0x0
	s_and_saveexec_b32 s42, s0
	s_cbranch_execz .LBB114_155
; %bb.146:
	s_and_not1_b32 vcc_lo, exec_lo, s5
	s_cbranch_vccnz .LBB114_148
; %bb.147:
	scratch_load_b64 v[106:107], v59, off
	ds_load_b64 v[108:109], v1
	s_wait_loadcnt_dscnt 0x0
	v_pk_mul_f32 v[110:111], v[108:109], v[106:107] op_sel:[1,1] op_sel_hi:[0,1]
	s_delay_alu instid0(VALU_DEP_1) | instskip(SKIP_1) | instid1(VALU_DEP_2)
	v_pk_fma_f32 v[112:113], v[108:109], v[106:107], v[110:111] op_sel_hi:[1,0,1]
	v_pk_fma_f32 v[106:107], v[108:109], v[106:107], v[110:111] neg_lo:[0,0,1] neg_hi:[0,0,1]
	v_mov_b32_e32 v107, v113
	s_cbranch_execz .LBB114_149
	s_branch .LBB114_150
.LBB114_148:
                                        ; implicit-def: $vgpr106_vgpr107
.LBB114_149:
	ds_load_b64 v[106:107], v1
.LBB114_150:
	s_and_saveexec_b32 s43, s1
	s_cbranch_execz .LBB114_154
; %bb.151:
	v_subrev_nc_u32_e32 v108, 36, v0
	s_movk_i32 s44, 0x2c0
	s_mov_b32 s1, 0
.LBB114_152:                            ; =>This Inner Loop Header: Depth=1
	scratch_load_b64 v[110:111], off, s41
	v_dual_mov_b32 v109, s44 :: v_dual_add_nc_u32 v108, -1, v108
	s_add_co_i32 s44, s44, 8
	s_wait_xcnt 0x0
	s_add_co_i32 s41, s41, 8
	ds_load_b64 v[112:113], v109
	v_cmp_eq_u32_e32 vcc_lo, 0, v108
	s_or_b32 s1, vcc_lo, s1
	s_wait_loadcnt_dscnt 0x0
	v_pk_mul_f32 v[114:115], v[112:113], v[110:111] op_sel:[1,1] op_sel_hi:[0,1]
	s_delay_alu instid0(VALU_DEP_1) | instskip(SKIP_1) | instid1(VALU_DEP_2)
	v_pk_fma_f32 v[116:117], v[112:113], v[110:111], v[114:115] op_sel_hi:[1,0,1]
	v_pk_fma_f32 v[110:111], v[112:113], v[110:111], v[114:115] neg_lo:[0,0,1] neg_hi:[0,0,1]
	v_mov_b32_e32 v111, v117
	s_delay_alu instid0(VALU_DEP_1)
	v_pk_add_f32 v[106:107], v[106:107], v[110:111]
	s_and_not1_b32 exec_lo, exec_lo, s1
	s_cbranch_execnz .LBB114_152
; %bb.153:
	s_or_b32 exec_lo, exec_lo, s1
.LBB114_154:
	s_delay_alu instid0(SALU_CYCLE_1) | instskip(SKIP_4) | instid1(VALU_DEP_1)
	s_or_b32 exec_lo, exec_lo, s43
	v_mov_b32_e32 v108, 0
	ds_load_b64 v[108:109], v108 offset:280
	s_wait_dscnt 0x0
	v_pk_mul_f32 v[110:111], v[106:107], v[108:109] op_sel:[1,1] op_sel_hi:[0,1]
	v_pk_fma_f32 v[112:113], v[106:107], v[108:109], v[110:111] op_sel_hi:[1,0,1]
	v_pk_fma_f32 v[106:107], v[106:107], v[108:109], v[110:111] neg_lo:[0,0,1] neg_hi:[0,0,1]
	s_delay_alu instid0(VALU_DEP_2)
	v_mov_b32_e32 v107, v113
	scratch_store_b64 off, v[106:107], off offset:280
.LBB114_155:
	s_wait_xcnt 0x0
	s_or_b32 exec_lo, exec_lo, s42
	scratch_load_b64 v[106:107], off, off offset:272
	v_cmp_lt_u32_e64 s1, 34, v0
	s_wait_loadcnt 0x0
	ds_store_b64 v1, v[106:107]
	s_wait_storecnt_dscnt 0x0
	s_barrier_signal -1
	s_barrier_wait -1
	s_wait_xcnt 0x0
	s_and_saveexec_b32 s41, s1
	s_cbranch_execz .LBB114_165
; %bb.156:
	s_and_not1_b32 vcc_lo, exec_lo, s5
	s_cbranch_vccnz .LBB114_158
; %bb.157:
	scratch_load_b64 v[106:107], v59, off
	ds_load_b64 v[108:109], v1
	s_wait_loadcnt_dscnt 0x0
	v_pk_mul_f32 v[110:111], v[108:109], v[106:107] op_sel:[1,1] op_sel_hi:[0,1]
	s_delay_alu instid0(VALU_DEP_1) | instskip(SKIP_1) | instid1(VALU_DEP_2)
	v_pk_fma_f32 v[112:113], v[108:109], v[106:107], v[110:111] op_sel_hi:[1,0,1]
	v_pk_fma_f32 v[106:107], v[108:109], v[106:107], v[110:111] neg_lo:[0,0,1] neg_hi:[0,0,1]
	v_mov_b32_e32 v107, v113
	s_cbranch_execz .LBB114_159
	s_branch .LBB114_160
.LBB114_158:
                                        ; implicit-def: $vgpr106_vgpr107
.LBB114_159:
	ds_load_b64 v[106:107], v1
.LBB114_160:
	s_and_saveexec_b32 s42, s0
	s_cbranch_execz .LBB114_164
; %bb.161:
	v_subrev_nc_u32_e32 v108, 35, v0
	s_movk_i32 s43, 0x2b8
	s_mov_b32 s0, 0
.LBB114_162:                            ; =>This Inner Loop Header: Depth=1
	scratch_load_b64 v[110:111], off, s40
	v_dual_mov_b32 v109, s43 :: v_dual_add_nc_u32 v108, -1, v108
	s_add_co_i32 s43, s43, 8
	s_wait_xcnt 0x0
	s_add_co_i32 s40, s40, 8
	ds_load_b64 v[112:113], v109
	v_cmp_eq_u32_e32 vcc_lo, 0, v108
	s_or_b32 s0, vcc_lo, s0
	s_wait_loadcnt_dscnt 0x0
	v_pk_mul_f32 v[114:115], v[112:113], v[110:111] op_sel:[1,1] op_sel_hi:[0,1]
	s_delay_alu instid0(VALU_DEP_1) | instskip(SKIP_1) | instid1(VALU_DEP_2)
	v_pk_fma_f32 v[116:117], v[112:113], v[110:111], v[114:115] op_sel_hi:[1,0,1]
	v_pk_fma_f32 v[110:111], v[112:113], v[110:111], v[114:115] neg_lo:[0,0,1] neg_hi:[0,0,1]
	v_mov_b32_e32 v111, v117
	s_delay_alu instid0(VALU_DEP_1)
	v_pk_add_f32 v[106:107], v[106:107], v[110:111]
	s_and_not1_b32 exec_lo, exec_lo, s0
	s_cbranch_execnz .LBB114_162
; %bb.163:
	s_or_b32 exec_lo, exec_lo, s0
.LBB114_164:
	s_delay_alu instid0(SALU_CYCLE_1) | instskip(SKIP_4) | instid1(VALU_DEP_1)
	s_or_b32 exec_lo, exec_lo, s42
	v_mov_b32_e32 v108, 0
	ds_load_b64 v[108:109], v108 offset:272
	s_wait_dscnt 0x0
	v_pk_mul_f32 v[110:111], v[106:107], v[108:109] op_sel:[1,1] op_sel_hi:[0,1]
	v_pk_fma_f32 v[112:113], v[106:107], v[108:109], v[110:111] op_sel_hi:[1,0,1]
	v_pk_fma_f32 v[106:107], v[106:107], v[108:109], v[110:111] neg_lo:[0,0,1] neg_hi:[0,0,1]
	s_delay_alu instid0(VALU_DEP_2)
	v_mov_b32_e32 v107, v113
	scratch_store_b64 off, v[106:107], off offset:272
.LBB114_165:
	s_wait_xcnt 0x0
	s_or_b32 exec_lo, exec_lo, s41
	scratch_load_b64 v[106:107], off, off offset:264
	v_cmp_lt_u32_e64 s0, 33, v0
	s_wait_loadcnt 0x0
	ds_store_b64 v1, v[106:107]
	s_wait_storecnt_dscnt 0x0
	s_barrier_signal -1
	s_barrier_wait -1
	s_wait_xcnt 0x0
	s_and_saveexec_b32 s40, s0
	s_cbranch_execz .LBB114_175
; %bb.166:
	s_and_not1_b32 vcc_lo, exec_lo, s5
	s_cbranch_vccnz .LBB114_168
; %bb.167:
	scratch_load_b64 v[106:107], v59, off
	ds_load_b64 v[108:109], v1
	s_wait_loadcnt_dscnt 0x0
	v_pk_mul_f32 v[110:111], v[108:109], v[106:107] op_sel:[1,1] op_sel_hi:[0,1]
	s_delay_alu instid0(VALU_DEP_1) | instskip(SKIP_1) | instid1(VALU_DEP_2)
	v_pk_fma_f32 v[112:113], v[108:109], v[106:107], v[110:111] op_sel_hi:[1,0,1]
	v_pk_fma_f32 v[106:107], v[108:109], v[106:107], v[110:111] neg_lo:[0,0,1] neg_hi:[0,0,1]
	v_mov_b32_e32 v107, v113
	s_cbranch_execz .LBB114_169
	s_branch .LBB114_170
.LBB114_168:
                                        ; implicit-def: $vgpr106_vgpr107
.LBB114_169:
	ds_load_b64 v[106:107], v1
.LBB114_170:
	s_and_saveexec_b32 s41, s1
	s_cbranch_execz .LBB114_174
; %bb.171:
	v_subrev_nc_u32_e32 v108, 34, v0
	s_movk_i32 s42, 0x2b0
	s_mov_b32 s1, 0
.LBB114_172:                            ; =>This Inner Loop Header: Depth=1
	scratch_load_b64 v[110:111], off, s39
	v_dual_mov_b32 v109, s42 :: v_dual_add_nc_u32 v108, -1, v108
	s_add_co_i32 s42, s42, 8
	s_wait_xcnt 0x0
	s_add_co_i32 s39, s39, 8
	ds_load_b64 v[112:113], v109
	v_cmp_eq_u32_e32 vcc_lo, 0, v108
	s_or_b32 s1, vcc_lo, s1
	s_wait_loadcnt_dscnt 0x0
	v_pk_mul_f32 v[114:115], v[112:113], v[110:111] op_sel:[1,1] op_sel_hi:[0,1]
	s_delay_alu instid0(VALU_DEP_1) | instskip(SKIP_1) | instid1(VALU_DEP_2)
	v_pk_fma_f32 v[116:117], v[112:113], v[110:111], v[114:115] op_sel_hi:[1,0,1]
	v_pk_fma_f32 v[110:111], v[112:113], v[110:111], v[114:115] neg_lo:[0,0,1] neg_hi:[0,0,1]
	v_mov_b32_e32 v111, v117
	s_delay_alu instid0(VALU_DEP_1)
	v_pk_add_f32 v[106:107], v[106:107], v[110:111]
	s_and_not1_b32 exec_lo, exec_lo, s1
	s_cbranch_execnz .LBB114_172
; %bb.173:
	s_or_b32 exec_lo, exec_lo, s1
.LBB114_174:
	s_delay_alu instid0(SALU_CYCLE_1) | instskip(SKIP_4) | instid1(VALU_DEP_1)
	s_or_b32 exec_lo, exec_lo, s41
	v_mov_b32_e32 v108, 0
	ds_load_b64 v[108:109], v108 offset:264
	s_wait_dscnt 0x0
	v_pk_mul_f32 v[110:111], v[106:107], v[108:109] op_sel:[1,1] op_sel_hi:[0,1]
	v_pk_fma_f32 v[112:113], v[106:107], v[108:109], v[110:111] op_sel_hi:[1,0,1]
	v_pk_fma_f32 v[106:107], v[106:107], v[108:109], v[110:111] neg_lo:[0,0,1] neg_hi:[0,0,1]
	s_delay_alu instid0(VALU_DEP_2)
	v_mov_b32_e32 v107, v113
	scratch_store_b64 off, v[106:107], off offset:264
.LBB114_175:
	s_wait_xcnt 0x0
	s_or_b32 exec_lo, exec_lo, s40
	scratch_load_b64 v[106:107], off, off offset:256
	v_cmp_lt_u32_e64 s1, 32, v0
	s_wait_loadcnt 0x0
	ds_store_b64 v1, v[106:107]
	s_wait_storecnt_dscnt 0x0
	s_barrier_signal -1
	s_barrier_wait -1
	s_wait_xcnt 0x0
	s_and_saveexec_b32 s39, s1
	s_cbranch_execz .LBB114_185
; %bb.176:
	s_and_not1_b32 vcc_lo, exec_lo, s5
	s_cbranch_vccnz .LBB114_178
; %bb.177:
	scratch_load_b64 v[106:107], v59, off
	ds_load_b64 v[108:109], v1
	s_wait_loadcnt_dscnt 0x0
	v_pk_mul_f32 v[110:111], v[108:109], v[106:107] op_sel:[1,1] op_sel_hi:[0,1]
	s_delay_alu instid0(VALU_DEP_1) | instskip(SKIP_1) | instid1(VALU_DEP_2)
	v_pk_fma_f32 v[112:113], v[108:109], v[106:107], v[110:111] op_sel_hi:[1,0,1]
	v_pk_fma_f32 v[106:107], v[108:109], v[106:107], v[110:111] neg_lo:[0,0,1] neg_hi:[0,0,1]
	v_mov_b32_e32 v107, v113
	s_cbranch_execz .LBB114_179
	s_branch .LBB114_180
.LBB114_178:
                                        ; implicit-def: $vgpr106_vgpr107
.LBB114_179:
	ds_load_b64 v[106:107], v1
.LBB114_180:
	s_and_saveexec_b32 s40, s0
	s_cbranch_execz .LBB114_184
; %bb.181:
	v_subrev_nc_u32_e32 v108, 33, v0
	s_movk_i32 s41, 0x2a8
	s_mov_b32 s0, 0
.LBB114_182:                            ; =>This Inner Loop Header: Depth=1
	scratch_load_b64 v[110:111], off, s38
	v_dual_mov_b32 v109, s41 :: v_dual_add_nc_u32 v108, -1, v108
	s_add_co_i32 s41, s41, 8
	s_wait_xcnt 0x0
	s_add_co_i32 s38, s38, 8
	ds_load_b64 v[112:113], v109
	v_cmp_eq_u32_e32 vcc_lo, 0, v108
	s_or_b32 s0, vcc_lo, s0
	s_wait_loadcnt_dscnt 0x0
	v_pk_mul_f32 v[114:115], v[112:113], v[110:111] op_sel:[1,1] op_sel_hi:[0,1]
	s_delay_alu instid0(VALU_DEP_1) | instskip(SKIP_1) | instid1(VALU_DEP_2)
	v_pk_fma_f32 v[116:117], v[112:113], v[110:111], v[114:115] op_sel_hi:[1,0,1]
	v_pk_fma_f32 v[110:111], v[112:113], v[110:111], v[114:115] neg_lo:[0,0,1] neg_hi:[0,0,1]
	v_mov_b32_e32 v111, v117
	s_delay_alu instid0(VALU_DEP_1)
	v_pk_add_f32 v[106:107], v[106:107], v[110:111]
	s_and_not1_b32 exec_lo, exec_lo, s0
	s_cbranch_execnz .LBB114_182
; %bb.183:
	s_or_b32 exec_lo, exec_lo, s0
.LBB114_184:
	s_delay_alu instid0(SALU_CYCLE_1) | instskip(SKIP_4) | instid1(VALU_DEP_1)
	s_or_b32 exec_lo, exec_lo, s40
	v_mov_b32_e32 v108, 0
	ds_load_b64 v[108:109], v108 offset:256
	s_wait_dscnt 0x0
	v_pk_mul_f32 v[110:111], v[106:107], v[108:109] op_sel:[1,1] op_sel_hi:[0,1]
	v_pk_fma_f32 v[112:113], v[106:107], v[108:109], v[110:111] op_sel_hi:[1,0,1]
	v_pk_fma_f32 v[106:107], v[106:107], v[108:109], v[110:111] neg_lo:[0,0,1] neg_hi:[0,0,1]
	s_delay_alu instid0(VALU_DEP_2)
	v_mov_b32_e32 v107, v113
	scratch_store_b64 off, v[106:107], off offset:256
.LBB114_185:
	s_wait_xcnt 0x0
	s_or_b32 exec_lo, exec_lo, s39
	scratch_load_b64 v[106:107], off, off offset:248
	v_cmp_lt_u32_e64 s0, 31, v0
	s_wait_loadcnt 0x0
	ds_store_b64 v1, v[106:107]
	s_wait_storecnt_dscnt 0x0
	s_barrier_signal -1
	s_barrier_wait -1
	s_wait_xcnt 0x0
	s_and_saveexec_b32 s38, s0
	s_cbranch_execz .LBB114_195
; %bb.186:
	s_and_not1_b32 vcc_lo, exec_lo, s5
	s_cbranch_vccnz .LBB114_188
; %bb.187:
	scratch_load_b64 v[106:107], v59, off
	ds_load_b64 v[108:109], v1
	s_wait_loadcnt_dscnt 0x0
	v_pk_mul_f32 v[110:111], v[108:109], v[106:107] op_sel:[1,1] op_sel_hi:[0,1]
	s_delay_alu instid0(VALU_DEP_1) | instskip(SKIP_1) | instid1(VALU_DEP_2)
	v_pk_fma_f32 v[112:113], v[108:109], v[106:107], v[110:111] op_sel_hi:[1,0,1]
	v_pk_fma_f32 v[106:107], v[108:109], v[106:107], v[110:111] neg_lo:[0,0,1] neg_hi:[0,0,1]
	v_mov_b32_e32 v107, v113
	s_cbranch_execz .LBB114_189
	s_branch .LBB114_190
.LBB114_188:
                                        ; implicit-def: $vgpr106_vgpr107
.LBB114_189:
	ds_load_b64 v[106:107], v1
.LBB114_190:
	s_and_saveexec_b32 s39, s1
	s_cbranch_execz .LBB114_194
; %bb.191:
	v_subrev_nc_u32_e32 v108, 32, v0
	s_movk_i32 s40, 0x2a0
	s_mov_b32 s1, 0
.LBB114_192:                            ; =>This Inner Loop Header: Depth=1
	scratch_load_b64 v[110:111], off, s37
	v_dual_mov_b32 v109, s40 :: v_dual_add_nc_u32 v108, -1, v108
	s_add_co_i32 s40, s40, 8
	s_wait_xcnt 0x0
	s_add_co_i32 s37, s37, 8
	ds_load_b64 v[112:113], v109
	v_cmp_eq_u32_e32 vcc_lo, 0, v108
	s_or_b32 s1, vcc_lo, s1
	s_wait_loadcnt_dscnt 0x0
	v_pk_mul_f32 v[114:115], v[112:113], v[110:111] op_sel:[1,1] op_sel_hi:[0,1]
	s_delay_alu instid0(VALU_DEP_1) | instskip(SKIP_1) | instid1(VALU_DEP_2)
	v_pk_fma_f32 v[116:117], v[112:113], v[110:111], v[114:115] op_sel_hi:[1,0,1]
	v_pk_fma_f32 v[110:111], v[112:113], v[110:111], v[114:115] neg_lo:[0,0,1] neg_hi:[0,0,1]
	v_mov_b32_e32 v111, v117
	s_delay_alu instid0(VALU_DEP_1)
	v_pk_add_f32 v[106:107], v[106:107], v[110:111]
	s_and_not1_b32 exec_lo, exec_lo, s1
	s_cbranch_execnz .LBB114_192
; %bb.193:
	s_or_b32 exec_lo, exec_lo, s1
.LBB114_194:
	s_delay_alu instid0(SALU_CYCLE_1) | instskip(SKIP_4) | instid1(VALU_DEP_1)
	s_or_b32 exec_lo, exec_lo, s39
	v_mov_b32_e32 v108, 0
	ds_load_b64 v[108:109], v108 offset:248
	s_wait_dscnt 0x0
	v_pk_mul_f32 v[110:111], v[106:107], v[108:109] op_sel:[1,1] op_sel_hi:[0,1]
	v_pk_fma_f32 v[112:113], v[106:107], v[108:109], v[110:111] op_sel_hi:[1,0,1]
	v_pk_fma_f32 v[106:107], v[106:107], v[108:109], v[110:111] neg_lo:[0,0,1] neg_hi:[0,0,1]
	s_delay_alu instid0(VALU_DEP_2)
	v_mov_b32_e32 v107, v113
	scratch_store_b64 off, v[106:107], off offset:248
.LBB114_195:
	s_wait_xcnt 0x0
	s_or_b32 exec_lo, exec_lo, s38
	scratch_load_b64 v[106:107], off, off offset:240
	v_cmp_lt_u32_e64 s1, 30, v0
	s_wait_loadcnt 0x0
	ds_store_b64 v1, v[106:107]
	s_wait_storecnt_dscnt 0x0
	s_barrier_signal -1
	s_barrier_wait -1
	s_wait_xcnt 0x0
	s_and_saveexec_b32 s37, s1
	s_cbranch_execz .LBB114_205
; %bb.196:
	s_and_not1_b32 vcc_lo, exec_lo, s5
	s_cbranch_vccnz .LBB114_198
; %bb.197:
	scratch_load_b64 v[106:107], v59, off
	ds_load_b64 v[108:109], v1
	s_wait_loadcnt_dscnt 0x0
	v_pk_mul_f32 v[110:111], v[108:109], v[106:107] op_sel:[1,1] op_sel_hi:[0,1]
	s_delay_alu instid0(VALU_DEP_1) | instskip(SKIP_1) | instid1(VALU_DEP_2)
	v_pk_fma_f32 v[112:113], v[108:109], v[106:107], v[110:111] op_sel_hi:[1,0,1]
	v_pk_fma_f32 v[106:107], v[108:109], v[106:107], v[110:111] neg_lo:[0,0,1] neg_hi:[0,0,1]
	v_mov_b32_e32 v107, v113
	s_cbranch_execz .LBB114_199
	s_branch .LBB114_200
.LBB114_198:
                                        ; implicit-def: $vgpr106_vgpr107
.LBB114_199:
	ds_load_b64 v[106:107], v1
.LBB114_200:
	s_and_saveexec_b32 s38, s0
	s_cbranch_execz .LBB114_204
; %bb.201:
	v_subrev_nc_u32_e32 v108, 31, v0
	s_movk_i32 s39, 0x298
	s_mov_b32 s0, 0
.LBB114_202:                            ; =>This Inner Loop Header: Depth=1
	scratch_load_b64 v[110:111], off, s36
	v_dual_mov_b32 v109, s39 :: v_dual_add_nc_u32 v108, -1, v108
	s_add_co_i32 s39, s39, 8
	s_wait_xcnt 0x0
	s_add_co_i32 s36, s36, 8
	ds_load_b64 v[112:113], v109
	v_cmp_eq_u32_e32 vcc_lo, 0, v108
	s_or_b32 s0, vcc_lo, s0
	s_wait_loadcnt_dscnt 0x0
	v_pk_mul_f32 v[114:115], v[112:113], v[110:111] op_sel:[1,1] op_sel_hi:[0,1]
	s_delay_alu instid0(VALU_DEP_1) | instskip(SKIP_1) | instid1(VALU_DEP_2)
	v_pk_fma_f32 v[116:117], v[112:113], v[110:111], v[114:115] op_sel_hi:[1,0,1]
	v_pk_fma_f32 v[110:111], v[112:113], v[110:111], v[114:115] neg_lo:[0,0,1] neg_hi:[0,0,1]
	v_mov_b32_e32 v111, v117
	s_delay_alu instid0(VALU_DEP_1)
	v_pk_add_f32 v[106:107], v[106:107], v[110:111]
	s_and_not1_b32 exec_lo, exec_lo, s0
	s_cbranch_execnz .LBB114_202
; %bb.203:
	s_or_b32 exec_lo, exec_lo, s0
.LBB114_204:
	s_delay_alu instid0(SALU_CYCLE_1) | instskip(SKIP_4) | instid1(VALU_DEP_1)
	s_or_b32 exec_lo, exec_lo, s38
	v_mov_b32_e32 v108, 0
	ds_load_b64 v[108:109], v108 offset:240
	s_wait_dscnt 0x0
	v_pk_mul_f32 v[110:111], v[106:107], v[108:109] op_sel:[1,1] op_sel_hi:[0,1]
	v_pk_fma_f32 v[112:113], v[106:107], v[108:109], v[110:111] op_sel_hi:[1,0,1]
	v_pk_fma_f32 v[106:107], v[106:107], v[108:109], v[110:111] neg_lo:[0,0,1] neg_hi:[0,0,1]
	s_delay_alu instid0(VALU_DEP_2)
	v_mov_b32_e32 v107, v113
	scratch_store_b64 off, v[106:107], off offset:240
.LBB114_205:
	s_wait_xcnt 0x0
	s_or_b32 exec_lo, exec_lo, s37
	scratch_load_b64 v[106:107], off, off offset:232
	v_cmp_lt_u32_e64 s0, 29, v0
	s_wait_loadcnt 0x0
	ds_store_b64 v1, v[106:107]
	s_wait_storecnt_dscnt 0x0
	s_barrier_signal -1
	s_barrier_wait -1
	s_wait_xcnt 0x0
	s_and_saveexec_b32 s36, s0
	s_cbranch_execz .LBB114_215
; %bb.206:
	s_and_not1_b32 vcc_lo, exec_lo, s5
	s_cbranch_vccnz .LBB114_208
; %bb.207:
	scratch_load_b64 v[106:107], v59, off
	ds_load_b64 v[108:109], v1
	s_wait_loadcnt_dscnt 0x0
	v_pk_mul_f32 v[110:111], v[108:109], v[106:107] op_sel:[1,1] op_sel_hi:[0,1]
	s_delay_alu instid0(VALU_DEP_1) | instskip(SKIP_1) | instid1(VALU_DEP_2)
	v_pk_fma_f32 v[112:113], v[108:109], v[106:107], v[110:111] op_sel_hi:[1,0,1]
	v_pk_fma_f32 v[106:107], v[108:109], v[106:107], v[110:111] neg_lo:[0,0,1] neg_hi:[0,0,1]
	v_mov_b32_e32 v107, v113
	s_cbranch_execz .LBB114_209
	s_branch .LBB114_210
.LBB114_208:
                                        ; implicit-def: $vgpr106_vgpr107
.LBB114_209:
	ds_load_b64 v[106:107], v1
.LBB114_210:
	s_and_saveexec_b32 s37, s1
	s_cbranch_execz .LBB114_214
; %bb.211:
	v_subrev_nc_u32_e32 v108, 30, v0
	s_movk_i32 s38, 0x290
	s_mov_b32 s1, 0
.LBB114_212:                            ; =>This Inner Loop Header: Depth=1
	scratch_load_b64 v[110:111], off, s35
	v_dual_mov_b32 v109, s38 :: v_dual_add_nc_u32 v108, -1, v108
	s_add_co_i32 s38, s38, 8
	s_wait_xcnt 0x0
	s_add_co_i32 s35, s35, 8
	ds_load_b64 v[112:113], v109
	v_cmp_eq_u32_e32 vcc_lo, 0, v108
	s_or_b32 s1, vcc_lo, s1
	s_wait_loadcnt_dscnt 0x0
	v_pk_mul_f32 v[114:115], v[112:113], v[110:111] op_sel:[1,1] op_sel_hi:[0,1]
	s_delay_alu instid0(VALU_DEP_1) | instskip(SKIP_1) | instid1(VALU_DEP_2)
	v_pk_fma_f32 v[116:117], v[112:113], v[110:111], v[114:115] op_sel_hi:[1,0,1]
	v_pk_fma_f32 v[110:111], v[112:113], v[110:111], v[114:115] neg_lo:[0,0,1] neg_hi:[0,0,1]
	v_mov_b32_e32 v111, v117
	s_delay_alu instid0(VALU_DEP_1)
	v_pk_add_f32 v[106:107], v[106:107], v[110:111]
	s_and_not1_b32 exec_lo, exec_lo, s1
	s_cbranch_execnz .LBB114_212
; %bb.213:
	s_or_b32 exec_lo, exec_lo, s1
.LBB114_214:
	s_delay_alu instid0(SALU_CYCLE_1) | instskip(SKIP_4) | instid1(VALU_DEP_1)
	s_or_b32 exec_lo, exec_lo, s37
	v_mov_b32_e32 v108, 0
	ds_load_b64 v[108:109], v108 offset:232
	s_wait_dscnt 0x0
	v_pk_mul_f32 v[110:111], v[106:107], v[108:109] op_sel:[1,1] op_sel_hi:[0,1]
	v_pk_fma_f32 v[112:113], v[106:107], v[108:109], v[110:111] op_sel_hi:[1,0,1]
	v_pk_fma_f32 v[106:107], v[106:107], v[108:109], v[110:111] neg_lo:[0,0,1] neg_hi:[0,0,1]
	s_delay_alu instid0(VALU_DEP_2)
	v_mov_b32_e32 v107, v113
	scratch_store_b64 off, v[106:107], off offset:232
.LBB114_215:
	s_wait_xcnt 0x0
	s_or_b32 exec_lo, exec_lo, s36
	scratch_load_b64 v[106:107], off, off offset:224
	v_cmp_lt_u32_e64 s1, 28, v0
	s_wait_loadcnt 0x0
	ds_store_b64 v1, v[106:107]
	s_wait_storecnt_dscnt 0x0
	s_barrier_signal -1
	s_barrier_wait -1
	s_wait_xcnt 0x0
	s_and_saveexec_b32 s35, s1
	s_cbranch_execz .LBB114_225
; %bb.216:
	s_and_not1_b32 vcc_lo, exec_lo, s5
	s_cbranch_vccnz .LBB114_218
; %bb.217:
	scratch_load_b64 v[106:107], v59, off
	ds_load_b64 v[108:109], v1
	s_wait_loadcnt_dscnt 0x0
	v_pk_mul_f32 v[110:111], v[108:109], v[106:107] op_sel:[1,1] op_sel_hi:[0,1]
	s_delay_alu instid0(VALU_DEP_1) | instskip(SKIP_1) | instid1(VALU_DEP_2)
	v_pk_fma_f32 v[112:113], v[108:109], v[106:107], v[110:111] op_sel_hi:[1,0,1]
	v_pk_fma_f32 v[106:107], v[108:109], v[106:107], v[110:111] neg_lo:[0,0,1] neg_hi:[0,0,1]
	v_mov_b32_e32 v107, v113
	s_cbranch_execz .LBB114_219
	s_branch .LBB114_220
.LBB114_218:
                                        ; implicit-def: $vgpr106_vgpr107
.LBB114_219:
	ds_load_b64 v[106:107], v1
.LBB114_220:
	s_and_saveexec_b32 s36, s0
	s_cbranch_execz .LBB114_224
; %bb.221:
	v_subrev_nc_u32_e32 v108, 29, v0
	s_movk_i32 s37, 0x288
	s_mov_b32 s0, 0
.LBB114_222:                            ; =>This Inner Loop Header: Depth=1
	scratch_load_b64 v[110:111], off, s34
	v_dual_mov_b32 v109, s37 :: v_dual_add_nc_u32 v108, -1, v108
	s_add_co_i32 s37, s37, 8
	s_wait_xcnt 0x0
	s_add_co_i32 s34, s34, 8
	ds_load_b64 v[112:113], v109
	v_cmp_eq_u32_e32 vcc_lo, 0, v108
	s_or_b32 s0, vcc_lo, s0
	s_wait_loadcnt_dscnt 0x0
	v_pk_mul_f32 v[114:115], v[112:113], v[110:111] op_sel:[1,1] op_sel_hi:[0,1]
	s_delay_alu instid0(VALU_DEP_1) | instskip(SKIP_1) | instid1(VALU_DEP_2)
	v_pk_fma_f32 v[116:117], v[112:113], v[110:111], v[114:115] op_sel_hi:[1,0,1]
	v_pk_fma_f32 v[110:111], v[112:113], v[110:111], v[114:115] neg_lo:[0,0,1] neg_hi:[0,0,1]
	v_mov_b32_e32 v111, v117
	s_delay_alu instid0(VALU_DEP_1)
	v_pk_add_f32 v[106:107], v[106:107], v[110:111]
	s_and_not1_b32 exec_lo, exec_lo, s0
	s_cbranch_execnz .LBB114_222
; %bb.223:
	s_or_b32 exec_lo, exec_lo, s0
.LBB114_224:
	s_delay_alu instid0(SALU_CYCLE_1) | instskip(SKIP_4) | instid1(VALU_DEP_1)
	s_or_b32 exec_lo, exec_lo, s36
	v_mov_b32_e32 v108, 0
	ds_load_b64 v[108:109], v108 offset:224
	s_wait_dscnt 0x0
	v_pk_mul_f32 v[110:111], v[106:107], v[108:109] op_sel:[1,1] op_sel_hi:[0,1]
	v_pk_fma_f32 v[112:113], v[106:107], v[108:109], v[110:111] op_sel_hi:[1,0,1]
	v_pk_fma_f32 v[106:107], v[106:107], v[108:109], v[110:111] neg_lo:[0,0,1] neg_hi:[0,0,1]
	s_delay_alu instid0(VALU_DEP_2)
	v_mov_b32_e32 v107, v113
	scratch_store_b64 off, v[106:107], off offset:224
.LBB114_225:
	s_wait_xcnt 0x0
	s_or_b32 exec_lo, exec_lo, s35
	scratch_load_b64 v[106:107], off, off offset:216
	v_cmp_lt_u32_e64 s0, 27, v0
	s_wait_loadcnt 0x0
	ds_store_b64 v1, v[106:107]
	s_wait_storecnt_dscnt 0x0
	s_barrier_signal -1
	s_barrier_wait -1
	s_wait_xcnt 0x0
	s_and_saveexec_b32 s34, s0
	s_cbranch_execz .LBB114_235
; %bb.226:
	s_and_not1_b32 vcc_lo, exec_lo, s5
	s_cbranch_vccnz .LBB114_228
; %bb.227:
	scratch_load_b64 v[106:107], v59, off
	ds_load_b64 v[108:109], v1
	s_wait_loadcnt_dscnt 0x0
	v_pk_mul_f32 v[110:111], v[108:109], v[106:107] op_sel:[1,1] op_sel_hi:[0,1]
	s_delay_alu instid0(VALU_DEP_1) | instskip(SKIP_1) | instid1(VALU_DEP_2)
	v_pk_fma_f32 v[112:113], v[108:109], v[106:107], v[110:111] op_sel_hi:[1,0,1]
	v_pk_fma_f32 v[106:107], v[108:109], v[106:107], v[110:111] neg_lo:[0,0,1] neg_hi:[0,0,1]
	v_mov_b32_e32 v107, v113
	s_cbranch_execz .LBB114_229
	s_branch .LBB114_230
.LBB114_228:
                                        ; implicit-def: $vgpr106_vgpr107
.LBB114_229:
	ds_load_b64 v[106:107], v1
.LBB114_230:
	s_and_saveexec_b32 s35, s1
	s_cbranch_execz .LBB114_234
; %bb.231:
	v_subrev_nc_u32_e32 v108, 28, v0
	s_movk_i32 s36, 0x280
	s_mov_b32 s1, 0
.LBB114_232:                            ; =>This Inner Loop Header: Depth=1
	scratch_load_b64 v[110:111], off, s33
	v_dual_mov_b32 v109, s36 :: v_dual_add_nc_u32 v108, -1, v108
	s_add_co_i32 s36, s36, 8
	s_wait_xcnt 0x0
	s_add_co_i32 s33, s33, 8
	ds_load_b64 v[112:113], v109
	v_cmp_eq_u32_e32 vcc_lo, 0, v108
	s_or_b32 s1, vcc_lo, s1
	s_wait_loadcnt_dscnt 0x0
	v_pk_mul_f32 v[114:115], v[112:113], v[110:111] op_sel:[1,1] op_sel_hi:[0,1]
	s_delay_alu instid0(VALU_DEP_1) | instskip(SKIP_1) | instid1(VALU_DEP_2)
	v_pk_fma_f32 v[116:117], v[112:113], v[110:111], v[114:115] op_sel_hi:[1,0,1]
	v_pk_fma_f32 v[110:111], v[112:113], v[110:111], v[114:115] neg_lo:[0,0,1] neg_hi:[0,0,1]
	v_mov_b32_e32 v111, v117
	s_delay_alu instid0(VALU_DEP_1)
	v_pk_add_f32 v[106:107], v[106:107], v[110:111]
	s_and_not1_b32 exec_lo, exec_lo, s1
	s_cbranch_execnz .LBB114_232
; %bb.233:
	s_or_b32 exec_lo, exec_lo, s1
.LBB114_234:
	s_delay_alu instid0(SALU_CYCLE_1) | instskip(SKIP_4) | instid1(VALU_DEP_1)
	s_or_b32 exec_lo, exec_lo, s35
	v_mov_b32_e32 v108, 0
	ds_load_b64 v[108:109], v108 offset:216
	s_wait_dscnt 0x0
	v_pk_mul_f32 v[110:111], v[106:107], v[108:109] op_sel:[1,1] op_sel_hi:[0,1]
	v_pk_fma_f32 v[112:113], v[106:107], v[108:109], v[110:111] op_sel_hi:[1,0,1]
	v_pk_fma_f32 v[106:107], v[106:107], v[108:109], v[110:111] neg_lo:[0,0,1] neg_hi:[0,0,1]
	s_delay_alu instid0(VALU_DEP_2)
	v_mov_b32_e32 v107, v113
	scratch_store_b64 off, v[106:107], off offset:216
.LBB114_235:
	s_wait_xcnt 0x0
	s_or_b32 exec_lo, exec_lo, s34
	scratch_load_b64 v[106:107], off, off offset:208
	v_cmp_lt_u32_e64 s1, 26, v0
	s_wait_loadcnt 0x0
	ds_store_b64 v1, v[106:107]
	s_wait_storecnt_dscnt 0x0
	s_barrier_signal -1
	s_barrier_wait -1
	s_wait_xcnt 0x0
	s_and_saveexec_b32 s33, s1
	s_cbranch_execz .LBB114_245
; %bb.236:
	s_and_not1_b32 vcc_lo, exec_lo, s5
	s_cbranch_vccnz .LBB114_238
; %bb.237:
	scratch_load_b64 v[106:107], v59, off
	ds_load_b64 v[108:109], v1
	s_wait_loadcnt_dscnt 0x0
	v_pk_mul_f32 v[110:111], v[108:109], v[106:107] op_sel:[1,1] op_sel_hi:[0,1]
	s_delay_alu instid0(VALU_DEP_1) | instskip(SKIP_1) | instid1(VALU_DEP_2)
	v_pk_fma_f32 v[112:113], v[108:109], v[106:107], v[110:111] op_sel_hi:[1,0,1]
	v_pk_fma_f32 v[106:107], v[108:109], v[106:107], v[110:111] neg_lo:[0,0,1] neg_hi:[0,0,1]
	v_mov_b32_e32 v107, v113
	s_cbranch_execz .LBB114_239
	s_branch .LBB114_240
.LBB114_238:
                                        ; implicit-def: $vgpr106_vgpr107
.LBB114_239:
	ds_load_b64 v[106:107], v1
.LBB114_240:
	s_and_saveexec_b32 s34, s0
	s_cbranch_execz .LBB114_244
; %bb.241:
	v_subrev_nc_u32_e32 v108, 27, v0
	s_movk_i32 s35, 0x278
	s_mov_b32 s0, 0
.LBB114_242:                            ; =>This Inner Loop Header: Depth=1
	scratch_load_b64 v[110:111], off, s31
	v_dual_mov_b32 v109, s35 :: v_dual_add_nc_u32 v108, -1, v108
	s_add_co_i32 s35, s35, 8
	s_wait_xcnt 0x0
	s_add_co_i32 s31, s31, 8
	ds_load_b64 v[112:113], v109
	v_cmp_eq_u32_e32 vcc_lo, 0, v108
	s_or_b32 s0, vcc_lo, s0
	s_wait_loadcnt_dscnt 0x0
	v_pk_mul_f32 v[114:115], v[112:113], v[110:111] op_sel:[1,1] op_sel_hi:[0,1]
	s_delay_alu instid0(VALU_DEP_1) | instskip(SKIP_1) | instid1(VALU_DEP_2)
	v_pk_fma_f32 v[116:117], v[112:113], v[110:111], v[114:115] op_sel_hi:[1,0,1]
	v_pk_fma_f32 v[110:111], v[112:113], v[110:111], v[114:115] neg_lo:[0,0,1] neg_hi:[0,0,1]
	v_mov_b32_e32 v111, v117
	s_delay_alu instid0(VALU_DEP_1)
	v_pk_add_f32 v[106:107], v[106:107], v[110:111]
	s_and_not1_b32 exec_lo, exec_lo, s0
	s_cbranch_execnz .LBB114_242
; %bb.243:
	s_or_b32 exec_lo, exec_lo, s0
.LBB114_244:
	s_delay_alu instid0(SALU_CYCLE_1) | instskip(SKIP_4) | instid1(VALU_DEP_1)
	s_or_b32 exec_lo, exec_lo, s34
	v_mov_b32_e32 v108, 0
	ds_load_b64 v[108:109], v108 offset:208
	s_wait_dscnt 0x0
	v_pk_mul_f32 v[110:111], v[106:107], v[108:109] op_sel:[1,1] op_sel_hi:[0,1]
	v_pk_fma_f32 v[112:113], v[106:107], v[108:109], v[110:111] op_sel_hi:[1,0,1]
	v_pk_fma_f32 v[106:107], v[106:107], v[108:109], v[110:111] neg_lo:[0,0,1] neg_hi:[0,0,1]
	s_delay_alu instid0(VALU_DEP_2)
	v_mov_b32_e32 v107, v113
	scratch_store_b64 off, v[106:107], off offset:208
.LBB114_245:
	s_wait_xcnt 0x0
	s_or_b32 exec_lo, exec_lo, s33
	scratch_load_b64 v[106:107], off, off offset:200
	v_cmp_lt_u32_e64 s0, 25, v0
	s_wait_loadcnt 0x0
	ds_store_b64 v1, v[106:107]
	s_wait_storecnt_dscnt 0x0
	s_barrier_signal -1
	s_barrier_wait -1
	s_wait_xcnt 0x0
	s_and_saveexec_b32 s31, s0
	s_cbranch_execz .LBB114_255
; %bb.246:
	s_and_not1_b32 vcc_lo, exec_lo, s5
	s_cbranch_vccnz .LBB114_248
; %bb.247:
	scratch_load_b64 v[106:107], v59, off
	ds_load_b64 v[108:109], v1
	s_wait_loadcnt_dscnt 0x0
	v_pk_mul_f32 v[110:111], v[108:109], v[106:107] op_sel:[1,1] op_sel_hi:[0,1]
	s_delay_alu instid0(VALU_DEP_1) | instskip(SKIP_1) | instid1(VALU_DEP_2)
	v_pk_fma_f32 v[112:113], v[108:109], v[106:107], v[110:111] op_sel_hi:[1,0,1]
	v_pk_fma_f32 v[106:107], v[108:109], v[106:107], v[110:111] neg_lo:[0,0,1] neg_hi:[0,0,1]
	v_mov_b32_e32 v107, v113
	s_cbranch_execz .LBB114_249
	s_branch .LBB114_250
.LBB114_248:
                                        ; implicit-def: $vgpr106_vgpr107
.LBB114_249:
	ds_load_b64 v[106:107], v1
.LBB114_250:
	s_and_saveexec_b32 s33, s1
	s_cbranch_execz .LBB114_254
; %bb.251:
	v_subrev_nc_u32_e32 v108, 26, v0
	s_movk_i32 s34, 0x270
	s_mov_b32 s1, 0
.LBB114_252:                            ; =>This Inner Loop Header: Depth=1
	scratch_load_b64 v[110:111], off, s30
	v_dual_mov_b32 v109, s34 :: v_dual_add_nc_u32 v108, -1, v108
	s_add_co_i32 s34, s34, 8
	s_wait_xcnt 0x0
	s_add_co_i32 s30, s30, 8
	ds_load_b64 v[112:113], v109
	v_cmp_eq_u32_e32 vcc_lo, 0, v108
	s_or_b32 s1, vcc_lo, s1
	s_wait_loadcnt_dscnt 0x0
	v_pk_mul_f32 v[114:115], v[112:113], v[110:111] op_sel:[1,1] op_sel_hi:[0,1]
	s_delay_alu instid0(VALU_DEP_1) | instskip(SKIP_1) | instid1(VALU_DEP_2)
	v_pk_fma_f32 v[116:117], v[112:113], v[110:111], v[114:115] op_sel_hi:[1,0,1]
	v_pk_fma_f32 v[110:111], v[112:113], v[110:111], v[114:115] neg_lo:[0,0,1] neg_hi:[0,0,1]
	v_mov_b32_e32 v111, v117
	s_delay_alu instid0(VALU_DEP_1)
	v_pk_add_f32 v[106:107], v[106:107], v[110:111]
	s_and_not1_b32 exec_lo, exec_lo, s1
	s_cbranch_execnz .LBB114_252
; %bb.253:
	s_or_b32 exec_lo, exec_lo, s1
.LBB114_254:
	s_delay_alu instid0(SALU_CYCLE_1) | instskip(SKIP_4) | instid1(VALU_DEP_1)
	s_or_b32 exec_lo, exec_lo, s33
	v_mov_b32_e32 v108, 0
	ds_load_b64 v[108:109], v108 offset:200
	s_wait_dscnt 0x0
	v_pk_mul_f32 v[110:111], v[106:107], v[108:109] op_sel:[1,1] op_sel_hi:[0,1]
	v_pk_fma_f32 v[112:113], v[106:107], v[108:109], v[110:111] op_sel_hi:[1,0,1]
	v_pk_fma_f32 v[106:107], v[106:107], v[108:109], v[110:111] neg_lo:[0,0,1] neg_hi:[0,0,1]
	s_delay_alu instid0(VALU_DEP_2)
	v_mov_b32_e32 v107, v113
	scratch_store_b64 off, v[106:107], off offset:200
.LBB114_255:
	s_wait_xcnt 0x0
	s_or_b32 exec_lo, exec_lo, s31
	scratch_load_b64 v[106:107], off, off offset:192
	v_cmp_lt_u32_e64 s1, 24, v0
	s_wait_loadcnt 0x0
	ds_store_b64 v1, v[106:107]
	s_wait_storecnt_dscnt 0x0
	s_barrier_signal -1
	s_barrier_wait -1
	s_wait_xcnt 0x0
	s_and_saveexec_b32 s30, s1
	s_cbranch_execz .LBB114_265
; %bb.256:
	s_and_not1_b32 vcc_lo, exec_lo, s5
	s_cbranch_vccnz .LBB114_258
; %bb.257:
	scratch_load_b64 v[106:107], v59, off
	ds_load_b64 v[108:109], v1
	s_wait_loadcnt_dscnt 0x0
	v_pk_mul_f32 v[110:111], v[108:109], v[106:107] op_sel:[1,1] op_sel_hi:[0,1]
	s_delay_alu instid0(VALU_DEP_1) | instskip(SKIP_1) | instid1(VALU_DEP_2)
	v_pk_fma_f32 v[112:113], v[108:109], v[106:107], v[110:111] op_sel_hi:[1,0,1]
	v_pk_fma_f32 v[106:107], v[108:109], v[106:107], v[110:111] neg_lo:[0,0,1] neg_hi:[0,0,1]
	v_mov_b32_e32 v107, v113
	s_cbranch_execz .LBB114_259
	s_branch .LBB114_260
.LBB114_258:
                                        ; implicit-def: $vgpr106_vgpr107
.LBB114_259:
	ds_load_b64 v[106:107], v1
.LBB114_260:
	s_and_saveexec_b32 s31, s0
	s_cbranch_execz .LBB114_264
; %bb.261:
	v_subrev_nc_u32_e32 v108, 25, v0
	s_movk_i32 s33, 0x268
	s_mov_b32 s0, 0
.LBB114_262:                            ; =>This Inner Loop Header: Depth=1
	scratch_load_b64 v[110:111], off, s29
	v_dual_mov_b32 v109, s33 :: v_dual_add_nc_u32 v108, -1, v108
	s_add_co_i32 s33, s33, 8
	s_wait_xcnt 0x0
	s_add_co_i32 s29, s29, 8
	ds_load_b64 v[112:113], v109
	v_cmp_eq_u32_e32 vcc_lo, 0, v108
	s_or_b32 s0, vcc_lo, s0
	s_wait_loadcnt_dscnt 0x0
	v_pk_mul_f32 v[114:115], v[112:113], v[110:111] op_sel:[1,1] op_sel_hi:[0,1]
	s_delay_alu instid0(VALU_DEP_1) | instskip(SKIP_1) | instid1(VALU_DEP_2)
	v_pk_fma_f32 v[116:117], v[112:113], v[110:111], v[114:115] op_sel_hi:[1,0,1]
	v_pk_fma_f32 v[110:111], v[112:113], v[110:111], v[114:115] neg_lo:[0,0,1] neg_hi:[0,0,1]
	v_mov_b32_e32 v111, v117
	s_delay_alu instid0(VALU_DEP_1)
	v_pk_add_f32 v[106:107], v[106:107], v[110:111]
	s_and_not1_b32 exec_lo, exec_lo, s0
	s_cbranch_execnz .LBB114_262
; %bb.263:
	s_or_b32 exec_lo, exec_lo, s0
.LBB114_264:
	s_delay_alu instid0(SALU_CYCLE_1) | instskip(SKIP_4) | instid1(VALU_DEP_1)
	s_or_b32 exec_lo, exec_lo, s31
	v_mov_b32_e32 v108, 0
	ds_load_b64 v[108:109], v108 offset:192
	s_wait_dscnt 0x0
	v_pk_mul_f32 v[110:111], v[106:107], v[108:109] op_sel:[1,1] op_sel_hi:[0,1]
	v_pk_fma_f32 v[112:113], v[106:107], v[108:109], v[110:111] op_sel_hi:[1,0,1]
	v_pk_fma_f32 v[106:107], v[106:107], v[108:109], v[110:111] neg_lo:[0,0,1] neg_hi:[0,0,1]
	s_delay_alu instid0(VALU_DEP_2)
	v_mov_b32_e32 v107, v113
	scratch_store_b64 off, v[106:107], off offset:192
.LBB114_265:
	s_wait_xcnt 0x0
	s_or_b32 exec_lo, exec_lo, s30
	scratch_load_b64 v[106:107], off, off offset:184
	v_cmp_lt_u32_e64 s0, 23, v0
	s_wait_loadcnt 0x0
	ds_store_b64 v1, v[106:107]
	s_wait_storecnt_dscnt 0x0
	s_barrier_signal -1
	s_barrier_wait -1
	s_wait_xcnt 0x0
	s_and_saveexec_b32 s29, s0
	s_cbranch_execz .LBB114_275
; %bb.266:
	s_and_not1_b32 vcc_lo, exec_lo, s5
	s_cbranch_vccnz .LBB114_268
; %bb.267:
	scratch_load_b64 v[106:107], v59, off
	ds_load_b64 v[108:109], v1
	s_wait_loadcnt_dscnt 0x0
	v_pk_mul_f32 v[110:111], v[108:109], v[106:107] op_sel:[1,1] op_sel_hi:[0,1]
	s_delay_alu instid0(VALU_DEP_1) | instskip(SKIP_1) | instid1(VALU_DEP_2)
	v_pk_fma_f32 v[112:113], v[108:109], v[106:107], v[110:111] op_sel_hi:[1,0,1]
	v_pk_fma_f32 v[106:107], v[108:109], v[106:107], v[110:111] neg_lo:[0,0,1] neg_hi:[0,0,1]
	v_mov_b32_e32 v107, v113
	s_cbranch_execz .LBB114_269
	s_branch .LBB114_270
.LBB114_268:
                                        ; implicit-def: $vgpr106_vgpr107
.LBB114_269:
	ds_load_b64 v[106:107], v1
.LBB114_270:
	s_and_saveexec_b32 s30, s1
	s_cbranch_execz .LBB114_274
; %bb.271:
	v_subrev_nc_u32_e32 v108, 24, v0
	s_movk_i32 s31, 0x260
	s_mov_b32 s1, 0
.LBB114_272:                            ; =>This Inner Loop Header: Depth=1
	scratch_load_b64 v[110:111], off, s28
	v_dual_mov_b32 v109, s31 :: v_dual_add_nc_u32 v108, -1, v108
	s_add_co_i32 s31, s31, 8
	s_wait_xcnt 0x0
	s_add_co_i32 s28, s28, 8
	ds_load_b64 v[112:113], v109
	v_cmp_eq_u32_e32 vcc_lo, 0, v108
	s_or_b32 s1, vcc_lo, s1
	s_wait_loadcnt_dscnt 0x0
	v_pk_mul_f32 v[114:115], v[112:113], v[110:111] op_sel:[1,1] op_sel_hi:[0,1]
	s_delay_alu instid0(VALU_DEP_1) | instskip(SKIP_1) | instid1(VALU_DEP_2)
	v_pk_fma_f32 v[116:117], v[112:113], v[110:111], v[114:115] op_sel_hi:[1,0,1]
	v_pk_fma_f32 v[110:111], v[112:113], v[110:111], v[114:115] neg_lo:[0,0,1] neg_hi:[0,0,1]
	v_mov_b32_e32 v111, v117
	s_delay_alu instid0(VALU_DEP_1)
	v_pk_add_f32 v[106:107], v[106:107], v[110:111]
	s_and_not1_b32 exec_lo, exec_lo, s1
	s_cbranch_execnz .LBB114_272
; %bb.273:
	s_or_b32 exec_lo, exec_lo, s1
.LBB114_274:
	s_delay_alu instid0(SALU_CYCLE_1) | instskip(SKIP_4) | instid1(VALU_DEP_1)
	s_or_b32 exec_lo, exec_lo, s30
	v_mov_b32_e32 v108, 0
	ds_load_b64 v[108:109], v108 offset:184
	s_wait_dscnt 0x0
	v_pk_mul_f32 v[110:111], v[106:107], v[108:109] op_sel:[1,1] op_sel_hi:[0,1]
	v_pk_fma_f32 v[112:113], v[106:107], v[108:109], v[110:111] op_sel_hi:[1,0,1]
	v_pk_fma_f32 v[106:107], v[106:107], v[108:109], v[110:111] neg_lo:[0,0,1] neg_hi:[0,0,1]
	s_delay_alu instid0(VALU_DEP_2)
	v_mov_b32_e32 v107, v113
	scratch_store_b64 off, v[106:107], off offset:184
.LBB114_275:
	s_wait_xcnt 0x0
	s_or_b32 exec_lo, exec_lo, s29
	scratch_load_b64 v[106:107], off, off offset:176
	v_cmp_lt_u32_e64 s1, 22, v0
	s_wait_loadcnt 0x0
	ds_store_b64 v1, v[106:107]
	s_wait_storecnt_dscnt 0x0
	s_barrier_signal -1
	s_barrier_wait -1
	s_wait_xcnt 0x0
	s_and_saveexec_b32 s28, s1
	s_cbranch_execz .LBB114_285
; %bb.276:
	s_and_not1_b32 vcc_lo, exec_lo, s5
	s_cbranch_vccnz .LBB114_278
; %bb.277:
	scratch_load_b64 v[106:107], v59, off
	ds_load_b64 v[108:109], v1
	s_wait_loadcnt_dscnt 0x0
	v_pk_mul_f32 v[110:111], v[108:109], v[106:107] op_sel:[1,1] op_sel_hi:[0,1]
	s_delay_alu instid0(VALU_DEP_1) | instskip(SKIP_1) | instid1(VALU_DEP_2)
	v_pk_fma_f32 v[112:113], v[108:109], v[106:107], v[110:111] op_sel_hi:[1,0,1]
	v_pk_fma_f32 v[106:107], v[108:109], v[106:107], v[110:111] neg_lo:[0,0,1] neg_hi:[0,0,1]
	v_mov_b32_e32 v107, v113
	s_cbranch_execz .LBB114_279
	s_branch .LBB114_280
.LBB114_278:
                                        ; implicit-def: $vgpr106_vgpr107
.LBB114_279:
	ds_load_b64 v[106:107], v1
.LBB114_280:
	s_and_saveexec_b32 s29, s0
	s_cbranch_execz .LBB114_284
; %bb.281:
	v_subrev_nc_u32_e32 v108, 23, v0
	s_movk_i32 s30, 0x258
	s_mov_b32 s0, 0
.LBB114_282:                            ; =>This Inner Loop Header: Depth=1
	scratch_load_b64 v[110:111], off, s27
	v_dual_mov_b32 v109, s30 :: v_dual_add_nc_u32 v108, -1, v108
	s_add_co_i32 s30, s30, 8
	s_wait_xcnt 0x0
	s_add_co_i32 s27, s27, 8
	ds_load_b64 v[112:113], v109
	v_cmp_eq_u32_e32 vcc_lo, 0, v108
	s_or_b32 s0, vcc_lo, s0
	s_wait_loadcnt_dscnt 0x0
	v_pk_mul_f32 v[114:115], v[112:113], v[110:111] op_sel:[1,1] op_sel_hi:[0,1]
	s_delay_alu instid0(VALU_DEP_1) | instskip(SKIP_1) | instid1(VALU_DEP_2)
	v_pk_fma_f32 v[116:117], v[112:113], v[110:111], v[114:115] op_sel_hi:[1,0,1]
	v_pk_fma_f32 v[110:111], v[112:113], v[110:111], v[114:115] neg_lo:[0,0,1] neg_hi:[0,0,1]
	v_mov_b32_e32 v111, v117
	s_delay_alu instid0(VALU_DEP_1)
	v_pk_add_f32 v[106:107], v[106:107], v[110:111]
	s_and_not1_b32 exec_lo, exec_lo, s0
	s_cbranch_execnz .LBB114_282
; %bb.283:
	s_or_b32 exec_lo, exec_lo, s0
.LBB114_284:
	s_delay_alu instid0(SALU_CYCLE_1) | instskip(SKIP_4) | instid1(VALU_DEP_1)
	s_or_b32 exec_lo, exec_lo, s29
	v_mov_b32_e32 v108, 0
	ds_load_b64 v[108:109], v108 offset:176
	s_wait_dscnt 0x0
	v_pk_mul_f32 v[110:111], v[106:107], v[108:109] op_sel:[1,1] op_sel_hi:[0,1]
	v_pk_fma_f32 v[112:113], v[106:107], v[108:109], v[110:111] op_sel_hi:[1,0,1]
	v_pk_fma_f32 v[106:107], v[106:107], v[108:109], v[110:111] neg_lo:[0,0,1] neg_hi:[0,0,1]
	s_delay_alu instid0(VALU_DEP_2)
	v_mov_b32_e32 v107, v113
	scratch_store_b64 off, v[106:107], off offset:176
.LBB114_285:
	s_wait_xcnt 0x0
	s_or_b32 exec_lo, exec_lo, s28
	scratch_load_b64 v[106:107], off, off offset:168
	v_cmp_lt_u32_e64 s0, 21, v0
	s_wait_loadcnt 0x0
	ds_store_b64 v1, v[106:107]
	s_wait_storecnt_dscnt 0x0
	s_barrier_signal -1
	s_barrier_wait -1
	s_wait_xcnt 0x0
	s_and_saveexec_b32 s27, s0
	s_cbranch_execz .LBB114_295
; %bb.286:
	s_and_not1_b32 vcc_lo, exec_lo, s5
	s_cbranch_vccnz .LBB114_288
; %bb.287:
	scratch_load_b64 v[106:107], v59, off
	ds_load_b64 v[108:109], v1
	s_wait_loadcnt_dscnt 0x0
	v_pk_mul_f32 v[110:111], v[108:109], v[106:107] op_sel:[1,1] op_sel_hi:[0,1]
	s_delay_alu instid0(VALU_DEP_1) | instskip(SKIP_1) | instid1(VALU_DEP_2)
	v_pk_fma_f32 v[112:113], v[108:109], v[106:107], v[110:111] op_sel_hi:[1,0,1]
	v_pk_fma_f32 v[106:107], v[108:109], v[106:107], v[110:111] neg_lo:[0,0,1] neg_hi:[0,0,1]
	v_mov_b32_e32 v107, v113
	s_cbranch_execz .LBB114_289
	s_branch .LBB114_290
.LBB114_288:
                                        ; implicit-def: $vgpr106_vgpr107
.LBB114_289:
	ds_load_b64 v[106:107], v1
.LBB114_290:
	s_and_saveexec_b32 s28, s1
	s_cbranch_execz .LBB114_294
; %bb.291:
	v_subrev_nc_u32_e32 v108, 22, v0
	s_movk_i32 s29, 0x250
	s_mov_b32 s1, 0
.LBB114_292:                            ; =>This Inner Loop Header: Depth=1
	scratch_load_b64 v[110:111], off, s26
	v_dual_mov_b32 v109, s29 :: v_dual_add_nc_u32 v108, -1, v108
	s_add_co_i32 s29, s29, 8
	s_wait_xcnt 0x0
	s_add_co_i32 s26, s26, 8
	ds_load_b64 v[112:113], v109
	v_cmp_eq_u32_e32 vcc_lo, 0, v108
	s_or_b32 s1, vcc_lo, s1
	s_wait_loadcnt_dscnt 0x0
	v_pk_mul_f32 v[114:115], v[112:113], v[110:111] op_sel:[1,1] op_sel_hi:[0,1]
	s_delay_alu instid0(VALU_DEP_1) | instskip(SKIP_1) | instid1(VALU_DEP_2)
	v_pk_fma_f32 v[116:117], v[112:113], v[110:111], v[114:115] op_sel_hi:[1,0,1]
	v_pk_fma_f32 v[110:111], v[112:113], v[110:111], v[114:115] neg_lo:[0,0,1] neg_hi:[0,0,1]
	v_mov_b32_e32 v111, v117
	s_delay_alu instid0(VALU_DEP_1)
	v_pk_add_f32 v[106:107], v[106:107], v[110:111]
	s_and_not1_b32 exec_lo, exec_lo, s1
	s_cbranch_execnz .LBB114_292
; %bb.293:
	s_or_b32 exec_lo, exec_lo, s1
.LBB114_294:
	s_delay_alu instid0(SALU_CYCLE_1) | instskip(SKIP_4) | instid1(VALU_DEP_1)
	s_or_b32 exec_lo, exec_lo, s28
	v_mov_b32_e32 v108, 0
	ds_load_b64 v[108:109], v108 offset:168
	s_wait_dscnt 0x0
	v_pk_mul_f32 v[110:111], v[106:107], v[108:109] op_sel:[1,1] op_sel_hi:[0,1]
	v_pk_fma_f32 v[112:113], v[106:107], v[108:109], v[110:111] op_sel_hi:[1,0,1]
	v_pk_fma_f32 v[106:107], v[106:107], v[108:109], v[110:111] neg_lo:[0,0,1] neg_hi:[0,0,1]
	s_delay_alu instid0(VALU_DEP_2)
	v_mov_b32_e32 v107, v113
	scratch_store_b64 off, v[106:107], off offset:168
.LBB114_295:
	s_wait_xcnt 0x0
	s_or_b32 exec_lo, exec_lo, s27
	scratch_load_b64 v[106:107], off, off offset:160
	v_cmp_lt_u32_e64 s1, 20, v0
	s_wait_loadcnt 0x0
	ds_store_b64 v1, v[106:107]
	s_wait_storecnt_dscnt 0x0
	s_barrier_signal -1
	s_barrier_wait -1
	s_wait_xcnt 0x0
	s_and_saveexec_b32 s26, s1
	s_cbranch_execz .LBB114_305
; %bb.296:
	s_and_not1_b32 vcc_lo, exec_lo, s5
	s_cbranch_vccnz .LBB114_298
; %bb.297:
	scratch_load_b64 v[106:107], v59, off
	ds_load_b64 v[108:109], v1
	s_wait_loadcnt_dscnt 0x0
	v_pk_mul_f32 v[110:111], v[108:109], v[106:107] op_sel:[1,1] op_sel_hi:[0,1]
	s_delay_alu instid0(VALU_DEP_1) | instskip(SKIP_1) | instid1(VALU_DEP_2)
	v_pk_fma_f32 v[112:113], v[108:109], v[106:107], v[110:111] op_sel_hi:[1,0,1]
	v_pk_fma_f32 v[106:107], v[108:109], v[106:107], v[110:111] neg_lo:[0,0,1] neg_hi:[0,0,1]
	v_mov_b32_e32 v107, v113
	s_cbranch_execz .LBB114_299
	s_branch .LBB114_300
.LBB114_298:
                                        ; implicit-def: $vgpr106_vgpr107
.LBB114_299:
	ds_load_b64 v[106:107], v1
.LBB114_300:
	s_and_saveexec_b32 s27, s0
	s_cbranch_execz .LBB114_304
; %bb.301:
	v_subrev_nc_u32_e32 v108, 21, v0
	s_movk_i32 s28, 0x248
	s_mov_b32 s0, 0
.LBB114_302:                            ; =>This Inner Loop Header: Depth=1
	scratch_load_b64 v[110:111], off, s25
	v_dual_mov_b32 v109, s28 :: v_dual_add_nc_u32 v108, -1, v108
	s_add_co_i32 s28, s28, 8
	s_wait_xcnt 0x0
	s_add_co_i32 s25, s25, 8
	ds_load_b64 v[112:113], v109
	v_cmp_eq_u32_e32 vcc_lo, 0, v108
	s_or_b32 s0, vcc_lo, s0
	s_wait_loadcnt_dscnt 0x0
	v_pk_mul_f32 v[114:115], v[112:113], v[110:111] op_sel:[1,1] op_sel_hi:[0,1]
	s_delay_alu instid0(VALU_DEP_1) | instskip(SKIP_1) | instid1(VALU_DEP_2)
	v_pk_fma_f32 v[116:117], v[112:113], v[110:111], v[114:115] op_sel_hi:[1,0,1]
	v_pk_fma_f32 v[110:111], v[112:113], v[110:111], v[114:115] neg_lo:[0,0,1] neg_hi:[0,0,1]
	v_mov_b32_e32 v111, v117
	s_delay_alu instid0(VALU_DEP_1)
	v_pk_add_f32 v[106:107], v[106:107], v[110:111]
	s_and_not1_b32 exec_lo, exec_lo, s0
	s_cbranch_execnz .LBB114_302
; %bb.303:
	s_or_b32 exec_lo, exec_lo, s0
.LBB114_304:
	s_delay_alu instid0(SALU_CYCLE_1) | instskip(SKIP_4) | instid1(VALU_DEP_1)
	s_or_b32 exec_lo, exec_lo, s27
	v_mov_b32_e32 v108, 0
	ds_load_b64 v[108:109], v108 offset:160
	s_wait_dscnt 0x0
	v_pk_mul_f32 v[110:111], v[106:107], v[108:109] op_sel:[1,1] op_sel_hi:[0,1]
	v_pk_fma_f32 v[112:113], v[106:107], v[108:109], v[110:111] op_sel_hi:[1,0,1]
	v_pk_fma_f32 v[106:107], v[106:107], v[108:109], v[110:111] neg_lo:[0,0,1] neg_hi:[0,0,1]
	s_delay_alu instid0(VALU_DEP_2)
	v_mov_b32_e32 v107, v113
	scratch_store_b64 off, v[106:107], off offset:160
.LBB114_305:
	s_wait_xcnt 0x0
	s_or_b32 exec_lo, exec_lo, s26
	scratch_load_b64 v[106:107], off, off offset:152
	v_cmp_lt_u32_e64 s0, 19, v0
	s_wait_loadcnt 0x0
	ds_store_b64 v1, v[106:107]
	s_wait_storecnt_dscnt 0x0
	s_barrier_signal -1
	s_barrier_wait -1
	s_wait_xcnt 0x0
	s_and_saveexec_b32 s25, s0
	s_cbranch_execz .LBB114_315
; %bb.306:
	s_and_not1_b32 vcc_lo, exec_lo, s5
	s_cbranch_vccnz .LBB114_308
; %bb.307:
	scratch_load_b64 v[106:107], v59, off
	ds_load_b64 v[108:109], v1
	s_wait_loadcnt_dscnt 0x0
	v_pk_mul_f32 v[110:111], v[108:109], v[106:107] op_sel:[1,1] op_sel_hi:[0,1]
	s_delay_alu instid0(VALU_DEP_1) | instskip(SKIP_1) | instid1(VALU_DEP_2)
	v_pk_fma_f32 v[112:113], v[108:109], v[106:107], v[110:111] op_sel_hi:[1,0,1]
	v_pk_fma_f32 v[106:107], v[108:109], v[106:107], v[110:111] neg_lo:[0,0,1] neg_hi:[0,0,1]
	v_mov_b32_e32 v107, v113
	s_cbranch_execz .LBB114_309
	s_branch .LBB114_310
.LBB114_308:
                                        ; implicit-def: $vgpr106_vgpr107
.LBB114_309:
	ds_load_b64 v[106:107], v1
.LBB114_310:
	s_and_saveexec_b32 s26, s1
	s_cbranch_execz .LBB114_314
; %bb.311:
	v_subrev_nc_u32_e32 v108, 20, v0
	s_movk_i32 s27, 0x240
	s_mov_b32 s1, 0
.LBB114_312:                            ; =>This Inner Loop Header: Depth=1
	scratch_load_b64 v[110:111], off, s24
	v_dual_mov_b32 v109, s27 :: v_dual_add_nc_u32 v108, -1, v108
	s_add_co_i32 s27, s27, 8
	s_wait_xcnt 0x0
	s_add_co_i32 s24, s24, 8
	ds_load_b64 v[112:113], v109
	v_cmp_eq_u32_e32 vcc_lo, 0, v108
	s_or_b32 s1, vcc_lo, s1
	s_wait_loadcnt_dscnt 0x0
	v_pk_mul_f32 v[114:115], v[112:113], v[110:111] op_sel:[1,1] op_sel_hi:[0,1]
	s_delay_alu instid0(VALU_DEP_1) | instskip(SKIP_1) | instid1(VALU_DEP_2)
	v_pk_fma_f32 v[116:117], v[112:113], v[110:111], v[114:115] op_sel_hi:[1,0,1]
	v_pk_fma_f32 v[110:111], v[112:113], v[110:111], v[114:115] neg_lo:[0,0,1] neg_hi:[0,0,1]
	v_mov_b32_e32 v111, v117
	s_delay_alu instid0(VALU_DEP_1)
	v_pk_add_f32 v[106:107], v[106:107], v[110:111]
	s_and_not1_b32 exec_lo, exec_lo, s1
	s_cbranch_execnz .LBB114_312
; %bb.313:
	s_or_b32 exec_lo, exec_lo, s1
.LBB114_314:
	s_delay_alu instid0(SALU_CYCLE_1) | instskip(SKIP_4) | instid1(VALU_DEP_1)
	s_or_b32 exec_lo, exec_lo, s26
	v_mov_b32_e32 v108, 0
	ds_load_b64 v[108:109], v108 offset:152
	s_wait_dscnt 0x0
	v_pk_mul_f32 v[110:111], v[106:107], v[108:109] op_sel:[1,1] op_sel_hi:[0,1]
	v_pk_fma_f32 v[112:113], v[106:107], v[108:109], v[110:111] op_sel_hi:[1,0,1]
	v_pk_fma_f32 v[106:107], v[106:107], v[108:109], v[110:111] neg_lo:[0,0,1] neg_hi:[0,0,1]
	s_delay_alu instid0(VALU_DEP_2)
	v_mov_b32_e32 v107, v113
	scratch_store_b64 off, v[106:107], off offset:152
.LBB114_315:
	s_wait_xcnt 0x0
	s_or_b32 exec_lo, exec_lo, s25
	scratch_load_b64 v[106:107], off, off offset:144
	v_cmp_lt_u32_e64 s1, 18, v0
	s_wait_loadcnt 0x0
	ds_store_b64 v1, v[106:107]
	s_wait_storecnt_dscnt 0x0
	s_barrier_signal -1
	s_barrier_wait -1
	s_wait_xcnt 0x0
	s_and_saveexec_b32 s24, s1
	s_cbranch_execz .LBB114_325
; %bb.316:
	s_and_not1_b32 vcc_lo, exec_lo, s5
	s_cbranch_vccnz .LBB114_318
; %bb.317:
	scratch_load_b64 v[106:107], v59, off
	ds_load_b64 v[108:109], v1
	s_wait_loadcnt_dscnt 0x0
	v_pk_mul_f32 v[110:111], v[108:109], v[106:107] op_sel:[1,1] op_sel_hi:[0,1]
	s_delay_alu instid0(VALU_DEP_1) | instskip(SKIP_1) | instid1(VALU_DEP_2)
	v_pk_fma_f32 v[112:113], v[108:109], v[106:107], v[110:111] op_sel_hi:[1,0,1]
	v_pk_fma_f32 v[106:107], v[108:109], v[106:107], v[110:111] neg_lo:[0,0,1] neg_hi:[0,0,1]
	v_mov_b32_e32 v107, v113
	s_cbranch_execz .LBB114_319
	s_branch .LBB114_320
.LBB114_318:
                                        ; implicit-def: $vgpr106_vgpr107
.LBB114_319:
	ds_load_b64 v[106:107], v1
.LBB114_320:
	s_and_saveexec_b32 s25, s0
	s_cbranch_execz .LBB114_324
; %bb.321:
	v_subrev_nc_u32_e32 v108, 19, v0
	s_movk_i32 s26, 0x238
	s_mov_b32 s0, 0
.LBB114_322:                            ; =>This Inner Loop Header: Depth=1
	scratch_load_b64 v[110:111], off, s23
	v_dual_mov_b32 v109, s26 :: v_dual_add_nc_u32 v108, -1, v108
	s_add_co_i32 s26, s26, 8
	s_wait_xcnt 0x0
	s_add_co_i32 s23, s23, 8
	ds_load_b64 v[112:113], v109
	v_cmp_eq_u32_e32 vcc_lo, 0, v108
	s_or_b32 s0, vcc_lo, s0
	s_wait_loadcnt_dscnt 0x0
	v_pk_mul_f32 v[114:115], v[112:113], v[110:111] op_sel:[1,1] op_sel_hi:[0,1]
	s_delay_alu instid0(VALU_DEP_1) | instskip(SKIP_1) | instid1(VALU_DEP_2)
	v_pk_fma_f32 v[116:117], v[112:113], v[110:111], v[114:115] op_sel_hi:[1,0,1]
	v_pk_fma_f32 v[110:111], v[112:113], v[110:111], v[114:115] neg_lo:[0,0,1] neg_hi:[0,0,1]
	v_mov_b32_e32 v111, v117
	s_delay_alu instid0(VALU_DEP_1)
	v_pk_add_f32 v[106:107], v[106:107], v[110:111]
	s_and_not1_b32 exec_lo, exec_lo, s0
	s_cbranch_execnz .LBB114_322
; %bb.323:
	s_or_b32 exec_lo, exec_lo, s0
.LBB114_324:
	s_delay_alu instid0(SALU_CYCLE_1) | instskip(SKIP_4) | instid1(VALU_DEP_1)
	s_or_b32 exec_lo, exec_lo, s25
	v_mov_b32_e32 v108, 0
	ds_load_b64 v[108:109], v108 offset:144
	s_wait_dscnt 0x0
	v_pk_mul_f32 v[110:111], v[106:107], v[108:109] op_sel:[1,1] op_sel_hi:[0,1]
	v_pk_fma_f32 v[112:113], v[106:107], v[108:109], v[110:111] op_sel_hi:[1,0,1]
	v_pk_fma_f32 v[106:107], v[106:107], v[108:109], v[110:111] neg_lo:[0,0,1] neg_hi:[0,0,1]
	s_delay_alu instid0(VALU_DEP_2)
	v_mov_b32_e32 v107, v113
	scratch_store_b64 off, v[106:107], off offset:144
.LBB114_325:
	s_wait_xcnt 0x0
	s_or_b32 exec_lo, exec_lo, s24
	scratch_load_b64 v[106:107], off, off offset:136
	v_cmp_lt_u32_e64 s0, 17, v0
	s_wait_loadcnt 0x0
	ds_store_b64 v1, v[106:107]
	s_wait_storecnt_dscnt 0x0
	s_barrier_signal -1
	s_barrier_wait -1
	s_wait_xcnt 0x0
	s_and_saveexec_b32 s23, s0
	s_cbranch_execz .LBB114_335
; %bb.326:
	s_and_not1_b32 vcc_lo, exec_lo, s5
	s_cbranch_vccnz .LBB114_328
; %bb.327:
	scratch_load_b64 v[106:107], v59, off
	ds_load_b64 v[108:109], v1
	s_wait_loadcnt_dscnt 0x0
	v_pk_mul_f32 v[110:111], v[108:109], v[106:107] op_sel:[1,1] op_sel_hi:[0,1]
	s_delay_alu instid0(VALU_DEP_1) | instskip(SKIP_1) | instid1(VALU_DEP_2)
	v_pk_fma_f32 v[112:113], v[108:109], v[106:107], v[110:111] op_sel_hi:[1,0,1]
	v_pk_fma_f32 v[106:107], v[108:109], v[106:107], v[110:111] neg_lo:[0,0,1] neg_hi:[0,0,1]
	v_mov_b32_e32 v107, v113
	s_cbranch_execz .LBB114_329
	s_branch .LBB114_330
.LBB114_328:
                                        ; implicit-def: $vgpr106_vgpr107
.LBB114_329:
	ds_load_b64 v[106:107], v1
.LBB114_330:
	s_and_saveexec_b32 s24, s1
	s_cbranch_execz .LBB114_334
; %bb.331:
	v_subrev_nc_u32_e32 v108, 18, v0
	s_movk_i32 s25, 0x230
	s_mov_b32 s1, 0
.LBB114_332:                            ; =>This Inner Loop Header: Depth=1
	scratch_load_b64 v[110:111], off, s22
	v_dual_mov_b32 v109, s25 :: v_dual_add_nc_u32 v108, -1, v108
	s_add_co_i32 s25, s25, 8
	s_wait_xcnt 0x0
	s_add_co_i32 s22, s22, 8
	ds_load_b64 v[112:113], v109
	v_cmp_eq_u32_e32 vcc_lo, 0, v108
	s_or_b32 s1, vcc_lo, s1
	s_wait_loadcnt_dscnt 0x0
	v_pk_mul_f32 v[114:115], v[112:113], v[110:111] op_sel:[1,1] op_sel_hi:[0,1]
	s_delay_alu instid0(VALU_DEP_1) | instskip(SKIP_1) | instid1(VALU_DEP_2)
	v_pk_fma_f32 v[116:117], v[112:113], v[110:111], v[114:115] op_sel_hi:[1,0,1]
	v_pk_fma_f32 v[110:111], v[112:113], v[110:111], v[114:115] neg_lo:[0,0,1] neg_hi:[0,0,1]
	v_mov_b32_e32 v111, v117
	s_delay_alu instid0(VALU_DEP_1)
	v_pk_add_f32 v[106:107], v[106:107], v[110:111]
	s_and_not1_b32 exec_lo, exec_lo, s1
	s_cbranch_execnz .LBB114_332
; %bb.333:
	s_or_b32 exec_lo, exec_lo, s1
.LBB114_334:
	s_delay_alu instid0(SALU_CYCLE_1) | instskip(SKIP_4) | instid1(VALU_DEP_1)
	s_or_b32 exec_lo, exec_lo, s24
	v_mov_b32_e32 v108, 0
	ds_load_b64 v[108:109], v108 offset:136
	s_wait_dscnt 0x0
	v_pk_mul_f32 v[110:111], v[106:107], v[108:109] op_sel:[1,1] op_sel_hi:[0,1]
	v_pk_fma_f32 v[112:113], v[106:107], v[108:109], v[110:111] op_sel_hi:[1,0,1]
	v_pk_fma_f32 v[106:107], v[106:107], v[108:109], v[110:111] neg_lo:[0,0,1] neg_hi:[0,0,1]
	s_delay_alu instid0(VALU_DEP_2)
	v_mov_b32_e32 v107, v113
	scratch_store_b64 off, v[106:107], off offset:136
.LBB114_335:
	s_wait_xcnt 0x0
	s_or_b32 exec_lo, exec_lo, s23
	scratch_load_b64 v[106:107], off, off offset:128
	v_cmp_lt_u32_e64 s1, 16, v0
	s_wait_loadcnt 0x0
	ds_store_b64 v1, v[106:107]
	s_wait_storecnt_dscnt 0x0
	s_barrier_signal -1
	s_barrier_wait -1
	s_wait_xcnt 0x0
	s_and_saveexec_b32 s22, s1
	s_cbranch_execz .LBB114_345
; %bb.336:
	s_and_not1_b32 vcc_lo, exec_lo, s5
	s_cbranch_vccnz .LBB114_338
; %bb.337:
	scratch_load_b64 v[106:107], v59, off
	ds_load_b64 v[108:109], v1
	s_wait_loadcnt_dscnt 0x0
	v_pk_mul_f32 v[110:111], v[108:109], v[106:107] op_sel:[1,1] op_sel_hi:[0,1]
	s_delay_alu instid0(VALU_DEP_1) | instskip(SKIP_1) | instid1(VALU_DEP_2)
	v_pk_fma_f32 v[112:113], v[108:109], v[106:107], v[110:111] op_sel_hi:[1,0,1]
	v_pk_fma_f32 v[106:107], v[108:109], v[106:107], v[110:111] neg_lo:[0,0,1] neg_hi:[0,0,1]
	v_mov_b32_e32 v107, v113
	s_cbranch_execz .LBB114_339
	s_branch .LBB114_340
.LBB114_338:
                                        ; implicit-def: $vgpr106_vgpr107
.LBB114_339:
	ds_load_b64 v[106:107], v1
.LBB114_340:
	s_and_saveexec_b32 s23, s0
	s_cbranch_execz .LBB114_344
; %bb.341:
	v_subrev_nc_u32_e32 v108, 17, v0
	s_movk_i32 s24, 0x228
	s_mov_b32 s0, 0
.LBB114_342:                            ; =>This Inner Loop Header: Depth=1
	scratch_load_b64 v[110:111], off, s21
	v_dual_mov_b32 v109, s24 :: v_dual_add_nc_u32 v108, -1, v108
	s_add_co_i32 s24, s24, 8
	s_wait_xcnt 0x0
	s_add_co_i32 s21, s21, 8
	ds_load_b64 v[112:113], v109
	v_cmp_eq_u32_e32 vcc_lo, 0, v108
	s_or_b32 s0, vcc_lo, s0
	s_wait_loadcnt_dscnt 0x0
	v_pk_mul_f32 v[114:115], v[112:113], v[110:111] op_sel:[1,1] op_sel_hi:[0,1]
	s_delay_alu instid0(VALU_DEP_1) | instskip(SKIP_1) | instid1(VALU_DEP_2)
	v_pk_fma_f32 v[116:117], v[112:113], v[110:111], v[114:115] op_sel_hi:[1,0,1]
	v_pk_fma_f32 v[110:111], v[112:113], v[110:111], v[114:115] neg_lo:[0,0,1] neg_hi:[0,0,1]
	v_mov_b32_e32 v111, v117
	s_delay_alu instid0(VALU_DEP_1)
	v_pk_add_f32 v[106:107], v[106:107], v[110:111]
	s_and_not1_b32 exec_lo, exec_lo, s0
	s_cbranch_execnz .LBB114_342
; %bb.343:
	s_or_b32 exec_lo, exec_lo, s0
.LBB114_344:
	s_delay_alu instid0(SALU_CYCLE_1) | instskip(SKIP_4) | instid1(VALU_DEP_1)
	s_or_b32 exec_lo, exec_lo, s23
	v_mov_b32_e32 v108, 0
	ds_load_b64 v[108:109], v108 offset:128
	s_wait_dscnt 0x0
	v_pk_mul_f32 v[110:111], v[106:107], v[108:109] op_sel:[1,1] op_sel_hi:[0,1]
	v_pk_fma_f32 v[112:113], v[106:107], v[108:109], v[110:111] op_sel_hi:[1,0,1]
	v_pk_fma_f32 v[106:107], v[106:107], v[108:109], v[110:111] neg_lo:[0,0,1] neg_hi:[0,0,1]
	s_delay_alu instid0(VALU_DEP_2)
	v_mov_b32_e32 v107, v113
	scratch_store_b64 off, v[106:107], off offset:128
.LBB114_345:
	s_wait_xcnt 0x0
	s_or_b32 exec_lo, exec_lo, s22
	scratch_load_b64 v[106:107], off, off offset:120
	v_cmp_lt_u32_e64 s0, 15, v0
	s_wait_loadcnt 0x0
	ds_store_b64 v1, v[106:107]
	s_wait_storecnt_dscnt 0x0
	s_barrier_signal -1
	s_barrier_wait -1
	s_wait_xcnt 0x0
	s_and_saveexec_b32 s21, s0
	s_cbranch_execz .LBB114_355
; %bb.346:
	s_and_not1_b32 vcc_lo, exec_lo, s5
	s_cbranch_vccnz .LBB114_348
; %bb.347:
	scratch_load_b64 v[106:107], v59, off
	ds_load_b64 v[108:109], v1
	s_wait_loadcnt_dscnt 0x0
	v_pk_mul_f32 v[110:111], v[108:109], v[106:107] op_sel:[1,1] op_sel_hi:[0,1]
	s_delay_alu instid0(VALU_DEP_1) | instskip(SKIP_1) | instid1(VALU_DEP_2)
	v_pk_fma_f32 v[112:113], v[108:109], v[106:107], v[110:111] op_sel_hi:[1,0,1]
	v_pk_fma_f32 v[106:107], v[108:109], v[106:107], v[110:111] neg_lo:[0,0,1] neg_hi:[0,0,1]
	v_mov_b32_e32 v107, v113
	s_cbranch_execz .LBB114_349
	s_branch .LBB114_350
.LBB114_348:
                                        ; implicit-def: $vgpr106_vgpr107
.LBB114_349:
	ds_load_b64 v[106:107], v1
.LBB114_350:
	s_and_saveexec_b32 s22, s1
	s_cbranch_execz .LBB114_354
; %bb.351:
	v_add_nc_u32_e32 v108, -16, v0
	s_movk_i32 s23, 0x220
	s_mov_b32 s1, 0
.LBB114_352:                            ; =>This Inner Loop Header: Depth=1
	scratch_load_b64 v[110:111], off, s20
	v_dual_mov_b32 v109, s23 :: v_dual_add_nc_u32 v108, -1, v108
	s_add_co_i32 s23, s23, 8
	s_wait_xcnt 0x0
	s_add_co_i32 s20, s20, 8
	ds_load_b64 v[112:113], v109
	v_cmp_eq_u32_e32 vcc_lo, 0, v108
	s_or_b32 s1, vcc_lo, s1
	s_wait_loadcnt_dscnt 0x0
	v_pk_mul_f32 v[114:115], v[112:113], v[110:111] op_sel:[1,1] op_sel_hi:[0,1]
	s_delay_alu instid0(VALU_DEP_1) | instskip(SKIP_1) | instid1(VALU_DEP_2)
	v_pk_fma_f32 v[116:117], v[112:113], v[110:111], v[114:115] op_sel_hi:[1,0,1]
	v_pk_fma_f32 v[110:111], v[112:113], v[110:111], v[114:115] neg_lo:[0,0,1] neg_hi:[0,0,1]
	v_mov_b32_e32 v111, v117
	s_delay_alu instid0(VALU_DEP_1)
	v_pk_add_f32 v[106:107], v[106:107], v[110:111]
	s_and_not1_b32 exec_lo, exec_lo, s1
	s_cbranch_execnz .LBB114_352
; %bb.353:
	s_or_b32 exec_lo, exec_lo, s1
.LBB114_354:
	s_delay_alu instid0(SALU_CYCLE_1) | instskip(SKIP_4) | instid1(VALU_DEP_1)
	s_or_b32 exec_lo, exec_lo, s22
	v_mov_b32_e32 v108, 0
	ds_load_b64 v[108:109], v108 offset:120
	s_wait_dscnt 0x0
	v_pk_mul_f32 v[110:111], v[106:107], v[108:109] op_sel:[1,1] op_sel_hi:[0,1]
	v_pk_fma_f32 v[112:113], v[106:107], v[108:109], v[110:111] op_sel_hi:[1,0,1]
	v_pk_fma_f32 v[106:107], v[106:107], v[108:109], v[110:111] neg_lo:[0,0,1] neg_hi:[0,0,1]
	s_delay_alu instid0(VALU_DEP_2)
	v_mov_b32_e32 v107, v113
	scratch_store_b64 off, v[106:107], off offset:120
.LBB114_355:
	s_wait_xcnt 0x0
	s_or_b32 exec_lo, exec_lo, s21
	scratch_load_b64 v[106:107], off, off offset:112
	v_cmp_lt_u32_e64 s1, 14, v0
	s_wait_loadcnt 0x0
	ds_store_b64 v1, v[106:107]
	s_wait_storecnt_dscnt 0x0
	s_barrier_signal -1
	s_barrier_wait -1
	s_wait_xcnt 0x0
	s_and_saveexec_b32 s20, s1
	s_cbranch_execz .LBB114_365
; %bb.356:
	s_and_not1_b32 vcc_lo, exec_lo, s5
	s_cbranch_vccnz .LBB114_358
; %bb.357:
	scratch_load_b64 v[106:107], v59, off
	ds_load_b64 v[108:109], v1
	s_wait_loadcnt_dscnt 0x0
	v_pk_mul_f32 v[110:111], v[108:109], v[106:107] op_sel:[1,1] op_sel_hi:[0,1]
	s_delay_alu instid0(VALU_DEP_1) | instskip(SKIP_1) | instid1(VALU_DEP_2)
	v_pk_fma_f32 v[112:113], v[108:109], v[106:107], v[110:111] op_sel_hi:[1,0,1]
	v_pk_fma_f32 v[106:107], v[108:109], v[106:107], v[110:111] neg_lo:[0,0,1] neg_hi:[0,0,1]
	v_mov_b32_e32 v107, v113
	s_cbranch_execz .LBB114_359
	s_branch .LBB114_360
.LBB114_358:
                                        ; implicit-def: $vgpr106_vgpr107
.LBB114_359:
	ds_load_b64 v[106:107], v1
.LBB114_360:
	s_and_saveexec_b32 s21, s0
	s_cbranch_execz .LBB114_364
; %bb.361:
	v_add_nc_u32_e32 v108, -15, v0
	s_movk_i32 s22, 0x218
	s_mov_b32 s0, 0
.LBB114_362:                            ; =>This Inner Loop Header: Depth=1
	scratch_load_b64 v[110:111], off, s19
	v_dual_mov_b32 v109, s22 :: v_dual_add_nc_u32 v108, -1, v108
	s_add_co_i32 s22, s22, 8
	s_wait_xcnt 0x0
	s_add_co_i32 s19, s19, 8
	ds_load_b64 v[112:113], v109
	v_cmp_eq_u32_e32 vcc_lo, 0, v108
	s_or_b32 s0, vcc_lo, s0
	s_wait_loadcnt_dscnt 0x0
	v_pk_mul_f32 v[114:115], v[112:113], v[110:111] op_sel:[1,1] op_sel_hi:[0,1]
	s_delay_alu instid0(VALU_DEP_1) | instskip(SKIP_1) | instid1(VALU_DEP_2)
	v_pk_fma_f32 v[116:117], v[112:113], v[110:111], v[114:115] op_sel_hi:[1,0,1]
	v_pk_fma_f32 v[110:111], v[112:113], v[110:111], v[114:115] neg_lo:[0,0,1] neg_hi:[0,0,1]
	v_mov_b32_e32 v111, v117
	s_delay_alu instid0(VALU_DEP_1)
	v_pk_add_f32 v[106:107], v[106:107], v[110:111]
	s_and_not1_b32 exec_lo, exec_lo, s0
	s_cbranch_execnz .LBB114_362
; %bb.363:
	s_or_b32 exec_lo, exec_lo, s0
.LBB114_364:
	s_delay_alu instid0(SALU_CYCLE_1) | instskip(SKIP_4) | instid1(VALU_DEP_1)
	s_or_b32 exec_lo, exec_lo, s21
	v_mov_b32_e32 v108, 0
	ds_load_b64 v[108:109], v108 offset:112
	s_wait_dscnt 0x0
	v_pk_mul_f32 v[110:111], v[106:107], v[108:109] op_sel:[1,1] op_sel_hi:[0,1]
	v_pk_fma_f32 v[112:113], v[106:107], v[108:109], v[110:111] op_sel_hi:[1,0,1]
	v_pk_fma_f32 v[106:107], v[106:107], v[108:109], v[110:111] neg_lo:[0,0,1] neg_hi:[0,0,1]
	s_delay_alu instid0(VALU_DEP_2)
	v_mov_b32_e32 v107, v113
	scratch_store_b64 off, v[106:107], off offset:112
.LBB114_365:
	s_wait_xcnt 0x0
	s_or_b32 exec_lo, exec_lo, s20
	scratch_load_b64 v[106:107], off, off offset:104
	v_cmp_lt_u32_e64 s0, 13, v0
	s_wait_loadcnt 0x0
	ds_store_b64 v1, v[106:107]
	s_wait_storecnt_dscnt 0x0
	s_barrier_signal -1
	s_barrier_wait -1
	s_wait_xcnt 0x0
	s_and_saveexec_b32 s19, s0
	s_cbranch_execz .LBB114_375
; %bb.366:
	s_and_not1_b32 vcc_lo, exec_lo, s5
	s_cbranch_vccnz .LBB114_368
; %bb.367:
	scratch_load_b64 v[106:107], v59, off
	ds_load_b64 v[108:109], v1
	s_wait_loadcnt_dscnt 0x0
	v_pk_mul_f32 v[110:111], v[108:109], v[106:107] op_sel:[1,1] op_sel_hi:[0,1]
	s_delay_alu instid0(VALU_DEP_1) | instskip(SKIP_1) | instid1(VALU_DEP_2)
	v_pk_fma_f32 v[112:113], v[108:109], v[106:107], v[110:111] op_sel_hi:[1,0,1]
	v_pk_fma_f32 v[106:107], v[108:109], v[106:107], v[110:111] neg_lo:[0,0,1] neg_hi:[0,0,1]
	v_mov_b32_e32 v107, v113
	s_cbranch_execz .LBB114_369
	s_branch .LBB114_370
.LBB114_368:
                                        ; implicit-def: $vgpr106_vgpr107
.LBB114_369:
	ds_load_b64 v[106:107], v1
.LBB114_370:
	s_and_saveexec_b32 s20, s1
	s_cbranch_execz .LBB114_374
; %bb.371:
	v_add_nc_u32_e32 v108, -14, v0
	s_movk_i32 s21, 0x210
	s_mov_b32 s1, 0
.LBB114_372:                            ; =>This Inner Loop Header: Depth=1
	scratch_load_b64 v[110:111], off, s18
	v_dual_mov_b32 v109, s21 :: v_dual_add_nc_u32 v108, -1, v108
	s_add_co_i32 s21, s21, 8
	s_wait_xcnt 0x0
	s_add_co_i32 s18, s18, 8
	ds_load_b64 v[112:113], v109
	v_cmp_eq_u32_e32 vcc_lo, 0, v108
	s_or_b32 s1, vcc_lo, s1
	s_wait_loadcnt_dscnt 0x0
	v_pk_mul_f32 v[114:115], v[112:113], v[110:111] op_sel:[1,1] op_sel_hi:[0,1]
	s_delay_alu instid0(VALU_DEP_1) | instskip(SKIP_1) | instid1(VALU_DEP_2)
	v_pk_fma_f32 v[116:117], v[112:113], v[110:111], v[114:115] op_sel_hi:[1,0,1]
	v_pk_fma_f32 v[110:111], v[112:113], v[110:111], v[114:115] neg_lo:[0,0,1] neg_hi:[0,0,1]
	v_mov_b32_e32 v111, v117
	s_delay_alu instid0(VALU_DEP_1)
	v_pk_add_f32 v[106:107], v[106:107], v[110:111]
	s_and_not1_b32 exec_lo, exec_lo, s1
	s_cbranch_execnz .LBB114_372
; %bb.373:
	s_or_b32 exec_lo, exec_lo, s1
.LBB114_374:
	s_delay_alu instid0(SALU_CYCLE_1) | instskip(SKIP_4) | instid1(VALU_DEP_1)
	s_or_b32 exec_lo, exec_lo, s20
	v_mov_b32_e32 v108, 0
	ds_load_b64 v[108:109], v108 offset:104
	s_wait_dscnt 0x0
	v_pk_mul_f32 v[110:111], v[106:107], v[108:109] op_sel:[1,1] op_sel_hi:[0,1]
	v_pk_fma_f32 v[112:113], v[106:107], v[108:109], v[110:111] op_sel_hi:[1,0,1]
	v_pk_fma_f32 v[106:107], v[106:107], v[108:109], v[110:111] neg_lo:[0,0,1] neg_hi:[0,0,1]
	s_delay_alu instid0(VALU_DEP_2)
	v_mov_b32_e32 v107, v113
	scratch_store_b64 off, v[106:107], off offset:104
.LBB114_375:
	s_wait_xcnt 0x0
	s_or_b32 exec_lo, exec_lo, s19
	scratch_load_b64 v[106:107], off, off offset:96
	v_cmp_lt_u32_e64 s1, 12, v0
	s_wait_loadcnt 0x0
	ds_store_b64 v1, v[106:107]
	s_wait_storecnt_dscnt 0x0
	s_barrier_signal -1
	s_barrier_wait -1
	s_wait_xcnt 0x0
	s_and_saveexec_b32 s18, s1
	s_cbranch_execz .LBB114_385
; %bb.376:
	s_and_not1_b32 vcc_lo, exec_lo, s5
	s_cbranch_vccnz .LBB114_378
; %bb.377:
	scratch_load_b64 v[106:107], v59, off
	ds_load_b64 v[108:109], v1
	s_wait_loadcnt_dscnt 0x0
	v_pk_mul_f32 v[110:111], v[108:109], v[106:107] op_sel:[1,1] op_sel_hi:[0,1]
	s_delay_alu instid0(VALU_DEP_1) | instskip(SKIP_1) | instid1(VALU_DEP_2)
	v_pk_fma_f32 v[112:113], v[108:109], v[106:107], v[110:111] op_sel_hi:[1,0,1]
	v_pk_fma_f32 v[106:107], v[108:109], v[106:107], v[110:111] neg_lo:[0,0,1] neg_hi:[0,0,1]
	v_mov_b32_e32 v107, v113
	s_cbranch_execz .LBB114_379
	s_branch .LBB114_380
.LBB114_378:
                                        ; implicit-def: $vgpr106_vgpr107
.LBB114_379:
	ds_load_b64 v[106:107], v1
.LBB114_380:
	s_and_saveexec_b32 s19, s0
	s_cbranch_execz .LBB114_384
; %bb.381:
	v_add_nc_u32_e32 v108, -13, v0
	s_movk_i32 s20, 0x208
	s_mov_b32 s0, 0
.LBB114_382:                            ; =>This Inner Loop Header: Depth=1
	scratch_load_b64 v[110:111], off, s17
	v_dual_mov_b32 v109, s20 :: v_dual_add_nc_u32 v108, -1, v108
	s_add_co_i32 s20, s20, 8
	s_wait_xcnt 0x0
	s_add_co_i32 s17, s17, 8
	ds_load_b64 v[112:113], v109
	v_cmp_eq_u32_e32 vcc_lo, 0, v108
	s_or_b32 s0, vcc_lo, s0
	s_wait_loadcnt_dscnt 0x0
	v_pk_mul_f32 v[114:115], v[112:113], v[110:111] op_sel:[1,1] op_sel_hi:[0,1]
	s_delay_alu instid0(VALU_DEP_1) | instskip(SKIP_1) | instid1(VALU_DEP_2)
	v_pk_fma_f32 v[116:117], v[112:113], v[110:111], v[114:115] op_sel_hi:[1,0,1]
	v_pk_fma_f32 v[110:111], v[112:113], v[110:111], v[114:115] neg_lo:[0,0,1] neg_hi:[0,0,1]
	v_mov_b32_e32 v111, v117
	s_delay_alu instid0(VALU_DEP_1)
	v_pk_add_f32 v[106:107], v[106:107], v[110:111]
	s_and_not1_b32 exec_lo, exec_lo, s0
	s_cbranch_execnz .LBB114_382
; %bb.383:
	s_or_b32 exec_lo, exec_lo, s0
.LBB114_384:
	s_delay_alu instid0(SALU_CYCLE_1) | instskip(SKIP_4) | instid1(VALU_DEP_1)
	s_or_b32 exec_lo, exec_lo, s19
	v_mov_b32_e32 v108, 0
	ds_load_b64 v[108:109], v108 offset:96
	s_wait_dscnt 0x0
	v_pk_mul_f32 v[110:111], v[106:107], v[108:109] op_sel:[1,1] op_sel_hi:[0,1]
	v_pk_fma_f32 v[112:113], v[106:107], v[108:109], v[110:111] op_sel_hi:[1,0,1]
	v_pk_fma_f32 v[106:107], v[106:107], v[108:109], v[110:111] neg_lo:[0,0,1] neg_hi:[0,0,1]
	s_delay_alu instid0(VALU_DEP_2)
	v_mov_b32_e32 v107, v113
	scratch_store_b64 off, v[106:107], off offset:96
.LBB114_385:
	s_wait_xcnt 0x0
	s_or_b32 exec_lo, exec_lo, s18
	scratch_load_b64 v[106:107], off, off offset:88
	v_cmp_lt_u32_e64 s0, 11, v0
	s_wait_loadcnt 0x0
	ds_store_b64 v1, v[106:107]
	s_wait_storecnt_dscnt 0x0
	s_barrier_signal -1
	s_barrier_wait -1
	s_wait_xcnt 0x0
	s_and_saveexec_b32 s17, s0
	s_cbranch_execz .LBB114_395
; %bb.386:
	s_and_not1_b32 vcc_lo, exec_lo, s5
	s_cbranch_vccnz .LBB114_388
; %bb.387:
	scratch_load_b64 v[106:107], v59, off
	ds_load_b64 v[108:109], v1
	s_wait_loadcnt_dscnt 0x0
	v_pk_mul_f32 v[110:111], v[108:109], v[106:107] op_sel:[1,1] op_sel_hi:[0,1]
	s_delay_alu instid0(VALU_DEP_1) | instskip(SKIP_1) | instid1(VALU_DEP_2)
	v_pk_fma_f32 v[112:113], v[108:109], v[106:107], v[110:111] op_sel_hi:[1,0,1]
	v_pk_fma_f32 v[106:107], v[108:109], v[106:107], v[110:111] neg_lo:[0,0,1] neg_hi:[0,0,1]
	v_mov_b32_e32 v107, v113
	s_cbranch_execz .LBB114_389
	s_branch .LBB114_390
.LBB114_388:
                                        ; implicit-def: $vgpr106_vgpr107
.LBB114_389:
	ds_load_b64 v[106:107], v1
.LBB114_390:
	s_and_saveexec_b32 s18, s1
	s_cbranch_execz .LBB114_394
; %bb.391:
	v_add_nc_u32_e32 v108, -12, v0
	s_movk_i32 s19, 0x200
	s_mov_b32 s1, 0
.LBB114_392:                            ; =>This Inner Loop Header: Depth=1
	scratch_load_b64 v[110:111], off, s16
	v_dual_mov_b32 v109, s19 :: v_dual_add_nc_u32 v108, -1, v108
	s_add_co_i32 s19, s19, 8
	s_wait_xcnt 0x0
	s_add_co_i32 s16, s16, 8
	ds_load_b64 v[112:113], v109
	v_cmp_eq_u32_e32 vcc_lo, 0, v108
	s_or_b32 s1, vcc_lo, s1
	s_wait_loadcnt_dscnt 0x0
	v_pk_mul_f32 v[114:115], v[112:113], v[110:111] op_sel:[1,1] op_sel_hi:[0,1]
	s_delay_alu instid0(VALU_DEP_1) | instskip(SKIP_1) | instid1(VALU_DEP_2)
	v_pk_fma_f32 v[116:117], v[112:113], v[110:111], v[114:115] op_sel_hi:[1,0,1]
	v_pk_fma_f32 v[110:111], v[112:113], v[110:111], v[114:115] neg_lo:[0,0,1] neg_hi:[0,0,1]
	v_mov_b32_e32 v111, v117
	s_delay_alu instid0(VALU_DEP_1)
	v_pk_add_f32 v[106:107], v[106:107], v[110:111]
	s_and_not1_b32 exec_lo, exec_lo, s1
	s_cbranch_execnz .LBB114_392
; %bb.393:
	s_or_b32 exec_lo, exec_lo, s1
.LBB114_394:
	s_delay_alu instid0(SALU_CYCLE_1) | instskip(SKIP_4) | instid1(VALU_DEP_1)
	s_or_b32 exec_lo, exec_lo, s18
	v_mov_b32_e32 v108, 0
	ds_load_b64 v[108:109], v108 offset:88
	s_wait_dscnt 0x0
	v_pk_mul_f32 v[110:111], v[106:107], v[108:109] op_sel:[1,1] op_sel_hi:[0,1]
	v_pk_fma_f32 v[112:113], v[106:107], v[108:109], v[110:111] op_sel_hi:[1,0,1]
	v_pk_fma_f32 v[106:107], v[106:107], v[108:109], v[110:111] neg_lo:[0,0,1] neg_hi:[0,0,1]
	s_delay_alu instid0(VALU_DEP_2)
	v_mov_b32_e32 v107, v113
	scratch_store_b64 off, v[106:107], off offset:88
.LBB114_395:
	s_wait_xcnt 0x0
	s_or_b32 exec_lo, exec_lo, s17
	scratch_load_b64 v[106:107], off, off offset:80
	v_cmp_lt_u32_e64 s1, 10, v0
	s_wait_loadcnt 0x0
	ds_store_b64 v1, v[106:107]
	s_wait_storecnt_dscnt 0x0
	s_barrier_signal -1
	s_barrier_wait -1
	s_wait_xcnt 0x0
	s_and_saveexec_b32 s16, s1
	s_cbranch_execz .LBB114_405
; %bb.396:
	s_and_not1_b32 vcc_lo, exec_lo, s5
	s_cbranch_vccnz .LBB114_398
; %bb.397:
	scratch_load_b64 v[106:107], v59, off
	ds_load_b64 v[108:109], v1
	s_wait_loadcnt_dscnt 0x0
	v_pk_mul_f32 v[110:111], v[108:109], v[106:107] op_sel:[1,1] op_sel_hi:[0,1]
	s_delay_alu instid0(VALU_DEP_1) | instskip(SKIP_1) | instid1(VALU_DEP_2)
	v_pk_fma_f32 v[112:113], v[108:109], v[106:107], v[110:111] op_sel_hi:[1,0,1]
	v_pk_fma_f32 v[106:107], v[108:109], v[106:107], v[110:111] neg_lo:[0,0,1] neg_hi:[0,0,1]
	v_mov_b32_e32 v107, v113
	s_cbranch_execz .LBB114_399
	s_branch .LBB114_400
.LBB114_398:
                                        ; implicit-def: $vgpr106_vgpr107
.LBB114_399:
	ds_load_b64 v[106:107], v1
.LBB114_400:
	s_and_saveexec_b32 s17, s0
	s_cbranch_execz .LBB114_404
; %bb.401:
	v_add_nc_u32_e32 v108, -11, v0
	s_movk_i32 s18, 0x1f8
	s_mov_b32 s0, 0
.LBB114_402:                            ; =>This Inner Loop Header: Depth=1
	scratch_load_b64 v[110:111], off, s15
	v_dual_mov_b32 v109, s18 :: v_dual_add_nc_u32 v108, -1, v108
	s_add_co_i32 s18, s18, 8
	s_wait_xcnt 0x0
	s_add_co_i32 s15, s15, 8
	ds_load_b64 v[112:113], v109
	v_cmp_eq_u32_e32 vcc_lo, 0, v108
	s_or_b32 s0, vcc_lo, s0
	s_wait_loadcnt_dscnt 0x0
	v_pk_mul_f32 v[114:115], v[112:113], v[110:111] op_sel:[1,1] op_sel_hi:[0,1]
	s_delay_alu instid0(VALU_DEP_1) | instskip(SKIP_1) | instid1(VALU_DEP_2)
	v_pk_fma_f32 v[116:117], v[112:113], v[110:111], v[114:115] op_sel_hi:[1,0,1]
	v_pk_fma_f32 v[110:111], v[112:113], v[110:111], v[114:115] neg_lo:[0,0,1] neg_hi:[0,0,1]
	v_mov_b32_e32 v111, v117
	s_delay_alu instid0(VALU_DEP_1)
	v_pk_add_f32 v[106:107], v[106:107], v[110:111]
	s_and_not1_b32 exec_lo, exec_lo, s0
	s_cbranch_execnz .LBB114_402
; %bb.403:
	s_or_b32 exec_lo, exec_lo, s0
.LBB114_404:
	s_delay_alu instid0(SALU_CYCLE_1) | instskip(SKIP_4) | instid1(VALU_DEP_1)
	s_or_b32 exec_lo, exec_lo, s17
	v_mov_b32_e32 v108, 0
	ds_load_b64 v[108:109], v108 offset:80
	s_wait_dscnt 0x0
	v_pk_mul_f32 v[110:111], v[106:107], v[108:109] op_sel:[1,1] op_sel_hi:[0,1]
	v_pk_fma_f32 v[112:113], v[106:107], v[108:109], v[110:111] op_sel_hi:[1,0,1]
	v_pk_fma_f32 v[106:107], v[106:107], v[108:109], v[110:111] neg_lo:[0,0,1] neg_hi:[0,0,1]
	s_delay_alu instid0(VALU_DEP_2)
	v_mov_b32_e32 v107, v113
	scratch_store_b64 off, v[106:107], off offset:80
.LBB114_405:
	s_wait_xcnt 0x0
	s_or_b32 exec_lo, exec_lo, s16
	scratch_load_b64 v[106:107], off, off offset:72
	v_cmp_lt_u32_e64 s0, 9, v0
	s_wait_loadcnt 0x0
	ds_store_b64 v1, v[106:107]
	s_wait_storecnt_dscnt 0x0
	s_barrier_signal -1
	s_barrier_wait -1
	s_wait_xcnt 0x0
	s_and_saveexec_b32 s15, s0
	s_cbranch_execz .LBB114_415
; %bb.406:
	s_and_not1_b32 vcc_lo, exec_lo, s5
	s_cbranch_vccnz .LBB114_408
; %bb.407:
	scratch_load_b64 v[106:107], v59, off
	ds_load_b64 v[108:109], v1
	s_wait_loadcnt_dscnt 0x0
	v_pk_mul_f32 v[110:111], v[108:109], v[106:107] op_sel:[1,1] op_sel_hi:[0,1]
	s_delay_alu instid0(VALU_DEP_1) | instskip(SKIP_1) | instid1(VALU_DEP_2)
	v_pk_fma_f32 v[112:113], v[108:109], v[106:107], v[110:111] op_sel_hi:[1,0,1]
	v_pk_fma_f32 v[106:107], v[108:109], v[106:107], v[110:111] neg_lo:[0,0,1] neg_hi:[0,0,1]
	v_mov_b32_e32 v107, v113
	s_cbranch_execz .LBB114_409
	s_branch .LBB114_410
.LBB114_408:
                                        ; implicit-def: $vgpr106_vgpr107
.LBB114_409:
	ds_load_b64 v[106:107], v1
.LBB114_410:
	s_and_saveexec_b32 s16, s1
	s_cbranch_execz .LBB114_414
; %bb.411:
	v_add_nc_u32_e32 v108, -10, v0
	s_movk_i32 s17, 0x1f0
	s_mov_b32 s1, 0
.LBB114_412:                            ; =>This Inner Loop Header: Depth=1
	scratch_load_b64 v[110:111], off, s14
	v_dual_mov_b32 v109, s17 :: v_dual_add_nc_u32 v108, -1, v108
	s_add_co_i32 s17, s17, 8
	s_wait_xcnt 0x0
	s_add_co_i32 s14, s14, 8
	ds_load_b64 v[112:113], v109
	v_cmp_eq_u32_e32 vcc_lo, 0, v108
	s_or_b32 s1, vcc_lo, s1
	s_wait_loadcnt_dscnt 0x0
	v_pk_mul_f32 v[114:115], v[112:113], v[110:111] op_sel:[1,1] op_sel_hi:[0,1]
	s_delay_alu instid0(VALU_DEP_1) | instskip(SKIP_1) | instid1(VALU_DEP_2)
	v_pk_fma_f32 v[116:117], v[112:113], v[110:111], v[114:115] op_sel_hi:[1,0,1]
	v_pk_fma_f32 v[110:111], v[112:113], v[110:111], v[114:115] neg_lo:[0,0,1] neg_hi:[0,0,1]
	v_mov_b32_e32 v111, v117
	s_delay_alu instid0(VALU_DEP_1)
	v_pk_add_f32 v[106:107], v[106:107], v[110:111]
	s_and_not1_b32 exec_lo, exec_lo, s1
	s_cbranch_execnz .LBB114_412
; %bb.413:
	s_or_b32 exec_lo, exec_lo, s1
.LBB114_414:
	s_delay_alu instid0(SALU_CYCLE_1) | instskip(SKIP_4) | instid1(VALU_DEP_1)
	s_or_b32 exec_lo, exec_lo, s16
	v_mov_b32_e32 v108, 0
	ds_load_b64 v[108:109], v108 offset:72
	s_wait_dscnt 0x0
	v_pk_mul_f32 v[110:111], v[106:107], v[108:109] op_sel:[1,1] op_sel_hi:[0,1]
	v_pk_fma_f32 v[112:113], v[106:107], v[108:109], v[110:111] op_sel_hi:[1,0,1]
	v_pk_fma_f32 v[106:107], v[106:107], v[108:109], v[110:111] neg_lo:[0,0,1] neg_hi:[0,0,1]
	s_delay_alu instid0(VALU_DEP_2)
	v_mov_b32_e32 v107, v113
	scratch_store_b64 off, v[106:107], off offset:72
.LBB114_415:
	s_wait_xcnt 0x0
	s_or_b32 exec_lo, exec_lo, s15
	scratch_load_b64 v[106:107], off, off offset:64
	v_cmp_lt_u32_e64 s1, 8, v0
	s_wait_loadcnt 0x0
	ds_store_b64 v1, v[106:107]
	s_wait_storecnt_dscnt 0x0
	s_barrier_signal -1
	s_barrier_wait -1
	s_wait_xcnt 0x0
	s_and_saveexec_b32 s14, s1
	s_cbranch_execz .LBB114_425
; %bb.416:
	s_and_not1_b32 vcc_lo, exec_lo, s5
	s_cbranch_vccnz .LBB114_418
; %bb.417:
	scratch_load_b64 v[106:107], v59, off
	ds_load_b64 v[108:109], v1
	s_wait_loadcnt_dscnt 0x0
	v_pk_mul_f32 v[110:111], v[108:109], v[106:107] op_sel:[1,1] op_sel_hi:[0,1]
	s_delay_alu instid0(VALU_DEP_1) | instskip(SKIP_1) | instid1(VALU_DEP_2)
	v_pk_fma_f32 v[112:113], v[108:109], v[106:107], v[110:111] op_sel_hi:[1,0,1]
	v_pk_fma_f32 v[106:107], v[108:109], v[106:107], v[110:111] neg_lo:[0,0,1] neg_hi:[0,0,1]
	v_mov_b32_e32 v107, v113
	s_cbranch_execz .LBB114_419
	s_branch .LBB114_420
.LBB114_418:
                                        ; implicit-def: $vgpr106_vgpr107
.LBB114_419:
	ds_load_b64 v[106:107], v1
.LBB114_420:
	s_and_saveexec_b32 s15, s0
	s_cbranch_execz .LBB114_424
; %bb.421:
	v_add_nc_u32_e32 v108, -9, v0
	s_movk_i32 s16, 0x1e8
	s_mov_b32 s0, 0
.LBB114_422:                            ; =>This Inner Loop Header: Depth=1
	scratch_load_b64 v[110:111], off, s13
	v_dual_mov_b32 v109, s16 :: v_dual_add_nc_u32 v108, -1, v108
	s_add_co_i32 s16, s16, 8
	s_wait_xcnt 0x0
	s_add_co_i32 s13, s13, 8
	ds_load_b64 v[112:113], v109
	v_cmp_eq_u32_e32 vcc_lo, 0, v108
	s_or_b32 s0, vcc_lo, s0
	s_wait_loadcnt_dscnt 0x0
	v_pk_mul_f32 v[114:115], v[112:113], v[110:111] op_sel:[1,1] op_sel_hi:[0,1]
	s_delay_alu instid0(VALU_DEP_1) | instskip(SKIP_1) | instid1(VALU_DEP_2)
	v_pk_fma_f32 v[116:117], v[112:113], v[110:111], v[114:115] op_sel_hi:[1,0,1]
	v_pk_fma_f32 v[110:111], v[112:113], v[110:111], v[114:115] neg_lo:[0,0,1] neg_hi:[0,0,1]
	v_mov_b32_e32 v111, v117
	s_delay_alu instid0(VALU_DEP_1)
	v_pk_add_f32 v[106:107], v[106:107], v[110:111]
	s_and_not1_b32 exec_lo, exec_lo, s0
	s_cbranch_execnz .LBB114_422
; %bb.423:
	s_or_b32 exec_lo, exec_lo, s0
.LBB114_424:
	s_delay_alu instid0(SALU_CYCLE_1) | instskip(SKIP_4) | instid1(VALU_DEP_1)
	s_or_b32 exec_lo, exec_lo, s15
	v_mov_b32_e32 v108, 0
	ds_load_b64 v[108:109], v108 offset:64
	s_wait_dscnt 0x0
	v_pk_mul_f32 v[110:111], v[106:107], v[108:109] op_sel:[1,1] op_sel_hi:[0,1]
	v_pk_fma_f32 v[112:113], v[106:107], v[108:109], v[110:111] op_sel_hi:[1,0,1]
	v_pk_fma_f32 v[106:107], v[106:107], v[108:109], v[110:111] neg_lo:[0,0,1] neg_hi:[0,0,1]
	s_delay_alu instid0(VALU_DEP_2)
	v_mov_b32_e32 v107, v113
	scratch_store_b64 off, v[106:107], off offset:64
.LBB114_425:
	s_wait_xcnt 0x0
	s_or_b32 exec_lo, exec_lo, s14
	scratch_load_b64 v[106:107], off, off offset:56
	v_cmp_lt_u32_e64 s0, 7, v0
	s_wait_loadcnt 0x0
	ds_store_b64 v1, v[106:107]
	s_wait_storecnt_dscnt 0x0
	s_barrier_signal -1
	s_barrier_wait -1
	s_wait_xcnt 0x0
	s_and_saveexec_b32 s13, s0
	s_cbranch_execz .LBB114_435
; %bb.426:
	s_and_not1_b32 vcc_lo, exec_lo, s5
	s_cbranch_vccnz .LBB114_428
; %bb.427:
	scratch_load_b64 v[106:107], v59, off
	ds_load_b64 v[108:109], v1
	s_wait_loadcnt_dscnt 0x0
	v_pk_mul_f32 v[110:111], v[108:109], v[106:107] op_sel:[1,1] op_sel_hi:[0,1]
	s_delay_alu instid0(VALU_DEP_1) | instskip(SKIP_1) | instid1(VALU_DEP_2)
	v_pk_fma_f32 v[112:113], v[108:109], v[106:107], v[110:111] op_sel_hi:[1,0,1]
	v_pk_fma_f32 v[106:107], v[108:109], v[106:107], v[110:111] neg_lo:[0,0,1] neg_hi:[0,0,1]
	v_mov_b32_e32 v107, v113
	s_cbranch_execz .LBB114_429
	s_branch .LBB114_430
.LBB114_428:
                                        ; implicit-def: $vgpr106_vgpr107
.LBB114_429:
	ds_load_b64 v[106:107], v1
.LBB114_430:
	s_and_saveexec_b32 s14, s1
	s_cbranch_execz .LBB114_434
; %bb.431:
	v_add_nc_u32_e32 v108, -8, v0
	s_movk_i32 s15, 0x1e0
	s_mov_b32 s1, 0
.LBB114_432:                            ; =>This Inner Loop Header: Depth=1
	scratch_load_b64 v[110:111], off, s12
	v_dual_mov_b32 v109, s15 :: v_dual_add_nc_u32 v108, -1, v108
	s_add_co_i32 s15, s15, 8
	s_wait_xcnt 0x0
	s_add_co_i32 s12, s12, 8
	ds_load_b64 v[112:113], v109
	v_cmp_eq_u32_e32 vcc_lo, 0, v108
	s_or_b32 s1, vcc_lo, s1
	s_wait_loadcnt_dscnt 0x0
	v_pk_mul_f32 v[114:115], v[112:113], v[110:111] op_sel:[1,1] op_sel_hi:[0,1]
	s_delay_alu instid0(VALU_DEP_1) | instskip(SKIP_1) | instid1(VALU_DEP_2)
	v_pk_fma_f32 v[116:117], v[112:113], v[110:111], v[114:115] op_sel_hi:[1,0,1]
	v_pk_fma_f32 v[110:111], v[112:113], v[110:111], v[114:115] neg_lo:[0,0,1] neg_hi:[0,0,1]
	v_mov_b32_e32 v111, v117
	s_delay_alu instid0(VALU_DEP_1)
	v_pk_add_f32 v[106:107], v[106:107], v[110:111]
	s_and_not1_b32 exec_lo, exec_lo, s1
	s_cbranch_execnz .LBB114_432
; %bb.433:
	s_or_b32 exec_lo, exec_lo, s1
.LBB114_434:
	s_delay_alu instid0(SALU_CYCLE_1) | instskip(SKIP_4) | instid1(VALU_DEP_1)
	s_or_b32 exec_lo, exec_lo, s14
	v_mov_b32_e32 v108, 0
	ds_load_b64 v[108:109], v108 offset:56
	s_wait_dscnt 0x0
	v_pk_mul_f32 v[110:111], v[106:107], v[108:109] op_sel:[1,1] op_sel_hi:[0,1]
	v_pk_fma_f32 v[112:113], v[106:107], v[108:109], v[110:111] op_sel_hi:[1,0,1]
	v_pk_fma_f32 v[106:107], v[106:107], v[108:109], v[110:111] neg_lo:[0,0,1] neg_hi:[0,0,1]
	s_delay_alu instid0(VALU_DEP_2)
	v_mov_b32_e32 v107, v113
	scratch_store_b64 off, v[106:107], off offset:56
.LBB114_435:
	s_wait_xcnt 0x0
	s_or_b32 exec_lo, exec_lo, s13
	scratch_load_b64 v[106:107], off, off offset:48
	v_cmp_lt_u32_e64 s1, 6, v0
	s_wait_loadcnt 0x0
	ds_store_b64 v1, v[106:107]
	s_wait_storecnt_dscnt 0x0
	s_barrier_signal -1
	s_barrier_wait -1
	s_wait_xcnt 0x0
	s_and_saveexec_b32 s12, s1
	s_cbranch_execz .LBB114_445
; %bb.436:
	s_and_not1_b32 vcc_lo, exec_lo, s5
	s_cbranch_vccnz .LBB114_438
; %bb.437:
	scratch_load_b64 v[106:107], v59, off
	ds_load_b64 v[108:109], v1
	s_wait_loadcnt_dscnt 0x0
	v_pk_mul_f32 v[110:111], v[108:109], v[106:107] op_sel:[1,1] op_sel_hi:[0,1]
	s_delay_alu instid0(VALU_DEP_1) | instskip(SKIP_1) | instid1(VALU_DEP_2)
	v_pk_fma_f32 v[112:113], v[108:109], v[106:107], v[110:111] op_sel_hi:[1,0,1]
	v_pk_fma_f32 v[106:107], v[108:109], v[106:107], v[110:111] neg_lo:[0,0,1] neg_hi:[0,0,1]
	v_mov_b32_e32 v107, v113
	s_cbranch_execz .LBB114_439
	s_branch .LBB114_440
.LBB114_438:
                                        ; implicit-def: $vgpr106_vgpr107
.LBB114_439:
	ds_load_b64 v[106:107], v1
.LBB114_440:
	s_and_saveexec_b32 s13, s0
	s_cbranch_execz .LBB114_444
; %bb.441:
	v_add_nc_u32_e32 v108, -7, v0
	s_movk_i32 s14, 0x1d8
	s_mov_b32 s0, 0
.LBB114_442:                            ; =>This Inner Loop Header: Depth=1
	scratch_load_b64 v[110:111], off, s11
	v_dual_mov_b32 v109, s14 :: v_dual_add_nc_u32 v108, -1, v108
	s_add_co_i32 s14, s14, 8
	s_wait_xcnt 0x0
	s_add_co_i32 s11, s11, 8
	ds_load_b64 v[112:113], v109
	v_cmp_eq_u32_e32 vcc_lo, 0, v108
	s_or_b32 s0, vcc_lo, s0
	s_wait_loadcnt_dscnt 0x0
	v_pk_mul_f32 v[114:115], v[112:113], v[110:111] op_sel:[1,1] op_sel_hi:[0,1]
	s_delay_alu instid0(VALU_DEP_1) | instskip(SKIP_1) | instid1(VALU_DEP_2)
	v_pk_fma_f32 v[116:117], v[112:113], v[110:111], v[114:115] op_sel_hi:[1,0,1]
	v_pk_fma_f32 v[110:111], v[112:113], v[110:111], v[114:115] neg_lo:[0,0,1] neg_hi:[0,0,1]
	v_mov_b32_e32 v111, v117
	s_delay_alu instid0(VALU_DEP_1)
	v_pk_add_f32 v[106:107], v[106:107], v[110:111]
	s_and_not1_b32 exec_lo, exec_lo, s0
	s_cbranch_execnz .LBB114_442
; %bb.443:
	s_or_b32 exec_lo, exec_lo, s0
.LBB114_444:
	s_delay_alu instid0(SALU_CYCLE_1) | instskip(SKIP_4) | instid1(VALU_DEP_1)
	s_or_b32 exec_lo, exec_lo, s13
	v_mov_b32_e32 v108, 0
	ds_load_b64 v[108:109], v108 offset:48
	s_wait_dscnt 0x0
	v_pk_mul_f32 v[110:111], v[106:107], v[108:109] op_sel:[1,1] op_sel_hi:[0,1]
	v_pk_fma_f32 v[112:113], v[106:107], v[108:109], v[110:111] op_sel_hi:[1,0,1]
	v_pk_fma_f32 v[106:107], v[106:107], v[108:109], v[110:111] neg_lo:[0,0,1] neg_hi:[0,0,1]
	s_delay_alu instid0(VALU_DEP_2)
	v_mov_b32_e32 v107, v113
	scratch_store_b64 off, v[106:107], off offset:48
.LBB114_445:
	s_wait_xcnt 0x0
	s_or_b32 exec_lo, exec_lo, s12
	scratch_load_b64 v[106:107], off, off offset:40
	v_cmp_lt_u32_e64 s0, 5, v0
	s_wait_loadcnt 0x0
	ds_store_b64 v1, v[106:107]
	s_wait_storecnt_dscnt 0x0
	s_barrier_signal -1
	s_barrier_wait -1
	s_wait_xcnt 0x0
	s_and_saveexec_b32 s11, s0
	s_cbranch_execz .LBB114_455
; %bb.446:
	s_and_not1_b32 vcc_lo, exec_lo, s5
	s_cbranch_vccnz .LBB114_448
; %bb.447:
	scratch_load_b64 v[106:107], v59, off
	ds_load_b64 v[108:109], v1
	s_wait_loadcnt_dscnt 0x0
	v_pk_mul_f32 v[110:111], v[108:109], v[106:107] op_sel:[1,1] op_sel_hi:[0,1]
	s_delay_alu instid0(VALU_DEP_1) | instskip(SKIP_1) | instid1(VALU_DEP_2)
	v_pk_fma_f32 v[112:113], v[108:109], v[106:107], v[110:111] op_sel_hi:[1,0,1]
	v_pk_fma_f32 v[106:107], v[108:109], v[106:107], v[110:111] neg_lo:[0,0,1] neg_hi:[0,0,1]
	v_mov_b32_e32 v107, v113
	s_cbranch_execz .LBB114_449
	s_branch .LBB114_450
.LBB114_448:
                                        ; implicit-def: $vgpr106_vgpr107
.LBB114_449:
	ds_load_b64 v[106:107], v1
.LBB114_450:
	s_and_saveexec_b32 s12, s1
	s_cbranch_execz .LBB114_454
; %bb.451:
	v_add_nc_u32_e32 v108, -6, v0
	s_movk_i32 s13, 0x1d0
	s_mov_b32 s1, 0
.LBB114_452:                            ; =>This Inner Loop Header: Depth=1
	scratch_load_b64 v[110:111], off, s10
	v_dual_mov_b32 v109, s13 :: v_dual_add_nc_u32 v108, -1, v108
	s_add_co_i32 s13, s13, 8
	s_wait_xcnt 0x0
	s_add_co_i32 s10, s10, 8
	ds_load_b64 v[112:113], v109
	v_cmp_eq_u32_e32 vcc_lo, 0, v108
	s_or_b32 s1, vcc_lo, s1
	s_wait_loadcnt_dscnt 0x0
	v_pk_mul_f32 v[114:115], v[112:113], v[110:111] op_sel:[1,1] op_sel_hi:[0,1]
	s_delay_alu instid0(VALU_DEP_1) | instskip(SKIP_1) | instid1(VALU_DEP_2)
	v_pk_fma_f32 v[116:117], v[112:113], v[110:111], v[114:115] op_sel_hi:[1,0,1]
	v_pk_fma_f32 v[110:111], v[112:113], v[110:111], v[114:115] neg_lo:[0,0,1] neg_hi:[0,0,1]
	v_mov_b32_e32 v111, v117
	s_delay_alu instid0(VALU_DEP_1)
	v_pk_add_f32 v[106:107], v[106:107], v[110:111]
	s_and_not1_b32 exec_lo, exec_lo, s1
	s_cbranch_execnz .LBB114_452
; %bb.453:
	s_or_b32 exec_lo, exec_lo, s1
.LBB114_454:
	s_delay_alu instid0(SALU_CYCLE_1) | instskip(SKIP_4) | instid1(VALU_DEP_1)
	s_or_b32 exec_lo, exec_lo, s12
	v_mov_b32_e32 v108, 0
	ds_load_b64 v[108:109], v108 offset:40
	s_wait_dscnt 0x0
	v_pk_mul_f32 v[110:111], v[106:107], v[108:109] op_sel:[1,1] op_sel_hi:[0,1]
	v_pk_fma_f32 v[112:113], v[106:107], v[108:109], v[110:111] op_sel_hi:[1,0,1]
	v_pk_fma_f32 v[106:107], v[106:107], v[108:109], v[110:111] neg_lo:[0,0,1] neg_hi:[0,0,1]
	s_delay_alu instid0(VALU_DEP_2)
	v_mov_b32_e32 v107, v113
	scratch_store_b64 off, v[106:107], off offset:40
.LBB114_455:
	s_wait_xcnt 0x0
	s_or_b32 exec_lo, exec_lo, s11
	scratch_load_b64 v[106:107], off, off offset:32
	v_cmp_lt_u32_e64 s1, 4, v0
	s_wait_loadcnt 0x0
	ds_store_b64 v1, v[106:107]
	s_wait_storecnt_dscnt 0x0
	s_barrier_signal -1
	s_barrier_wait -1
	s_wait_xcnt 0x0
	s_and_saveexec_b32 s10, s1
	s_cbranch_execz .LBB114_465
; %bb.456:
	s_and_not1_b32 vcc_lo, exec_lo, s5
	s_cbranch_vccnz .LBB114_458
; %bb.457:
	scratch_load_b64 v[106:107], v59, off
	ds_load_b64 v[108:109], v1
	s_wait_loadcnt_dscnt 0x0
	v_pk_mul_f32 v[110:111], v[108:109], v[106:107] op_sel:[1,1] op_sel_hi:[0,1]
	s_delay_alu instid0(VALU_DEP_1) | instskip(SKIP_1) | instid1(VALU_DEP_2)
	v_pk_fma_f32 v[112:113], v[108:109], v[106:107], v[110:111] op_sel_hi:[1,0,1]
	v_pk_fma_f32 v[106:107], v[108:109], v[106:107], v[110:111] neg_lo:[0,0,1] neg_hi:[0,0,1]
	v_mov_b32_e32 v107, v113
	s_cbranch_execz .LBB114_459
	s_branch .LBB114_460
.LBB114_458:
                                        ; implicit-def: $vgpr106_vgpr107
.LBB114_459:
	ds_load_b64 v[106:107], v1
.LBB114_460:
	s_and_saveexec_b32 s11, s0
	s_cbranch_execz .LBB114_464
; %bb.461:
	v_add_nc_u32_e32 v108, -5, v0
	s_movk_i32 s12, 0x1c8
	s_mov_b32 s0, 0
.LBB114_462:                            ; =>This Inner Loop Header: Depth=1
	scratch_load_b64 v[110:111], off, s9
	v_dual_mov_b32 v109, s12 :: v_dual_add_nc_u32 v108, -1, v108
	s_add_co_i32 s12, s12, 8
	s_wait_xcnt 0x0
	s_add_co_i32 s9, s9, 8
	ds_load_b64 v[112:113], v109
	v_cmp_eq_u32_e32 vcc_lo, 0, v108
	s_or_b32 s0, vcc_lo, s0
	s_wait_loadcnt_dscnt 0x0
	v_pk_mul_f32 v[114:115], v[112:113], v[110:111] op_sel:[1,1] op_sel_hi:[0,1]
	s_delay_alu instid0(VALU_DEP_1) | instskip(SKIP_1) | instid1(VALU_DEP_2)
	v_pk_fma_f32 v[116:117], v[112:113], v[110:111], v[114:115] op_sel_hi:[1,0,1]
	v_pk_fma_f32 v[110:111], v[112:113], v[110:111], v[114:115] neg_lo:[0,0,1] neg_hi:[0,0,1]
	v_mov_b32_e32 v111, v117
	s_delay_alu instid0(VALU_DEP_1)
	v_pk_add_f32 v[106:107], v[106:107], v[110:111]
	s_and_not1_b32 exec_lo, exec_lo, s0
	s_cbranch_execnz .LBB114_462
; %bb.463:
	s_or_b32 exec_lo, exec_lo, s0
.LBB114_464:
	s_delay_alu instid0(SALU_CYCLE_1) | instskip(SKIP_4) | instid1(VALU_DEP_1)
	s_or_b32 exec_lo, exec_lo, s11
	v_mov_b32_e32 v108, 0
	ds_load_b64 v[108:109], v108 offset:32
	s_wait_dscnt 0x0
	v_pk_mul_f32 v[110:111], v[106:107], v[108:109] op_sel:[1,1] op_sel_hi:[0,1]
	v_pk_fma_f32 v[112:113], v[106:107], v[108:109], v[110:111] op_sel_hi:[1,0,1]
	v_pk_fma_f32 v[106:107], v[106:107], v[108:109], v[110:111] neg_lo:[0,0,1] neg_hi:[0,0,1]
	s_delay_alu instid0(VALU_DEP_2)
	v_mov_b32_e32 v107, v113
	scratch_store_b64 off, v[106:107], off offset:32
.LBB114_465:
	s_wait_xcnt 0x0
	s_or_b32 exec_lo, exec_lo, s10
	scratch_load_b64 v[106:107], off, off offset:24
	v_cmp_lt_u32_e64 s0, 3, v0
	s_wait_loadcnt 0x0
	ds_store_b64 v1, v[106:107]
	s_wait_storecnt_dscnt 0x0
	s_barrier_signal -1
	s_barrier_wait -1
	s_wait_xcnt 0x0
	s_and_saveexec_b32 s9, s0
	s_cbranch_execz .LBB114_475
; %bb.466:
	s_and_not1_b32 vcc_lo, exec_lo, s5
	s_cbranch_vccnz .LBB114_468
; %bb.467:
	scratch_load_b64 v[106:107], v59, off
	ds_load_b64 v[108:109], v1
	s_wait_loadcnt_dscnt 0x0
	v_pk_mul_f32 v[110:111], v[108:109], v[106:107] op_sel:[1,1] op_sel_hi:[0,1]
	s_delay_alu instid0(VALU_DEP_1) | instskip(SKIP_1) | instid1(VALU_DEP_2)
	v_pk_fma_f32 v[112:113], v[108:109], v[106:107], v[110:111] op_sel_hi:[1,0,1]
	v_pk_fma_f32 v[106:107], v[108:109], v[106:107], v[110:111] neg_lo:[0,0,1] neg_hi:[0,0,1]
	v_mov_b32_e32 v107, v113
	s_cbranch_execz .LBB114_469
	s_branch .LBB114_470
.LBB114_468:
                                        ; implicit-def: $vgpr106_vgpr107
.LBB114_469:
	ds_load_b64 v[106:107], v1
.LBB114_470:
	s_and_saveexec_b32 s10, s1
	s_cbranch_execz .LBB114_474
; %bb.471:
	v_add_nc_u32_e32 v108, -4, v0
	s_movk_i32 s11, 0x1c0
	s_mov_b32 s1, 0
.LBB114_472:                            ; =>This Inner Loop Header: Depth=1
	scratch_load_b64 v[110:111], off, s8
	v_dual_mov_b32 v109, s11 :: v_dual_add_nc_u32 v108, -1, v108
	s_add_co_i32 s11, s11, 8
	s_wait_xcnt 0x0
	s_add_co_i32 s8, s8, 8
	ds_load_b64 v[112:113], v109
	v_cmp_eq_u32_e32 vcc_lo, 0, v108
	s_or_b32 s1, vcc_lo, s1
	s_wait_loadcnt_dscnt 0x0
	v_pk_mul_f32 v[114:115], v[112:113], v[110:111] op_sel:[1,1] op_sel_hi:[0,1]
	s_delay_alu instid0(VALU_DEP_1) | instskip(SKIP_1) | instid1(VALU_DEP_2)
	v_pk_fma_f32 v[116:117], v[112:113], v[110:111], v[114:115] op_sel_hi:[1,0,1]
	v_pk_fma_f32 v[110:111], v[112:113], v[110:111], v[114:115] neg_lo:[0,0,1] neg_hi:[0,0,1]
	v_mov_b32_e32 v111, v117
	s_delay_alu instid0(VALU_DEP_1)
	v_pk_add_f32 v[106:107], v[106:107], v[110:111]
	s_and_not1_b32 exec_lo, exec_lo, s1
	s_cbranch_execnz .LBB114_472
; %bb.473:
	s_or_b32 exec_lo, exec_lo, s1
.LBB114_474:
	s_delay_alu instid0(SALU_CYCLE_1) | instskip(SKIP_4) | instid1(VALU_DEP_1)
	s_or_b32 exec_lo, exec_lo, s10
	v_mov_b32_e32 v108, 0
	ds_load_b64 v[108:109], v108 offset:24
	s_wait_dscnt 0x0
	v_pk_mul_f32 v[110:111], v[106:107], v[108:109] op_sel:[1,1] op_sel_hi:[0,1]
	v_pk_fma_f32 v[112:113], v[106:107], v[108:109], v[110:111] op_sel_hi:[1,0,1]
	v_pk_fma_f32 v[106:107], v[106:107], v[108:109], v[110:111] neg_lo:[0,0,1] neg_hi:[0,0,1]
	s_delay_alu instid0(VALU_DEP_2)
	v_mov_b32_e32 v107, v113
	scratch_store_b64 off, v[106:107], off offset:24
.LBB114_475:
	s_wait_xcnt 0x0
	s_or_b32 exec_lo, exec_lo, s9
	scratch_load_b64 v[106:107], off, off offset:16
	v_cmp_lt_u32_e64 s1, 2, v0
	s_wait_loadcnt 0x0
	ds_store_b64 v1, v[106:107]
	s_wait_storecnt_dscnt 0x0
	s_barrier_signal -1
	s_barrier_wait -1
	s_wait_xcnt 0x0
	s_and_saveexec_b32 s8, s1
	s_cbranch_execz .LBB114_485
; %bb.476:
	s_and_not1_b32 vcc_lo, exec_lo, s5
	s_cbranch_vccnz .LBB114_478
; %bb.477:
	scratch_load_b64 v[106:107], v59, off
	ds_load_b64 v[108:109], v1
	s_wait_loadcnt_dscnt 0x0
	v_pk_mul_f32 v[110:111], v[108:109], v[106:107] op_sel:[1,1] op_sel_hi:[0,1]
	s_delay_alu instid0(VALU_DEP_1) | instskip(SKIP_1) | instid1(VALU_DEP_2)
	v_pk_fma_f32 v[112:113], v[108:109], v[106:107], v[110:111] op_sel_hi:[1,0,1]
	v_pk_fma_f32 v[106:107], v[108:109], v[106:107], v[110:111] neg_lo:[0,0,1] neg_hi:[0,0,1]
	v_mov_b32_e32 v107, v113
	s_cbranch_execz .LBB114_479
	s_branch .LBB114_480
.LBB114_478:
                                        ; implicit-def: $vgpr106_vgpr107
.LBB114_479:
	ds_load_b64 v[106:107], v1
.LBB114_480:
	s_and_saveexec_b32 s9, s0
	s_cbranch_execz .LBB114_484
; %bb.481:
	v_add_nc_u32_e32 v108, -3, v0
	s_movk_i32 s10, 0x1b8
	s_mov_b32 s0, 0
.LBB114_482:                            ; =>This Inner Loop Header: Depth=1
	scratch_load_b64 v[110:111], off, s7
	v_dual_mov_b32 v109, s10 :: v_dual_add_nc_u32 v108, -1, v108
	s_add_co_i32 s10, s10, 8
	s_wait_xcnt 0x0
	s_add_co_i32 s7, s7, 8
	ds_load_b64 v[112:113], v109
	v_cmp_eq_u32_e32 vcc_lo, 0, v108
	s_or_b32 s0, vcc_lo, s0
	s_wait_loadcnt_dscnt 0x0
	v_pk_mul_f32 v[114:115], v[112:113], v[110:111] op_sel:[1,1] op_sel_hi:[0,1]
	s_delay_alu instid0(VALU_DEP_1) | instskip(SKIP_1) | instid1(VALU_DEP_2)
	v_pk_fma_f32 v[116:117], v[112:113], v[110:111], v[114:115] op_sel_hi:[1,0,1]
	v_pk_fma_f32 v[110:111], v[112:113], v[110:111], v[114:115] neg_lo:[0,0,1] neg_hi:[0,0,1]
	v_mov_b32_e32 v111, v117
	s_delay_alu instid0(VALU_DEP_1)
	v_pk_add_f32 v[106:107], v[106:107], v[110:111]
	s_and_not1_b32 exec_lo, exec_lo, s0
	s_cbranch_execnz .LBB114_482
; %bb.483:
	s_or_b32 exec_lo, exec_lo, s0
.LBB114_484:
	s_delay_alu instid0(SALU_CYCLE_1) | instskip(SKIP_4) | instid1(VALU_DEP_1)
	s_or_b32 exec_lo, exec_lo, s9
	v_mov_b32_e32 v108, 0
	ds_load_b64 v[108:109], v108 offset:16
	s_wait_dscnt 0x0
	v_pk_mul_f32 v[110:111], v[106:107], v[108:109] op_sel:[1,1] op_sel_hi:[0,1]
	v_pk_fma_f32 v[112:113], v[106:107], v[108:109], v[110:111] op_sel_hi:[1,0,1]
	v_pk_fma_f32 v[106:107], v[106:107], v[108:109], v[110:111] neg_lo:[0,0,1] neg_hi:[0,0,1]
	s_delay_alu instid0(VALU_DEP_2)
	v_mov_b32_e32 v107, v113
	scratch_store_b64 off, v[106:107], off offset:16
.LBB114_485:
	s_wait_xcnt 0x0
	s_or_b32 exec_lo, exec_lo, s8
	scratch_load_b64 v[106:107], off, off offset:8
	v_cmp_lt_u32_e64 s0, 1, v0
	s_wait_loadcnt 0x0
	ds_store_b64 v1, v[106:107]
	s_wait_storecnt_dscnt 0x0
	s_barrier_signal -1
	s_barrier_wait -1
	s_wait_xcnt 0x0
	s_and_saveexec_b32 s7, s0
	s_cbranch_execz .LBB114_495
; %bb.486:
	s_and_not1_b32 vcc_lo, exec_lo, s5
	s_cbranch_vccnz .LBB114_488
; %bb.487:
	scratch_load_b64 v[106:107], v59, off
	ds_load_b64 v[108:109], v1
	s_wait_loadcnt_dscnt 0x0
	v_pk_mul_f32 v[110:111], v[108:109], v[106:107] op_sel:[1,1] op_sel_hi:[0,1]
	s_delay_alu instid0(VALU_DEP_1) | instskip(SKIP_1) | instid1(VALU_DEP_2)
	v_pk_fma_f32 v[112:113], v[108:109], v[106:107], v[110:111] op_sel_hi:[1,0,1]
	v_pk_fma_f32 v[106:107], v[108:109], v[106:107], v[110:111] neg_lo:[0,0,1] neg_hi:[0,0,1]
	v_mov_b32_e32 v107, v113
	s_cbranch_execz .LBB114_489
	s_branch .LBB114_490
.LBB114_488:
                                        ; implicit-def: $vgpr106_vgpr107
.LBB114_489:
	ds_load_b64 v[106:107], v1
.LBB114_490:
	s_and_saveexec_b32 s8, s1
	s_cbranch_execz .LBB114_494
; %bb.491:
	v_add_nc_u32_e32 v108, -2, v0
	s_movk_i32 s9, 0x1b0
	s_mov_b32 s1, 0
.LBB114_492:                            ; =>This Inner Loop Header: Depth=1
	scratch_load_b64 v[110:111], off, s6
	v_dual_mov_b32 v109, s9 :: v_dual_add_nc_u32 v108, -1, v108
	s_add_co_i32 s9, s9, 8
	s_wait_xcnt 0x0
	s_add_co_i32 s6, s6, 8
	ds_load_b64 v[112:113], v109
	v_cmp_eq_u32_e32 vcc_lo, 0, v108
	s_or_b32 s1, vcc_lo, s1
	s_wait_loadcnt_dscnt 0x0
	v_pk_mul_f32 v[114:115], v[112:113], v[110:111] op_sel:[1,1] op_sel_hi:[0,1]
	s_delay_alu instid0(VALU_DEP_1) | instskip(SKIP_1) | instid1(VALU_DEP_2)
	v_pk_fma_f32 v[116:117], v[112:113], v[110:111], v[114:115] op_sel_hi:[1,0,1]
	v_pk_fma_f32 v[110:111], v[112:113], v[110:111], v[114:115] neg_lo:[0,0,1] neg_hi:[0,0,1]
	v_mov_b32_e32 v111, v117
	s_delay_alu instid0(VALU_DEP_1)
	v_pk_add_f32 v[106:107], v[106:107], v[110:111]
	s_and_not1_b32 exec_lo, exec_lo, s1
	s_cbranch_execnz .LBB114_492
; %bb.493:
	s_or_b32 exec_lo, exec_lo, s1
.LBB114_494:
	s_delay_alu instid0(SALU_CYCLE_1) | instskip(SKIP_4) | instid1(VALU_DEP_1)
	s_or_b32 exec_lo, exec_lo, s8
	v_mov_b32_e32 v108, 0
	ds_load_b64 v[108:109], v108 offset:8
	s_wait_dscnt 0x0
	v_pk_mul_f32 v[110:111], v[106:107], v[108:109] op_sel:[1,1] op_sel_hi:[0,1]
	v_pk_fma_f32 v[112:113], v[106:107], v[108:109], v[110:111] op_sel_hi:[1,0,1]
	v_pk_fma_f32 v[106:107], v[106:107], v[108:109], v[110:111] neg_lo:[0,0,1] neg_hi:[0,0,1]
	s_delay_alu instid0(VALU_DEP_2)
	v_mov_b32_e32 v107, v113
	scratch_store_b64 off, v[106:107], off offset:8
.LBB114_495:
	s_wait_xcnt 0x0
	s_or_b32 exec_lo, exec_lo, s7
	scratch_load_b64 v[106:107], off, off
	s_mov_b32 s6, 0
	s_mov_b32 s1, 0
	s_mov_b32 s8, exec_lo
                                        ; implicit-def: $vgpr152
                                        ; implicit-def: $sgpr7
	s_wait_loadcnt 0x0
	ds_store_b64 v1, v[106:107]
	s_wait_storecnt_dscnt 0x0
	s_barrier_signal -1
	s_barrier_wait -1
	s_wait_xcnt 0x0
	v_cmpx_ne_u32_e32 0, v0
	s_cbranch_execz .LBB114_505
; %bb.496:
	s_and_not1_b32 vcc_lo, exec_lo, s5
	s_cbranch_vccnz .LBB114_498
; %bb.497:
	scratch_load_b64 v[108:109], v59, off
	ds_load_b64 v[110:111], v1
	s_wait_loadcnt_dscnt 0x0
	v_dual_mul_f32 v106, v111, v109 :: v_dual_mul_f32 v107, v110, v109
	s_delay_alu instid0(VALU_DEP_1)
	v_dual_fma_f32 v106, v110, v108, -v106 :: v_dual_fmac_f32 v107, v111, v108
	s_and_not1_b32 vcc_lo, exec_lo, s1
	s_cbranch_vccz .LBB114_499
	s_branch .LBB114_500
.LBB114_498:
                                        ; implicit-def: $vgpr106
.LBB114_499:
	ds_load_b64 v[106:107], v1
.LBB114_500:
	s_and_saveexec_b32 s1, s0
	s_cbranch_execz .LBB114_504
; %bb.501:
	v_add_nc_u32_e32 v108, -1, v0
	s_movk_i32 s7, 0x1a8
	s_mov_b32 s0, 0
.LBB114_502:                            ; =>This Inner Loop Header: Depth=1
	scratch_load_b64 v[110:111], off, s4
	v_mov_b32_e32 v109, s7
	s_add_co_i32 s7, s7, 8
	s_wait_xcnt 0x0
	s_add_co_i32 s4, s4, 8
	v_add_nc_u32_e32 v108, -1, v108
	ds_load_b64 v[112:113], v109
	v_cmp_eq_u32_e32 vcc_lo, 0, v108
	s_or_b32 s0, vcc_lo, s0
	s_wait_loadcnt_dscnt 0x0
	v_dual_mul_f32 v109, v113, v111 :: v_dual_mul_f32 v111, v112, v111
	s_delay_alu instid0(VALU_DEP_1) | instskip(NEXT) | instid1(VALU_DEP_1)
	v_dual_fma_f32 v109, v112, v110, -v109 :: v_dual_fmac_f32 v111, v113, v110
	v_dual_add_f32 v106, v106, v109 :: v_dual_add_f32 v107, v107, v111
	s_and_not1_b32 exec_lo, exec_lo, s0
	s_cbranch_execnz .LBB114_502
; %bb.503:
	s_or_b32 exec_lo, exec_lo, s0
.LBB114_504:
	s_delay_alu instid0(SALU_CYCLE_1)
	s_or_b32 exec_lo, exec_lo, s1
	v_mov_b32_e32 v108, 0
	s_mov_b32 s1, exec_lo
	s_or_b32 s7, 0, 4
	ds_load_b64 v[108:109], v108
	s_wait_dscnt 0x0
	v_dual_mul_f32 v110, v107, v109 :: v_dual_mul_f32 v152, v106, v109
	s_delay_alu instid0(VALU_DEP_1)
	v_dual_fma_f32 v106, v106, v108, -v110 :: v_dual_fmac_f32 v152, v107, v108
	scratch_store_b32 off, v106, off
.LBB114_505:
	s_wait_xcnt 0x0
	s_or_b32 exec_lo, exec_lo, s8
	s_delay_alu instid0(SALU_CYCLE_1)
	s_and_b32 vcc_lo, exec_lo, s6
	s_cbranch_vccz .LBB114_1001
.LBB114_506:
	scratch_load_b64 v[106:107], off, off offset:8
	v_cmp_eq_u32_e64 s0, 0, v0
	s_wait_loadcnt 0x0
	ds_store_b64 v1, v[106:107]
	s_wait_storecnt_dscnt 0x0
	s_barrier_signal -1
	s_barrier_wait -1
	s_wait_xcnt 0x0
	s_and_saveexec_b32 s4, s0
	s_cbranch_execz .LBB114_512
; %bb.507:
	s_and_b32 vcc_lo, exec_lo, s5
	s_cbranch_vccz .LBB114_509
; %bb.508:
	scratch_load_b64 v[106:107], v59, off
	ds_load_b64 v[108:109], v1
	s_wait_loadcnt_dscnt 0x0
	v_pk_mul_f32 v[110:111], v[108:109], v[106:107] op_sel:[1,1] op_sel_hi:[0,1]
	v_pk_mul_f32 v[112:113], v[108:109], v[106:107] op_sel_hi:[1,0]
	s_delay_alu instid0(VALU_DEP_2) | instskip(NEXT) | instid1(VALU_DEP_2)
	v_pk_fma_f32 v[106:107], v[108:109], v[106:107], v[110:111] op_sel_hi:[1,0,1]
	v_sub_f32_e32 v106, v112, v110
	s_cbranch_execz .LBB114_510
	s_branch .LBB114_511
.LBB114_509:
                                        ; implicit-def: $vgpr107
.LBB114_510:
	ds_load_b64 v[106:107], v1
.LBB114_511:
	s_wait_dscnt 0x0
	v_dual_mov_b32 v108, 0 :: v_dual_mov_b32 v110, v107
	v_mov_b32_e32 v111, v106
	ds_load_b64 v[108:109], v108 offset:8
	s_wait_dscnt 0x0
	v_pk_mul_f32 v[110:111], v[110:111], v[108:109] op_sel:[0,1]
	s_delay_alu instid0(VALU_DEP_1) | instskip(SKIP_1) | instid1(VALU_DEP_2)
	v_pk_fma_f32 v[112:113], v[106:107], v[108:109], v[110:111] op_sel_hi:[1,0,1]
	v_pk_fma_f32 v[106:107], v[106:107], v[108:109], v[110:111] neg_lo:[0,0,1] neg_hi:[0,0,1]
	v_mov_b32_e32 v107, v113
	scratch_store_b64 off, v[106:107], off offset:8
.LBB114_512:
	s_wait_xcnt 0x0
	s_or_b32 exec_lo, exec_lo, s4
	scratch_load_b64 v[106:107], off, off offset:16
	v_cndmask_b32_e64 v108, 0, 1, s5
	s_mov_b32 s4, exec_lo
	s_wait_loadcnt 0x0
	ds_store_b64 v1, v[106:107]
	s_wait_storecnt_dscnt 0x0
	s_barrier_signal -1
	s_barrier_wait -1
	s_wait_xcnt 0x0
	v_cmpx_gt_u32_e32 2, v0
	s_cbranch_execz .LBB114_520
; %bb.513:
	s_and_not1_b32 vcc_lo, exec_lo, s5
	s_cbranch_vccnz .LBB114_515
; %bb.514:
	scratch_load_b64 v[106:107], v59, off
	ds_load_b64 v[110:111], v1
	s_wait_loadcnt_dscnt 0x0
	v_pk_mul_f32 v[112:113], v[110:111], v[106:107] op_sel:[1,1] op_sel_hi:[0,1]
	s_delay_alu instid0(VALU_DEP_1) | instskip(SKIP_1) | instid1(VALU_DEP_2)
	v_pk_fma_f32 v[114:115], v[110:111], v[106:107], v[112:113] op_sel_hi:[1,0,1]
	v_pk_fma_f32 v[106:107], v[110:111], v[106:107], v[112:113] neg_lo:[0,0,1] neg_hi:[0,0,1]
	v_mov_b32_e32 v107, v115
	s_cbranch_execz .LBB114_516
	s_branch .LBB114_517
.LBB114_515:
                                        ; implicit-def: $vgpr106_vgpr107
.LBB114_516:
	ds_load_b64 v[106:107], v1
.LBB114_517:
	s_and_saveexec_b32 s5, s0
	s_cbranch_execz .LBB114_519
; %bb.518:
	scratch_load_b64 v[110:111], off, off offset:8
	v_mov_b32_e32 v109, 0
	ds_load_b64 v[112:113], v109 offset:424
	s_wait_loadcnt_dscnt 0x0
	v_pk_mul_f32 v[114:115], v[112:113], v[110:111] op_sel:[1,1] op_sel_hi:[0,1]
	s_delay_alu instid0(VALU_DEP_1) | instskip(SKIP_1) | instid1(VALU_DEP_2)
	v_pk_fma_f32 v[116:117], v[112:113], v[110:111], v[114:115] op_sel_hi:[1,0,1]
	v_pk_fma_f32 v[110:111], v[112:113], v[110:111], v[114:115] neg_lo:[0,0,1] neg_hi:[0,0,1]
	v_mov_b32_e32 v111, v117
	s_delay_alu instid0(VALU_DEP_1)
	v_pk_add_f32 v[106:107], v[106:107], v[110:111]
.LBB114_519:
	s_or_b32 exec_lo, exec_lo, s5
	v_mov_b32_e32 v109, 0
	ds_load_b64 v[110:111], v109 offset:16
	s_wait_dscnt 0x0
	v_pk_mul_f32 v[112:113], v[106:107], v[110:111] op_sel:[1,1] op_sel_hi:[0,1]
	s_delay_alu instid0(VALU_DEP_1) | instskip(SKIP_1) | instid1(VALU_DEP_2)
	v_pk_fma_f32 v[114:115], v[106:107], v[110:111], v[112:113] op_sel_hi:[1,0,1]
	v_pk_fma_f32 v[106:107], v[106:107], v[110:111], v[112:113] neg_lo:[0,0,1] neg_hi:[0,0,1]
	v_mov_b32_e32 v107, v115
	scratch_store_b64 off, v[106:107], off offset:16
.LBB114_520:
	s_wait_xcnt 0x0
	s_or_b32 exec_lo, exec_lo, s4
	scratch_load_b64 v[106:107], off, off offset:24
	s_mov_b32 s4, exec_lo
	s_wait_loadcnt 0x0
	ds_store_b64 v1, v[106:107]
	s_wait_storecnt_dscnt 0x0
	s_barrier_signal -1
	s_barrier_wait -1
	s_wait_xcnt 0x0
	v_cmpx_gt_u32_e32 3, v0
	s_cbranch_execz .LBB114_530
; %bb.521:
	v_cmp_ne_u32_e32 vcc_lo, 1, v108
	s_cbranch_vccnz .LBB114_523
; %bb.522:
	scratch_load_b64 v[106:107], v59, off
	ds_load_b64 v[110:111], v1
	s_wait_loadcnt_dscnt 0x0
	v_pk_mul_f32 v[112:113], v[110:111], v[106:107] op_sel:[1,1] op_sel_hi:[0,1]
	s_delay_alu instid0(VALU_DEP_1) | instskip(SKIP_1) | instid1(VALU_DEP_2)
	v_pk_fma_f32 v[114:115], v[110:111], v[106:107], v[112:113] op_sel_hi:[1,0,1]
	v_pk_fma_f32 v[106:107], v[110:111], v[106:107], v[112:113] neg_lo:[0,0,1] neg_hi:[0,0,1]
	v_mov_b32_e32 v107, v115
	s_cbranch_execz .LBB114_524
	s_branch .LBB114_525
.LBB114_523:
                                        ; implicit-def: $vgpr106_vgpr107
.LBB114_524:
	ds_load_b64 v[106:107], v1
.LBB114_525:
	s_mov_b32 s5, exec_lo
	v_cmpx_ne_u32_e32 2, v0
	s_cbranch_execz .LBB114_529
; %bb.526:
	scratch_load_b64 v[110:111], v59, off offset:8
	ds_load_b64 v[112:113], v1 offset:8
	s_wait_loadcnt_dscnt 0x0
	v_pk_mul_f32 v[114:115], v[112:113], v[110:111] op_sel:[1,1] op_sel_hi:[0,1]
	s_delay_alu instid0(VALU_DEP_1) | instskip(SKIP_1) | instid1(VALU_DEP_2)
	v_pk_fma_f32 v[116:117], v[112:113], v[110:111], v[114:115] op_sel_hi:[1,0,1]
	v_pk_fma_f32 v[110:111], v[112:113], v[110:111], v[114:115] neg_lo:[0,0,1] neg_hi:[0,0,1]
	v_mov_b32_e32 v111, v117
	s_delay_alu instid0(VALU_DEP_1)
	v_pk_add_f32 v[106:107], v[106:107], v[110:111]
	s_and_saveexec_b32 s6, s0
	s_cbranch_execz .LBB114_528
; %bb.527:
	scratch_load_b64 v[110:111], off, off offset:16
	v_mov_b32_e32 v109, 0
	ds_load_b64 v[112:113], v109 offset:432
	s_wait_loadcnt_dscnt 0x0
	v_pk_mul_f32 v[114:115], v[112:113], v[110:111] op_sel:[1,1] op_sel_hi:[0,1]
	s_delay_alu instid0(VALU_DEP_1) | instskip(SKIP_1) | instid1(VALU_DEP_2)
	v_pk_fma_f32 v[116:117], v[112:113], v[110:111], v[114:115] op_sel_hi:[1,0,1]
	v_pk_fma_f32 v[110:111], v[112:113], v[110:111], v[114:115] neg_lo:[0,0,1] neg_hi:[0,0,1]
	v_mov_b32_e32 v111, v117
	s_delay_alu instid0(VALU_DEP_1)
	v_pk_add_f32 v[106:107], v[106:107], v[110:111]
.LBB114_528:
	s_or_b32 exec_lo, exec_lo, s6
.LBB114_529:
	s_delay_alu instid0(SALU_CYCLE_1) | instskip(SKIP_4) | instid1(VALU_DEP_1)
	s_or_b32 exec_lo, exec_lo, s5
	v_mov_b32_e32 v109, 0
	ds_load_b64 v[110:111], v109 offset:24
	s_wait_dscnt 0x0
	v_pk_mul_f32 v[112:113], v[106:107], v[110:111] op_sel:[1,1] op_sel_hi:[0,1]
	v_pk_fma_f32 v[114:115], v[106:107], v[110:111], v[112:113] op_sel_hi:[1,0,1]
	v_pk_fma_f32 v[106:107], v[106:107], v[110:111], v[112:113] neg_lo:[0,0,1] neg_hi:[0,0,1]
	s_delay_alu instid0(VALU_DEP_2)
	v_mov_b32_e32 v107, v115
	scratch_store_b64 off, v[106:107], off offset:24
.LBB114_530:
	s_wait_xcnt 0x0
	s_or_b32 exec_lo, exec_lo, s4
	scratch_load_b64 v[106:107], off, off offset:32
	s_mov_b32 s0, exec_lo
	s_wait_loadcnt 0x0
	ds_store_b64 v1, v[106:107]
	s_wait_storecnt_dscnt 0x0
	s_barrier_signal -1
	s_barrier_wait -1
	s_wait_xcnt 0x0
	v_cmpx_gt_u32_e32 4, v0
	s_cbranch_execz .LBB114_540
; %bb.531:
	v_cmp_ne_u32_e32 vcc_lo, 1, v108
	s_cbranch_vccnz .LBB114_533
; %bb.532:
	scratch_load_b64 v[106:107], v59, off
	ds_load_b64 v[110:111], v1
	s_wait_loadcnt_dscnt 0x0
	v_pk_mul_f32 v[112:113], v[110:111], v[106:107] op_sel:[1,1] op_sel_hi:[0,1]
	s_delay_alu instid0(VALU_DEP_1) | instskip(SKIP_1) | instid1(VALU_DEP_2)
	v_pk_fma_f32 v[114:115], v[110:111], v[106:107], v[112:113] op_sel_hi:[1,0,1]
	v_pk_fma_f32 v[106:107], v[110:111], v[106:107], v[112:113] neg_lo:[0,0,1] neg_hi:[0,0,1]
	v_mov_b32_e32 v107, v115
	s_cbranch_execz .LBB114_534
	s_branch .LBB114_535
.LBB114_533:
                                        ; implicit-def: $vgpr106_vgpr107
.LBB114_534:
	ds_load_b64 v[106:107], v1
.LBB114_535:
	s_mov_b32 s4, exec_lo
	v_cmpx_ne_u32_e32 3, v0
	s_cbranch_execz .LBB114_539
; %bb.536:
	v_add_nc_u32_e32 v109, 0x1a8, v58
	v_add3_u32 v110, 0, v58, 8
	v_mov_b32_e32 v111, v0
	s_mov_b32 s5, 0
.LBB114_537:                            ; =>This Inner Loop Header: Depth=1
	scratch_load_b64 v[112:113], v110, off
	ds_load_b64 v[114:115], v109
	s_wait_xcnt 0x0
	v_dual_add_nc_u32 v109, 8, v109 :: v_dual_add_nc_u32 v110, 8, v110
	s_wait_loadcnt_dscnt 0x0
	v_pk_mul_f32 v[116:117], v[114:115], v[112:113] op_sel:[1,1] op_sel_hi:[0,1]
	s_delay_alu instid0(VALU_DEP_1) | instskip(SKIP_2) | instid1(VALU_DEP_3)
	v_pk_fma_f32 v[118:119], v[114:115], v[112:113], v[116:117] op_sel_hi:[1,0,1]
	v_add_nc_u32_e32 v111, 1, v111
	v_pk_fma_f32 v[112:113], v[114:115], v[112:113], v[116:117] neg_lo:[0,0,1] neg_hi:[0,0,1]
	v_mov_b32_e32 v113, v119
	s_delay_alu instid0(VALU_DEP_3) | instskip(NEXT) | instid1(VALU_DEP_2)
	v_cmp_lt_u32_e32 vcc_lo, 2, v111
	v_pk_add_f32 v[106:107], v[106:107], v[112:113]
	s_or_b32 s5, vcc_lo, s5
	s_delay_alu instid0(SALU_CYCLE_1)
	s_and_not1_b32 exec_lo, exec_lo, s5
	s_cbranch_execnz .LBB114_537
; %bb.538:
	s_or_b32 exec_lo, exec_lo, s5
.LBB114_539:
	s_delay_alu instid0(SALU_CYCLE_1) | instskip(SKIP_4) | instid1(VALU_DEP_1)
	s_or_b32 exec_lo, exec_lo, s4
	v_mov_b32_e32 v109, 0
	ds_load_b64 v[110:111], v109 offset:32
	s_wait_dscnt 0x0
	v_pk_mul_f32 v[112:113], v[106:107], v[110:111] op_sel:[1,1] op_sel_hi:[0,1]
	v_pk_fma_f32 v[114:115], v[106:107], v[110:111], v[112:113] op_sel_hi:[1,0,1]
	v_pk_fma_f32 v[106:107], v[106:107], v[110:111], v[112:113] neg_lo:[0,0,1] neg_hi:[0,0,1]
	s_delay_alu instid0(VALU_DEP_2)
	v_mov_b32_e32 v107, v115
	scratch_store_b64 off, v[106:107], off offset:32
.LBB114_540:
	s_wait_xcnt 0x0
	s_or_b32 exec_lo, exec_lo, s0
	scratch_load_b64 v[106:107], off, off offset:40
	s_mov_b32 s0, exec_lo
	s_wait_loadcnt 0x0
	ds_store_b64 v1, v[106:107]
	s_wait_storecnt_dscnt 0x0
	s_barrier_signal -1
	s_barrier_wait -1
	s_wait_xcnt 0x0
	v_cmpx_gt_u32_e32 5, v0
	s_cbranch_execz .LBB114_550
; %bb.541:
	v_cmp_ne_u32_e32 vcc_lo, 1, v108
	s_cbranch_vccnz .LBB114_543
; %bb.542:
	scratch_load_b64 v[106:107], v59, off
	ds_load_b64 v[110:111], v1
	s_wait_loadcnt_dscnt 0x0
	v_pk_mul_f32 v[112:113], v[110:111], v[106:107] op_sel:[1,1] op_sel_hi:[0,1]
	s_delay_alu instid0(VALU_DEP_1) | instskip(SKIP_1) | instid1(VALU_DEP_2)
	v_pk_fma_f32 v[114:115], v[110:111], v[106:107], v[112:113] op_sel_hi:[1,0,1]
	v_pk_fma_f32 v[106:107], v[110:111], v[106:107], v[112:113] neg_lo:[0,0,1] neg_hi:[0,0,1]
	v_mov_b32_e32 v107, v115
	s_cbranch_execz .LBB114_544
	s_branch .LBB114_545
.LBB114_543:
                                        ; implicit-def: $vgpr106_vgpr107
.LBB114_544:
	ds_load_b64 v[106:107], v1
.LBB114_545:
	s_mov_b32 s4, exec_lo
	v_cmpx_ne_u32_e32 4, v0
	s_cbranch_execz .LBB114_549
; %bb.546:
	v_add_nc_u32_e32 v109, 0x1a8, v58
	v_add3_u32 v110, 0, v58, 8
	v_mov_b32_e32 v111, v0
	s_mov_b32 s5, 0
.LBB114_547:                            ; =>This Inner Loop Header: Depth=1
	scratch_load_b64 v[112:113], v110, off
	ds_load_b64 v[114:115], v109
	s_wait_xcnt 0x0
	v_dual_add_nc_u32 v109, 8, v109 :: v_dual_add_nc_u32 v110, 8, v110
	s_wait_loadcnt_dscnt 0x0
	v_pk_mul_f32 v[116:117], v[114:115], v[112:113] op_sel:[1,1] op_sel_hi:[0,1]
	s_delay_alu instid0(VALU_DEP_1) | instskip(SKIP_2) | instid1(VALU_DEP_3)
	v_pk_fma_f32 v[118:119], v[114:115], v[112:113], v[116:117] op_sel_hi:[1,0,1]
	v_add_nc_u32_e32 v111, 1, v111
	v_pk_fma_f32 v[112:113], v[114:115], v[112:113], v[116:117] neg_lo:[0,0,1] neg_hi:[0,0,1]
	v_mov_b32_e32 v113, v119
	s_delay_alu instid0(VALU_DEP_3) | instskip(NEXT) | instid1(VALU_DEP_2)
	v_cmp_lt_u32_e32 vcc_lo, 3, v111
	v_pk_add_f32 v[106:107], v[106:107], v[112:113]
	s_or_b32 s5, vcc_lo, s5
	s_delay_alu instid0(SALU_CYCLE_1)
	s_and_not1_b32 exec_lo, exec_lo, s5
	s_cbranch_execnz .LBB114_547
; %bb.548:
	s_or_b32 exec_lo, exec_lo, s5
.LBB114_549:
	s_delay_alu instid0(SALU_CYCLE_1) | instskip(SKIP_4) | instid1(VALU_DEP_1)
	s_or_b32 exec_lo, exec_lo, s4
	v_mov_b32_e32 v109, 0
	ds_load_b64 v[110:111], v109 offset:40
	s_wait_dscnt 0x0
	v_pk_mul_f32 v[112:113], v[106:107], v[110:111] op_sel:[1,1] op_sel_hi:[0,1]
	v_pk_fma_f32 v[114:115], v[106:107], v[110:111], v[112:113] op_sel_hi:[1,0,1]
	v_pk_fma_f32 v[106:107], v[106:107], v[110:111], v[112:113] neg_lo:[0,0,1] neg_hi:[0,0,1]
	s_delay_alu instid0(VALU_DEP_2)
	v_mov_b32_e32 v107, v115
	scratch_store_b64 off, v[106:107], off offset:40
.LBB114_550:
	s_wait_xcnt 0x0
	s_or_b32 exec_lo, exec_lo, s0
	scratch_load_b64 v[106:107], off, off offset:48
	s_mov_b32 s0, exec_lo
	s_wait_loadcnt 0x0
	ds_store_b64 v1, v[106:107]
	s_wait_storecnt_dscnt 0x0
	s_barrier_signal -1
	s_barrier_wait -1
	s_wait_xcnt 0x0
	v_cmpx_gt_u32_e32 6, v0
	s_cbranch_execz .LBB114_560
; %bb.551:
	v_cmp_ne_u32_e32 vcc_lo, 1, v108
	s_cbranch_vccnz .LBB114_553
; %bb.552:
	scratch_load_b64 v[106:107], v59, off
	ds_load_b64 v[110:111], v1
	s_wait_loadcnt_dscnt 0x0
	v_pk_mul_f32 v[112:113], v[110:111], v[106:107] op_sel:[1,1] op_sel_hi:[0,1]
	s_delay_alu instid0(VALU_DEP_1) | instskip(SKIP_1) | instid1(VALU_DEP_2)
	v_pk_fma_f32 v[114:115], v[110:111], v[106:107], v[112:113] op_sel_hi:[1,0,1]
	v_pk_fma_f32 v[106:107], v[110:111], v[106:107], v[112:113] neg_lo:[0,0,1] neg_hi:[0,0,1]
	v_mov_b32_e32 v107, v115
	s_cbranch_execz .LBB114_554
	s_branch .LBB114_555
.LBB114_553:
                                        ; implicit-def: $vgpr106_vgpr107
.LBB114_554:
	ds_load_b64 v[106:107], v1
.LBB114_555:
	s_mov_b32 s4, exec_lo
	v_cmpx_ne_u32_e32 5, v0
	s_cbranch_execz .LBB114_559
; %bb.556:
	v_add_nc_u32_e32 v109, 0x1a8, v58
	v_add3_u32 v110, 0, v58, 8
	v_mov_b32_e32 v111, v0
	s_mov_b32 s5, 0
.LBB114_557:                            ; =>This Inner Loop Header: Depth=1
	scratch_load_b64 v[112:113], v110, off
	ds_load_b64 v[114:115], v109
	s_wait_xcnt 0x0
	v_dual_add_nc_u32 v109, 8, v109 :: v_dual_add_nc_u32 v110, 8, v110
	s_wait_loadcnt_dscnt 0x0
	v_pk_mul_f32 v[116:117], v[114:115], v[112:113] op_sel:[1,1] op_sel_hi:[0,1]
	s_delay_alu instid0(VALU_DEP_1) | instskip(SKIP_2) | instid1(VALU_DEP_3)
	v_pk_fma_f32 v[118:119], v[114:115], v[112:113], v[116:117] op_sel_hi:[1,0,1]
	v_add_nc_u32_e32 v111, 1, v111
	v_pk_fma_f32 v[112:113], v[114:115], v[112:113], v[116:117] neg_lo:[0,0,1] neg_hi:[0,0,1]
	v_mov_b32_e32 v113, v119
	s_delay_alu instid0(VALU_DEP_3) | instskip(NEXT) | instid1(VALU_DEP_2)
	v_cmp_lt_u32_e32 vcc_lo, 4, v111
	v_pk_add_f32 v[106:107], v[106:107], v[112:113]
	s_or_b32 s5, vcc_lo, s5
	s_delay_alu instid0(SALU_CYCLE_1)
	s_and_not1_b32 exec_lo, exec_lo, s5
	s_cbranch_execnz .LBB114_557
; %bb.558:
	s_or_b32 exec_lo, exec_lo, s5
.LBB114_559:
	s_delay_alu instid0(SALU_CYCLE_1) | instskip(SKIP_4) | instid1(VALU_DEP_1)
	s_or_b32 exec_lo, exec_lo, s4
	v_mov_b32_e32 v109, 0
	ds_load_b64 v[110:111], v109 offset:48
	s_wait_dscnt 0x0
	v_pk_mul_f32 v[112:113], v[106:107], v[110:111] op_sel:[1,1] op_sel_hi:[0,1]
	v_pk_fma_f32 v[114:115], v[106:107], v[110:111], v[112:113] op_sel_hi:[1,0,1]
	v_pk_fma_f32 v[106:107], v[106:107], v[110:111], v[112:113] neg_lo:[0,0,1] neg_hi:[0,0,1]
	s_delay_alu instid0(VALU_DEP_2)
	v_mov_b32_e32 v107, v115
	scratch_store_b64 off, v[106:107], off offset:48
.LBB114_560:
	s_wait_xcnt 0x0
	s_or_b32 exec_lo, exec_lo, s0
	scratch_load_b64 v[106:107], off, off offset:56
	s_mov_b32 s0, exec_lo
	s_wait_loadcnt 0x0
	ds_store_b64 v1, v[106:107]
	s_wait_storecnt_dscnt 0x0
	s_barrier_signal -1
	s_barrier_wait -1
	s_wait_xcnt 0x0
	v_cmpx_gt_u32_e32 7, v0
	s_cbranch_execz .LBB114_570
; %bb.561:
	v_cmp_ne_u32_e32 vcc_lo, 1, v108
	s_cbranch_vccnz .LBB114_563
; %bb.562:
	scratch_load_b64 v[106:107], v59, off
	ds_load_b64 v[110:111], v1
	s_wait_loadcnt_dscnt 0x0
	v_pk_mul_f32 v[112:113], v[110:111], v[106:107] op_sel:[1,1] op_sel_hi:[0,1]
	s_delay_alu instid0(VALU_DEP_1) | instskip(SKIP_1) | instid1(VALU_DEP_2)
	v_pk_fma_f32 v[114:115], v[110:111], v[106:107], v[112:113] op_sel_hi:[1,0,1]
	v_pk_fma_f32 v[106:107], v[110:111], v[106:107], v[112:113] neg_lo:[0,0,1] neg_hi:[0,0,1]
	v_mov_b32_e32 v107, v115
	s_cbranch_execz .LBB114_564
	s_branch .LBB114_565
.LBB114_563:
                                        ; implicit-def: $vgpr106_vgpr107
.LBB114_564:
	ds_load_b64 v[106:107], v1
.LBB114_565:
	s_mov_b32 s4, exec_lo
	v_cmpx_ne_u32_e32 6, v0
	s_cbranch_execz .LBB114_569
; %bb.566:
	v_add_nc_u32_e32 v109, 0x1a8, v58
	v_add3_u32 v110, 0, v58, 8
	v_mov_b32_e32 v111, v0
	s_mov_b32 s5, 0
.LBB114_567:                            ; =>This Inner Loop Header: Depth=1
	scratch_load_b64 v[112:113], v110, off
	ds_load_b64 v[114:115], v109
	s_wait_xcnt 0x0
	v_dual_add_nc_u32 v109, 8, v109 :: v_dual_add_nc_u32 v110, 8, v110
	s_wait_loadcnt_dscnt 0x0
	v_pk_mul_f32 v[116:117], v[114:115], v[112:113] op_sel:[1,1] op_sel_hi:[0,1]
	s_delay_alu instid0(VALU_DEP_1) | instskip(SKIP_2) | instid1(VALU_DEP_3)
	v_pk_fma_f32 v[118:119], v[114:115], v[112:113], v[116:117] op_sel_hi:[1,0,1]
	v_add_nc_u32_e32 v111, 1, v111
	v_pk_fma_f32 v[112:113], v[114:115], v[112:113], v[116:117] neg_lo:[0,0,1] neg_hi:[0,0,1]
	v_mov_b32_e32 v113, v119
	s_delay_alu instid0(VALU_DEP_3) | instskip(NEXT) | instid1(VALU_DEP_2)
	v_cmp_lt_u32_e32 vcc_lo, 5, v111
	v_pk_add_f32 v[106:107], v[106:107], v[112:113]
	s_or_b32 s5, vcc_lo, s5
	s_delay_alu instid0(SALU_CYCLE_1)
	s_and_not1_b32 exec_lo, exec_lo, s5
	s_cbranch_execnz .LBB114_567
; %bb.568:
	s_or_b32 exec_lo, exec_lo, s5
.LBB114_569:
	s_delay_alu instid0(SALU_CYCLE_1) | instskip(SKIP_4) | instid1(VALU_DEP_1)
	s_or_b32 exec_lo, exec_lo, s4
	v_mov_b32_e32 v109, 0
	ds_load_b64 v[110:111], v109 offset:56
	s_wait_dscnt 0x0
	v_pk_mul_f32 v[112:113], v[106:107], v[110:111] op_sel:[1,1] op_sel_hi:[0,1]
	v_pk_fma_f32 v[114:115], v[106:107], v[110:111], v[112:113] op_sel_hi:[1,0,1]
	v_pk_fma_f32 v[106:107], v[106:107], v[110:111], v[112:113] neg_lo:[0,0,1] neg_hi:[0,0,1]
	s_delay_alu instid0(VALU_DEP_2)
	v_mov_b32_e32 v107, v115
	scratch_store_b64 off, v[106:107], off offset:56
.LBB114_570:
	s_wait_xcnt 0x0
	s_or_b32 exec_lo, exec_lo, s0
	scratch_load_b64 v[106:107], off, off offset:64
	s_mov_b32 s0, exec_lo
	s_wait_loadcnt 0x0
	ds_store_b64 v1, v[106:107]
	s_wait_storecnt_dscnt 0x0
	s_barrier_signal -1
	s_barrier_wait -1
	s_wait_xcnt 0x0
	v_cmpx_gt_u32_e32 8, v0
	s_cbranch_execz .LBB114_580
; %bb.571:
	v_cmp_ne_u32_e32 vcc_lo, 1, v108
	s_cbranch_vccnz .LBB114_573
; %bb.572:
	scratch_load_b64 v[106:107], v59, off
	ds_load_b64 v[110:111], v1
	s_wait_loadcnt_dscnt 0x0
	v_pk_mul_f32 v[112:113], v[110:111], v[106:107] op_sel:[1,1] op_sel_hi:[0,1]
	s_delay_alu instid0(VALU_DEP_1) | instskip(SKIP_1) | instid1(VALU_DEP_2)
	v_pk_fma_f32 v[114:115], v[110:111], v[106:107], v[112:113] op_sel_hi:[1,0,1]
	v_pk_fma_f32 v[106:107], v[110:111], v[106:107], v[112:113] neg_lo:[0,0,1] neg_hi:[0,0,1]
	v_mov_b32_e32 v107, v115
	s_cbranch_execz .LBB114_574
	s_branch .LBB114_575
.LBB114_573:
                                        ; implicit-def: $vgpr106_vgpr107
.LBB114_574:
	ds_load_b64 v[106:107], v1
.LBB114_575:
	s_mov_b32 s4, exec_lo
	v_cmpx_ne_u32_e32 7, v0
	s_cbranch_execz .LBB114_579
; %bb.576:
	v_add_nc_u32_e32 v109, 0x1a8, v58
	v_add3_u32 v110, 0, v58, 8
	v_mov_b32_e32 v111, v0
	s_mov_b32 s5, 0
.LBB114_577:                            ; =>This Inner Loop Header: Depth=1
	scratch_load_b64 v[112:113], v110, off
	ds_load_b64 v[114:115], v109
	s_wait_xcnt 0x0
	v_dual_add_nc_u32 v109, 8, v109 :: v_dual_add_nc_u32 v110, 8, v110
	s_wait_loadcnt_dscnt 0x0
	v_pk_mul_f32 v[116:117], v[114:115], v[112:113] op_sel:[1,1] op_sel_hi:[0,1]
	s_delay_alu instid0(VALU_DEP_1) | instskip(SKIP_2) | instid1(VALU_DEP_3)
	v_pk_fma_f32 v[118:119], v[114:115], v[112:113], v[116:117] op_sel_hi:[1,0,1]
	v_add_nc_u32_e32 v111, 1, v111
	v_pk_fma_f32 v[112:113], v[114:115], v[112:113], v[116:117] neg_lo:[0,0,1] neg_hi:[0,0,1]
	v_mov_b32_e32 v113, v119
	s_delay_alu instid0(VALU_DEP_3) | instskip(NEXT) | instid1(VALU_DEP_2)
	v_cmp_lt_u32_e32 vcc_lo, 6, v111
	v_pk_add_f32 v[106:107], v[106:107], v[112:113]
	s_or_b32 s5, vcc_lo, s5
	s_delay_alu instid0(SALU_CYCLE_1)
	s_and_not1_b32 exec_lo, exec_lo, s5
	s_cbranch_execnz .LBB114_577
; %bb.578:
	s_or_b32 exec_lo, exec_lo, s5
.LBB114_579:
	s_delay_alu instid0(SALU_CYCLE_1) | instskip(SKIP_4) | instid1(VALU_DEP_1)
	s_or_b32 exec_lo, exec_lo, s4
	v_mov_b32_e32 v109, 0
	ds_load_b64 v[110:111], v109 offset:64
	s_wait_dscnt 0x0
	v_pk_mul_f32 v[112:113], v[106:107], v[110:111] op_sel:[1,1] op_sel_hi:[0,1]
	v_pk_fma_f32 v[114:115], v[106:107], v[110:111], v[112:113] op_sel_hi:[1,0,1]
	v_pk_fma_f32 v[106:107], v[106:107], v[110:111], v[112:113] neg_lo:[0,0,1] neg_hi:[0,0,1]
	s_delay_alu instid0(VALU_DEP_2)
	v_mov_b32_e32 v107, v115
	scratch_store_b64 off, v[106:107], off offset:64
.LBB114_580:
	s_wait_xcnt 0x0
	s_or_b32 exec_lo, exec_lo, s0
	scratch_load_b64 v[106:107], off, off offset:72
	s_mov_b32 s0, exec_lo
	s_wait_loadcnt 0x0
	ds_store_b64 v1, v[106:107]
	s_wait_storecnt_dscnt 0x0
	s_barrier_signal -1
	s_barrier_wait -1
	s_wait_xcnt 0x0
	v_cmpx_gt_u32_e32 9, v0
	s_cbranch_execz .LBB114_590
; %bb.581:
	v_cmp_ne_u32_e32 vcc_lo, 1, v108
	s_cbranch_vccnz .LBB114_583
; %bb.582:
	scratch_load_b64 v[106:107], v59, off
	ds_load_b64 v[110:111], v1
	s_wait_loadcnt_dscnt 0x0
	v_pk_mul_f32 v[112:113], v[110:111], v[106:107] op_sel:[1,1] op_sel_hi:[0,1]
	s_delay_alu instid0(VALU_DEP_1) | instskip(SKIP_1) | instid1(VALU_DEP_2)
	v_pk_fma_f32 v[114:115], v[110:111], v[106:107], v[112:113] op_sel_hi:[1,0,1]
	v_pk_fma_f32 v[106:107], v[110:111], v[106:107], v[112:113] neg_lo:[0,0,1] neg_hi:[0,0,1]
	v_mov_b32_e32 v107, v115
	s_cbranch_execz .LBB114_584
	s_branch .LBB114_585
.LBB114_583:
                                        ; implicit-def: $vgpr106_vgpr107
.LBB114_584:
	ds_load_b64 v[106:107], v1
.LBB114_585:
	s_mov_b32 s4, exec_lo
	v_cmpx_ne_u32_e32 8, v0
	s_cbranch_execz .LBB114_589
; %bb.586:
	v_add_nc_u32_e32 v109, 0x1a8, v58
	v_add3_u32 v110, 0, v58, 8
	v_mov_b32_e32 v111, v0
	s_mov_b32 s5, 0
.LBB114_587:                            ; =>This Inner Loop Header: Depth=1
	scratch_load_b64 v[112:113], v110, off
	ds_load_b64 v[114:115], v109
	s_wait_xcnt 0x0
	v_dual_add_nc_u32 v109, 8, v109 :: v_dual_add_nc_u32 v110, 8, v110
	s_wait_loadcnt_dscnt 0x0
	v_pk_mul_f32 v[116:117], v[114:115], v[112:113] op_sel:[1,1] op_sel_hi:[0,1]
	s_delay_alu instid0(VALU_DEP_1) | instskip(SKIP_2) | instid1(VALU_DEP_3)
	v_pk_fma_f32 v[118:119], v[114:115], v[112:113], v[116:117] op_sel_hi:[1,0,1]
	v_add_nc_u32_e32 v111, 1, v111
	v_pk_fma_f32 v[112:113], v[114:115], v[112:113], v[116:117] neg_lo:[0,0,1] neg_hi:[0,0,1]
	v_mov_b32_e32 v113, v119
	s_delay_alu instid0(VALU_DEP_3) | instskip(NEXT) | instid1(VALU_DEP_2)
	v_cmp_lt_u32_e32 vcc_lo, 7, v111
	v_pk_add_f32 v[106:107], v[106:107], v[112:113]
	s_or_b32 s5, vcc_lo, s5
	s_delay_alu instid0(SALU_CYCLE_1)
	s_and_not1_b32 exec_lo, exec_lo, s5
	s_cbranch_execnz .LBB114_587
; %bb.588:
	s_or_b32 exec_lo, exec_lo, s5
.LBB114_589:
	s_delay_alu instid0(SALU_CYCLE_1) | instskip(SKIP_4) | instid1(VALU_DEP_1)
	s_or_b32 exec_lo, exec_lo, s4
	v_mov_b32_e32 v109, 0
	ds_load_b64 v[110:111], v109 offset:72
	s_wait_dscnt 0x0
	v_pk_mul_f32 v[112:113], v[106:107], v[110:111] op_sel:[1,1] op_sel_hi:[0,1]
	v_pk_fma_f32 v[114:115], v[106:107], v[110:111], v[112:113] op_sel_hi:[1,0,1]
	v_pk_fma_f32 v[106:107], v[106:107], v[110:111], v[112:113] neg_lo:[0,0,1] neg_hi:[0,0,1]
	s_delay_alu instid0(VALU_DEP_2)
	v_mov_b32_e32 v107, v115
	scratch_store_b64 off, v[106:107], off offset:72
.LBB114_590:
	s_wait_xcnt 0x0
	s_or_b32 exec_lo, exec_lo, s0
	scratch_load_b64 v[106:107], off, off offset:80
	s_mov_b32 s0, exec_lo
	s_wait_loadcnt 0x0
	ds_store_b64 v1, v[106:107]
	s_wait_storecnt_dscnt 0x0
	s_barrier_signal -1
	s_barrier_wait -1
	s_wait_xcnt 0x0
	v_cmpx_gt_u32_e32 10, v0
	s_cbranch_execz .LBB114_600
; %bb.591:
	v_cmp_ne_u32_e32 vcc_lo, 1, v108
	s_cbranch_vccnz .LBB114_593
; %bb.592:
	scratch_load_b64 v[106:107], v59, off
	ds_load_b64 v[110:111], v1
	s_wait_loadcnt_dscnt 0x0
	v_pk_mul_f32 v[112:113], v[110:111], v[106:107] op_sel:[1,1] op_sel_hi:[0,1]
	s_delay_alu instid0(VALU_DEP_1) | instskip(SKIP_1) | instid1(VALU_DEP_2)
	v_pk_fma_f32 v[114:115], v[110:111], v[106:107], v[112:113] op_sel_hi:[1,0,1]
	v_pk_fma_f32 v[106:107], v[110:111], v[106:107], v[112:113] neg_lo:[0,0,1] neg_hi:[0,0,1]
	v_mov_b32_e32 v107, v115
	s_cbranch_execz .LBB114_594
	s_branch .LBB114_595
.LBB114_593:
                                        ; implicit-def: $vgpr106_vgpr107
.LBB114_594:
	ds_load_b64 v[106:107], v1
.LBB114_595:
	s_mov_b32 s4, exec_lo
	v_cmpx_ne_u32_e32 9, v0
	s_cbranch_execz .LBB114_599
; %bb.596:
	v_add_nc_u32_e32 v109, 0x1a8, v58
	v_add3_u32 v110, 0, v58, 8
	v_mov_b32_e32 v111, v0
	s_mov_b32 s5, 0
.LBB114_597:                            ; =>This Inner Loop Header: Depth=1
	scratch_load_b64 v[112:113], v110, off
	ds_load_b64 v[114:115], v109
	s_wait_xcnt 0x0
	v_dual_add_nc_u32 v109, 8, v109 :: v_dual_add_nc_u32 v110, 8, v110
	s_wait_loadcnt_dscnt 0x0
	v_pk_mul_f32 v[116:117], v[114:115], v[112:113] op_sel:[1,1] op_sel_hi:[0,1]
	s_delay_alu instid0(VALU_DEP_1) | instskip(SKIP_2) | instid1(VALU_DEP_3)
	v_pk_fma_f32 v[118:119], v[114:115], v[112:113], v[116:117] op_sel_hi:[1,0,1]
	v_add_nc_u32_e32 v111, 1, v111
	v_pk_fma_f32 v[112:113], v[114:115], v[112:113], v[116:117] neg_lo:[0,0,1] neg_hi:[0,0,1]
	v_mov_b32_e32 v113, v119
	s_delay_alu instid0(VALU_DEP_3) | instskip(NEXT) | instid1(VALU_DEP_2)
	v_cmp_lt_u32_e32 vcc_lo, 8, v111
	v_pk_add_f32 v[106:107], v[106:107], v[112:113]
	s_or_b32 s5, vcc_lo, s5
	s_delay_alu instid0(SALU_CYCLE_1)
	s_and_not1_b32 exec_lo, exec_lo, s5
	s_cbranch_execnz .LBB114_597
; %bb.598:
	s_or_b32 exec_lo, exec_lo, s5
.LBB114_599:
	s_delay_alu instid0(SALU_CYCLE_1) | instskip(SKIP_4) | instid1(VALU_DEP_1)
	s_or_b32 exec_lo, exec_lo, s4
	v_mov_b32_e32 v109, 0
	ds_load_b64 v[110:111], v109 offset:80
	s_wait_dscnt 0x0
	v_pk_mul_f32 v[112:113], v[106:107], v[110:111] op_sel:[1,1] op_sel_hi:[0,1]
	v_pk_fma_f32 v[114:115], v[106:107], v[110:111], v[112:113] op_sel_hi:[1,0,1]
	v_pk_fma_f32 v[106:107], v[106:107], v[110:111], v[112:113] neg_lo:[0,0,1] neg_hi:[0,0,1]
	s_delay_alu instid0(VALU_DEP_2)
	v_mov_b32_e32 v107, v115
	scratch_store_b64 off, v[106:107], off offset:80
.LBB114_600:
	s_wait_xcnt 0x0
	s_or_b32 exec_lo, exec_lo, s0
	scratch_load_b64 v[106:107], off, off offset:88
	s_mov_b32 s0, exec_lo
	s_wait_loadcnt 0x0
	ds_store_b64 v1, v[106:107]
	s_wait_storecnt_dscnt 0x0
	s_barrier_signal -1
	s_barrier_wait -1
	s_wait_xcnt 0x0
	v_cmpx_gt_u32_e32 11, v0
	s_cbranch_execz .LBB114_610
; %bb.601:
	v_cmp_ne_u32_e32 vcc_lo, 1, v108
	s_cbranch_vccnz .LBB114_603
; %bb.602:
	scratch_load_b64 v[106:107], v59, off
	ds_load_b64 v[110:111], v1
	s_wait_loadcnt_dscnt 0x0
	v_pk_mul_f32 v[112:113], v[110:111], v[106:107] op_sel:[1,1] op_sel_hi:[0,1]
	s_delay_alu instid0(VALU_DEP_1) | instskip(SKIP_1) | instid1(VALU_DEP_2)
	v_pk_fma_f32 v[114:115], v[110:111], v[106:107], v[112:113] op_sel_hi:[1,0,1]
	v_pk_fma_f32 v[106:107], v[110:111], v[106:107], v[112:113] neg_lo:[0,0,1] neg_hi:[0,0,1]
	v_mov_b32_e32 v107, v115
	s_cbranch_execz .LBB114_604
	s_branch .LBB114_605
.LBB114_603:
                                        ; implicit-def: $vgpr106_vgpr107
.LBB114_604:
	ds_load_b64 v[106:107], v1
.LBB114_605:
	s_mov_b32 s4, exec_lo
	v_cmpx_ne_u32_e32 10, v0
	s_cbranch_execz .LBB114_609
; %bb.606:
	v_add_nc_u32_e32 v109, 0x1a8, v58
	v_add3_u32 v110, 0, v58, 8
	v_mov_b32_e32 v111, v0
	s_mov_b32 s5, 0
.LBB114_607:                            ; =>This Inner Loop Header: Depth=1
	scratch_load_b64 v[112:113], v110, off
	ds_load_b64 v[114:115], v109
	s_wait_xcnt 0x0
	v_dual_add_nc_u32 v109, 8, v109 :: v_dual_add_nc_u32 v110, 8, v110
	s_wait_loadcnt_dscnt 0x0
	v_pk_mul_f32 v[116:117], v[114:115], v[112:113] op_sel:[1,1] op_sel_hi:[0,1]
	s_delay_alu instid0(VALU_DEP_1) | instskip(SKIP_2) | instid1(VALU_DEP_3)
	v_pk_fma_f32 v[118:119], v[114:115], v[112:113], v[116:117] op_sel_hi:[1,0,1]
	v_add_nc_u32_e32 v111, 1, v111
	v_pk_fma_f32 v[112:113], v[114:115], v[112:113], v[116:117] neg_lo:[0,0,1] neg_hi:[0,0,1]
	v_mov_b32_e32 v113, v119
	s_delay_alu instid0(VALU_DEP_3) | instskip(NEXT) | instid1(VALU_DEP_2)
	v_cmp_lt_u32_e32 vcc_lo, 9, v111
	v_pk_add_f32 v[106:107], v[106:107], v[112:113]
	s_or_b32 s5, vcc_lo, s5
	s_delay_alu instid0(SALU_CYCLE_1)
	s_and_not1_b32 exec_lo, exec_lo, s5
	s_cbranch_execnz .LBB114_607
; %bb.608:
	s_or_b32 exec_lo, exec_lo, s5
.LBB114_609:
	s_delay_alu instid0(SALU_CYCLE_1) | instskip(SKIP_4) | instid1(VALU_DEP_1)
	s_or_b32 exec_lo, exec_lo, s4
	v_mov_b32_e32 v109, 0
	ds_load_b64 v[110:111], v109 offset:88
	s_wait_dscnt 0x0
	v_pk_mul_f32 v[112:113], v[106:107], v[110:111] op_sel:[1,1] op_sel_hi:[0,1]
	v_pk_fma_f32 v[114:115], v[106:107], v[110:111], v[112:113] op_sel_hi:[1,0,1]
	v_pk_fma_f32 v[106:107], v[106:107], v[110:111], v[112:113] neg_lo:[0,0,1] neg_hi:[0,0,1]
	s_delay_alu instid0(VALU_DEP_2)
	v_mov_b32_e32 v107, v115
	scratch_store_b64 off, v[106:107], off offset:88
.LBB114_610:
	s_wait_xcnt 0x0
	s_or_b32 exec_lo, exec_lo, s0
	scratch_load_b64 v[106:107], off, off offset:96
	s_mov_b32 s0, exec_lo
	s_wait_loadcnt 0x0
	ds_store_b64 v1, v[106:107]
	s_wait_storecnt_dscnt 0x0
	s_barrier_signal -1
	s_barrier_wait -1
	s_wait_xcnt 0x0
	v_cmpx_gt_u32_e32 12, v0
	s_cbranch_execz .LBB114_620
; %bb.611:
	v_cmp_ne_u32_e32 vcc_lo, 1, v108
	s_cbranch_vccnz .LBB114_613
; %bb.612:
	scratch_load_b64 v[106:107], v59, off
	ds_load_b64 v[110:111], v1
	s_wait_loadcnt_dscnt 0x0
	v_pk_mul_f32 v[112:113], v[110:111], v[106:107] op_sel:[1,1] op_sel_hi:[0,1]
	s_delay_alu instid0(VALU_DEP_1) | instskip(SKIP_1) | instid1(VALU_DEP_2)
	v_pk_fma_f32 v[114:115], v[110:111], v[106:107], v[112:113] op_sel_hi:[1,0,1]
	v_pk_fma_f32 v[106:107], v[110:111], v[106:107], v[112:113] neg_lo:[0,0,1] neg_hi:[0,0,1]
	v_mov_b32_e32 v107, v115
	s_cbranch_execz .LBB114_614
	s_branch .LBB114_615
.LBB114_613:
                                        ; implicit-def: $vgpr106_vgpr107
.LBB114_614:
	ds_load_b64 v[106:107], v1
.LBB114_615:
	s_mov_b32 s4, exec_lo
	v_cmpx_ne_u32_e32 11, v0
	s_cbranch_execz .LBB114_619
; %bb.616:
	v_add_nc_u32_e32 v109, 0x1a8, v58
	v_add3_u32 v110, 0, v58, 8
	v_mov_b32_e32 v111, v0
	s_mov_b32 s5, 0
.LBB114_617:                            ; =>This Inner Loop Header: Depth=1
	scratch_load_b64 v[112:113], v110, off
	ds_load_b64 v[114:115], v109
	s_wait_xcnt 0x0
	v_dual_add_nc_u32 v109, 8, v109 :: v_dual_add_nc_u32 v110, 8, v110
	s_wait_loadcnt_dscnt 0x0
	v_pk_mul_f32 v[116:117], v[114:115], v[112:113] op_sel:[1,1] op_sel_hi:[0,1]
	s_delay_alu instid0(VALU_DEP_1) | instskip(SKIP_2) | instid1(VALU_DEP_3)
	v_pk_fma_f32 v[118:119], v[114:115], v[112:113], v[116:117] op_sel_hi:[1,0,1]
	v_add_nc_u32_e32 v111, 1, v111
	v_pk_fma_f32 v[112:113], v[114:115], v[112:113], v[116:117] neg_lo:[0,0,1] neg_hi:[0,0,1]
	v_mov_b32_e32 v113, v119
	s_delay_alu instid0(VALU_DEP_3) | instskip(NEXT) | instid1(VALU_DEP_2)
	v_cmp_lt_u32_e32 vcc_lo, 10, v111
	v_pk_add_f32 v[106:107], v[106:107], v[112:113]
	s_or_b32 s5, vcc_lo, s5
	s_delay_alu instid0(SALU_CYCLE_1)
	s_and_not1_b32 exec_lo, exec_lo, s5
	s_cbranch_execnz .LBB114_617
; %bb.618:
	s_or_b32 exec_lo, exec_lo, s5
.LBB114_619:
	s_delay_alu instid0(SALU_CYCLE_1) | instskip(SKIP_4) | instid1(VALU_DEP_1)
	s_or_b32 exec_lo, exec_lo, s4
	v_mov_b32_e32 v109, 0
	ds_load_b64 v[110:111], v109 offset:96
	s_wait_dscnt 0x0
	v_pk_mul_f32 v[112:113], v[106:107], v[110:111] op_sel:[1,1] op_sel_hi:[0,1]
	v_pk_fma_f32 v[114:115], v[106:107], v[110:111], v[112:113] op_sel_hi:[1,0,1]
	v_pk_fma_f32 v[106:107], v[106:107], v[110:111], v[112:113] neg_lo:[0,0,1] neg_hi:[0,0,1]
	s_delay_alu instid0(VALU_DEP_2)
	v_mov_b32_e32 v107, v115
	scratch_store_b64 off, v[106:107], off offset:96
.LBB114_620:
	s_wait_xcnt 0x0
	s_or_b32 exec_lo, exec_lo, s0
	scratch_load_b64 v[106:107], off, off offset:104
	s_mov_b32 s0, exec_lo
	s_wait_loadcnt 0x0
	ds_store_b64 v1, v[106:107]
	s_wait_storecnt_dscnt 0x0
	s_barrier_signal -1
	s_barrier_wait -1
	s_wait_xcnt 0x0
	v_cmpx_gt_u32_e32 13, v0
	s_cbranch_execz .LBB114_630
; %bb.621:
	v_cmp_ne_u32_e32 vcc_lo, 1, v108
	s_cbranch_vccnz .LBB114_623
; %bb.622:
	scratch_load_b64 v[106:107], v59, off
	ds_load_b64 v[110:111], v1
	s_wait_loadcnt_dscnt 0x0
	v_pk_mul_f32 v[112:113], v[110:111], v[106:107] op_sel:[1,1] op_sel_hi:[0,1]
	s_delay_alu instid0(VALU_DEP_1) | instskip(SKIP_1) | instid1(VALU_DEP_2)
	v_pk_fma_f32 v[114:115], v[110:111], v[106:107], v[112:113] op_sel_hi:[1,0,1]
	v_pk_fma_f32 v[106:107], v[110:111], v[106:107], v[112:113] neg_lo:[0,0,1] neg_hi:[0,0,1]
	v_mov_b32_e32 v107, v115
	s_cbranch_execz .LBB114_624
	s_branch .LBB114_625
.LBB114_623:
                                        ; implicit-def: $vgpr106_vgpr107
.LBB114_624:
	ds_load_b64 v[106:107], v1
.LBB114_625:
	s_mov_b32 s4, exec_lo
	v_cmpx_ne_u32_e32 12, v0
	s_cbranch_execz .LBB114_629
; %bb.626:
	v_add_nc_u32_e32 v109, 0x1a8, v58
	v_add3_u32 v110, 0, v58, 8
	v_mov_b32_e32 v111, v0
	s_mov_b32 s5, 0
.LBB114_627:                            ; =>This Inner Loop Header: Depth=1
	scratch_load_b64 v[112:113], v110, off
	ds_load_b64 v[114:115], v109
	s_wait_xcnt 0x0
	v_dual_add_nc_u32 v109, 8, v109 :: v_dual_add_nc_u32 v110, 8, v110
	s_wait_loadcnt_dscnt 0x0
	v_pk_mul_f32 v[116:117], v[114:115], v[112:113] op_sel:[1,1] op_sel_hi:[0,1]
	s_delay_alu instid0(VALU_DEP_1) | instskip(SKIP_2) | instid1(VALU_DEP_3)
	v_pk_fma_f32 v[118:119], v[114:115], v[112:113], v[116:117] op_sel_hi:[1,0,1]
	v_add_nc_u32_e32 v111, 1, v111
	v_pk_fma_f32 v[112:113], v[114:115], v[112:113], v[116:117] neg_lo:[0,0,1] neg_hi:[0,0,1]
	v_mov_b32_e32 v113, v119
	s_delay_alu instid0(VALU_DEP_3) | instskip(NEXT) | instid1(VALU_DEP_2)
	v_cmp_lt_u32_e32 vcc_lo, 11, v111
	v_pk_add_f32 v[106:107], v[106:107], v[112:113]
	s_or_b32 s5, vcc_lo, s5
	s_delay_alu instid0(SALU_CYCLE_1)
	s_and_not1_b32 exec_lo, exec_lo, s5
	s_cbranch_execnz .LBB114_627
; %bb.628:
	s_or_b32 exec_lo, exec_lo, s5
.LBB114_629:
	s_delay_alu instid0(SALU_CYCLE_1) | instskip(SKIP_4) | instid1(VALU_DEP_1)
	s_or_b32 exec_lo, exec_lo, s4
	v_mov_b32_e32 v109, 0
	ds_load_b64 v[110:111], v109 offset:104
	s_wait_dscnt 0x0
	v_pk_mul_f32 v[112:113], v[106:107], v[110:111] op_sel:[1,1] op_sel_hi:[0,1]
	v_pk_fma_f32 v[114:115], v[106:107], v[110:111], v[112:113] op_sel_hi:[1,0,1]
	v_pk_fma_f32 v[106:107], v[106:107], v[110:111], v[112:113] neg_lo:[0,0,1] neg_hi:[0,0,1]
	s_delay_alu instid0(VALU_DEP_2)
	v_mov_b32_e32 v107, v115
	scratch_store_b64 off, v[106:107], off offset:104
.LBB114_630:
	s_wait_xcnt 0x0
	s_or_b32 exec_lo, exec_lo, s0
	scratch_load_b64 v[106:107], off, off offset:112
	s_mov_b32 s0, exec_lo
	s_wait_loadcnt 0x0
	ds_store_b64 v1, v[106:107]
	s_wait_storecnt_dscnt 0x0
	s_barrier_signal -1
	s_barrier_wait -1
	s_wait_xcnt 0x0
	v_cmpx_gt_u32_e32 14, v0
	s_cbranch_execz .LBB114_640
; %bb.631:
	v_cmp_ne_u32_e32 vcc_lo, 1, v108
	s_cbranch_vccnz .LBB114_633
; %bb.632:
	scratch_load_b64 v[106:107], v59, off
	ds_load_b64 v[110:111], v1
	s_wait_loadcnt_dscnt 0x0
	v_pk_mul_f32 v[112:113], v[110:111], v[106:107] op_sel:[1,1] op_sel_hi:[0,1]
	s_delay_alu instid0(VALU_DEP_1) | instskip(SKIP_1) | instid1(VALU_DEP_2)
	v_pk_fma_f32 v[114:115], v[110:111], v[106:107], v[112:113] op_sel_hi:[1,0,1]
	v_pk_fma_f32 v[106:107], v[110:111], v[106:107], v[112:113] neg_lo:[0,0,1] neg_hi:[0,0,1]
	v_mov_b32_e32 v107, v115
	s_cbranch_execz .LBB114_634
	s_branch .LBB114_635
.LBB114_633:
                                        ; implicit-def: $vgpr106_vgpr107
.LBB114_634:
	ds_load_b64 v[106:107], v1
.LBB114_635:
	s_mov_b32 s4, exec_lo
	v_cmpx_ne_u32_e32 13, v0
	s_cbranch_execz .LBB114_639
; %bb.636:
	v_add_nc_u32_e32 v109, 0x1a8, v58
	v_add3_u32 v110, 0, v58, 8
	v_mov_b32_e32 v111, v0
	s_mov_b32 s5, 0
.LBB114_637:                            ; =>This Inner Loop Header: Depth=1
	scratch_load_b64 v[112:113], v110, off
	ds_load_b64 v[114:115], v109
	s_wait_xcnt 0x0
	v_dual_add_nc_u32 v109, 8, v109 :: v_dual_add_nc_u32 v110, 8, v110
	s_wait_loadcnt_dscnt 0x0
	v_pk_mul_f32 v[116:117], v[114:115], v[112:113] op_sel:[1,1] op_sel_hi:[0,1]
	s_delay_alu instid0(VALU_DEP_1) | instskip(SKIP_2) | instid1(VALU_DEP_3)
	v_pk_fma_f32 v[118:119], v[114:115], v[112:113], v[116:117] op_sel_hi:[1,0,1]
	v_add_nc_u32_e32 v111, 1, v111
	v_pk_fma_f32 v[112:113], v[114:115], v[112:113], v[116:117] neg_lo:[0,0,1] neg_hi:[0,0,1]
	v_mov_b32_e32 v113, v119
	s_delay_alu instid0(VALU_DEP_3) | instskip(NEXT) | instid1(VALU_DEP_2)
	v_cmp_lt_u32_e32 vcc_lo, 12, v111
	v_pk_add_f32 v[106:107], v[106:107], v[112:113]
	s_or_b32 s5, vcc_lo, s5
	s_delay_alu instid0(SALU_CYCLE_1)
	s_and_not1_b32 exec_lo, exec_lo, s5
	s_cbranch_execnz .LBB114_637
; %bb.638:
	s_or_b32 exec_lo, exec_lo, s5
.LBB114_639:
	s_delay_alu instid0(SALU_CYCLE_1) | instskip(SKIP_4) | instid1(VALU_DEP_1)
	s_or_b32 exec_lo, exec_lo, s4
	v_mov_b32_e32 v109, 0
	ds_load_b64 v[110:111], v109 offset:112
	s_wait_dscnt 0x0
	v_pk_mul_f32 v[112:113], v[106:107], v[110:111] op_sel:[1,1] op_sel_hi:[0,1]
	v_pk_fma_f32 v[114:115], v[106:107], v[110:111], v[112:113] op_sel_hi:[1,0,1]
	v_pk_fma_f32 v[106:107], v[106:107], v[110:111], v[112:113] neg_lo:[0,0,1] neg_hi:[0,0,1]
	s_delay_alu instid0(VALU_DEP_2)
	v_mov_b32_e32 v107, v115
	scratch_store_b64 off, v[106:107], off offset:112
.LBB114_640:
	s_wait_xcnt 0x0
	s_or_b32 exec_lo, exec_lo, s0
	scratch_load_b64 v[106:107], off, off offset:120
	s_mov_b32 s0, exec_lo
	s_wait_loadcnt 0x0
	ds_store_b64 v1, v[106:107]
	s_wait_storecnt_dscnt 0x0
	s_barrier_signal -1
	s_barrier_wait -1
	s_wait_xcnt 0x0
	v_cmpx_gt_u32_e32 15, v0
	s_cbranch_execz .LBB114_650
; %bb.641:
	v_cmp_ne_u32_e32 vcc_lo, 1, v108
	s_cbranch_vccnz .LBB114_643
; %bb.642:
	scratch_load_b64 v[106:107], v59, off
	ds_load_b64 v[110:111], v1
	s_wait_loadcnt_dscnt 0x0
	v_pk_mul_f32 v[112:113], v[110:111], v[106:107] op_sel:[1,1] op_sel_hi:[0,1]
	s_delay_alu instid0(VALU_DEP_1) | instskip(SKIP_1) | instid1(VALU_DEP_2)
	v_pk_fma_f32 v[114:115], v[110:111], v[106:107], v[112:113] op_sel_hi:[1,0,1]
	v_pk_fma_f32 v[106:107], v[110:111], v[106:107], v[112:113] neg_lo:[0,0,1] neg_hi:[0,0,1]
	v_mov_b32_e32 v107, v115
	s_cbranch_execz .LBB114_644
	s_branch .LBB114_645
.LBB114_643:
                                        ; implicit-def: $vgpr106_vgpr107
.LBB114_644:
	ds_load_b64 v[106:107], v1
.LBB114_645:
	s_mov_b32 s4, exec_lo
	v_cmpx_ne_u32_e32 14, v0
	s_cbranch_execz .LBB114_649
; %bb.646:
	v_add_nc_u32_e32 v109, 0x1a8, v58
	v_add3_u32 v110, 0, v58, 8
	v_mov_b32_e32 v111, v0
	s_mov_b32 s5, 0
.LBB114_647:                            ; =>This Inner Loop Header: Depth=1
	scratch_load_b64 v[112:113], v110, off
	ds_load_b64 v[114:115], v109
	s_wait_xcnt 0x0
	v_dual_add_nc_u32 v109, 8, v109 :: v_dual_add_nc_u32 v110, 8, v110
	s_wait_loadcnt_dscnt 0x0
	v_pk_mul_f32 v[116:117], v[114:115], v[112:113] op_sel:[1,1] op_sel_hi:[0,1]
	s_delay_alu instid0(VALU_DEP_1) | instskip(SKIP_2) | instid1(VALU_DEP_3)
	v_pk_fma_f32 v[118:119], v[114:115], v[112:113], v[116:117] op_sel_hi:[1,0,1]
	v_add_nc_u32_e32 v111, 1, v111
	v_pk_fma_f32 v[112:113], v[114:115], v[112:113], v[116:117] neg_lo:[0,0,1] neg_hi:[0,0,1]
	v_mov_b32_e32 v113, v119
	s_delay_alu instid0(VALU_DEP_3) | instskip(NEXT) | instid1(VALU_DEP_2)
	v_cmp_lt_u32_e32 vcc_lo, 13, v111
	v_pk_add_f32 v[106:107], v[106:107], v[112:113]
	s_or_b32 s5, vcc_lo, s5
	s_delay_alu instid0(SALU_CYCLE_1)
	s_and_not1_b32 exec_lo, exec_lo, s5
	s_cbranch_execnz .LBB114_647
; %bb.648:
	s_or_b32 exec_lo, exec_lo, s5
.LBB114_649:
	s_delay_alu instid0(SALU_CYCLE_1) | instskip(SKIP_4) | instid1(VALU_DEP_1)
	s_or_b32 exec_lo, exec_lo, s4
	v_mov_b32_e32 v109, 0
	ds_load_b64 v[110:111], v109 offset:120
	s_wait_dscnt 0x0
	v_pk_mul_f32 v[112:113], v[106:107], v[110:111] op_sel:[1,1] op_sel_hi:[0,1]
	v_pk_fma_f32 v[114:115], v[106:107], v[110:111], v[112:113] op_sel_hi:[1,0,1]
	v_pk_fma_f32 v[106:107], v[106:107], v[110:111], v[112:113] neg_lo:[0,0,1] neg_hi:[0,0,1]
	s_delay_alu instid0(VALU_DEP_2)
	v_mov_b32_e32 v107, v115
	scratch_store_b64 off, v[106:107], off offset:120
.LBB114_650:
	s_wait_xcnt 0x0
	s_or_b32 exec_lo, exec_lo, s0
	scratch_load_b64 v[106:107], off, off offset:128
	s_mov_b32 s0, exec_lo
	s_wait_loadcnt 0x0
	ds_store_b64 v1, v[106:107]
	s_wait_storecnt_dscnt 0x0
	s_barrier_signal -1
	s_barrier_wait -1
	s_wait_xcnt 0x0
	v_cmpx_gt_u32_e32 16, v0
	s_cbranch_execz .LBB114_660
; %bb.651:
	v_cmp_ne_u32_e32 vcc_lo, 1, v108
	s_cbranch_vccnz .LBB114_653
; %bb.652:
	scratch_load_b64 v[106:107], v59, off
	ds_load_b64 v[110:111], v1
	s_wait_loadcnt_dscnt 0x0
	v_pk_mul_f32 v[112:113], v[110:111], v[106:107] op_sel:[1,1] op_sel_hi:[0,1]
	s_delay_alu instid0(VALU_DEP_1) | instskip(SKIP_1) | instid1(VALU_DEP_2)
	v_pk_fma_f32 v[114:115], v[110:111], v[106:107], v[112:113] op_sel_hi:[1,0,1]
	v_pk_fma_f32 v[106:107], v[110:111], v[106:107], v[112:113] neg_lo:[0,0,1] neg_hi:[0,0,1]
	v_mov_b32_e32 v107, v115
	s_cbranch_execz .LBB114_654
	s_branch .LBB114_655
.LBB114_653:
                                        ; implicit-def: $vgpr106_vgpr107
.LBB114_654:
	ds_load_b64 v[106:107], v1
.LBB114_655:
	s_mov_b32 s4, exec_lo
	v_cmpx_ne_u32_e32 15, v0
	s_cbranch_execz .LBB114_659
; %bb.656:
	v_add_nc_u32_e32 v109, 0x1a8, v58
	v_add3_u32 v110, 0, v58, 8
	v_mov_b32_e32 v111, v0
	s_mov_b32 s5, 0
.LBB114_657:                            ; =>This Inner Loop Header: Depth=1
	scratch_load_b64 v[112:113], v110, off
	ds_load_b64 v[114:115], v109
	s_wait_xcnt 0x0
	v_dual_add_nc_u32 v109, 8, v109 :: v_dual_add_nc_u32 v110, 8, v110
	s_wait_loadcnt_dscnt 0x0
	v_pk_mul_f32 v[116:117], v[114:115], v[112:113] op_sel:[1,1] op_sel_hi:[0,1]
	s_delay_alu instid0(VALU_DEP_1) | instskip(SKIP_2) | instid1(VALU_DEP_3)
	v_pk_fma_f32 v[118:119], v[114:115], v[112:113], v[116:117] op_sel_hi:[1,0,1]
	v_add_nc_u32_e32 v111, 1, v111
	v_pk_fma_f32 v[112:113], v[114:115], v[112:113], v[116:117] neg_lo:[0,0,1] neg_hi:[0,0,1]
	v_mov_b32_e32 v113, v119
	s_delay_alu instid0(VALU_DEP_3) | instskip(NEXT) | instid1(VALU_DEP_2)
	v_cmp_lt_u32_e32 vcc_lo, 14, v111
	v_pk_add_f32 v[106:107], v[106:107], v[112:113]
	s_or_b32 s5, vcc_lo, s5
	s_delay_alu instid0(SALU_CYCLE_1)
	s_and_not1_b32 exec_lo, exec_lo, s5
	s_cbranch_execnz .LBB114_657
; %bb.658:
	s_or_b32 exec_lo, exec_lo, s5
.LBB114_659:
	s_delay_alu instid0(SALU_CYCLE_1) | instskip(SKIP_4) | instid1(VALU_DEP_1)
	s_or_b32 exec_lo, exec_lo, s4
	v_mov_b32_e32 v109, 0
	ds_load_b64 v[110:111], v109 offset:128
	s_wait_dscnt 0x0
	v_pk_mul_f32 v[112:113], v[106:107], v[110:111] op_sel:[1,1] op_sel_hi:[0,1]
	v_pk_fma_f32 v[114:115], v[106:107], v[110:111], v[112:113] op_sel_hi:[1,0,1]
	v_pk_fma_f32 v[106:107], v[106:107], v[110:111], v[112:113] neg_lo:[0,0,1] neg_hi:[0,0,1]
	s_delay_alu instid0(VALU_DEP_2)
	v_mov_b32_e32 v107, v115
	scratch_store_b64 off, v[106:107], off offset:128
.LBB114_660:
	s_wait_xcnt 0x0
	s_or_b32 exec_lo, exec_lo, s0
	scratch_load_b64 v[106:107], off, off offset:136
	s_mov_b32 s0, exec_lo
	s_wait_loadcnt 0x0
	ds_store_b64 v1, v[106:107]
	s_wait_storecnt_dscnt 0x0
	s_barrier_signal -1
	s_barrier_wait -1
	s_wait_xcnt 0x0
	v_cmpx_gt_u32_e32 17, v0
	s_cbranch_execz .LBB114_670
; %bb.661:
	v_cmp_ne_u32_e32 vcc_lo, 1, v108
	s_cbranch_vccnz .LBB114_663
; %bb.662:
	scratch_load_b64 v[106:107], v59, off
	ds_load_b64 v[110:111], v1
	s_wait_loadcnt_dscnt 0x0
	v_pk_mul_f32 v[112:113], v[110:111], v[106:107] op_sel:[1,1] op_sel_hi:[0,1]
	s_delay_alu instid0(VALU_DEP_1) | instskip(SKIP_1) | instid1(VALU_DEP_2)
	v_pk_fma_f32 v[114:115], v[110:111], v[106:107], v[112:113] op_sel_hi:[1,0,1]
	v_pk_fma_f32 v[106:107], v[110:111], v[106:107], v[112:113] neg_lo:[0,0,1] neg_hi:[0,0,1]
	v_mov_b32_e32 v107, v115
	s_cbranch_execz .LBB114_664
	s_branch .LBB114_665
.LBB114_663:
                                        ; implicit-def: $vgpr106_vgpr107
.LBB114_664:
	ds_load_b64 v[106:107], v1
.LBB114_665:
	s_mov_b32 s4, exec_lo
	v_cmpx_ne_u32_e32 16, v0
	s_cbranch_execz .LBB114_669
; %bb.666:
	v_add_nc_u32_e32 v109, 0x1a8, v58
	v_add3_u32 v110, 0, v58, 8
	v_mov_b32_e32 v111, v0
	s_mov_b32 s5, 0
.LBB114_667:                            ; =>This Inner Loop Header: Depth=1
	scratch_load_b64 v[112:113], v110, off
	ds_load_b64 v[114:115], v109
	s_wait_xcnt 0x0
	v_dual_add_nc_u32 v109, 8, v109 :: v_dual_add_nc_u32 v110, 8, v110
	s_wait_loadcnt_dscnt 0x0
	v_pk_mul_f32 v[116:117], v[114:115], v[112:113] op_sel:[1,1] op_sel_hi:[0,1]
	s_delay_alu instid0(VALU_DEP_1) | instskip(SKIP_2) | instid1(VALU_DEP_3)
	v_pk_fma_f32 v[118:119], v[114:115], v[112:113], v[116:117] op_sel_hi:[1,0,1]
	v_add_nc_u32_e32 v111, 1, v111
	v_pk_fma_f32 v[112:113], v[114:115], v[112:113], v[116:117] neg_lo:[0,0,1] neg_hi:[0,0,1]
	v_mov_b32_e32 v113, v119
	s_delay_alu instid0(VALU_DEP_3) | instskip(NEXT) | instid1(VALU_DEP_2)
	v_cmp_lt_u32_e32 vcc_lo, 15, v111
	v_pk_add_f32 v[106:107], v[106:107], v[112:113]
	s_or_b32 s5, vcc_lo, s5
	s_delay_alu instid0(SALU_CYCLE_1)
	s_and_not1_b32 exec_lo, exec_lo, s5
	s_cbranch_execnz .LBB114_667
; %bb.668:
	s_or_b32 exec_lo, exec_lo, s5
.LBB114_669:
	s_delay_alu instid0(SALU_CYCLE_1) | instskip(SKIP_4) | instid1(VALU_DEP_1)
	s_or_b32 exec_lo, exec_lo, s4
	v_mov_b32_e32 v109, 0
	ds_load_b64 v[110:111], v109 offset:136
	s_wait_dscnt 0x0
	v_pk_mul_f32 v[112:113], v[106:107], v[110:111] op_sel:[1,1] op_sel_hi:[0,1]
	v_pk_fma_f32 v[114:115], v[106:107], v[110:111], v[112:113] op_sel_hi:[1,0,1]
	v_pk_fma_f32 v[106:107], v[106:107], v[110:111], v[112:113] neg_lo:[0,0,1] neg_hi:[0,0,1]
	s_delay_alu instid0(VALU_DEP_2)
	v_mov_b32_e32 v107, v115
	scratch_store_b64 off, v[106:107], off offset:136
.LBB114_670:
	s_wait_xcnt 0x0
	s_or_b32 exec_lo, exec_lo, s0
	scratch_load_b64 v[106:107], off, off offset:144
	s_mov_b32 s0, exec_lo
	s_wait_loadcnt 0x0
	ds_store_b64 v1, v[106:107]
	s_wait_storecnt_dscnt 0x0
	s_barrier_signal -1
	s_barrier_wait -1
	s_wait_xcnt 0x0
	v_cmpx_gt_u32_e32 18, v0
	s_cbranch_execz .LBB114_680
; %bb.671:
	v_cmp_ne_u32_e32 vcc_lo, 1, v108
	s_cbranch_vccnz .LBB114_673
; %bb.672:
	scratch_load_b64 v[106:107], v59, off
	ds_load_b64 v[110:111], v1
	s_wait_loadcnt_dscnt 0x0
	v_pk_mul_f32 v[112:113], v[110:111], v[106:107] op_sel:[1,1] op_sel_hi:[0,1]
	s_delay_alu instid0(VALU_DEP_1) | instskip(SKIP_1) | instid1(VALU_DEP_2)
	v_pk_fma_f32 v[114:115], v[110:111], v[106:107], v[112:113] op_sel_hi:[1,0,1]
	v_pk_fma_f32 v[106:107], v[110:111], v[106:107], v[112:113] neg_lo:[0,0,1] neg_hi:[0,0,1]
	v_mov_b32_e32 v107, v115
	s_cbranch_execz .LBB114_674
	s_branch .LBB114_675
.LBB114_673:
                                        ; implicit-def: $vgpr106_vgpr107
.LBB114_674:
	ds_load_b64 v[106:107], v1
.LBB114_675:
	s_mov_b32 s4, exec_lo
	v_cmpx_ne_u32_e32 17, v0
	s_cbranch_execz .LBB114_679
; %bb.676:
	v_add_nc_u32_e32 v109, 0x1a8, v58
	v_add3_u32 v110, 0, v58, 8
	v_mov_b32_e32 v111, v0
	s_mov_b32 s5, 0
.LBB114_677:                            ; =>This Inner Loop Header: Depth=1
	scratch_load_b64 v[112:113], v110, off
	ds_load_b64 v[114:115], v109
	s_wait_xcnt 0x0
	v_dual_add_nc_u32 v109, 8, v109 :: v_dual_add_nc_u32 v110, 8, v110
	s_wait_loadcnt_dscnt 0x0
	v_pk_mul_f32 v[116:117], v[114:115], v[112:113] op_sel:[1,1] op_sel_hi:[0,1]
	s_delay_alu instid0(VALU_DEP_1) | instskip(SKIP_2) | instid1(VALU_DEP_3)
	v_pk_fma_f32 v[118:119], v[114:115], v[112:113], v[116:117] op_sel_hi:[1,0,1]
	v_add_nc_u32_e32 v111, 1, v111
	v_pk_fma_f32 v[112:113], v[114:115], v[112:113], v[116:117] neg_lo:[0,0,1] neg_hi:[0,0,1]
	v_mov_b32_e32 v113, v119
	s_delay_alu instid0(VALU_DEP_3) | instskip(NEXT) | instid1(VALU_DEP_2)
	v_cmp_lt_u32_e32 vcc_lo, 16, v111
	v_pk_add_f32 v[106:107], v[106:107], v[112:113]
	s_or_b32 s5, vcc_lo, s5
	s_delay_alu instid0(SALU_CYCLE_1)
	s_and_not1_b32 exec_lo, exec_lo, s5
	s_cbranch_execnz .LBB114_677
; %bb.678:
	s_or_b32 exec_lo, exec_lo, s5
.LBB114_679:
	s_delay_alu instid0(SALU_CYCLE_1) | instskip(SKIP_4) | instid1(VALU_DEP_1)
	s_or_b32 exec_lo, exec_lo, s4
	v_mov_b32_e32 v109, 0
	ds_load_b64 v[110:111], v109 offset:144
	s_wait_dscnt 0x0
	v_pk_mul_f32 v[112:113], v[106:107], v[110:111] op_sel:[1,1] op_sel_hi:[0,1]
	v_pk_fma_f32 v[114:115], v[106:107], v[110:111], v[112:113] op_sel_hi:[1,0,1]
	v_pk_fma_f32 v[106:107], v[106:107], v[110:111], v[112:113] neg_lo:[0,0,1] neg_hi:[0,0,1]
	s_delay_alu instid0(VALU_DEP_2)
	v_mov_b32_e32 v107, v115
	scratch_store_b64 off, v[106:107], off offset:144
.LBB114_680:
	s_wait_xcnt 0x0
	s_or_b32 exec_lo, exec_lo, s0
	scratch_load_b64 v[106:107], off, off offset:152
	s_mov_b32 s0, exec_lo
	s_wait_loadcnt 0x0
	ds_store_b64 v1, v[106:107]
	s_wait_storecnt_dscnt 0x0
	s_barrier_signal -1
	s_barrier_wait -1
	s_wait_xcnt 0x0
	v_cmpx_gt_u32_e32 19, v0
	s_cbranch_execz .LBB114_690
; %bb.681:
	v_cmp_ne_u32_e32 vcc_lo, 1, v108
	s_cbranch_vccnz .LBB114_683
; %bb.682:
	scratch_load_b64 v[106:107], v59, off
	ds_load_b64 v[110:111], v1
	s_wait_loadcnt_dscnt 0x0
	v_pk_mul_f32 v[112:113], v[110:111], v[106:107] op_sel:[1,1] op_sel_hi:[0,1]
	s_delay_alu instid0(VALU_DEP_1) | instskip(SKIP_1) | instid1(VALU_DEP_2)
	v_pk_fma_f32 v[114:115], v[110:111], v[106:107], v[112:113] op_sel_hi:[1,0,1]
	v_pk_fma_f32 v[106:107], v[110:111], v[106:107], v[112:113] neg_lo:[0,0,1] neg_hi:[0,0,1]
	v_mov_b32_e32 v107, v115
	s_cbranch_execz .LBB114_684
	s_branch .LBB114_685
.LBB114_683:
                                        ; implicit-def: $vgpr106_vgpr107
.LBB114_684:
	ds_load_b64 v[106:107], v1
.LBB114_685:
	s_mov_b32 s4, exec_lo
	v_cmpx_ne_u32_e32 18, v0
	s_cbranch_execz .LBB114_689
; %bb.686:
	v_add_nc_u32_e32 v109, 0x1a8, v58
	v_add3_u32 v110, 0, v58, 8
	v_mov_b32_e32 v111, v0
	s_mov_b32 s5, 0
.LBB114_687:                            ; =>This Inner Loop Header: Depth=1
	scratch_load_b64 v[112:113], v110, off
	ds_load_b64 v[114:115], v109
	s_wait_xcnt 0x0
	v_dual_add_nc_u32 v109, 8, v109 :: v_dual_add_nc_u32 v110, 8, v110
	s_wait_loadcnt_dscnt 0x0
	v_pk_mul_f32 v[116:117], v[114:115], v[112:113] op_sel:[1,1] op_sel_hi:[0,1]
	s_delay_alu instid0(VALU_DEP_1) | instskip(SKIP_2) | instid1(VALU_DEP_3)
	v_pk_fma_f32 v[118:119], v[114:115], v[112:113], v[116:117] op_sel_hi:[1,0,1]
	v_add_nc_u32_e32 v111, 1, v111
	v_pk_fma_f32 v[112:113], v[114:115], v[112:113], v[116:117] neg_lo:[0,0,1] neg_hi:[0,0,1]
	v_mov_b32_e32 v113, v119
	s_delay_alu instid0(VALU_DEP_3) | instskip(NEXT) | instid1(VALU_DEP_2)
	v_cmp_lt_u32_e32 vcc_lo, 17, v111
	v_pk_add_f32 v[106:107], v[106:107], v[112:113]
	s_or_b32 s5, vcc_lo, s5
	s_delay_alu instid0(SALU_CYCLE_1)
	s_and_not1_b32 exec_lo, exec_lo, s5
	s_cbranch_execnz .LBB114_687
; %bb.688:
	s_or_b32 exec_lo, exec_lo, s5
.LBB114_689:
	s_delay_alu instid0(SALU_CYCLE_1) | instskip(SKIP_4) | instid1(VALU_DEP_1)
	s_or_b32 exec_lo, exec_lo, s4
	v_mov_b32_e32 v109, 0
	ds_load_b64 v[110:111], v109 offset:152
	s_wait_dscnt 0x0
	v_pk_mul_f32 v[112:113], v[106:107], v[110:111] op_sel:[1,1] op_sel_hi:[0,1]
	v_pk_fma_f32 v[114:115], v[106:107], v[110:111], v[112:113] op_sel_hi:[1,0,1]
	v_pk_fma_f32 v[106:107], v[106:107], v[110:111], v[112:113] neg_lo:[0,0,1] neg_hi:[0,0,1]
	s_delay_alu instid0(VALU_DEP_2)
	v_mov_b32_e32 v107, v115
	scratch_store_b64 off, v[106:107], off offset:152
.LBB114_690:
	s_wait_xcnt 0x0
	s_or_b32 exec_lo, exec_lo, s0
	scratch_load_b64 v[106:107], off, off offset:160
	s_mov_b32 s0, exec_lo
	s_wait_loadcnt 0x0
	ds_store_b64 v1, v[106:107]
	s_wait_storecnt_dscnt 0x0
	s_barrier_signal -1
	s_barrier_wait -1
	s_wait_xcnt 0x0
	v_cmpx_gt_u32_e32 20, v0
	s_cbranch_execz .LBB114_700
; %bb.691:
	v_cmp_ne_u32_e32 vcc_lo, 1, v108
	s_cbranch_vccnz .LBB114_693
; %bb.692:
	scratch_load_b64 v[106:107], v59, off
	ds_load_b64 v[110:111], v1
	s_wait_loadcnt_dscnt 0x0
	v_pk_mul_f32 v[112:113], v[110:111], v[106:107] op_sel:[1,1] op_sel_hi:[0,1]
	s_delay_alu instid0(VALU_DEP_1) | instskip(SKIP_1) | instid1(VALU_DEP_2)
	v_pk_fma_f32 v[114:115], v[110:111], v[106:107], v[112:113] op_sel_hi:[1,0,1]
	v_pk_fma_f32 v[106:107], v[110:111], v[106:107], v[112:113] neg_lo:[0,0,1] neg_hi:[0,0,1]
	v_mov_b32_e32 v107, v115
	s_cbranch_execz .LBB114_694
	s_branch .LBB114_695
.LBB114_693:
                                        ; implicit-def: $vgpr106_vgpr107
.LBB114_694:
	ds_load_b64 v[106:107], v1
.LBB114_695:
	s_mov_b32 s4, exec_lo
	v_cmpx_ne_u32_e32 19, v0
	s_cbranch_execz .LBB114_699
; %bb.696:
	v_add_nc_u32_e32 v109, 0x1a8, v58
	v_add3_u32 v110, 0, v58, 8
	v_mov_b32_e32 v111, v0
	s_mov_b32 s5, 0
.LBB114_697:                            ; =>This Inner Loop Header: Depth=1
	scratch_load_b64 v[112:113], v110, off
	ds_load_b64 v[114:115], v109
	s_wait_xcnt 0x0
	v_dual_add_nc_u32 v109, 8, v109 :: v_dual_add_nc_u32 v110, 8, v110
	s_wait_loadcnt_dscnt 0x0
	v_pk_mul_f32 v[116:117], v[114:115], v[112:113] op_sel:[1,1] op_sel_hi:[0,1]
	s_delay_alu instid0(VALU_DEP_1) | instskip(SKIP_2) | instid1(VALU_DEP_3)
	v_pk_fma_f32 v[118:119], v[114:115], v[112:113], v[116:117] op_sel_hi:[1,0,1]
	v_add_nc_u32_e32 v111, 1, v111
	v_pk_fma_f32 v[112:113], v[114:115], v[112:113], v[116:117] neg_lo:[0,0,1] neg_hi:[0,0,1]
	v_mov_b32_e32 v113, v119
	s_delay_alu instid0(VALU_DEP_3) | instskip(NEXT) | instid1(VALU_DEP_2)
	v_cmp_lt_u32_e32 vcc_lo, 18, v111
	v_pk_add_f32 v[106:107], v[106:107], v[112:113]
	s_or_b32 s5, vcc_lo, s5
	s_delay_alu instid0(SALU_CYCLE_1)
	s_and_not1_b32 exec_lo, exec_lo, s5
	s_cbranch_execnz .LBB114_697
; %bb.698:
	s_or_b32 exec_lo, exec_lo, s5
.LBB114_699:
	s_delay_alu instid0(SALU_CYCLE_1) | instskip(SKIP_4) | instid1(VALU_DEP_1)
	s_or_b32 exec_lo, exec_lo, s4
	v_mov_b32_e32 v109, 0
	ds_load_b64 v[110:111], v109 offset:160
	s_wait_dscnt 0x0
	v_pk_mul_f32 v[112:113], v[106:107], v[110:111] op_sel:[1,1] op_sel_hi:[0,1]
	v_pk_fma_f32 v[114:115], v[106:107], v[110:111], v[112:113] op_sel_hi:[1,0,1]
	v_pk_fma_f32 v[106:107], v[106:107], v[110:111], v[112:113] neg_lo:[0,0,1] neg_hi:[0,0,1]
	s_delay_alu instid0(VALU_DEP_2)
	v_mov_b32_e32 v107, v115
	scratch_store_b64 off, v[106:107], off offset:160
.LBB114_700:
	s_wait_xcnt 0x0
	s_or_b32 exec_lo, exec_lo, s0
	scratch_load_b64 v[106:107], off, off offset:168
	s_mov_b32 s0, exec_lo
	s_wait_loadcnt 0x0
	ds_store_b64 v1, v[106:107]
	s_wait_storecnt_dscnt 0x0
	s_barrier_signal -1
	s_barrier_wait -1
	s_wait_xcnt 0x0
	v_cmpx_gt_u32_e32 21, v0
	s_cbranch_execz .LBB114_710
; %bb.701:
	v_cmp_ne_u32_e32 vcc_lo, 1, v108
	s_cbranch_vccnz .LBB114_703
; %bb.702:
	scratch_load_b64 v[106:107], v59, off
	ds_load_b64 v[110:111], v1
	s_wait_loadcnt_dscnt 0x0
	v_pk_mul_f32 v[112:113], v[110:111], v[106:107] op_sel:[1,1] op_sel_hi:[0,1]
	s_delay_alu instid0(VALU_DEP_1) | instskip(SKIP_1) | instid1(VALU_DEP_2)
	v_pk_fma_f32 v[114:115], v[110:111], v[106:107], v[112:113] op_sel_hi:[1,0,1]
	v_pk_fma_f32 v[106:107], v[110:111], v[106:107], v[112:113] neg_lo:[0,0,1] neg_hi:[0,0,1]
	v_mov_b32_e32 v107, v115
	s_cbranch_execz .LBB114_704
	s_branch .LBB114_705
.LBB114_703:
                                        ; implicit-def: $vgpr106_vgpr107
.LBB114_704:
	ds_load_b64 v[106:107], v1
.LBB114_705:
	s_mov_b32 s4, exec_lo
	v_cmpx_ne_u32_e32 20, v0
	s_cbranch_execz .LBB114_709
; %bb.706:
	v_add_nc_u32_e32 v109, 0x1a8, v58
	v_add3_u32 v110, 0, v58, 8
	v_mov_b32_e32 v111, v0
	s_mov_b32 s5, 0
.LBB114_707:                            ; =>This Inner Loop Header: Depth=1
	scratch_load_b64 v[112:113], v110, off
	ds_load_b64 v[114:115], v109
	s_wait_xcnt 0x0
	v_dual_add_nc_u32 v109, 8, v109 :: v_dual_add_nc_u32 v110, 8, v110
	s_wait_loadcnt_dscnt 0x0
	v_pk_mul_f32 v[116:117], v[114:115], v[112:113] op_sel:[1,1] op_sel_hi:[0,1]
	s_delay_alu instid0(VALU_DEP_1) | instskip(SKIP_2) | instid1(VALU_DEP_3)
	v_pk_fma_f32 v[118:119], v[114:115], v[112:113], v[116:117] op_sel_hi:[1,0,1]
	v_add_nc_u32_e32 v111, 1, v111
	v_pk_fma_f32 v[112:113], v[114:115], v[112:113], v[116:117] neg_lo:[0,0,1] neg_hi:[0,0,1]
	v_mov_b32_e32 v113, v119
	s_delay_alu instid0(VALU_DEP_3) | instskip(NEXT) | instid1(VALU_DEP_2)
	v_cmp_lt_u32_e32 vcc_lo, 19, v111
	v_pk_add_f32 v[106:107], v[106:107], v[112:113]
	s_or_b32 s5, vcc_lo, s5
	s_delay_alu instid0(SALU_CYCLE_1)
	s_and_not1_b32 exec_lo, exec_lo, s5
	s_cbranch_execnz .LBB114_707
; %bb.708:
	s_or_b32 exec_lo, exec_lo, s5
.LBB114_709:
	s_delay_alu instid0(SALU_CYCLE_1) | instskip(SKIP_4) | instid1(VALU_DEP_1)
	s_or_b32 exec_lo, exec_lo, s4
	v_mov_b32_e32 v109, 0
	ds_load_b64 v[110:111], v109 offset:168
	s_wait_dscnt 0x0
	v_pk_mul_f32 v[112:113], v[106:107], v[110:111] op_sel:[1,1] op_sel_hi:[0,1]
	v_pk_fma_f32 v[114:115], v[106:107], v[110:111], v[112:113] op_sel_hi:[1,0,1]
	v_pk_fma_f32 v[106:107], v[106:107], v[110:111], v[112:113] neg_lo:[0,0,1] neg_hi:[0,0,1]
	s_delay_alu instid0(VALU_DEP_2)
	v_mov_b32_e32 v107, v115
	scratch_store_b64 off, v[106:107], off offset:168
.LBB114_710:
	s_wait_xcnt 0x0
	s_or_b32 exec_lo, exec_lo, s0
	scratch_load_b64 v[106:107], off, off offset:176
	s_mov_b32 s0, exec_lo
	s_wait_loadcnt 0x0
	ds_store_b64 v1, v[106:107]
	s_wait_storecnt_dscnt 0x0
	s_barrier_signal -1
	s_barrier_wait -1
	s_wait_xcnt 0x0
	v_cmpx_gt_u32_e32 22, v0
	s_cbranch_execz .LBB114_720
; %bb.711:
	v_cmp_ne_u32_e32 vcc_lo, 1, v108
	s_cbranch_vccnz .LBB114_713
; %bb.712:
	scratch_load_b64 v[106:107], v59, off
	ds_load_b64 v[110:111], v1
	s_wait_loadcnt_dscnt 0x0
	v_pk_mul_f32 v[112:113], v[110:111], v[106:107] op_sel:[1,1] op_sel_hi:[0,1]
	s_delay_alu instid0(VALU_DEP_1) | instskip(SKIP_1) | instid1(VALU_DEP_2)
	v_pk_fma_f32 v[114:115], v[110:111], v[106:107], v[112:113] op_sel_hi:[1,0,1]
	v_pk_fma_f32 v[106:107], v[110:111], v[106:107], v[112:113] neg_lo:[0,0,1] neg_hi:[0,0,1]
	v_mov_b32_e32 v107, v115
	s_cbranch_execz .LBB114_714
	s_branch .LBB114_715
.LBB114_713:
                                        ; implicit-def: $vgpr106_vgpr107
.LBB114_714:
	ds_load_b64 v[106:107], v1
.LBB114_715:
	s_mov_b32 s4, exec_lo
	v_cmpx_ne_u32_e32 21, v0
	s_cbranch_execz .LBB114_719
; %bb.716:
	v_add_nc_u32_e32 v109, 0x1a8, v58
	v_add3_u32 v110, 0, v58, 8
	v_mov_b32_e32 v111, v0
	s_mov_b32 s5, 0
.LBB114_717:                            ; =>This Inner Loop Header: Depth=1
	scratch_load_b64 v[112:113], v110, off
	ds_load_b64 v[114:115], v109
	s_wait_xcnt 0x0
	v_dual_add_nc_u32 v109, 8, v109 :: v_dual_add_nc_u32 v110, 8, v110
	s_wait_loadcnt_dscnt 0x0
	v_pk_mul_f32 v[116:117], v[114:115], v[112:113] op_sel:[1,1] op_sel_hi:[0,1]
	s_delay_alu instid0(VALU_DEP_1) | instskip(SKIP_2) | instid1(VALU_DEP_3)
	v_pk_fma_f32 v[118:119], v[114:115], v[112:113], v[116:117] op_sel_hi:[1,0,1]
	v_add_nc_u32_e32 v111, 1, v111
	v_pk_fma_f32 v[112:113], v[114:115], v[112:113], v[116:117] neg_lo:[0,0,1] neg_hi:[0,0,1]
	v_mov_b32_e32 v113, v119
	s_delay_alu instid0(VALU_DEP_3) | instskip(NEXT) | instid1(VALU_DEP_2)
	v_cmp_lt_u32_e32 vcc_lo, 20, v111
	v_pk_add_f32 v[106:107], v[106:107], v[112:113]
	s_or_b32 s5, vcc_lo, s5
	s_delay_alu instid0(SALU_CYCLE_1)
	s_and_not1_b32 exec_lo, exec_lo, s5
	s_cbranch_execnz .LBB114_717
; %bb.718:
	s_or_b32 exec_lo, exec_lo, s5
.LBB114_719:
	s_delay_alu instid0(SALU_CYCLE_1) | instskip(SKIP_4) | instid1(VALU_DEP_1)
	s_or_b32 exec_lo, exec_lo, s4
	v_mov_b32_e32 v109, 0
	ds_load_b64 v[110:111], v109 offset:176
	s_wait_dscnt 0x0
	v_pk_mul_f32 v[112:113], v[106:107], v[110:111] op_sel:[1,1] op_sel_hi:[0,1]
	v_pk_fma_f32 v[114:115], v[106:107], v[110:111], v[112:113] op_sel_hi:[1,0,1]
	v_pk_fma_f32 v[106:107], v[106:107], v[110:111], v[112:113] neg_lo:[0,0,1] neg_hi:[0,0,1]
	s_delay_alu instid0(VALU_DEP_2)
	v_mov_b32_e32 v107, v115
	scratch_store_b64 off, v[106:107], off offset:176
.LBB114_720:
	s_wait_xcnt 0x0
	s_or_b32 exec_lo, exec_lo, s0
	scratch_load_b64 v[106:107], off, off offset:184
	s_mov_b32 s0, exec_lo
	s_wait_loadcnt 0x0
	ds_store_b64 v1, v[106:107]
	s_wait_storecnt_dscnt 0x0
	s_barrier_signal -1
	s_barrier_wait -1
	s_wait_xcnt 0x0
	v_cmpx_gt_u32_e32 23, v0
	s_cbranch_execz .LBB114_730
; %bb.721:
	v_cmp_ne_u32_e32 vcc_lo, 1, v108
	s_cbranch_vccnz .LBB114_723
; %bb.722:
	scratch_load_b64 v[106:107], v59, off
	ds_load_b64 v[110:111], v1
	s_wait_loadcnt_dscnt 0x0
	v_pk_mul_f32 v[112:113], v[110:111], v[106:107] op_sel:[1,1] op_sel_hi:[0,1]
	s_delay_alu instid0(VALU_DEP_1) | instskip(SKIP_1) | instid1(VALU_DEP_2)
	v_pk_fma_f32 v[114:115], v[110:111], v[106:107], v[112:113] op_sel_hi:[1,0,1]
	v_pk_fma_f32 v[106:107], v[110:111], v[106:107], v[112:113] neg_lo:[0,0,1] neg_hi:[0,0,1]
	v_mov_b32_e32 v107, v115
	s_cbranch_execz .LBB114_724
	s_branch .LBB114_725
.LBB114_723:
                                        ; implicit-def: $vgpr106_vgpr107
.LBB114_724:
	ds_load_b64 v[106:107], v1
.LBB114_725:
	s_mov_b32 s4, exec_lo
	v_cmpx_ne_u32_e32 22, v0
	s_cbranch_execz .LBB114_729
; %bb.726:
	v_add_nc_u32_e32 v109, 0x1a8, v58
	v_add3_u32 v110, 0, v58, 8
	v_mov_b32_e32 v111, v0
	s_mov_b32 s5, 0
.LBB114_727:                            ; =>This Inner Loop Header: Depth=1
	scratch_load_b64 v[112:113], v110, off
	ds_load_b64 v[114:115], v109
	s_wait_xcnt 0x0
	v_dual_add_nc_u32 v109, 8, v109 :: v_dual_add_nc_u32 v110, 8, v110
	s_wait_loadcnt_dscnt 0x0
	v_pk_mul_f32 v[116:117], v[114:115], v[112:113] op_sel:[1,1] op_sel_hi:[0,1]
	s_delay_alu instid0(VALU_DEP_1) | instskip(SKIP_2) | instid1(VALU_DEP_3)
	v_pk_fma_f32 v[118:119], v[114:115], v[112:113], v[116:117] op_sel_hi:[1,0,1]
	v_add_nc_u32_e32 v111, 1, v111
	v_pk_fma_f32 v[112:113], v[114:115], v[112:113], v[116:117] neg_lo:[0,0,1] neg_hi:[0,0,1]
	v_mov_b32_e32 v113, v119
	s_delay_alu instid0(VALU_DEP_3) | instskip(NEXT) | instid1(VALU_DEP_2)
	v_cmp_lt_u32_e32 vcc_lo, 21, v111
	v_pk_add_f32 v[106:107], v[106:107], v[112:113]
	s_or_b32 s5, vcc_lo, s5
	s_delay_alu instid0(SALU_CYCLE_1)
	s_and_not1_b32 exec_lo, exec_lo, s5
	s_cbranch_execnz .LBB114_727
; %bb.728:
	s_or_b32 exec_lo, exec_lo, s5
.LBB114_729:
	s_delay_alu instid0(SALU_CYCLE_1) | instskip(SKIP_4) | instid1(VALU_DEP_1)
	s_or_b32 exec_lo, exec_lo, s4
	v_mov_b32_e32 v109, 0
	ds_load_b64 v[110:111], v109 offset:184
	s_wait_dscnt 0x0
	v_pk_mul_f32 v[112:113], v[106:107], v[110:111] op_sel:[1,1] op_sel_hi:[0,1]
	v_pk_fma_f32 v[114:115], v[106:107], v[110:111], v[112:113] op_sel_hi:[1,0,1]
	v_pk_fma_f32 v[106:107], v[106:107], v[110:111], v[112:113] neg_lo:[0,0,1] neg_hi:[0,0,1]
	s_delay_alu instid0(VALU_DEP_2)
	v_mov_b32_e32 v107, v115
	scratch_store_b64 off, v[106:107], off offset:184
.LBB114_730:
	s_wait_xcnt 0x0
	s_or_b32 exec_lo, exec_lo, s0
	scratch_load_b64 v[106:107], off, off offset:192
	s_mov_b32 s0, exec_lo
	s_wait_loadcnt 0x0
	ds_store_b64 v1, v[106:107]
	s_wait_storecnt_dscnt 0x0
	s_barrier_signal -1
	s_barrier_wait -1
	s_wait_xcnt 0x0
	v_cmpx_gt_u32_e32 24, v0
	s_cbranch_execz .LBB114_740
; %bb.731:
	v_cmp_ne_u32_e32 vcc_lo, 1, v108
	s_cbranch_vccnz .LBB114_733
; %bb.732:
	scratch_load_b64 v[106:107], v59, off
	ds_load_b64 v[110:111], v1
	s_wait_loadcnt_dscnt 0x0
	v_pk_mul_f32 v[112:113], v[110:111], v[106:107] op_sel:[1,1] op_sel_hi:[0,1]
	s_delay_alu instid0(VALU_DEP_1) | instskip(SKIP_1) | instid1(VALU_DEP_2)
	v_pk_fma_f32 v[114:115], v[110:111], v[106:107], v[112:113] op_sel_hi:[1,0,1]
	v_pk_fma_f32 v[106:107], v[110:111], v[106:107], v[112:113] neg_lo:[0,0,1] neg_hi:[0,0,1]
	v_mov_b32_e32 v107, v115
	s_cbranch_execz .LBB114_734
	s_branch .LBB114_735
.LBB114_733:
                                        ; implicit-def: $vgpr106_vgpr107
.LBB114_734:
	ds_load_b64 v[106:107], v1
.LBB114_735:
	s_mov_b32 s4, exec_lo
	v_cmpx_ne_u32_e32 23, v0
	s_cbranch_execz .LBB114_739
; %bb.736:
	v_add_nc_u32_e32 v109, 0x1a8, v58
	v_add3_u32 v110, 0, v58, 8
	v_mov_b32_e32 v111, v0
	s_mov_b32 s5, 0
.LBB114_737:                            ; =>This Inner Loop Header: Depth=1
	scratch_load_b64 v[112:113], v110, off
	ds_load_b64 v[114:115], v109
	s_wait_xcnt 0x0
	v_dual_add_nc_u32 v109, 8, v109 :: v_dual_add_nc_u32 v110, 8, v110
	s_wait_loadcnt_dscnt 0x0
	v_pk_mul_f32 v[116:117], v[114:115], v[112:113] op_sel:[1,1] op_sel_hi:[0,1]
	s_delay_alu instid0(VALU_DEP_1) | instskip(SKIP_2) | instid1(VALU_DEP_3)
	v_pk_fma_f32 v[118:119], v[114:115], v[112:113], v[116:117] op_sel_hi:[1,0,1]
	v_add_nc_u32_e32 v111, 1, v111
	v_pk_fma_f32 v[112:113], v[114:115], v[112:113], v[116:117] neg_lo:[0,0,1] neg_hi:[0,0,1]
	v_mov_b32_e32 v113, v119
	s_delay_alu instid0(VALU_DEP_3) | instskip(NEXT) | instid1(VALU_DEP_2)
	v_cmp_lt_u32_e32 vcc_lo, 22, v111
	v_pk_add_f32 v[106:107], v[106:107], v[112:113]
	s_or_b32 s5, vcc_lo, s5
	s_delay_alu instid0(SALU_CYCLE_1)
	s_and_not1_b32 exec_lo, exec_lo, s5
	s_cbranch_execnz .LBB114_737
; %bb.738:
	s_or_b32 exec_lo, exec_lo, s5
.LBB114_739:
	s_delay_alu instid0(SALU_CYCLE_1) | instskip(SKIP_4) | instid1(VALU_DEP_1)
	s_or_b32 exec_lo, exec_lo, s4
	v_mov_b32_e32 v109, 0
	ds_load_b64 v[110:111], v109 offset:192
	s_wait_dscnt 0x0
	v_pk_mul_f32 v[112:113], v[106:107], v[110:111] op_sel:[1,1] op_sel_hi:[0,1]
	v_pk_fma_f32 v[114:115], v[106:107], v[110:111], v[112:113] op_sel_hi:[1,0,1]
	v_pk_fma_f32 v[106:107], v[106:107], v[110:111], v[112:113] neg_lo:[0,0,1] neg_hi:[0,0,1]
	s_delay_alu instid0(VALU_DEP_2)
	v_mov_b32_e32 v107, v115
	scratch_store_b64 off, v[106:107], off offset:192
.LBB114_740:
	s_wait_xcnt 0x0
	s_or_b32 exec_lo, exec_lo, s0
	scratch_load_b64 v[106:107], off, off offset:200
	s_mov_b32 s0, exec_lo
	s_wait_loadcnt 0x0
	ds_store_b64 v1, v[106:107]
	s_wait_storecnt_dscnt 0x0
	s_barrier_signal -1
	s_barrier_wait -1
	s_wait_xcnt 0x0
	v_cmpx_gt_u32_e32 25, v0
	s_cbranch_execz .LBB114_750
; %bb.741:
	v_cmp_ne_u32_e32 vcc_lo, 1, v108
	s_cbranch_vccnz .LBB114_743
; %bb.742:
	scratch_load_b64 v[106:107], v59, off
	ds_load_b64 v[110:111], v1
	s_wait_loadcnt_dscnt 0x0
	v_pk_mul_f32 v[112:113], v[110:111], v[106:107] op_sel:[1,1] op_sel_hi:[0,1]
	s_delay_alu instid0(VALU_DEP_1) | instskip(SKIP_1) | instid1(VALU_DEP_2)
	v_pk_fma_f32 v[114:115], v[110:111], v[106:107], v[112:113] op_sel_hi:[1,0,1]
	v_pk_fma_f32 v[106:107], v[110:111], v[106:107], v[112:113] neg_lo:[0,0,1] neg_hi:[0,0,1]
	v_mov_b32_e32 v107, v115
	s_cbranch_execz .LBB114_744
	s_branch .LBB114_745
.LBB114_743:
                                        ; implicit-def: $vgpr106_vgpr107
.LBB114_744:
	ds_load_b64 v[106:107], v1
.LBB114_745:
	s_mov_b32 s4, exec_lo
	v_cmpx_ne_u32_e32 24, v0
	s_cbranch_execz .LBB114_749
; %bb.746:
	v_add_nc_u32_e32 v109, 0x1a8, v58
	v_add3_u32 v110, 0, v58, 8
	v_mov_b32_e32 v111, v0
	s_mov_b32 s5, 0
.LBB114_747:                            ; =>This Inner Loop Header: Depth=1
	scratch_load_b64 v[112:113], v110, off
	ds_load_b64 v[114:115], v109
	s_wait_xcnt 0x0
	v_dual_add_nc_u32 v109, 8, v109 :: v_dual_add_nc_u32 v110, 8, v110
	s_wait_loadcnt_dscnt 0x0
	v_pk_mul_f32 v[116:117], v[114:115], v[112:113] op_sel:[1,1] op_sel_hi:[0,1]
	s_delay_alu instid0(VALU_DEP_1) | instskip(SKIP_2) | instid1(VALU_DEP_3)
	v_pk_fma_f32 v[118:119], v[114:115], v[112:113], v[116:117] op_sel_hi:[1,0,1]
	v_add_nc_u32_e32 v111, 1, v111
	v_pk_fma_f32 v[112:113], v[114:115], v[112:113], v[116:117] neg_lo:[0,0,1] neg_hi:[0,0,1]
	v_mov_b32_e32 v113, v119
	s_delay_alu instid0(VALU_DEP_3) | instskip(NEXT) | instid1(VALU_DEP_2)
	v_cmp_lt_u32_e32 vcc_lo, 23, v111
	v_pk_add_f32 v[106:107], v[106:107], v[112:113]
	s_or_b32 s5, vcc_lo, s5
	s_delay_alu instid0(SALU_CYCLE_1)
	s_and_not1_b32 exec_lo, exec_lo, s5
	s_cbranch_execnz .LBB114_747
; %bb.748:
	s_or_b32 exec_lo, exec_lo, s5
.LBB114_749:
	s_delay_alu instid0(SALU_CYCLE_1) | instskip(SKIP_4) | instid1(VALU_DEP_1)
	s_or_b32 exec_lo, exec_lo, s4
	v_mov_b32_e32 v109, 0
	ds_load_b64 v[110:111], v109 offset:200
	s_wait_dscnt 0x0
	v_pk_mul_f32 v[112:113], v[106:107], v[110:111] op_sel:[1,1] op_sel_hi:[0,1]
	v_pk_fma_f32 v[114:115], v[106:107], v[110:111], v[112:113] op_sel_hi:[1,0,1]
	v_pk_fma_f32 v[106:107], v[106:107], v[110:111], v[112:113] neg_lo:[0,0,1] neg_hi:[0,0,1]
	s_delay_alu instid0(VALU_DEP_2)
	v_mov_b32_e32 v107, v115
	scratch_store_b64 off, v[106:107], off offset:200
.LBB114_750:
	s_wait_xcnt 0x0
	s_or_b32 exec_lo, exec_lo, s0
	scratch_load_b64 v[106:107], off, off offset:208
	s_mov_b32 s0, exec_lo
	s_wait_loadcnt 0x0
	ds_store_b64 v1, v[106:107]
	s_wait_storecnt_dscnt 0x0
	s_barrier_signal -1
	s_barrier_wait -1
	s_wait_xcnt 0x0
	v_cmpx_gt_u32_e32 26, v0
	s_cbranch_execz .LBB114_760
; %bb.751:
	v_cmp_ne_u32_e32 vcc_lo, 1, v108
	s_cbranch_vccnz .LBB114_753
; %bb.752:
	scratch_load_b64 v[106:107], v59, off
	ds_load_b64 v[110:111], v1
	s_wait_loadcnt_dscnt 0x0
	v_pk_mul_f32 v[112:113], v[110:111], v[106:107] op_sel:[1,1] op_sel_hi:[0,1]
	s_delay_alu instid0(VALU_DEP_1) | instskip(SKIP_1) | instid1(VALU_DEP_2)
	v_pk_fma_f32 v[114:115], v[110:111], v[106:107], v[112:113] op_sel_hi:[1,0,1]
	v_pk_fma_f32 v[106:107], v[110:111], v[106:107], v[112:113] neg_lo:[0,0,1] neg_hi:[0,0,1]
	v_mov_b32_e32 v107, v115
	s_cbranch_execz .LBB114_754
	s_branch .LBB114_755
.LBB114_753:
                                        ; implicit-def: $vgpr106_vgpr107
.LBB114_754:
	ds_load_b64 v[106:107], v1
.LBB114_755:
	s_mov_b32 s4, exec_lo
	v_cmpx_ne_u32_e32 25, v0
	s_cbranch_execz .LBB114_759
; %bb.756:
	v_add_nc_u32_e32 v109, 0x1a8, v58
	v_add3_u32 v110, 0, v58, 8
	v_mov_b32_e32 v111, v0
	s_mov_b32 s5, 0
.LBB114_757:                            ; =>This Inner Loop Header: Depth=1
	scratch_load_b64 v[112:113], v110, off
	ds_load_b64 v[114:115], v109
	s_wait_xcnt 0x0
	v_dual_add_nc_u32 v109, 8, v109 :: v_dual_add_nc_u32 v110, 8, v110
	s_wait_loadcnt_dscnt 0x0
	v_pk_mul_f32 v[116:117], v[114:115], v[112:113] op_sel:[1,1] op_sel_hi:[0,1]
	s_delay_alu instid0(VALU_DEP_1) | instskip(SKIP_2) | instid1(VALU_DEP_3)
	v_pk_fma_f32 v[118:119], v[114:115], v[112:113], v[116:117] op_sel_hi:[1,0,1]
	v_add_nc_u32_e32 v111, 1, v111
	v_pk_fma_f32 v[112:113], v[114:115], v[112:113], v[116:117] neg_lo:[0,0,1] neg_hi:[0,0,1]
	v_mov_b32_e32 v113, v119
	s_delay_alu instid0(VALU_DEP_3) | instskip(NEXT) | instid1(VALU_DEP_2)
	v_cmp_lt_u32_e32 vcc_lo, 24, v111
	v_pk_add_f32 v[106:107], v[106:107], v[112:113]
	s_or_b32 s5, vcc_lo, s5
	s_delay_alu instid0(SALU_CYCLE_1)
	s_and_not1_b32 exec_lo, exec_lo, s5
	s_cbranch_execnz .LBB114_757
; %bb.758:
	s_or_b32 exec_lo, exec_lo, s5
.LBB114_759:
	s_delay_alu instid0(SALU_CYCLE_1) | instskip(SKIP_4) | instid1(VALU_DEP_1)
	s_or_b32 exec_lo, exec_lo, s4
	v_mov_b32_e32 v109, 0
	ds_load_b64 v[110:111], v109 offset:208
	s_wait_dscnt 0x0
	v_pk_mul_f32 v[112:113], v[106:107], v[110:111] op_sel:[1,1] op_sel_hi:[0,1]
	v_pk_fma_f32 v[114:115], v[106:107], v[110:111], v[112:113] op_sel_hi:[1,0,1]
	v_pk_fma_f32 v[106:107], v[106:107], v[110:111], v[112:113] neg_lo:[0,0,1] neg_hi:[0,0,1]
	s_delay_alu instid0(VALU_DEP_2)
	v_mov_b32_e32 v107, v115
	scratch_store_b64 off, v[106:107], off offset:208
.LBB114_760:
	s_wait_xcnt 0x0
	s_or_b32 exec_lo, exec_lo, s0
	scratch_load_b64 v[106:107], off, off offset:216
	s_mov_b32 s0, exec_lo
	s_wait_loadcnt 0x0
	ds_store_b64 v1, v[106:107]
	s_wait_storecnt_dscnt 0x0
	s_barrier_signal -1
	s_barrier_wait -1
	s_wait_xcnt 0x0
	v_cmpx_gt_u32_e32 27, v0
	s_cbranch_execz .LBB114_770
; %bb.761:
	v_cmp_ne_u32_e32 vcc_lo, 1, v108
	s_cbranch_vccnz .LBB114_763
; %bb.762:
	scratch_load_b64 v[106:107], v59, off
	ds_load_b64 v[110:111], v1
	s_wait_loadcnt_dscnt 0x0
	v_pk_mul_f32 v[112:113], v[110:111], v[106:107] op_sel:[1,1] op_sel_hi:[0,1]
	s_delay_alu instid0(VALU_DEP_1) | instskip(SKIP_1) | instid1(VALU_DEP_2)
	v_pk_fma_f32 v[114:115], v[110:111], v[106:107], v[112:113] op_sel_hi:[1,0,1]
	v_pk_fma_f32 v[106:107], v[110:111], v[106:107], v[112:113] neg_lo:[0,0,1] neg_hi:[0,0,1]
	v_mov_b32_e32 v107, v115
	s_cbranch_execz .LBB114_764
	s_branch .LBB114_765
.LBB114_763:
                                        ; implicit-def: $vgpr106_vgpr107
.LBB114_764:
	ds_load_b64 v[106:107], v1
.LBB114_765:
	s_mov_b32 s4, exec_lo
	v_cmpx_ne_u32_e32 26, v0
	s_cbranch_execz .LBB114_769
; %bb.766:
	v_add_nc_u32_e32 v109, 0x1a8, v58
	v_add3_u32 v110, 0, v58, 8
	v_mov_b32_e32 v111, v0
	s_mov_b32 s5, 0
.LBB114_767:                            ; =>This Inner Loop Header: Depth=1
	scratch_load_b64 v[112:113], v110, off
	ds_load_b64 v[114:115], v109
	s_wait_xcnt 0x0
	v_dual_add_nc_u32 v109, 8, v109 :: v_dual_add_nc_u32 v110, 8, v110
	s_wait_loadcnt_dscnt 0x0
	v_pk_mul_f32 v[116:117], v[114:115], v[112:113] op_sel:[1,1] op_sel_hi:[0,1]
	s_delay_alu instid0(VALU_DEP_1) | instskip(SKIP_2) | instid1(VALU_DEP_3)
	v_pk_fma_f32 v[118:119], v[114:115], v[112:113], v[116:117] op_sel_hi:[1,0,1]
	v_add_nc_u32_e32 v111, 1, v111
	v_pk_fma_f32 v[112:113], v[114:115], v[112:113], v[116:117] neg_lo:[0,0,1] neg_hi:[0,0,1]
	v_mov_b32_e32 v113, v119
	s_delay_alu instid0(VALU_DEP_3) | instskip(NEXT) | instid1(VALU_DEP_2)
	v_cmp_lt_u32_e32 vcc_lo, 25, v111
	v_pk_add_f32 v[106:107], v[106:107], v[112:113]
	s_or_b32 s5, vcc_lo, s5
	s_delay_alu instid0(SALU_CYCLE_1)
	s_and_not1_b32 exec_lo, exec_lo, s5
	s_cbranch_execnz .LBB114_767
; %bb.768:
	s_or_b32 exec_lo, exec_lo, s5
.LBB114_769:
	s_delay_alu instid0(SALU_CYCLE_1) | instskip(SKIP_4) | instid1(VALU_DEP_1)
	s_or_b32 exec_lo, exec_lo, s4
	v_mov_b32_e32 v109, 0
	ds_load_b64 v[110:111], v109 offset:216
	s_wait_dscnt 0x0
	v_pk_mul_f32 v[112:113], v[106:107], v[110:111] op_sel:[1,1] op_sel_hi:[0,1]
	v_pk_fma_f32 v[114:115], v[106:107], v[110:111], v[112:113] op_sel_hi:[1,0,1]
	v_pk_fma_f32 v[106:107], v[106:107], v[110:111], v[112:113] neg_lo:[0,0,1] neg_hi:[0,0,1]
	s_delay_alu instid0(VALU_DEP_2)
	v_mov_b32_e32 v107, v115
	scratch_store_b64 off, v[106:107], off offset:216
.LBB114_770:
	s_wait_xcnt 0x0
	s_or_b32 exec_lo, exec_lo, s0
	scratch_load_b64 v[106:107], off, off offset:224
	s_mov_b32 s0, exec_lo
	s_wait_loadcnt 0x0
	ds_store_b64 v1, v[106:107]
	s_wait_storecnt_dscnt 0x0
	s_barrier_signal -1
	s_barrier_wait -1
	s_wait_xcnt 0x0
	v_cmpx_gt_u32_e32 28, v0
	s_cbranch_execz .LBB114_780
; %bb.771:
	v_cmp_ne_u32_e32 vcc_lo, 1, v108
	s_cbranch_vccnz .LBB114_773
; %bb.772:
	scratch_load_b64 v[106:107], v59, off
	ds_load_b64 v[110:111], v1
	s_wait_loadcnt_dscnt 0x0
	v_pk_mul_f32 v[112:113], v[110:111], v[106:107] op_sel:[1,1] op_sel_hi:[0,1]
	s_delay_alu instid0(VALU_DEP_1) | instskip(SKIP_1) | instid1(VALU_DEP_2)
	v_pk_fma_f32 v[114:115], v[110:111], v[106:107], v[112:113] op_sel_hi:[1,0,1]
	v_pk_fma_f32 v[106:107], v[110:111], v[106:107], v[112:113] neg_lo:[0,0,1] neg_hi:[0,0,1]
	v_mov_b32_e32 v107, v115
	s_cbranch_execz .LBB114_774
	s_branch .LBB114_775
.LBB114_773:
                                        ; implicit-def: $vgpr106_vgpr107
.LBB114_774:
	ds_load_b64 v[106:107], v1
.LBB114_775:
	s_mov_b32 s4, exec_lo
	v_cmpx_ne_u32_e32 27, v0
	s_cbranch_execz .LBB114_779
; %bb.776:
	v_add_nc_u32_e32 v109, 0x1a8, v58
	v_add3_u32 v110, 0, v58, 8
	v_mov_b32_e32 v111, v0
	s_mov_b32 s5, 0
.LBB114_777:                            ; =>This Inner Loop Header: Depth=1
	scratch_load_b64 v[112:113], v110, off
	ds_load_b64 v[114:115], v109
	s_wait_xcnt 0x0
	v_dual_add_nc_u32 v109, 8, v109 :: v_dual_add_nc_u32 v110, 8, v110
	s_wait_loadcnt_dscnt 0x0
	v_pk_mul_f32 v[116:117], v[114:115], v[112:113] op_sel:[1,1] op_sel_hi:[0,1]
	s_delay_alu instid0(VALU_DEP_1) | instskip(SKIP_2) | instid1(VALU_DEP_3)
	v_pk_fma_f32 v[118:119], v[114:115], v[112:113], v[116:117] op_sel_hi:[1,0,1]
	v_add_nc_u32_e32 v111, 1, v111
	v_pk_fma_f32 v[112:113], v[114:115], v[112:113], v[116:117] neg_lo:[0,0,1] neg_hi:[0,0,1]
	v_mov_b32_e32 v113, v119
	s_delay_alu instid0(VALU_DEP_3) | instskip(NEXT) | instid1(VALU_DEP_2)
	v_cmp_lt_u32_e32 vcc_lo, 26, v111
	v_pk_add_f32 v[106:107], v[106:107], v[112:113]
	s_or_b32 s5, vcc_lo, s5
	s_delay_alu instid0(SALU_CYCLE_1)
	s_and_not1_b32 exec_lo, exec_lo, s5
	s_cbranch_execnz .LBB114_777
; %bb.778:
	s_or_b32 exec_lo, exec_lo, s5
.LBB114_779:
	s_delay_alu instid0(SALU_CYCLE_1) | instskip(SKIP_4) | instid1(VALU_DEP_1)
	s_or_b32 exec_lo, exec_lo, s4
	v_mov_b32_e32 v109, 0
	ds_load_b64 v[110:111], v109 offset:224
	s_wait_dscnt 0x0
	v_pk_mul_f32 v[112:113], v[106:107], v[110:111] op_sel:[1,1] op_sel_hi:[0,1]
	v_pk_fma_f32 v[114:115], v[106:107], v[110:111], v[112:113] op_sel_hi:[1,0,1]
	v_pk_fma_f32 v[106:107], v[106:107], v[110:111], v[112:113] neg_lo:[0,0,1] neg_hi:[0,0,1]
	s_delay_alu instid0(VALU_DEP_2)
	v_mov_b32_e32 v107, v115
	scratch_store_b64 off, v[106:107], off offset:224
.LBB114_780:
	s_wait_xcnt 0x0
	s_or_b32 exec_lo, exec_lo, s0
	scratch_load_b64 v[106:107], off, off offset:232
	s_mov_b32 s0, exec_lo
	s_wait_loadcnt 0x0
	ds_store_b64 v1, v[106:107]
	s_wait_storecnt_dscnt 0x0
	s_barrier_signal -1
	s_barrier_wait -1
	s_wait_xcnt 0x0
	v_cmpx_gt_u32_e32 29, v0
	s_cbranch_execz .LBB114_790
; %bb.781:
	v_cmp_ne_u32_e32 vcc_lo, 1, v108
	s_cbranch_vccnz .LBB114_783
; %bb.782:
	scratch_load_b64 v[106:107], v59, off
	ds_load_b64 v[110:111], v1
	s_wait_loadcnt_dscnt 0x0
	v_pk_mul_f32 v[112:113], v[110:111], v[106:107] op_sel:[1,1] op_sel_hi:[0,1]
	s_delay_alu instid0(VALU_DEP_1) | instskip(SKIP_1) | instid1(VALU_DEP_2)
	v_pk_fma_f32 v[114:115], v[110:111], v[106:107], v[112:113] op_sel_hi:[1,0,1]
	v_pk_fma_f32 v[106:107], v[110:111], v[106:107], v[112:113] neg_lo:[0,0,1] neg_hi:[0,0,1]
	v_mov_b32_e32 v107, v115
	s_cbranch_execz .LBB114_784
	s_branch .LBB114_785
.LBB114_783:
                                        ; implicit-def: $vgpr106_vgpr107
.LBB114_784:
	ds_load_b64 v[106:107], v1
.LBB114_785:
	s_mov_b32 s4, exec_lo
	v_cmpx_ne_u32_e32 28, v0
	s_cbranch_execz .LBB114_789
; %bb.786:
	v_add_nc_u32_e32 v109, 0x1a8, v58
	v_add3_u32 v110, 0, v58, 8
	v_mov_b32_e32 v111, v0
	s_mov_b32 s5, 0
.LBB114_787:                            ; =>This Inner Loop Header: Depth=1
	scratch_load_b64 v[112:113], v110, off
	ds_load_b64 v[114:115], v109
	s_wait_xcnt 0x0
	v_dual_add_nc_u32 v109, 8, v109 :: v_dual_add_nc_u32 v110, 8, v110
	s_wait_loadcnt_dscnt 0x0
	v_pk_mul_f32 v[116:117], v[114:115], v[112:113] op_sel:[1,1] op_sel_hi:[0,1]
	s_delay_alu instid0(VALU_DEP_1) | instskip(SKIP_2) | instid1(VALU_DEP_3)
	v_pk_fma_f32 v[118:119], v[114:115], v[112:113], v[116:117] op_sel_hi:[1,0,1]
	v_add_nc_u32_e32 v111, 1, v111
	v_pk_fma_f32 v[112:113], v[114:115], v[112:113], v[116:117] neg_lo:[0,0,1] neg_hi:[0,0,1]
	v_mov_b32_e32 v113, v119
	s_delay_alu instid0(VALU_DEP_3) | instskip(NEXT) | instid1(VALU_DEP_2)
	v_cmp_lt_u32_e32 vcc_lo, 27, v111
	v_pk_add_f32 v[106:107], v[106:107], v[112:113]
	s_or_b32 s5, vcc_lo, s5
	s_delay_alu instid0(SALU_CYCLE_1)
	s_and_not1_b32 exec_lo, exec_lo, s5
	s_cbranch_execnz .LBB114_787
; %bb.788:
	s_or_b32 exec_lo, exec_lo, s5
.LBB114_789:
	s_delay_alu instid0(SALU_CYCLE_1) | instskip(SKIP_4) | instid1(VALU_DEP_1)
	s_or_b32 exec_lo, exec_lo, s4
	v_mov_b32_e32 v109, 0
	ds_load_b64 v[110:111], v109 offset:232
	s_wait_dscnt 0x0
	v_pk_mul_f32 v[112:113], v[106:107], v[110:111] op_sel:[1,1] op_sel_hi:[0,1]
	v_pk_fma_f32 v[114:115], v[106:107], v[110:111], v[112:113] op_sel_hi:[1,0,1]
	v_pk_fma_f32 v[106:107], v[106:107], v[110:111], v[112:113] neg_lo:[0,0,1] neg_hi:[0,0,1]
	s_delay_alu instid0(VALU_DEP_2)
	v_mov_b32_e32 v107, v115
	scratch_store_b64 off, v[106:107], off offset:232
.LBB114_790:
	s_wait_xcnt 0x0
	s_or_b32 exec_lo, exec_lo, s0
	scratch_load_b64 v[106:107], off, off offset:240
	s_mov_b32 s0, exec_lo
	s_wait_loadcnt 0x0
	ds_store_b64 v1, v[106:107]
	s_wait_storecnt_dscnt 0x0
	s_barrier_signal -1
	s_barrier_wait -1
	s_wait_xcnt 0x0
	v_cmpx_gt_u32_e32 30, v0
	s_cbranch_execz .LBB114_800
; %bb.791:
	v_cmp_ne_u32_e32 vcc_lo, 1, v108
	s_cbranch_vccnz .LBB114_793
; %bb.792:
	scratch_load_b64 v[106:107], v59, off
	ds_load_b64 v[110:111], v1
	s_wait_loadcnt_dscnt 0x0
	v_pk_mul_f32 v[112:113], v[110:111], v[106:107] op_sel:[1,1] op_sel_hi:[0,1]
	s_delay_alu instid0(VALU_DEP_1) | instskip(SKIP_1) | instid1(VALU_DEP_2)
	v_pk_fma_f32 v[114:115], v[110:111], v[106:107], v[112:113] op_sel_hi:[1,0,1]
	v_pk_fma_f32 v[106:107], v[110:111], v[106:107], v[112:113] neg_lo:[0,0,1] neg_hi:[0,0,1]
	v_mov_b32_e32 v107, v115
	s_cbranch_execz .LBB114_794
	s_branch .LBB114_795
.LBB114_793:
                                        ; implicit-def: $vgpr106_vgpr107
.LBB114_794:
	ds_load_b64 v[106:107], v1
.LBB114_795:
	s_mov_b32 s4, exec_lo
	v_cmpx_ne_u32_e32 29, v0
	s_cbranch_execz .LBB114_799
; %bb.796:
	v_add_nc_u32_e32 v109, 0x1a8, v58
	v_add3_u32 v110, 0, v58, 8
	v_mov_b32_e32 v111, v0
	s_mov_b32 s5, 0
.LBB114_797:                            ; =>This Inner Loop Header: Depth=1
	scratch_load_b64 v[112:113], v110, off
	ds_load_b64 v[114:115], v109
	s_wait_xcnt 0x0
	v_dual_add_nc_u32 v109, 8, v109 :: v_dual_add_nc_u32 v110, 8, v110
	s_wait_loadcnt_dscnt 0x0
	v_pk_mul_f32 v[116:117], v[114:115], v[112:113] op_sel:[1,1] op_sel_hi:[0,1]
	s_delay_alu instid0(VALU_DEP_1) | instskip(SKIP_2) | instid1(VALU_DEP_3)
	v_pk_fma_f32 v[118:119], v[114:115], v[112:113], v[116:117] op_sel_hi:[1,0,1]
	v_add_nc_u32_e32 v111, 1, v111
	v_pk_fma_f32 v[112:113], v[114:115], v[112:113], v[116:117] neg_lo:[0,0,1] neg_hi:[0,0,1]
	v_mov_b32_e32 v113, v119
	s_delay_alu instid0(VALU_DEP_3) | instskip(NEXT) | instid1(VALU_DEP_2)
	v_cmp_lt_u32_e32 vcc_lo, 28, v111
	v_pk_add_f32 v[106:107], v[106:107], v[112:113]
	s_or_b32 s5, vcc_lo, s5
	s_delay_alu instid0(SALU_CYCLE_1)
	s_and_not1_b32 exec_lo, exec_lo, s5
	s_cbranch_execnz .LBB114_797
; %bb.798:
	s_or_b32 exec_lo, exec_lo, s5
.LBB114_799:
	s_delay_alu instid0(SALU_CYCLE_1) | instskip(SKIP_4) | instid1(VALU_DEP_1)
	s_or_b32 exec_lo, exec_lo, s4
	v_mov_b32_e32 v109, 0
	ds_load_b64 v[110:111], v109 offset:240
	s_wait_dscnt 0x0
	v_pk_mul_f32 v[112:113], v[106:107], v[110:111] op_sel:[1,1] op_sel_hi:[0,1]
	v_pk_fma_f32 v[114:115], v[106:107], v[110:111], v[112:113] op_sel_hi:[1,0,1]
	v_pk_fma_f32 v[106:107], v[106:107], v[110:111], v[112:113] neg_lo:[0,0,1] neg_hi:[0,0,1]
	s_delay_alu instid0(VALU_DEP_2)
	v_mov_b32_e32 v107, v115
	scratch_store_b64 off, v[106:107], off offset:240
.LBB114_800:
	s_wait_xcnt 0x0
	s_or_b32 exec_lo, exec_lo, s0
	scratch_load_b64 v[106:107], off, off offset:248
	s_mov_b32 s0, exec_lo
	s_wait_loadcnt 0x0
	ds_store_b64 v1, v[106:107]
	s_wait_storecnt_dscnt 0x0
	s_barrier_signal -1
	s_barrier_wait -1
	s_wait_xcnt 0x0
	v_cmpx_gt_u32_e32 31, v0
	s_cbranch_execz .LBB114_810
; %bb.801:
	v_cmp_ne_u32_e32 vcc_lo, 1, v108
	s_cbranch_vccnz .LBB114_803
; %bb.802:
	scratch_load_b64 v[106:107], v59, off
	ds_load_b64 v[110:111], v1
	s_wait_loadcnt_dscnt 0x0
	v_pk_mul_f32 v[112:113], v[110:111], v[106:107] op_sel:[1,1] op_sel_hi:[0,1]
	s_delay_alu instid0(VALU_DEP_1) | instskip(SKIP_1) | instid1(VALU_DEP_2)
	v_pk_fma_f32 v[114:115], v[110:111], v[106:107], v[112:113] op_sel_hi:[1,0,1]
	v_pk_fma_f32 v[106:107], v[110:111], v[106:107], v[112:113] neg_lo:[0,0,1] neg_hi:[0,0,1]
	v_mov_b32_e32 v107, v115
	s_cbranch_execz .LBB114_804
	s_branch .LBB114_805
.LBB114_803:
                                        ; implicit-def: $vgpr106_vgpr107
.LBB114_804:
	ds_load_b64 v[106:107], v1
.LBB114_805:
	s_mov_b32 s4, exec_lo
	v_cmpx_ne_u32_e32 30, v0
	s_cbranch_execz .LBB114_809
; %bb.806:
	v_add_nc_u32_e32 v109, 0x1a8, v58
	v_add3_u32 v110, 0, v58, 8
	v_mov_b32_e32 v111, v0
	s_mov_b32 s5, 0
.LBB114_807:                            ; =>This Inner Loop Header: Depth=1
	scratch_load_b64 v[112:113], v110, off
	ds_load_b64 v[114:115], v109
	s_wait_xcnt 0x0
	v_dual_add_nc_u32 v109, 8, v109 :: v_dual_add_nc_u32 v110, 8, v110
	s_wait_loadcnt_dscnt 0x0
	v_pk_mul_f32 v[116:117], v[114:115], v[112:113] op_sel:[1,1] op_sel_hi:[0,1]
	s_delay_alu instid0(VALU_DEP_1) | instskip(SKIP_2) | instid1(VALU_DEP_3)
	v_pk_fma_f32 v[118:119], v[114:115], v[112:113], v[116:117] op_sel_hi:[1,0,1]
	v_add_nc_u32_e32 v111, 1, v111
	v_pk_fma_f32 v[112:113], v[114:115], v[112:113], v[116:117] neg_lo:[0,0,1] neg_hi:[0,0,1]
	v_mov_b32_e32 v113, v119
	s_delay_alu instid0(VALU_DEP_3) | instskip(NEXT) | instid1(VALU_DEP_2)
	v_cmp_lt_u32_e32 vcc_lo, 29, v111
	v_pk_add_f32 v[106:107], v[106:107], v[112:113]
	s_or_b32 s5, vcc_lo, s5
	s_delay_alu instid0(SALU_CYCLE_1)
	s_and_not1_b32 exec_lo, exec_lo, s5
	s_cbranch_execnz .LBB114_807
; %bb.808:
	s_or_b32 exec_lo, exec_lo, s5
.LBB114_809:
	s_delay_alu instid0(SALU_CYCLE_1) | instskip(SKIP_4) | instid1(VALU_DEP_1)
	s_or_b32 exec_lo, exec_lo, s4
	v_mov_b32_e32 v109, 0
	ds_load_b64 v[110:111], v109 offset:248
	s_wait_dscnt 0x0
	v_pk_mul_f32 v[112:113], v[106:107], v[110:111] op_sel:[1,1] op_sel_hi:[0,1]
	v_pk_fma_f32 v[114:115], v[106:107], v[110:111], v[112:113] op_sel_hi:[1,0,1]
	v_pk_fma_f32 v[106:107], v[106:107], v[110:111], v[112:113] neg_lo:[0,0,1] neg_hi:[0,0,1]
	s_delay_alu instid0(VALU_DEP_2)
	v_mov_b32_e32 v107, v115
	scratch_store_b64 off, v[106:107], off offset:248
.LBB114_810:
	s_wait_xcnt 0x0
	s_or_b32 exec_lo, exec_lo, s0
	scratch_load_b64 v[106:107], off, off offset:256
	s_mov_b32 s0, exec_lo
	s_wait_loadcnt 0x0
	ds_store_b64 v1, v[106:107]
	s_wait_storecnt_dscnt 0x0
	s_barrier_signal -1
	s_barrier_wait -1
	s_wait_xcnt 0x0
	v_cmpx_gt_u32_e32 32, v0
	s_cbranch_execz .LBB114_820
; %bb.811:
	v_cmp_ne_u32_e32 vcc_lo, 1, v108
	s_cbranch_vccnz .LBB114_813
; %bb.812:
	scratch_load_b64 v[106:107], v59, off
	ds_load_b64 v[110:111], v1
	s_wait_loadcnt_dscnt 0x0
	v_pk_mul_f32 v[112:113], v[110:111], v[106:107] op_sel:[1,1] op_sel_hi:[0,1]
	s_delay_alu instid0(VALU_DEP_1) | instskip(SKIP_1) | instid1(VALU_DEP_2)
	v_pk_fma_f32 v[114:115], v[110:111], v[106:107], v[112:113] op_sel_hi:[1,0,1]
	v_pk_fma_f32 v[106:107], v[110:111], v[106:107], v[112:113] neg_lo:[0,0,1] neg_hi:[0,0,1]
	v_mov_b32_e32 v107, v115
	s_cbranch_execz .LBB114_814
	s_branch .LBB114_815
.LBB114_813:
                                        ; implicit-def: $vgpr106_vgpr107
.LBB114_814:
	ds_load_b64 v[106:107], v1
.LBB114_815:
	s_mov_b32 s4, exec_lo
	v_cmpx_ne_u32_e32 31, v0
	s_cbranch_execz .LBB114_819
; %bb.816:
	v_add_nc_u32_e32 v109, 0x1a8, v58
	v_add3_u32 v110, 0, v58, 8
	v_mov_b32_e32 v111, v0
	s_mov_b32 s5, 0
.LBB114_817:                            ; =>This Inner Loop Header: Depth=1
	scratch_load_b64 v[112:113], v110, off
	ds_load_b64 v[114:115], v109
	s_wait_xcnt 0x0
	v_dual_add_nc_u32 v109, 8, v109 :: v_dual_add_nc_u32 v110, 8, v110
	s_wait_loadcnt_dscnt 0x0
	v_pk_mul_f32 v[116:117], v[114:115], v[112:113] op_sel:[1,1] op_sel_hi:[0,1]
	s_delay_alu instid0(VALU_DEP_1) | instskip(SKIP_2) | instid1(VALU_DEP_3)
	v_pk_fma_f32 v[118:119], v[114:115], v[112:113], v[116:117] op_sel_hi:[1,0,1]
	v_add_nc_u32_e32 v111, 1, v111
	v_pk_fma_f32 v[112:113], v[114:115], v[112:113], v[116:117] neg_lo:[0,0,1] neg_hi:[0,0,1]
	v_mov_b32_e32 v113, v119
	s_delay_alu instid0(VALU_DEP_3) | instskip(NEXT) | instid1(VALU_DEP_2)
	v_cmp_lt_u32_e32 vcc_lo, 30, v111
	v_pk_add_f32 v[106:107], v[106:107], v[112:113]
	s_or_b32 s5, vcc_lo, s5
	s_delay_alu instid0(SALU_CYCLE_1)
	s_and_not1_b32 exec_lo, exec_lo, s5
	s_cbranch_execnz .LBB114_817
; %bb.818:
	s_or_b32 exec_lo, exec_lo, s5
.LBB114_819:
	s_delay_alu instid0(SALU_CYCLE_1) | instskip(SKIP_4) | instid1(VALU_DEP_1)
	s_or_b32 exec_lo, exec_lo, s4
	v_mov_b32_e32 v109, 0
	ds_load_b64 v[110:111], v109 offset:256
	s_wait_dscnt 0x0
	v_pk_mul_f32 v[112:113], v[106:107], v[110:111] op_sel:[1,1] op_sel_hi:[0,1]
	v_pk_fma_f32 v[114:115], v[106:107], v[110:111], v[112:113] op_sel_hi:[1,0,1]
	v_pk_fma_f32 v[106:107], v[106:107], v[110:111], v[112:113] neg_lo:[0,0,1] neg_hi:[0,0,1]
	s_delay_alu instid0(VALU_DEP_2)
	v_mov_b32_e32 v107, v115
	scratch_store_b64 off, v[106:107], off offset:256
.LBB114_820:
	s_wait_xcnt 0x0
	s_or_b32 exec_lo, exec_lo, s0
	scratch_load_b64 v[106:107], off, off offset:264
	s_mov_b32 s0, exec_lo
	s_wait_loadcnt 0x0
	ds_store_b64 v1, v[106:107]
	s_wait_storecnt_dscnt 0x0
	s_barrier_signal -1
	s_barrier_wait -1
	s_wait_xcnt 0x0
	v_cmpx_gt_u32_e32 33, v0
	s_cbranch_execz .LBB114_830
; %bb.821:
	v_cmp_ne_u32_e32 vcc_lo, 1, v108
	s_cbranch_vccnz .LBB114_823
; %bb.822:
	scratch_load_b64 v[106:107], v59, off
	ds_load_b64 v[110:111], v1
	s_wait_loadcnt_dscnt 0x0
	v_pk_mul_f32 v[112:113], v[110:111], v[106:107] op_sel:[1,1] op_sel_hi:[0,1]
	s_delay_alu instid0(VALU_DEP_1) | instskip(SKIP_1) | instid1(VALU_DEP_2)
	v_pk_fma_f32 v[114:115], v[110:111], v[106:107], v[112:113] op_sel_hi:[1,0,1]
	v_pk_fma_f32 v[106:107], v[110:111], v[106:107], v[112:113] neg_lo:[0,0,1] neg_hi:[0,0,1]
	v_mov_b32_e32 v107, v115
	s_cbranch_execz .LBB114_824
	s_branch .LBB114_825
.LBB114_823:
                                        ; implicit-def: $vgpr106_vgpr107
.LBB114_824:
	ds_load_b64 v[106:107], v1
.LBB114_825:
	s_mov_b32 s4, exec_lo
	v_cmpx_ne_u32_e32 32, v0
	s_cbranch_execz .LBB114_829
; %bb.826:
	v_add_nc_u32_e32 v109, 0x1a8, v58
	v_add3_u32 v110, 0, v58, 8
	v_mov_b32_e32 v111, v0
	s_mov_b32 s5, 0
.LBB114_827:                            ; =>This Inner Loop Header: Depth=1
	scratch_load_b64 v[112:113], v110, off
	ds_load_b64 v[114:115], v109
	s_wait_xcnt 0x0
	v_dual_add_nc_u32 v109, 8, v109 :: v_dual_add_nc_u32 v110, 8, v110
	s_wait_loadcnt_dscnt 0x0
	v_pk_mul_f32 v[116:117], v[114:115], v[112:113] op_sel:[1,1] op_sel_hi:[0,1]
	s_delay_alu instid0(VALU_DEP_1) | instskip(SKIP_2) | instid1(VALU_DEP_3)
	v_pk_fma_f32 v[118:119], v[114:115], v[112:113], v[116:117] op_sel_hi:[1,0,1]
	v_add_nc_u32_e32 v111, 1, v111
	v_pk_fma_f32 v[112:113], v[114:115], v[112:113], v[116:117] neg_lo:[0,0,1] neg_hi:[0,0,1]
	v_mov_b32_e32 v113, v119
	s_delay_alu instid0(VALU_DEP_3) | instskip(NEXT) | instid1(VALU_DEP_2)
	v_cmp_lt_u32_e32 vcc_lo, 31, v111
	v_pk_add_f32 v[106:107], v[106:107], v[112:113]
	s_or_b32 s5, vcc_lo, s5
	s_delay_alu instid0(SALU_CYCLE_1)
	s_and_not1_b32 exec_lo, exec_lo, s5
	s_cbranch_execnz .LBB114_827
; %bb.828:
	s_or_b32 exec_lo, exec_lo, s5
.LBB114_829:
	s_delay_alu instid0(SALU_CYCLE_1) | instskip(SKIP_4) | instid1(VALU_DEP_1)
	s_or_b32 exec_lo, exec_lo, s4
	v_mov_b32_e32 v109, 0
	ds_load_b64 v[110:111], v109 offset:264
	s_wait_dscnt 0x0
	v_pk_mul_f32 v[112:113], v[106:107], v[110:111] op_sel:[1,1] op_sel_hi:[0,1]
	v_pk_fma_f32 v[114:115], v[106:107], v[110:111], v[112:113] op_sel_hi:[1,0,1]
	v_pk_fma_f32 v[106:107], v[106:107], v[110:111], v[112:113] neg_lo:[0,0,1] neg_hi:[0,0,1]
	s_delay_alu instid0(VALU_DEP_2)
	v_mov_b32_e32 v107, v115
	scratch_store_b64 off, v[106:107], off offset:264
.LBB114_830:
	s_wait_xcnt 0x0
	s_or_b32 exec_lo, exec_lo, s0
	scratch_load_b64 v[106:107], off, off offset:272
	s_mov_b32 s0, exec_lo
	s_wait_loadcnt 0x0
	ds_store_b64 v1, v[106:107]
	s_wait_storecnt_dscnt 0x0
	s_barrier_signal -1
	s_barrier_wait -1
	s_wait_xcnt 0x0
	v_cmpx_gt_u32_e32 34, v0
	s_cbranch_execz .LBB114_840
; %bb.831:
	v_cmp_ne_u32_e32 vcc_lo, 1, v108
	s_cbranch_vccnz .LBB114_833
; %bb.832:
	scratch_load_b64 v[106:107], v59, off
	ds_load_b64 v[110:111], v1
	s_wait_loadcnt_dscnt 0x0
	v_pk_mul_f32 v[112:113], v[110:111], v[106:107] op_sel:[1,1] op_sel_hi:[0,1]
	s_delay_alu instid0(VALU_DEP_1) | instskip(SKIP_1) | instid1(VALU_DEP_2)
	v_pk_fma_f32 v[114:115], v[110:111], v[106:107], v[112:113] op_sel_hi:[1,0,1]
	v_pk_fma_f32 v[106:107], v[110:111], v[106:107], v[112:113] neg_lo:[0,0,1] neg_hi:[0,0,1]
	v_mov_b32_e32 v107, v115
	s_cbranch_execz .LBB114_834
	s_branch .LBB114_835
.LBB114_833:
                                        ; implicit-def: $vgpr106_vgpr107
.LBB114_834:
	ds_load_b64 v[106:107], v1
.LBB114_835:
	s_mov_b32 s4, exec_lo
	v_cmpx_ne_u32_e32 33, v0
	s_cbranch_execz .LBB114_839
; %bb.836:
	v_add_nc_u32_e32 v109, 0x1a8, v58
	v_add3_u32 v110, 0, v58, 8
	v_mov_b32_e32 v111, v0
	s_mov_b32 s5, 0
.LBB114_837:                            ; =>This Inner Loop Header: Depth=1
	scratch_load_b64 v[112:113], v110, off
	ds_load_b64 v[114:115], v109
	s_wait_xcnt 0x0
	v_dual_add_nc_u32 v109, 8, v109 :: v_dual_add_nc_u32 v110, 8, v110
	s_wait_loadcnt_dscnt 0x0
	v_pk_mul_f32 v[116:117], v[114:115], v[112:113] op_sel:[1,1] op_sel_hi:[0,1]
	s_delay_alu instid0(VALU_DEP_1) | instskip(SKIP_2) | instid1(VALU_DEP_3)
	v_pk_fma_f32 v[118:119], v[114:115], v[112:113], v[116:117] op_sel_hi:[1,0,1]
	v_add_nc_u32_e32 v111, 1, v111
	v_pk_fma_f32 v[112:113], v[114:115], v[112:113], v[116:117] neg_lo:[0,0,1] neg_hi:[0,0,1]
	v_mov_b32_e32 v113, v119
	s_delay_alu instid0(VALU_DEP_3) | instskip(NEXT) | instid1(VALU_DEP_2)
	v_cmp_lt_u32_e32 vcc_lo, 32, v111
	v_pk_add_f32 v[106:107], v[106:107], v[112:113]
	s_or_b32 s5, vcc_lo, s5
	s_delay_alu instid0(SALU_CYCLE_1)
	s_and_not1_b32 exec_lo, exec_lo, s5
	s_cbranch_execnz .LBB114_837
; %bb.838:
	s_or_b32 exec_lo, exec_lo, s5
.LBB114_839:
	s_delay_alu instid0(SALU_CYCLE_1) | instskip(SKIP_4) | instid1(VALU_DEP_1)
	s_or_b32 exec_lo, exec_lo, s4
	v_mov_b32_e32 v109, 0
	ds_load_b64 v[110:111], v109 offset:272
	s_wait_dscnt 0x0
	v_pk_mul_f32 v[112:113], v[106:107], v[110:111] op_sel:[1,1] op_sel_hi:[0,1]
	v_pk_fma_f32 v[114:115], v[106:107], v[110:111], v[112:113] op_sel_hi:[1,0,1]
	v_pk_fma_f32 v[106:107], v[106:107], v[110:111], v[112:113] neg_lo:[0,0,1] neg_hi:[0,0,1]
	s_delay_alu instid0(VALU_DEP_2)
	v_mov_b32_e32 v107, v115
	scratch_store_b64 off, v[106:107], off offset:272
.LBB114_840:
	s_wait_xcnt 0x0
	s_or_b32 exec_lo, exec_lo, s0
	scratch_load_b64 v[106:107], off, off offset:280
	s_mov_b32 s0, exec_lo
	s_wait_loadcnt 0x0
	ds_store_b64 v1, v[106:107]
	s_wait_storecnt_dscnt 0x0
	s_barrier_signal -1
	s_barrier_wait -1
	s_wait_xcnt 0x0
	v_cmpx_gt_u32_e32 35, v0
	s_cbranch_execz .LBB114_850
; %bb.841:
	v_cmp_ne_u32_e32 vcc_lo, 1, v108
	s_cbranch_vccnz .LBB114_843
; %bb.842:
	scratch_load_b64 v[106:107], v59, off
	ds_load_b64 v[110:111], v1
	s_wait_loadcnt_dscnt 0x0
	v_pk_mul_f32 v[112:113], v[110:111], v[106:107] op_sel:[1,1] op_sel_hi:[0,1]
	s_delay_alu instid0(VALU_DEP_1) | instskip(SKIP_1) | instid1(VALU_DEP_2)
	v_pk_fma_f32 v[114:115], v[110:111], v[106:107], v[112:113] op_sel_hi:[1,0,1]
	v_pk_fma_f32 v[106:107], v[110:111], v[106:107], v[112:113] neg_lo:[0,0,1] neg_hi:[0,0,1]
	v_mov_b32_e32 v107, v115
	s_cbranch_execz .LBB114_844
	s_branch .LBB114_845
.LBB114_843:
                                        ; implicit-def: $vgpr106_vgpr107
.LBB114_844:
	ds_load_b64 v[106:107], v1
.LBB114_845:
	s_mov_b32 s4, exec_lo
	v_cmpx_ne_u32_e32 34, v0
	s_cbranch_execz .LBB114_849
; %bb.846:
	v_add_nc_u32_e32 v109, 0x1a8, v58
	v_add3_u32 v110, 0, v58, 8
	v_mov_b32_e32 v111, v0
	s_mov_b32 s5, 0
.LBB114_847:                            ; =>This Inner Loop Header: Depth=1
	scratch_load_b64 v[112:113], v110, off
	ds_load_b64 v[114:115], v109
	s_wait_xcnt 0x0
	v_dual_add_nc_u32 v109, 8, v109 :: v_dual_add_nc_u32 v110, 8, v110
	s_wait_loadcnt_dscnt 0x0
	v_pk_mul_f32 v[116:117], v[114:115], v[112:113] op_sel:[1,1] op_sel_hi:[0,1]
	s_delay_alu instid0(VALU_DEP_1) | instskip(SKIP_2) | instid1(VALU_DEP_3)
	v_pk_fma_f32 v[118:119], v[114:115], v[112:113], v[116:117] op_sel_hi:[1,0,1]
	v_add_nc_u32_e32 v111, 1, v111
	v_pk_fma_f32 v[112:113], v[114:115], v[112:113], v[116:117] neg_lo:[0,0,1] neg_hi:[0,0,1]
	v_mov_b32_e32 v113, v119
	s_delay_alu instid0(VALU_DEP_3) | instskip(NEXT) | instid1(VALU_DEP_2)
	v_cmp_lt_u32_e32 vcc_lo, 33, v111
	v_pk_add_f32 v[106:107], v[106:107], v[112:113]
	s_or_b32 s5, vcc_lo, s5
	s_delay_alu instid0(SALU_CYCLE_1)
	s_and_not1_b32 exec_lo, exec_lo, s5
	s_cbranch_execnz .LBB114_847
; %bb.848:
	s_or_b32 exec_lo, exec_lo, s5
.LBB114_849:
	s_delay_alu instid0(SALU_CYCLE_1) | instskip(SKIP_4) | instid1(VALU_DEP_1)
	s_or_b32 exec_lo, exec_lo, s4
	v_mov_b32_e32 v109, 0
	ds_load_b64 v[110:111], v109 offset:280
	s_wait_dscnt 0x0
	v_pk_mul_f32 v[112:113], v[106:107], v[110:111] op_sel:[1,1] op_sel_hi:[0,1]
	v_pk_fma_f32 v[114:115], v[106:107], v[110:111], v[112:113] op_sel_hi:[1,0,1]
	v_pk_fma_f32 v[106:107], v[106:107], v[110:111], v[112:113] neg_lo:[0,0,1] neg_hi:[0,0,1]
	s_delay_alu instid0(VALU_DEP_2)
	v_mov_b32_e32 v107, v115
	scratch_store_b64 off, v[106:107], off offset:280
.LBB114_850:
	s_wait_xcnt 0x0
	s_or_b32 exec_lo, exec_lo, s0
	scratch_load_b64 v[106:107], off, off offset:288
	s_mov_b32 s0, exec_lo
	s_wait_loadcnt 0x0
	ds_store_b64 v1, v[106:107]
	s_wait_storecnt_dscnt 0x0
	s_barrier_signal -1
	s_barrier_wait -1
	s_wait_xcnt 0x0
	v_cmpx_gt_u32_e32 36, v0
	s_cbranch_execz .LBB114_860
; %bb.851:
	v_cmp_ne_u32_e32 vcc_lo, 1, v108
	s_cbranch_vccnz .LBB114_853
; %bb.852:
	scratch_load_b64 v[106:107], v59, off
	ds_load_b64 v[110:111], v1
	s_wait_loadcnt_dscnt 0x0
	v_pk_mul_f32 v[112:113], v[110:111], v[106:107] op_sel:[1,1] op_sel_hi:[0,1]
	s_delay_alu instid0(VALU_DEP_1) | instskip(SKIP_1) | instid1(VALU_DEP_2)
	v_pk_fma_f32 v[114:115], v[110:111], v[106:107], v[112:113] op_sel_hi:[1,0,1]
	v_pk_fma_f32 v[106:107], v[110:111], v[106:107], v[112:113] neg_lo:[0,0,1] neg_hi:[0,0,1]
	v_mov_b32_e32 v107, v115
	s_cbranch_execz .LBB114_854
	s_branch .LBB114_855
.LBB114_853:
                                        ; implicit-def: $vgpr106_vgpr107
.LBB114_854:
	ds_load_b64 v[106:107], v1
.LBB114_855:
	s_mov_b32 s4, exec_lo
	v_cmpx_ne_u32_e32 35, v0
	s_cbranch_execz .LBB114_859
; %bb.856:
	v_add_nc_u32_e32 v109, 0x1a8, v58
	v_add3_u32 v110, 0, v58, 8
	v_mov_b32_e32 v111, v0
	s_mov_b32 s5, 0
.LBB114_857:                            ; =>This Inner Loop Header: Depth=1
	scratch_load_b64 v[112:113], v110, off
	ds_load_b64 v[114:115], v109
	s_wait_xcnt 0x0
	v_dual_add_nc_u32 v109, 8, v109 :: v_dual_add_nc_u32 v110, 8, v110
	s_wait_loadcnt_dscnt 0x0
	v_pk_mul_f32 v[116:117], v[114:115], v[112:113] op_sel:[1,1] op_sel_hi:[0,1]
	s_delay_alu instid0(VALU_DEP_1) | instskip(SKIP_2) | instid1(VALU_DEP_3)
	v_pk_fma_f32 v[118:119], v[114:115], v[112:113], v[116:117] op_sel_hi:[1,0,1]
	v_add_nc_u32_e32 v111, 1, v111
	v_pk_fma_f32 v[112:113], v[114:115], v[112:113], v[116:117] neg_lo:[0,0,1] neg_hi:[0,0,1]
	v_mov_b32_e32 v113, v119
	s_delay_alu instid0(VALU_DEP_3) | instskip(NEXT) | instid1(VALU_DEP_2)
	v_cmp_lt_u32_e32 vcc_lo, 34, v111
	v_pk_add_f32 v[106:107], v[106:107], v[112:113]
	s_or_b32 s5, vcc_lo, s5
	s_delay_alu instid0(SALU_CYCLE_1)
	s_and_not1_b32 exec_lo, exec_lo, s5
	s_cbranch_execnz .LBB114_857
; %bb.858:
	s_or_b32 exec_lo, exec_lo, s5
.LBB114_859:
	s_delay_alu instid0(SALU_CYCLE_1) | instskip(SKIP_4) | instid1(VALU_DEP_1)
	s_or_b32 exec_lo, exec_lo, s4
	v_mov_b32_e32 v109, 0
	ds_load_b64 v[110:111], v109 offset:288
	s_wait_dscnt 0x0
	v_pk_mul_f32 v[112:113], v[106:107], v[110:111] op_sel:[1,1] op_sel_hi:[0,1]
	v_pk_fma_f32 v[114:115], v[106:107], v[110:111], v[112:113] op_sel_hi:[1,0,1]
	v_pk_fma_f32 v[106:107], v[106:107], v[110:111], v[112:113] neg_lo:[0,0,1] neg_hi:[0,0,1]
	s_delay_alu instid0(VALU_DEP_2)
	v_mov_b32_e32 v107, v115
	scratch_store_b64 off, v[106:107], off offset:288
.LBB114_860:
	s_wait_xcnt 0x0
	s_or_b32 exec_lo, exec_lo, s0
	scratch_load_b64 v[106:107], off, off offset:296
	s_mov_b32 s0, exec_lo
	s_wait_loadcnt 0x0
	ds_store_b64 v1, v[106:107]
	s_wait_storecnt_dscnt 0x0
	s_barrier_signal -1
	s_barrier_wait -1
	s_wait_xcnt 0x0
	v_cmpx_gt_u32_e32 37, v0
	s_cbranch_execz .LBB114_870
; %bb.861:
	v_cmp_ne_u32_e32 vcc_lo, 1, v108
	s_cbranch_vccnz .LBB114_863
; %bb.862:
	scratch_load_b64 v[106:107], v59, off
	ds_load_b64 v[110:111], v1
	s_wait_loadcnt_dscnt 0x0
	v_pk_mul_f32 v[112:113], v[110:111], v[106:107] op_sel:[1,1] op_sel_hi:[0,1]
	s_delay_alu instid0(VALU_DEP_1) | instskip(SKIP_1) | instid1(VALU_DEP_2)
	v_pk_fma_f32 v[114:115], v[110:111], v[106:107], v[112:113] op_sel_hi:[1,0,1]
	v_pk_fma_f32 v[106:107], v[110:111], v[106:107], v[112:113] neg_lo:[0,0,1] neg_hi:[0,0,1]
	v_mov_b32_e32 v107, v115
	s_cbranch_execz .LBB114_864
	s_branch .LBB114_865
.LBB114_863:
                                        ; implicit-def: $vgpr106_vgpr107
.LBB114_864:
	ds_load_b64 v[106:107], v1
.LBB114_865:
	s_mov_b32 s4, exec_lo
	v_cmpx_ne_u32_e32 36, v0
	s_cbranch_execz .LBB114_869
; %bb.866:
	v_add_nc_u32_e32 v109, 0x1a8, v58
	v_add3_u32 v110, 0, v58, 8
	v_mov_b32_e32 v111, v0
	s_mov_b32 s5, 0
.LBB114_867:                            ; =>This Inner Loop Header: Depth=1
	scratch_load_b64 v[112:113], v110, off
	ds_load_b64 v[114:115], v109
	s_wait_xcnt 0x0
	v_dual_add_nc_u32 v109, 8, v109 :: v_dual_add_nc_u32 v110, 8, v110
	s_wait_loadcnt_dscnt 0x0
	v_pk_mul_f32 v[116:117], v[114:115], v[112:113] op_sel:[1,1] op_sel_hi:[0,1]
	s_delay_alu instid0(VALU_DEP_1) | instskip(SKIP_2) | instid1(VALU_DEP_3)
	v_pk_fma_f32 v[118:119], v[114:115], v[112:113], v[116:117] op_sel_hi:[1,0,1]
	v_add_nc_u32_e32 v111, 1, v111
	v_pk_fma_f32 v[112:113], v[114:115], v[112:113], v[116:117] neg_lo:[0,0,1] neg_hi:[0,0,1]
	v_mov_b32_e32 v113, v119
	s_delay_alu instid0(VALU_DEP_3) | instskip(NEXT) | instid1(VALU_DEP_2)
	v_cmp_lt_u32_e32 vcc_lo, 35, v111
	v_pk_add_f32 v[106:107], v[106:107], v[112:113]
	s_or_b32 s5, vcc_lo, s5
	s_delay_alu instid0(SALU_CYCLE_1)
	s_and_not1_b32 exec_lo, exec_lo, s5
	s_cbranch_execnz .LBB114_867
; %bb.868:
	s_or_b32 exec_lo, exec_lo, s5
.LBB114_869:
	s_delay_alu instid0(SALU_CYCLE_1) | instskip(SKIP_4) | instid1(VALU_DEP_1)
	s_or_b32 exec_lo, exec_lo, s4
	v_mov_b32_e32 v109, 0
	ds_load_b64 v[110:111], v109 offset:296
	s_wait_dscnt 0x0
	v_pk_mul_f32 v[112:113], v[106:107], v[110:111] op_sel:[1,1] op_sel_hi:[0,1]
	v_pk_fma_f32 v[114:115], v[106:107], v[110:111], v[112:113] op_sel_hi:[1,0,1]
	v_pk_fma_f32 v[106:107], v[106:107], v[110:111], v[112:113] neg_lo:[0,0,1] neg_hi:[0,0,1]
	s_delay_alu instid0(VALU_DEP_2)
	v_mov_b32_e32 v107, v115
	scratch_store_b64 off, v[106:107], off offset:296
.LBB114_870:
	s_wait_xcnt 0x0
	s_or_b32 exec_lo, exec_lo, s0
	scratch_load_b64 v[106:107], off, off offset:304
	s_mov_b32 s0, exec_lo
	s_wait_loadcnt 0x0
	ds_store_b64 v1, v[106:107]
	s_wait_storecnt_dscnt 0x0
	s_barrier_signal -1
	s_barrier_wait -1
	s_wait_xcnt 0x0
	v_cmpx_gt_u32_e32 38, v0
	s_cbranch_execz .LBB114_880
; %bb.871:
	v_cmp_ne_u32_e32 vcc_lo, 1, v108
	s_cbranch_vccnz .LBB114_873
; %bb.872:
	scratch_load_b64 v[106:107], v59, off
	ds_load_b64 v[110:111], v1
	s_wait_loadcnt_dscnt 0x0
	v_pk_mul_f32 v[112:113], v[110:111], v[106:107] op_sel:[1,1] op_sel_hi:[0,1]
	s_delay_alu instid0(VALU_DEP_1) | instskip(SKIP_1) | instid1(VALU_DEP_2)
	v_pk_fma_f32 v[114:115], v[110:111], v[106:107], v[112:113] op_sel_hi:[1,0,1]
	v_pk_fma_f32 v[106:107], v[110:111], v[106:107], v[112:113] neg_lo:[0,0,1] neg_hi:[0,0,1]
	v_mov_b32_e32 v107, v115
	s_cbranch_execz .LBB114_874
	s_branch .LBB114_875
.LBB114_873:
                                        ; implicit-def: $vgpr106_vgpr107
.LBB114_874:
	ds_load_b64 v[106:107], v1
.LBB114_875:
	s_mov_b32 s4, exec_lo
	v_cmpx_ne_u32_e32 37, v0
	s_cbranch_execz .LBB114_879
; %bb.876:
	v_add_nc_u32_e32 v109, 0x1a8, v58
	v_add3_u32 v110, 0, v58, 8
	v_mov_b32_e32 v111, v0
	s_mov_b32 s5, 0
.LBB114_877:                            ; =>This Inner Loop Header: Depth=1
	scratch_load_b64 v[112:113], v110, off
	ds_load_b64 v[114:115], v109
	s_wait_xcnt 0x0
	v_dual_add_nc_u32 v109, 8, v109 :: v_dual_add_nc_u32 v110, 8, v110
	s_wait_loadcnt_dscnt 0x0
	v_pk_mul_f32 v[116:117], v[114:115], v[112:113] op_sel:[1,1] op_sel_hi:[0,1]
	s_delay_alu instid0(VALU_DEP_1) | instskip(SKIP_2) | instid1(VALU_DEP_3)
	v_pk_fma_f32 v[118:119], v[114:115], v[112:113], v[116:117] op_sel_hi:[1,0,1]
	v_add_nc_u32_e32 v111, 1, v111
	v_pk_fma_f32 v[112:113], v[114:115], v[112:113], v[116:117] neg_lo:[0,0,1] neg_hi:[0,0,1]
	v_mov_b32_e32 v113, v119
	s_delay_alu instid0(VALU_DEP_3) | instskip(NEXT) | instid1(VALU_DEP_2)
	v_cmp_lt_u32_e32 vcc_lo, 36, v111
	v_pk_add_f32 v[106:107], v[106:107], v[112:113]
	s_or_b32 s5, vcc_lo, s5
	s_delay_alu instid0(SALU_CYCLE_1)
	s_and_not1_b32 exec_lo, exec_lo, s5
	s_cbranch_execnz .LBB114_877
; %bb.878:
	s_or_b32 exec_lo, exec_lo, s5
.LBB114_879:
	s_delay_alu instid0(SALU_CYCLE_1) | instskip(SKIP_4) | instid1(VALU_DEP_1)
	s_or_b32 exec_lo, exec_lo, s4
	v_mov_b32_e32 v109, 0
	ds_load_b64 v[110:111], v109 offset:304
	s_wait_dscnt 0x0
	v_pk_mul_f32 v[112:113], v[106:107], v[110:111] op_sel:[1,1] op_sel_hi:[0,1]
	v_pk_fma_f32 v[114:115], v[106:107], v[110:111], v[112:113] op_sel_hi:[1,0,1]
	v_pk_fma_f32 v[106:107], v[106:107], v[110:111], v[112:113] neg_lo:[0,0,1] neg_hi:[0,0,1]
	s_delay_alu instid0(VALU_DEP_2)
	v_mov_b32_e32 v107, v115
	scratch_store_b64 off, v[106:107], off offset:304
.LBB114_880:
	s_wait_xcnt 0x0
	s_or_b32 exec_lo, exec_lo, s0
	scratch_load_b64 v[106:107], off, off offset:312
	s_mov_b32 s0, exec_lo
	s_wait_loadcnt 0x0
	ds_store_b64 v1, v[106:107]
	s_wait_storecnt_dscnt 0x0
	s_barrier_signal -1
	s_barrier_wait -1
	s_wait_xcnt 0x0
	v_cmpx_gt_u32_e32 39, v0
	s_cbranch_execz .LBB114_890
; %bb.881:
	v_cmp_ne_u32_e32 vcc_lo, 1, v108
	s_cbranch_vccnz .LBB114_883
; %bb.882:
	scratch_load_b64 v[106:107], v59, off
	ds_load_b64 v[110:111], v1
	s_wait_loadcnt_dscnt 0x0
	v_pk_mul_f32 v[112:113], v[110:111], v[106:107] op_sel:[1,1] op_sel_hi:[0,1]
	s_delay_alu instid0(VALU_DEP_1) | instskip(SKIP_1) | instid1(VALU_DEP_2)
	v_pk_fma_f32 v[114:115], v[110:111], v[106:107], v[112:113] op_sel_hi:[1,0,1]
	v_pk_fma_f32 v[106:107], v[110:111], v[106:107], v[112:113] neg_lo:[0,0,1] neg_hi:[0,0,1]
	v_mov_b32_e32 v107, v115
	s_cbranch_execz .LBB114_884
	s_branch .LBB114_885
.LBB114_883:
                                        ; implicit-def: $vgpr106_vgpr107
.LBB114_884:
	ds_load_b64 v[106:107], v1
.LBB114_885:
	s_mov_b32 s4, exec_lo
	v_cmpx_ne_u32_e32 38, v0
	s_cbranch_execz .LBB114_889
; %bb.886:
	v_add_nc_u32_e32 v109, 0x1a8, v58
	v_add3_u32 v110, 0, v58, 8
	v_mov_b32_e32 v111, v0
	s_mov_b32 s5, 0
.LBB114_887:                            ; =>This Inner Loop Header: Depth=1
	scratch_load_b64 v[112:113], v110, off
	ds_load_b64 v[114:115], v109
	s_wait_xcnt 0x0
	v_dual_add_nc_u32 v109, 8, v109 :: v_dual_add_nc_u32 v110, 8, v110
	s_wait_loadcnt_dscnt 0x0
	v_pk_mul_f32 v[116:117], v[114:115], v[112:113] op_sel:[1,1] op_sel_hi:[0,1]
	s_delay_alu instid0(VALU_DEP_1) | instskip(SKIP_2) | instid1(VALU_DEP_3)
	v_pk_fma_f32 v[118:119], v[114:115], v[112:113], v[116:117] op_sel_hi:[1,0,1]
	v_add_nc_u32_e32 v111, 1, v111
	v_pk_fma_f32 v[112:113], v[114:115], v[112:113], v[116:117] neg_lo:[0,0,1] neg_hi:[0,0,1]
	v_mov_b32_e32 v113, v119
	s_delay_alu instid0(VALU_DEP_3) | instskip(NEXT) | instid1(VALU_DEP_2)
	v_cmp_lt_u32_e32 vcc_lo, 37, v111
	v_pk_add_f32 v[106:107], v[106:107], v[112:113]
	s_or_b32 s5, vcc_lo, s5
	s_delay_alu instid0(SALU_CYCLE_1)
	s_and_not1_b32 exec_lo, exec_lo, s5
	s_cbranch_execnz .LBB114_887
; %bb.888:
	s_or_b32 exec_lo, exec_lo, s5
.LBB114_889:
	s_delay_alu instid0(SALU_CYCLE_1) | instskip(SKIP_4) | instid1(VALU_DEP_1)
	s_or_b32 exec_lo, exec_lo, s4
	v_mov_b32_e32 v109, 0
	ds_load_b64 v[110:111], v109 offset:312
	s_wait_dscnt 0x0
	v_pk_mul_f32 v[112:113], v[106:107], v[110:111] op_sel:[1,1] op_sel_hi:[0,1]
	v_pk_fma_f32 v[114:115], v[106:107], v[110:111], v[112:113] op_sel_hi:[1,0,1]
	v_pk_fma_f32 v[106:107], v[106:107], v[110:111], v[112:113] neg_lo:[0,0,1] neg_hi:[0,0,1]
	s_delay_alu instid0(VALU_DEP_2)
	v_mov_b32_e32 v107, v115
	scratch_store_b64 off, v[106:107], off offset:312
.LBB114_890:
	s_wait_xcnt 0x0
	s_or_b32 exec_lo, exec_lo, s0
	scratch_load_b64 v[106:107], off, off offset:320
	s_mov_b32 s0, exec_lo
	s_wait_loadcnt 0x0
	ds_store_b64 v1, v[106:107]
	s_wait_storecnt_dscnt 0x0
	s_barrier_signal -1
	s_barrier_wait -1
	s_wait_xcnt 0x0
	v_cmpx_gt_u32_e32 40, v0
	s_cbranch_execz .LBB114_900
; %bb.891:
	v_cmp_ne_u32_e32 vcc_lo, 1, v108
	s_cbranch_vccnz .LBB114_893
; %bb.892:
	scratch_load_b64 v[106:107], v59, off
	ds_load_b64 v[110:111], v1
	s_wait_loadcnt_dscnt 0x0
	v_pk_mul_f32 v[112:113], v[110:111], v[106:107] op_sel:[1,1] op_sel_hi:[0,1]
	s_delay_alu instid0(VALU_DEP_1) | instskip(SKIP_1) | instid1(VALU_DEP_2)
	v_pk_fma_f32 v[114:115], v[110:111], v[106:107], v[112:113] op_sel_hi:[1,0,1]
	v_pk_fma_f32 v[106:107], v[110:111], v[106:107], v[112:113] neg_lo:[0,0,1] neg_hi:[0,0,1]
	v_mov_b32_e32 v107, v115
	s_cbranch_execz .LBB114_894
	s_branch .LBB114_895
.LBB114_893:
                                        ; implicit-def: $vgpr106_vgpr107
.LBB114_894:
	ds_load_b64 v[106:107], v1
.LBB114_895:
	s_mov_b32 s4, exec_lo
	v_cmpx_ne_u32_e32 39, v0
	s_cbranch_execz .LBB114_899
; %bb.896:
	v_add_nc_u32_e32 v109, 0x1a8, v58
	v_add3_u32 v110, 0, v58, 8
	v_mov_b32_e32 v111, v0
	s_mov_b32 s5, 0
.LBB114_897:                            ; =>This Inner Loop Header: Depth=1
	scratch_load_b64 v[112:113], v110, off
	ds_load_b64 v[114:115], v109
	s_wait_xcnt 0x0
	v_dual_add_nc_u32 v109, 8, v109 :: v_dual_add_nc_u32 v110, 8, v110
	s_wait_loadcnt_dscnt 0x0
	v_pk_mul_f32 v[116:117], v[114:115], v[112:113] op_sel:[1,1] op_sel_hi:[0,1]
	s_delay_alu instid0(VALU_DEP_1) | instskip(SKIP_2) | instid1(VALU_DEP_3)
	v_pk_fma_f32 v[118:119], v[114:115], v[112:113], v[116:117] op_sel_hi:[1,0,1]
	v_add_nc_u32_e32 v111, 1, v111
	v_pk_fma_f32 v[112:113], v[114:115], v[112:113], v[116:117] neg_lo:[0,0,1] neg_hi:[0,0,1]
	v_mov_b32_e32 v113, v119
	s_delay_alu instid0(VALU_DEP_3) | instskip(NEXT) | instid1(VALU_DEP_2)
	v_cmp_lt_u32_e32 vcc_lo, 38, v111
	v_pk_add_f32 v[106:107], v[106:107], v[112:113]
	s_or_b32 s5, vcc_lo, s5
	s_delay_alu instid0(SALU_CYCLE_1)
	s_and_not1_b32 exec_lo, exec_lo, s5
	s_cbranch_execnz .LBB114_897
; %bb.898:
	s_or_b32 exec_lo, exec_lo, s5
.LBB114_899:
	s_delay_alu instid0(SALU_CYCLE_1) | instskip(SKIP_4) | instid1(VALU_DEP_1)
	s_or_b32 exec_lo, exec_lo, s4
	v_mov_b32_e32 v109, 0
	ds_load_b64 v[110:111], v109 offset:320
	s_wait_dscnt 0x0
	v_pk_mul_f32 v[112:113], v[106:107], v[110:111] op_sel:[1,1] op_sel_hi:[0,1]
	v_pk_fma_f32 v[114:115], v[106:107], v[110:111], v[112:113] op_sel_hi:[1,0,1]
	v_pk_fma_f32 v[106:107], v[106:107], v[110:111], v[112:113] neg_lo:[0,0,1] neg_hi:[0,0,1]
	s_delay_alu instid0(VALU_DEP_2)
	v_mov_b32_e32 v107, v115
	scratch_store_b64 off, v[106:107], off offset:320
.LBB114_900:
	s_wait_xcnt 0x0
	s_or_b32 exec_lo, exec_lo, s0
	scratch_load_b64 v[106:107], off, off offset:328
	s_mov_b32 s0, exec_lo
	s_wait_loadcnt 0x0
	ds_store_b64 v1, v[106:107]
	s_wait_storecnt_dscnt 0x0
	s_barrier_signal -1
	s_barrier_wait -1
	s_wait_xcnt 0x0
	v_cmpx_gt_u32_e32 41, v0
	s_cbranch_execz .LBB114_910
; %bb.901:
	v_cmp_ne_u32_e32 vcc_lo, 1, v108
	s_cbranch_vccnz .LBB114_903
; %bb.902:
	scratch_load_b64 v[106:107], v59, off
	ds_load_b64 v[110:111], v1
	s_wait_loadcnt_dscnt 0x0
	v_pk_mul_f32 v[112:113], v[110:111], v[106:107] op_sel:[1,1] op_sel_hi:[0,1]
	s_delay_alu instid0(VALU_DEP_1) | instskip(SKIP_1) | instid1(VALU_DEP_2)
	v_pk_fma_f32 v[114:115], v[110:111], v[106:107], v[112:113] op_sel_hi:[1,0,1]
	v_pk_fma_f32 v[106:107], v[110:111], v[106:107], v[112:113] neg_lo:[0,0,1] neg_hi:[0,0,1]
	v_mov_b32_e32 v107, v115
	s_cbranch_execz .LBB114_904
	s_branch .LBB114_905
.LBB114_903:
                                        ; implicit-def: $vgpr106_vgpr107
.LBB114_904:
	ds_load_b64 v[106:107], v1
.LBB114_905:
	s_mov_b32 s4, exec_lo
	v_cmpx_ne_u32_e32 40, v0
	s_cbranch_execz .LBB114_909
; %bb.906:
	v_add_nc_u32_e32 v109, 0x1a8, v58
	v_add3_u32 v110, 0, v58, 8
	v_mov_b32_e32 v111, v0
	s_mov_b32 s5, 0
.LBB114_907:                            ; =>This Inner Loop Header: Depth=1
	scratch_load_b64 v[112:113], v110, off
	ds_load_b64 v[114:115], v109
	s_wait_xcnt 0x0
	v_dual_add_nc_u32 v109, 8, v109 :: v_dual_add_nc_u32 v110, 8, v110
	s_wait_loadcnt_dscnt 0x0
	v_pk_mul_f32 v[116:117], v[114:115], v[112:113] op_sel:[1,1] op_sel_hi:[0,1]
	s_delay_alu instid0(VALU_DEP_1) | instskip(SKIP_2) | instid1(VALU_DEP_3)
	v_pk_fma_f32 v[118:119], v[114:115], v[112:113], v[116:117] op_sel_hi:[1,0,1]
	v_add_nc_u32_e32 v111, 1, v111
	v_pk_fma_f32 v[112:113], v[114:115], v[112:113], v[116:117] neg_lo:[0,0,1] neg_hi:[0,0,1]
	v_mov_b32_e32 v113, v119
	s_delay_alu instid0(VALU_DEP_3) | instskip(NEXT) | instid1(VALU_DEP_2)
	v_cmp_lt_u32_e32 vcc_lo, 39, v111
	v_pk_add_f32 v[106:107], v[106:107], v[112:113]
	s_or_b32 s5, vcc_lo, s5
	s_delay_alu instid0(SALU_CYCLE_1)
	s_and_not1_b32 exec_lo, exec_lo, s5
	s_cbranch_execnz .LBB114_907
; %bb.908:
	s_or_b32 exec_lo, exec_lo, s5
.LBB114_909:
	s_delay_alu instid0(SALU_CYCLE_1) | instskip(SKIP_4) | instid1(VALU_DEP_1)
	s_or_b32 exec_lo, exec_lo, s4
	v_mov_b32_e32 v109, 0
	ds_load_b64 v[110:111], v109 offset:328
	s_wait_dscnt 0x0
	v_pk_mul_f32 v[112:113], v[106:107], v[110:111] op_sel:[1,1] op_sel_hi:[0,1]
	v_pk_fma_f32 v[114:115], v[106:107], v[110:111], v[112:113] op_sel_hi:[1,0,1]
	v_pk_fma_f32 v[106:107], v[106:107], v[110:111], v[112:113] neg_lo:[0,0,1] neg_hi:[0,0,1]
	s_delay_alu instid0(VALU_DEP_2)
	v_mov_b32_e32 v107, v115
	scratch_store_b64 off, v[106:107], off offset:328
.LBB114_910:
	s_wait_xcnt 0x0
	s_or_b32 exec_lo, exec_lo, s0
	scratch_load_b64 v[106:107], off, off offset:336
	s_mov_b32 s0, exec_lo
	s_wait_loadcnt 0x0
	ds_store_b64 v1, v[106:107]
	s_wait_storecnt_dscnt 0x0
	s_barrier_signal -1
	s_barrier_wait -1
	s_wait_xcnt 0x0
	v_cmpx_gt_u32_e32 42, v0
	s_cbranch_execz .LBB114_920
; %bb.911:
	v_cmp_ne_u32_e32 vcc_lo, 1, v108
	s_cbranch_vccnz .LBB114_913
; %bb.912:
	scratch_load_b64 v[106:107], v59, off
	ds_load_b64 v[110:111], v1
	s_wait_loadcnt_dscnt 0x0
	v_pk_mul_f32 v[112:113], v[110:111], v[106:107] op_sel:[1,1] op_sel_hi:[0,1]
	s_delay_alu instid0(VALU_DEP_1) | instskip(SKIP_1) | instid1(VALU_DEP_2)
	v_pk_fma_f32 v[114:115], v[110:111], v[106:107], v[112:113] op_sel_hi:[1,0,1]
	v_pk_fma_f32 v[106:107], v[110:111], v[106:107], v[112:113] neg_lo:[0,0,1] neg_hi:[0,0,1]
	v_mov_b32_e32 v107, v115
	s_cbranch_execz .LBB114_914
	s_branch .LBB114_915
.LBB114_913:
                                        ; implicit-def: $vgpr106_vgpr107
.LBB114_914:
	ds_load_b64 v[106:107], v1
.LBB114_915:
	s_mov_b32 s4, exec_lo
	v_cmpx_ne_u32_e32 41, v0
	s_cbranch_execz .LBB114_919
; %bb.916:
	v_add_nc_u32_e32 v109, 0x1a8, v58
	v_add3_u32 v110, 0, v58, 8
	v_mov_b32_e32 v111, v0
	s_mov_b32 s5, 0
.LBB114_917:                            ; =>This Inner Loop Header: Depth=1
	scratch_load_b64 v[112:113], v110, off
	ds_load_b64 v[114:115], v109
	s_wait_xcnt 0x0
	v_dual_add_nc_u32 v109, 8, v109 :: v_dual_add_nc_u32 v110, 8, v110
	s_wait_loadcnt_dscnt 0x0
	v_pk_mul_f32 v[116:117], v[114:115], v[112:113] op_sel:[1,1] op_sel_hi:[0,1]
	s_delay_alu instid0(VALU_DEP_1) | instskip(SKIP_2) | instid1(VALU_DEP_3)
	v_pk_fma_f32 v[118:119], v[114:115], v[112:113], v[116:117] op_sel_hi:[1,0,1]
	v_add_nc_u32_e32 v111, 1, v111
	v_pk_fma_f32 v[112:113], v[114:115], v[112:113], v[116:117] neg_lo:[0,0,1] neg_hi:[0,0,1]
	v_mov_b32_e32 v113, v119
	s_delay_alu instid0(VALU_DEP_3) | instskip(NEXT) | instid1(VALU_DEP_2)
	v_cmp_lt_u32_e32 vcc_lo, 40, v111
	v_pk_add_f32 v[106:107], v[106:107], v[112:113]
	s_or_b32 s5, vcc_lo, s5
	s_delay_alu instid0(SALU_CYCLE_1)
	s_and_not1_b32 exec_lo, exec_lo, s5
	s_cbranch_execnz .LBB114_917
; %bb.918:
	s_or_b32 exec_lo, exec_lo, s5
.LBB114_919:
	s_delay_alu instid0(SALU_CYCLE_1) | instskip(SKIP_4) | instid1(VALU_DEP_1)
	s_or_b32 exec_lo, exec_lo, s4
	v_mov_b32_e32 v109, 0
	ds_load_b64 v[110:111], v109 offset:336
	s_wait_dscnt 0x0
	v_pk_mul_f32 v[112:113], v[106:107], v[110:111] op_sel:[1,1] op_sel_hi:[0,1]
	v_pk_fma_f32 v[114:115], v[106:107], v[110:111], v[112:113] op_sel_hi:[1,0,1]
	v_pk_fma_f32 v[106:107], v[106:107], v[110:111], v[112:113] neg_lo:[0,0,1] neg_hi:[0,0,1]
	s_delay_alu instid0(VALU_DEP_2)
	v_mov_b32_e32 v107, v115
	scratch_store_b64 off, v[106:107], off offset:336
.LBB114_920:
	s_wait_xcnt 0x0
	s_or_b32 exec_lo, exec_lo, s0
	scratch_load_b64 v[106:107], off, off offset:344
	s_mov_b32 s0, exec_lo
	s_wait_loadcnt 0x0
	ds_store_b64 v1, v[106:107]
	s_wait_storecnt_dscnt 0x0
	s_barrier_signal -1
	s_barrier_wait -1
	s_wait_xcnt 0x0
	v_cmpx_gt_u32_e32 43, v0
	s_cbranch_execz .LBB114_930
; %bb.921:
	v_cmp_ne_u32_e32 vcc_lo, 1, v108
	s_cbranch_vccnz .LBB114_923
; %bb.922:
	scratch_load_b64 v[106:107], v59, off
	ds_load_b64 v[110:111], v1
	s_wait_loadcnt_dscnt 0x0
	v_pk_mul_f32 v[112:113], v[110:111], v[106:107] op_sel:[1,1] op_sel_hi:[0,1]
	s_delay_alu instid0(VALU_DEP_1) | instskip(SKIP_1) | instid1(VALU_DEP_2)
	v_pk_fma_f32 v[114:115], v[110:111], v[106:107], v[112:113] op_sel_hi:[1,0,1]
	v_pk_fma_f32 v[106:107], v[110:111], v[106:107], v[112:113] neg_lo:[0,0,1] neg_hi:[0,0,1]
	v_mov_b32_e32 v107, v115
	s_cbranch_execz .LBB114_924
	s_branch .LBB114_925
.LBB114_923:
                                        ; implicit-def: $vgpr106_vgpr107
.LBB114_924:
	ds_load_b64 v[106:107], v1
.LBB114_925:
	s_mov_b32 s4, exec_lo
	v_cmpx_ne_u32_e32 42, v0
	s_cbranch_execz .LBB114_929
; %bb.926:
	v_add_nc_u32_e32 v109, 0x1a8, v58
	v_add3_u32 v110, 0, v58, 8
	v_mov_b32_e32 v111, v0
	s_mov_b32 s5, 0
.LBB114_927:                            ; =>This Inner Loop Header: Depth=1
	scratch_load_b64 v[112:113], v110, off
	ds_load_b64 v[114:115], v109
	s_wait_xcnt 0x0
	v_dual_add_nc_u32 v109, 8, v109 :: v_dual_add_nc_u32 v110, 8, v110
	s_wait_loadcnt_dscnt 0x0
	v_pk_mul_f32 v[116:117], v[114:115], v[112:113] op_sel:[1,1] op_sel_hi:[0,1]
	s_delay_alu instid0(VALU_DEP_1) | instskip(SKIP_2) | instid1(VALU_DEP_3)
	v_pk_fma_f32 v[118:119], v[114:115], v[112:113], v[116:117] op_sel_hi:[1,0,1]
	v_add_nc_u32_e32 v111, 1, v111
	v_pk_fma_f32 v[112:113], v[114:115], v[112:113], v[116:117] neg_lo:[0,0,1] neg_hi:[0,0,1]
	v_mov_b32_e32 v113, v119
	s_delay_alu instid0(VALU_DEP_3) | instskip(NEXT) | instid1(VALU_DEP_2)
	v_cmp_lt_u32_e32 vcc_lo, 41, v111
	v_pk_add_f32 v[106:107], v[106:107], v[112:113]
	s_or_b32 s5, vcc_lo, s5
	s_delay_alu instid0(SALU_CYCLE_1)
	s_and_not1_b32 exec_lo, exec_lo, s5
	s_cbranch_execnz .LBB114_927
; %bb.928:
	s_or_b32 exec_lo, exec_lo, s5
.LBB114_929:
	s_delay_alu instid0(SALU_CYCLE_1) | instskip(SKIP_4) | instid1(VALU_DEP_1)
	s_or_b32 exec_lo, exec_lo, s4
	v_mov_b32_e32 v109, 0
	ds_load_b64 v[110:111], v109 offset:344
	s_wait_dscnt 0x0
	v_pk_mul_f32 v[112:113], v[106:107], v[110:111] op_sel:[1,1] op_sel_hi:[0,1]
	v_pk_fma_f32 v[114:115], v[106:107], v[110:111], v[112:113] op_sel_hi:[1,0,1]
	v_pk_fma_f32 v[106:107], v[106:107], v[110:111], v[112:113] neg_lo:[0,0,1] neg_hi:[0,0,1]
	s_delay_alu instid0(VALU_DEP_2)
	v_mov_b32_e32 v107, v115
	scratch_store_b64 off, v[106:107], off offset:344
.LBB114_930:
	s_wait_xcnt 0x0
	s_or_b32 exec_lo, exec_lo, s0
	scratch_load_b64 v[106:107], off, off offset:352
	s_mov_b32 s0, exec_lo
	s_wait_loadcnt 0x0
	ds_store_b64 v1, v[106:107]
	s_wait_storecnt_dscnt 0x0
	s_barrier_signal -1
	s_barrier_wait -1
	s_wait_xcnt 0x0
	v_cmpx_gt_u32_e32 44, v0
	s_cbranch_execz .LBB114_940
; %bb.931:
	v_cmp_ne_u32_e32 vcc_lo, 1, v108
	s_cbranch_vccnz .LBB114_933
; %bb.932:
	scratch_load_b64 v[106:107], v59, off
	ds_load_b64 v[110:111], v1
	s_wait_loadcnt_dscnt 0x0
	v_pk_mul_f32 v[112:113], v[110:111], v[106:107] op_sel:[1,1] op_sel_hi:[0,1]
	s_delay_alu instid0(VALU_DEP_1) | instskip(SKIP_1) | instid1(VALU_DEP_2)
	v_pk_fma_f32 v[114:115], v[110:111], v[106:107], v[112:113] op_sel_hi:[1,0,1]
	v_pk_fma_f32 v[106:107], v[110:111], v[106:107], v[112:113] neg_lo:[0,0,1] neg_hi:[0,0,1]
	v_mov_b32_e32 v107, v115
	s_cbranch_execz .LBB114_934
	s_branch .LBB114_935
.LBB114_933:
                                        ; implicit-def: $vgpr106_vgpr107
.LBB114_934:
	ds_load_b64 v[106:107], v1
.LBB114_935:
	s_mov_b32 s4, exec_lo
	v_cmpx_ne_u32_e32 43, v0
	s_cbranch_execz .LBB114_939
; %bb.936:
	v_add_nc_u32_e32 v109, 0x1a8, v58
	v_add3_u32 v110, 0, v58, 8
	v_mov_b32_e32 v111, v0
	s_mov_b32 s5, 0
.LBB114_937:                            ; =>This Inner Loop Header: Depth=1
	scratch_load_b64 v[112:113], v110, off
	ds_load_b64 v[114:115], v109
	s_wait_xcnt 0x0
	v_dual_add_nc_u32 v109, 8, v109 :: v_dual_add_nc_u32 v110, 8, v110
	s_wait_loadcnt_dscnt 0x0
	v_pk_mul_f32 v[116:117], v[114:115], v[112:113] op_sel:[1,1] op_sel_hi:[0,1]
	s_delay_alu instid0(VALU_DEP_1) | instskip(SKIP_2) | instid1(VALU_DEP_3)
	v_pk_fma_f32 v[118:119], v[114:115], v[112:113], v[116:117] op_sel_hi:[1,0,1]
	v_add_nc_u32_e32 v111, 1, v111
	v_pk_fma_f32 v[112:113], v[114:115], v[112:113], v[116:117] neg_lo:[0,0,1] neg_hi:[0,0,1]
	v_mov_b32_e32 v113, v119
	s_delay_alu instid0(VALU_DEP_3) | instskip(NEXT) | instid1(VALU_DEP_2)
	v_cmp_lt_u32_e32 vcc_lo, 42, v111
	v_pk_add_f32 v[106:107], v[106:107], v[112:113]
	s_or_b32 s5, vcc_lo, s5
	s_delay_alu instid0(SALU_CYCLE_1)
	s_and_not1_b32 exec_lo, exec_lo, s5
	s_cbranch_execnz .LBB114_937
; %bb.938:
	s_or_b32 exec_lo, exec_lo, s5
.LBB114_939:
	s_delay_alu instid0(SALU_CYCLE_1) | instskip(SKIP_4) | instid1(VALU_DEP_1)
	s_or_b32 exec_lo, exec_lo, s4
	v_mov_b32_e32 v109, 0
	ds_load_b64 v[110:111], v109 offset:352
	s_wait_dscnt 0x0
	v_pk_mul_f32 v[112:113], v[106:107], v[110:111] op_sel:[1,1] op_sel_hi:[0,1]
	v_pk_fma_f32 v[114:115], v[106:107], v[110:111], v[112:113] op_sel_hi:[1,0,1]
	v_pk_fma_f32 v[106:107], v[106:107], v[110:111], v[112:113] neg_lo:[0,0,1] neg_hi:[0,0,1]
	s_delay_alu instid0(VALU_DEP_2)
	v_mov_b32_e32 v107, v115
	scratch_store_b64 off, v[106:107], off offset:352
.LBB114_940:
	s_wait_xcnt 0x0
	s_or_b32 exec_lo, exec_lo, s0
	scratch_load_b64 v[106:107], off, off offset:360
	s_mov_b32 s0, exec_lo
	s_wait_loadcnt 0x0
	ds_store_b64 v1, v[106:107]
	s_wait_storecnt_dscnt 0x0
	s_barrier_signal -1
	s_barrier_wait -1
	s_wait_xcnt 0x0
	v_cmpx_gt_u32_e32 45, v0
	s_cbranch_execz .LBB114_950
; %bb.941:
	v_cmp_ne_u32_e32 vcc_lo, 1, v108
	s_cbranch_vccnz .LBB114_943
; %bb.942:
	scratch_load_b64 v[106:107], v59, off
	ds_load_b64 v[110:111], v1
	s_wait_loadcnt_dscnt 0x0
	v_pk_mul_f32 v[112:113], v[110:111], v[106:107] op_sel:[1,1] op_sel_hi:[0,1]
	s_delay_alu instid0(VALU_DEP_1) | instskip(SKIP_1) | instid1(VALU_DEP_2)
	v_pk_fma_f32 v[114:115], v[110:111], v[106:107], v[112:113] op_sel_hi:[1,0,1]
	v_pk_fma_f32 v[106:107], v[110:111], v[106:107], v[112:113] neg_lo:[0,0,1] neg_hi:[0,0,1]
	v_mov_b32_e32 v107, v115
	s_cbranch_execz .LBB114_944
	s_branch .LBB114_945
.LBB114_943:
                                        ; implicit-def: $vgpr106_vgpr107
.LBB114_944:
	ds_load_b64 v[106:107], v1
.LBB114_945:
	s_mov_b32 s4, exec_lo
	v_cmpx_ne_u32_e32 44, v0
	s_cbranch_execz .LBB114_949
; %bb.946:
	v_add_nc_u32_e32 v109, 0x1a8, v58
	v_add3_u32 v110, 0, v58, 8
	v_mov_b32_e32 v111, v0
	s_mov_b32 s5, 0
.LBB114_947:                            ; =>This Inner Loop Header: Depth=1
	scratch_load_b64 v[112:113], v110, off
	ds_load_b64 v[114:115], v109
	s_wait_xcnt 0x0
	v_dual_add_nc_u32 v109, 8, v109 :: v_dual_add_nc_u32 v110, 8, v110
	s_wait_loadcnt_dscnt 0x0
	v_pk_mul_f32 v[116:117], v[114:115], v[112:113] op_sel:[1,1] op_sel_hi:[0,1]
	s_delay_alu instid0(VALU_DEP_1) | instskip(SKIP_2) | instid1(VALU_DEP_3)
	v_pk_fma_f32 v[118:119], v[114:115], v[112:113], v[116:117] op_sel_hi:[1,0,1]
	v_add_nc_u32_e32 v111, 1, v111
	v_pk_fma_f32 v[112:113], v[114:115], v[112:113], v[116:117] neg_lo:[0,0,1] neg_hi:[0,0,1]
	v_mov_b32_e32 v113, v119
	s_delay_alu instid0(VALU_DEP_3) | instskip(NEXT) | instid1(VALU_DEP_2)
	v_cmp_lt_u32_e32 vcc_lo, 43, v111
	v_pk_add_f32 v[106:107], v[106:107], v[112:113]
	s_or_b32 s5, vcc_lo, s5
	s_delay_alu instid0(SALU_CYCLE_1)
	s_and_not1_b32 exec_lo, exec_lo, s5
	s_cbranch_execnz .LBB114_947
; %bb.948:
	s_or_b32 exec_lo, exec_lo, s5
.LBB114_949:
	s_delay_alu instid0(SALU_CYCLE_1) | instskip(SKIP_4) | instid1(VALU_DEP_1)
	s_or_b32 exec_lo, exec_lo, s4
	v_mov_b32_e32 v109, 0
	ds_load_b64 v[110:111], v109 offset:360
	s_wait_dscnt 0x0
	v_pk_mul_f32 v[112:113], v[106:107], v[110:111] op_sel:[1,1] op_sel_hi:[0,1]
	v_pk_fma_f32 v[114:115], v[106:107], v[110:111], v[112:113] op_sel_hi:[1,0,1]
	v_pk_fma_f32 v[106:107], v[106:107], v[110:111], v[112:113] neg_lo:[0,0,1] neg_hi:[0,0,1]
	s_delay_alu instid0(VALU_DEP_2)
	v_mov_b32_e32 v107, v115
	scratch_store_b64 off, v[106:107], off offset:360
.LBB114_950:
	s_wait_xcnt 0x0
	s_or_b32 exec_lo, exec_lo, s0
	scratch_load_b64 v[106:107], off, off offset:368
	s_mov_b32 s0, exec_lo
	s_wait_loadcnt 0x0
	ds_store_b64 v1, v[106:107]
	s_wait_storecnt_dscnt 0x0
	s_barrier_signal -1
	s_barrier_wait -1
	s_wait_xcnt 0x0
	v_cmpx_gt_u32_e32 46, v0
	s_cbranch_execz .LBB114_960
; %bb.951:
	v_cmp_ne_u32_e32 vcc_lo, 1, v108
	s_cbranch_vccnz .LBB114_953
; %bb.952:
	scratch_load_b64 v[106:107], v59, off
	ds_load_b64 v[110:111], v1
	s_wait_loadcnt_dscnt 0x0
	v_pk_mul_f32 v[112:113], v[110:111], v[106:107] op_sel:[1,1] op_sel_hi:[0,1]
	s_delay_alu instid0(VALU_DEP_1) | instskip(SKIP_1) | instid1(VALU_DEP_2)
	v_pk_fma_f32 v[114:115], v[110:111], v[106:107], v[112:113] op_sel_hi:[1,0,1]
	v_pk_fma_f32 v[106:107], v[110:111], v[106:107], v[112:113] neg_lo:[0,0,1] neg_hi:[0,0,1]
	v_mov_b32_e32 v107, v115
	s_cbranch_execz .LBB114_954
	s_branch .LBB114_955
.LBB114_953:
                                        ; implicit-def: $vgpr106_vgpr107
.LBB114_954:
	ds_load_b64 v[106:107], v1
.LBB114_955:
	s_mov_b32 s4, exec_lo
	v_cmpx_ne_u32_e32 45, v0
	s_cbranch_execz .LBB114_959
; %bb.956:
	v_add_nc_u32_e32 v109, 0x1a8, v58
	v_add3_u32 v110, 0, v58, 8
	v_mov_b32_e32 v111, v0
	s_mov_b32 s5, 0
.LBB114_957:                            ; =>This Inner Loop Header: Depth=1
	scratch_load_b64 v[112:113], v110, off
	ds_load_b64 v[114:115], v109
	s_wait_xcnt 0x0
	v_dual_add_nc_u32 v109, 8, v109 :: v_dual_add_nc_u32 v110, 8, v110
	s_wait_loadcnt_dscnt 0x0
	v_pk_mul_f32 v[116:117], v[114:115], v[112:113] op_sel:[1,1] op_sel_hi:[0,1]
	s_delay_alu instid0(VALU_DEP_1) | instskip(SKIP_2) | instid1(VALU_DEP_3)
	v_pk_fma_f32 v[118:119], v[114:115], v[112:113], v[116:117] op_sel_hi:[1,0,1]
	v_add_nc_u32_e32 v111, 1, v111
	v_pk_fma_f32 v[112:113], v[114:115], v[112:113], v[116:117] neg_lo:[0,0,1] neg_hi:[0,0,1]
	v_mov_b32_e32 v113, v119
	s_delay_alu instid0(VALU_DEP_3) | instskip(NEXT) | instid1(VALU_DEP_2)
	v_cmp_lt_u32_e32 vcc_lo, 44, v111
	v_pk_add_f32 v[106:107], v[106:107], v[112:113]
	s_or_b32 s5, vcc_lo, s5
	s_delay_alu instid0(SALU_CYCLE_1)
	s_and_not1_b32 exec_lo, exec_lo, s5
	s_cbranch_execnz .LBB114_957
; %bb.958:
	s_or_b32 exec_lo, exec_lo, s5
.LBB114_959:
	s_delay_alu instid0(SALU_CYCLE_1) | instskip(SKIP_4) | instid1(VALU_DEP_1)
	s_or_b32 exec_lo, exec_lo, s4
	v_mov_b32_e32 v109, 0
	ds_load_b64 v[110:111], v109 offset:368
	s_wait_dscnt 0x0
	v_pk_mul_f32 v[112:113], v[106:107], v[110:111] op_sel:[1,1] op_sel_hi:[0,1]
	v_pk_fma_f32 v[114:115], v[106:107], v[110:111], v[112:113] op_sel_hi:[1,0,1]
	v_pk_fma_f32 v[106:107], v[106:107], v[110:111], v[112:113] neg_lo:[0,0,1] neg_hi:[0,0,1]
	s_delay_alu instid0(VALU_DEP_2)
	v_mov_b32_e32 v107, v115
	scratch_store_b64 off, v[106:107], off offset:368
.LBB114_960:
	s_wait_xcnt 0x0
	s_or_b32 exec_lo, exec_lo, s0
	scratch_load_b64 v[106:107], off, off offset:376
	s_mov_b32 s0, exec_lo
	s_wait_loadcnt 0x0
	ds_store_b64 v1, v[106:107]
	s_wait_storecnt_dscnt 0x0
	s_barrier_signal -1
	s_barrier_wait -1
	s_wait_xcnt 0x0
	v_cmpx_gt_u32_e32 47, v0
	s_cbranch_execz .LBB114_970
; %bb.961:
	v_cmp_ne_u32_e32 vcc_lo, 1, v108
	s_cbranch_vccnz .LBB114_963
; %bb.962:
	scratch_load_b64 v[106:107], v59, off
	ds_load_b64 v[110:111], v1
	s_wait_loadcnt_dscnt 0x0
	v_pk_mul_f32 v[112:113], v[110:111], v[106:107] op_sel:[1,1] op_sel_hi:[0,1]
	s_delay_alu instid0(VALU_DEP_1) | instskip(SKIP_1) | instid1(VALU_DEP_2)
	v_pk_fma_f32 v[114:115], v[110:111], v[106:107], v[112:113] op_sel_hi:[1,0,1]
	v_pk_fma_f32 v[106:107], v[110:111], v[106:107], v[112:113] neg_lo:[0,0,1] neg_hi:[0,0,1]
	v_mov_b32_e32 v107, v115
	s_cbranch_execz .LBB114_964
	s_branch .LBB114_965
.LBB114_963:
                                        ; implicit-def: $vgpr106_vgpr107
.LBB114_964:
	ds_load_b64 v[106:107], v1
.LBB114_965:
	s_mov_b32 s4, exec_lo
	v_cmpx_ne_u32_e32 46, v0
	s_cbranch_execz .LBB114_969
; %bb.966:
	v_add_nc_u32_e32 v109, 0x1a8, v58
	v_add3_u32 v110, 0, v58, 8
	v_mov_b32_e32 v111, v0
	s_mov_b32 s5, 0
.LBB114_967:                            ; =>This Inner Loop Header: Depth=1
	scratch_load_b64 v[112:113], v110, off
	ds_load_b64 v[114:115], v109
	s_wait_xcnt 0x0
	v_dual_add_nc_u32 v109, 8, v109 :: v_dual_add_nc_u32 v110, 8, v110
	s_wait_loadcnt_dscnt 0x0
	v_pk_mul_f32 v[116:117], v[114:115], v[112:113] op_sel:[1,1] op_sel_hi:[0,1]
	s_delay_alu instid0(VALU_DEP_1) | instskip(SKIP_2) | instid1(VALU_DEP_3)
	v_pk_fma_f32 v[118:119], v[114:115], v[112:113], v[116:117] op_sel_hi:[1,0,1]
	v_add_nc_u32_e32 v111, 1, v111
	v_pk_fma_f32 v[112:113], v[114:115], v[112:113], v[116:117] neg_lo:[0,0,1] neg_hi:[0,0,1]
	v_mov_b32_e32 v113, v119
	s_delay_alu instid0(VALU_DEP_3) | instskip(NEXT) | instid1(VALU_DEP_2)
	v_cmp_lt_u32_e32 vcc_lo, 45, v111
	v_pk_add_f32 v[106:107], v[106:107], v[112:113]
	s_or_b32 s5, vcc_lo, s5
	s_delay_alu instid0(SALU_CYCLE_1)
	s_and_not1_b32 exec_lo, exec_lo, s5
	s_cbranch_execnz .LBB114_967
; %bb.968:
	s_or_b32 exec_lo, exec_lo, s5
.LBB114_969:
	s_delay_alu instid0(SALU_CYCLE_1) | instskip(SKIP_4) | instid1(VALU_DEP_1)
	s_or_b32 exec_lo, exec_lo, s4
	v_mov_b32_e32 v109, 0
	ds_load_b64 v[110:111], v109 offset:376
	s_wait_dscnt 0x0
	v_pk_mul_f32 v[112:113], v[106:107], v[110:111] op_sel:[1,1] op_sel_hi:[0,1]
	v_pk_fma_f32 v[114:115], v[106:107], v[110:111], v[112:113] op_sel_hi:[1,0,1]
	v_pk_fma_f32 v[106:107], v[106:107], v[110:111], v[112:113] neg_lo:[0,0,1] neg_hi:[0,0,1]
	s_delay_alu instid0(VALU_DEP_2)
	v_mov_b32_e32 v107, v115
	scratch_store_b64 off, v[106:107], off offset:376
.LBB114_970:
	s_wait_xcnt 0x0
	s_or_b32 exec_lo, exec_lo, s0
	scratch_load_b64 v[106:107], off, off offset:384
	s_mov_b32 s0, exec_lo
	s_wait_loadcnt 0x0
	ds_store_b64 v1, v[106:107]
	s_wait_storecnt_dscnt 0x0
	s_barrier_signal -1
	s_barrier_wait -1
	s_wait_xcnt 0x0
	v_cmpx_gt_u32_e32 48, v0
	s_cbranch_execz .LBB114_980
; %bb.971:
	v_cmp_ne_u32_e32 vcc_lo, 1, v108
	s_cbranch_vccnz .LBB114_973
; %bb.972:
	scratch_load_b64 v[106:107], v59, off
	ds_load_b64 v[110:111], v1
	s_wait_loadcnt_dscnt 0x0
	v_pk_mul_f32 v[112:113], v[110:111], v[106:107] op_sel:[1,1] op_sel_hi:[0,1]
	s_delay_alu instid0(VALU_DEP_1) | instskip(SKIP_1) | instid1(VALU_DEP_2)
	v_pk_fma_f32 v[114:115], v[110:111], v[106:107], v[112:113] op_sel_hi:[1,0,1]
	v_pk_fma_f32 v[106:107], v[110:111], v[106:107], v[112:113] neg_lo:[0,0,1] neg_hi:[0,0,1]
	v_mov_b32_e32 v107, v115
	s_cbranch_execz .LBB114_974
	s_branch .LBB114_975
.LBB114_973:
                                        ; implicit-def: $vgpr106_vgpr107
.LBB114_974:
	ds_load_b64 v[106:107], v1
.LBB114_975:
	s_mov_b32 s4, exec_lo
	v_cmpx_ne_u32_e32 47, v0
	s_cbranch_execz .LBB114_979
; %bb.976:
	v_add_nc_u32_e32 v109, 0x1a8, v58
	v_add3_u32 v110, 0, v58, 8
	v_mov_b32_e32 v111, v0
	s_mov_b32 s5, 0
.LBB114_977:                            ; =>This Inner Loop Header: Depth=1
	scratch_load_b64 v[112:113], v110, off
	ds_load_b64 v[114:115], v109
	s_wait_xcnt 0x0
	v_dual_add_nc_u32 v109, 8, v109 :: v_dual_add_nc_u32 v110, 8, v110
	s_wait_loadcnt_dscnt 0x0
	v_pk_mul_f32 v[116:117], v[114:115], v[112:113] op_sel:[1,1] op_sel_hi:[0,1]
	s_delay_alu instid0(VALU_DEP_1) | instskip(SKIP_2) | instid1(VALU_DEP_3)
	v_pk_fma_f32 v[118:119], v[114:115], v[112:113], v[116:117] op_sel_hi:[1,0,1]
	v_add_nc_u32_e32 v111, 1, v111
	v_pk_fma_f32 v[112:113], v[114:115], v[112:113], v[116:117] neg_lo:[0,0,1] neg_hi:[0,0,1]
	v_mov_b32_e32 v113, v119
	s_delay_alu instid0(VALU_DEP_3) | instskip(NEXT) | instid1(VALU_DEP_2)
	v_cmp_lt_u32_e32 vcc_lo, 46, v111
	v_pk_add_f32 v[106:107], v[106:107], v[112:113]
	s_or_b32 s5, vcc_lo, s5
	s_delay_alu instid0(SALU_CYCLE_1)
	s_and_not1_b32 exec_lo, exec_lo, s5
	s_cbranch_execnz .LBB114_977
; %bb.978:
	s_or_b32 exec_lo, exec_lo, s5
.LBB114_979:
	s_delay_alu instid0(SALU_CYCLE_1) | instskip(SKIP_4) | instid1(VALU_DEP_1)
	s_or_b32 exec_lo, exec_lo, s4
	v_mov_b32_e32 v109, 0
	ds_load_b64 v[110:111], v109 offset:384
	s_wait_dscnt 0x0
	v_pk_mul_f32 v[112:113], v[106:107], v[110:111] op_sel:[1,1] op_sel_hi:[0,1]
	v_pk_fma_f32 v[114:115], v[106:107], v[110:111], v[112:113] op_sel_hi:[1,0,1]
	v_pk_fma_f32 v[106:107], v[106:107], v[110:111], v[112:113] neg_lo:[0,0,1] neg_hi:[0,0,1]
	s_delay_alu instid0(VALU_DEP_2)
	v_mov_b32_e32 v107, v115
	scratch_store_b64 off, v[106:107], off offset:384
.LBB114_980:
	s_wait_xcnt 0x0
	s_or_b32 exec_lo, exec_lo, s0
	scratch_load_b64 v[106:107], off, off offset:392
	v_cmp_gt_u32_e64 s0, 49, v0
	s_wait_loadcnt 0x0
	ds_store_b64 v1, v[106:107]
	s_wait_storecnt_dscnt 0x0
	s_barrier_signal -1
	s_barrier_wait -1
	s_wait_xcnt 0x0
	s_and_saveexec_b32 s4, s0
	s_cbranch_execz .LBB114_990
; %bb.981:
	v_cmp_ne_u32_e32 vcc_lo, 1, v108
	s_cbranch_vccnz .LBB114_983
; %bb.982:
	scratch_load_b64 v[106:107], v59, off
	ds_load_b64 v[110:111], v1
	s_wait_loadcnt_dscnt 0x0
	v_pk_mul_f32 v[112:113], v[110:111], v[106:107] op_sel:[1,1] op_sel_hi:[0,1]
	s_delay_alu instid0(VALU_DEP_1) | instskip(SKIP_1) | instid1(VALU_DEP_2)
	v_pk_fma_f32 v[114:115], v[110:111], v[106:107], v[112:113] op_sel_hi:[1,0,1]
	v_pk_fma_f32 v[106:107], v[110:111], v[106:107], v[112:113] neg_lo:[0,0,1] neg_hi:[0,0,1]
	v_mov_b32_e32 v107, v115
	s_cbranch_execz .LBB114_984
	s_branch .LBB114_985
.LBB114_983:
                                        ; implicit-def: $vgpr106_vgpr107
.LBB114_984:
	ds_load_b64 v[106:107], v1
.LBB114_985:
	s_mov_b32 s5, exec_lo
	v_cmpx_ne_u32_e32 48, v0
	s_cbranch_execz .LBB114_989
; %bb.986:
	v_add_nc_u32_e32 v109, 0x1a8, v58
	v_add3_u32 v110, 0, v58, 8
	v_mov_b32_e32 v111, v0
	s_mov_b32 s6, 0
.LBB114_987:                            ; =>This Inner Loop Header: Depth=1
	scratch_load_b64 v[112:113], v110, off
	ds_load_b64 v[114:115], v109
	s_wait_xcnt 0x0
	v_dual_add_nc_u32 v109, 8, v109 :: v_dual_add_nc_u32 v110, 8, v110
	s_wait_loadcnt_dscnt 0x0
	v_pk_mul_f32 v[116:117], v[114:115], v[112:113] op_sel:[1,1] op_sel_hi:[0,1]
	s_delay_alu instid0(VALU_DEP_1) | instskip(SKIP_2) | instid1(VALU_DEP_3)
	v_pk_fma_f32 v[118:119], v[114:115], v[112:113], v[116:117] op_sel_hi:[1,0,1]
	v_add_nc_u32_e32 v111, 1, v111
	v_pk_fma_f32 v[112:113], v[114:115], v[112:113], v[116:117] neg_lo:[0,0,1] neg_hi:[0,0,1]
	v_mov_b32_e32 v113, v119
	s_delay_alu instid0(VALU_DEP_3) | instskip(NEXT) | instid1(VALU_DEP_2)
	v_cmp_lt_u32_e32 vcc_lo, 47, v111
	v_pk_add_f32 v[106:107], v[106:107], v[112:113]
	s_or_b32 s6, vcc_lo, s6
	s_delay_alu instid0(SALU_CYCLE_1)
	s_and_not1_b32 exec_lo, exec_lo, s6
	s_cbranch_execnz .LBB114_987
; %bb.988:
	s_or_b32 exec_lo, exec_lo, s6
.LBB114_989:
	s_delay_alu instid0(SALU_CYCLE_1) | instskip(SKIP_4) | instid1(VALU_DEP_1)
	s_or_b32 exec_lo, exec_lo, s5
	v_mov_b32_e32 v109, 0
	ds_load_b64 v[110:111], v109 offset:392
	s_wait_dscnt 0x0
	v_pk_mul_f32 v[112:113], v[106:107], v[110:111] op_sel:[1,1] op_sel_hi:[0,1]
	v_pk_fma_f32 v[114:115], v[106:107], v[110:111], v[112:113] op_sel_hi:[1,0,1]
	v_pk_fma_f32 v[106:107], v[106:107], v[110:111], v[112:113] neg_lo:[0,0,1] neg_hi:[0,0,1]
	s_delay_alu instid0(VALU_DEP_2)
	v_mov_b32_e32 v107, v115
	scratch_store_b64 off, v[106:107], off offset:392
.LBB114_990:
	s_wait_xcnt 0x0
	s_or_b32 exec_lo, exec_lo, s4
	scratch_load_b64 v[106:107], off, off offset:400
	s_mov_b32 s4, exec_lo
                                        ; implicit-def: $vgpr152
                                        ; implicit-def: $sgpr7
	s_wait_loadcnt 0x0
	ds_store_b64 v1, v[106:107]
	s_wait_storecnt_dscnt 0x0
	s_barrier_signal -1
	s_barrier_wait -1
	s_wait_xcnt 0x0
	v_cmpx_ne_u32_e32 50, v0
	s_cbranch_execz .LBB114_1000
; %bb.991:
	v_cmp_ne_u32_e32 vcc_lo, 1, v108
	s_cbranch_vccnz .LBB114_993
; %bb.992:
	scratch_load_b64 v[108:109], v59, off
	ds_load_b64 v[110:111], v1
	s_wait_loadcnt_dscnt 0x0
	v_dual_mul_f32 v59, v111, v109 :: v_dual_mul_f32 v107, v110, v109
	s_delay_alu instid0(VALU_DEP_1) | instskip(NEXT) | instid1(VALU_DEP_2)
	v_fma_f32 v106, v110, v108, -v59
	v_fmac_f32_e32 v107, v111, v108
	s_cbranch_execz .LBB114_994
	s_branch .LBB114_995
.LBB114_993:
                                        ; implicit-def: $vgpr107
.LBB114_994:
	ds_load_b64 v[106:107], v1
.LBB114_995:
	s_and_saveexec_b32 s5, s0
	s_cbranch_execz .LBB114_999
; %bb.996:
	v_add_nc_u32_e32 v1, 0x1a8, v58
	v_add3_u32 v58, 0, v58, 8
	s_mov_b32 s0, 0
.LBB114_997:                            ; =>This Inner Loop Header: Depth=1
	scratch_load_b64 v[108:109], v58, off
	ds_load_b64 v[110:111], v1
	v_dual_add_nc_u32 v0, 1, v0 :: v_dual_add_nc_u32 v1, 8, v1
	s_delay_alu instid0(VALU_DEP_1) | instskip(SKIP_3) | instid1(VALU_DEP_1)
	v_cmp_lt_u32_e32 vcc_lo, 48, v0
	s_or_b32 s0, vcc_lo, s0
	s_wait_loadcnt_dscnt 0x0
	v_dual_mul_f32 v59, v111, v109 :: v_dual_mul_f32 v109, v110, v109
	v_dual_fma_f32 v59, v110, v108, -v59 :: v_dual_fmac_f32 v109, v111, v108
	s_delay_alu instid0(VALU_DEP_1) | instskip(NEXT) | instid1(VALU_DEP_2)
	v_dual_add_nc_u32 v58, 8, v58 :: v_dual_add_f32 v106, v106, v59
	v_add_f32_e32 v107, v107, v109
	s_and_not1_b32 exec_lo, exec_lo, s0
	s_cbranch_execnz .LBB114_997
; %bb.998:
	s_or_b32 exec_lo, exec_lo, s0
.LBB114_999:
	s_delay_alu instid0(SALU_CYCLE_1)
	s_or_b32 exec_lo, exec_lo, s5
	v_mov_b32_e32 v0, 0
	s_movk_i32 s7, 0x194
	s_or_b32 s1, s1, exec_lo
	ds_load_b64 v[0:1], v0 offset:400
	s_wait_dscnt 0x0
	v_dual_mul_f32 v58, v107, v1 :: v_dual_mul_f32 v152, v106, v1
	s_delay_alu instid0(VALU_DEP_1)
	v_dual_fma_f32 v1, v106, v0, -v58 :: v_dual_fmac_f32 v152, v107, v0
	scratch_store_b32 off, v1, off offset:400
.LBB114_1000:
	s_wait_xcnt 0x0
	s_or_b32 exec_lo, exec_lo, s4
.LBB114_1001:
	v_lshl_add_u64 v[150:151], v[6:7], 3, s[2:3]
	v_lshl_add_u64 v[148:149], v[8:9], 3, s[2:3]
	;; [unrolled: 1-line block ×49, first 2 shown]
	s_and_saveexec_b32 s0, s1
	s_cbranch_execz .LBB114_1003
; %bb.1002:
	scratch_store_b32 off, v152, s7
.LBB114_1003:
	s_wait_xcnt 0x0
	s_or_b32 exec_lo, exec_lo, s0
	scratch_load_b64 v[54:55], off, off
	s_wait_loadcnt 0x0
	flat_store_b64 v[2:3], v[54:55]
	scratch_load_b64 v[2:3], off, off offset:8
	s_wait_loadcnt 0x0
	flat_store_b64 v[4:5], v[2:3]
	scratch_load_b64 v[2:3], off, off offset:16
	;; [unrolled: 3-line block ×50, first 2 shown]
	s_wait_loadcnt 0x0
	flat_store_b64 v[0:1], v[2:3]
.LBB114_1004:
	s_sendmsg sendmsg(MSG_DEALLOC_VGPRS)
	s_endpgm
	.section	.rodata,"a",@progbits
	.p2align	6, 0x0
	.amdhsa_kernel _ZN9rocsolver6v33100L18trti2_kernel_smallILi51E19rocblas_complex_numIfEPKPS3_EEv13rocblas_fill_17rocblas_diagonal_T1_iil
		.amdhsa_group_segment_fixed_size 824
		.amdhsa_private_segment_fixed_size 416
		.amdhsa_kernarg_size 32
		.amdhsa_user_sgpr_count 2
		.amdhsa_user_sgpr_dispatch_ptr 0
		.amdhsa_user_sgpr_queue_ptr 0
		.amdhsa_user_sgpr_kernarg_segment_ptr 1
		.amdhsa_user_sgpr_dispatch_id 0
		.amdhsa_user_sgpr_kernarg_preload_length 0
		.amdhsa_user_sgpr_kernarg_preload_offset 0
		.amdhsa_user_sgpr_private_segment_size 0
		.amdhsa_wavefront_size32 1
		.amdhsa_uses_dynamic_stack 0
		.amdhsa_enable_private_segment 1
		.amdhsa_system_sgpr_workgroup_id_x 1
		.amdhsa_system_sgpr_workgroup_id_y 0
		.amdhsa_system_sgpr_workgroup_id_z 0
		.amdhsa_system_sgpr_workgroup_info 0
		.amdhsa_system_vgpr_workitem_id 0
		.amdhsa_next_free_vgpr 153
		.amdhsa_next_free_sgpr 57
		.amdhsa_named_barrier_count 0
		.amdhsa_reserve_vcc 1
		.amdhsa_float_round_mode_32 0
		.amdhsa_float_round_mode_16_64 0
		.amdhsa_float_denorm_mode_32 3
		.amdhsa_float_denorm_mode_16_64 3
		.amdhsa_fp16_overflow 0
		.amdhsa_memory_ordered 1
		.amdhsa_forward_progress 1
		.amdhsa_inst_pref_size 255
		.amdhsa_round_robin_scheduling 0
		.amdhsa_exception_fp_ieee_invalid_op 0
		.amdhsa_exception_fp_denorm_src 0
		.amdhsa_exception_fp_ieee_div_zero 0
		.amdhsa_exception_fp_ieee_overflow 0
		.amdhsa_exception_fp_ieee_underflow 0
		.amdhsa_exception_fp_ieee_inexact 0
		.amdhsa_exception_int_div_zero 0
	.end_amdhsa_kernel
	.section	.text._ZN9rocsolver6v33100L18trti2_kernel_smallILi51E19rocblas_complex_numIfEPKPS3_EEv13rocblas_fill_17rocblas_diagonal_T1_iil,"axG",@progbits,_ZN9rocsolver6v33100L18trti2_kernel_smallILi51E19rocblas_complex_numIfEPKPS3_EEv13rocblas_fill_17rocblas_diagonal_T1_iil,comdat
.Lfunc_end114:
	.size	_ZN9rocsolver6v33100L18trti2_kernel_smallILi51E19rocblas_complex_numIfEPKPS3_EEv13rocblas_fill_17rocblas_diagonal_T1_iil, .Lfunc_end114-_ZN9rocsolver6v33100L18trti2_kernel_smallILi51E19rocblas_complex_numIfEPKPS3_EEv13rocblas_fill_17rocblas_diagonal_T1_iil
                                        ; -- End function
	.set _ZN9rocsolver6v33100L18trti2_kernel_smallILi51E19rocblas_complex_numIfEPKPS3_EEv13rocblas_fill_17rocblas_diagonal_T1_iil.num_vgpr, 153
	.set _ZN9rocsolver6v33100L18trti2_kernel_smallILi51E19rocblas_complex_numIfEPKPS3_EEv13rocblas_fill_17rocblas_diagonal_T1_iil.num_agpr, 0
	.set _ZN9rocsolver6v33100L18trti2_kernel_smallILi51E19rocblas_complex_numIfEPKPS3_EEv13rocblas_fill_17rocblas_diagonal_T1_iil.numbered_sgpr, 57
	.set _ZN9rocsolver6v33100L18trti2_kernel_smallILi51E19rocblas_complex_numIfEPKPS3_EEv13rocblas_fill_17rocblas_diagonal_T1_iil.num_named_barrier, 0
	.set _ZN9rocsolver6v33100L18trti2_kernel_smallILi51E19rocblas_complex_numIfEPKPS3_EEv13rocblas_fill_17rocblas_diagonal_T1_iil.private_seg_size, 416
	.set _ZN9rocsolver6v33100L18trti2_kernel_smallILi51E19rocblas_complex_numIfEPKPS3_EEv13rocblas_fill_17rocblas_diagonal_T1_iil.uses_vcc, 1
	.set _ZN9rocsolver6v33100L18trti2_kernel_smallILi51E19rocblas_complex_numIfEPKPS3_EEv13rocblas_fill_17rocblas_diagonal_T1_iil.uses_flat_scratch, 0
	.set _ZN9rocsolver6v33100L18trti2_kernel_smallILi51E19rocblas_complex_numIfEPKPS3_EEv13rocblas_fill_17rocblas_diagonal_T1_iil.has_dyn_sized_stack, 0
	.set _ZN9rocsolver6v33100L18trti2_kernel_smallILi51E19rocblas_complex_numIfEPKPS3_EEv13rocblas_fill_17rocblas_diagonal_T1_iil.has_recursion, 0
	.set _ZN9rocsolver6v33100L18trti2_kernel_smallILi51E19rocblas_complex_numIfEPKPS3_EEv13rocblas_fill_17rocblas_diagonal_T1_iil.has_indirect_call, 0
	.section	.AMDGPU.csdata,"",@progbits
; Kernel info:
; codeLenInByte = 39392
; TotalNumSgprs: 59
; NumVgprs: 153
; ScratchSize: 416
; MemoryBound: 0
; FloatMode: 240
; IeeeMode: 1
; LDSByteSize: 824 bytes/workgroup (compile time only)
; SGPRBlocks: 0
; VGPRBlocks: 9
; NumSGPRsForWavesPerEU: 59
; NumVGPRsForWavesPerEU: 153
; NamedBarCnt: 0
; Occupancy: 6
; WaveLimiterHint : 1
; COMPUTE_PGM_RSRC2:SCRATCH_EN: 1
; COMPUTE_PGM_RSRC2:USER_SGPR: 2
; COMPUTE_PGM_RSRC2:TRAP_HANDLER: 0
; COMPUTE_PGM_RSRC2:TGID_X_EN: 1
; COMPUTE_PGM_RSRC2:TGID_Y_EN: 0
; COMPUTE_PGM_RSRC2:TGID_Z_EN: 0
; COMPUTE_PGM_RSRC2:TIDIG_COMP_CNT: 0
	.section	.text._ZN9rocsolver6v33100L18trti2_kernel_smallILi52E19rocblas_complex_numIfEPKPS3_EEv13rocblas_fill_17rocblas_diagonal_T1_iil,"axG",@progbits,_ZN9rocsolver6v33100L18trti2_kernel_smallILi52E19rocblas_complex_numIfEPKPS3_EEv13rocblas_fill_17rocblas_diagonal_T1_iil,comdat
	.globl	_ZN9rocsolver6v33100L18trti2_kernel_smallILi52E19rocblas_complex_numIfEPKPS3_EEv13rocblas_fill_17rocblas_diagonal_T1_iil ; -- Begin function _ZN9rocsolver6v33100L18trti2_kernel_smallILi52E19rocblas_complex_numIfEPKPS3_EEv13rocblas_fill_17rocblas_diagonal_T1_iil
	.p2align	8
	.type	_ZN9rocsolver6v33100L18trti2_kernel_smallILi52E19rocblas_complex_numIfEPKPS3_EEv13rocblas_fill_17rocblas_diagonal_T1_iil,@function
_ZN9rocsolver6v33100L18trti2_kernel_smallILi52E19rocblas_complex_numIfEPKPS3_EEv13rocblas_fill_17rocblas_diagonal_T1_iil: ; @_ZN9rocsolver6v33100L18trti2_kernel_smallILi52E19rocblas_complex_numIfEPKPS3_EEv13rocblas_fill_17rocblas_diagonal_T1_iil
; %bb.0:
	s_mov_b32 s2, exec_lo
	v_cmpx_gt_u32_e32 52, v0
	s_cbranch_execz .LBB115_1024
; %bb.1:
	s_clause 0x1
	s_load_b64 s[2:3], s[0:1], 0x10
	s_load_b128 s[4:7], s[0:1], 0x0
	s_wait_xcnt 0x0
	s_bfe_u32 s0, ttmp6, 0x4000c
	s_and_b32 s1, ttmp6, 15
	s_add_co_i32 s0, s0, 1
	s_getreg_b32 s8, hwreg(HW_REG_IB_STS2, 6, 4)
	s_mul_i32 s0, ttmp9, s0
	v_dual_mov_b32 v59, 0 :: v_dual_lshlrev_b32 v58, 3, v0
	s_add_co_i32 s0, s1, s0
	s_wait_kmcnt 0x0
	s_ashr_i32 s1, s2, 31
	s_cmp_eq_u32 s8, 0
	s_cselect_b32 s8, ttmp9, s0
	s_mov_b32 s0, s2
	s_ashr_i32 s9, s8, 31
	s_lshl_b64 s[0:1], s[0:1], 3
	s_lshl_b64 s[8:9], s[8:9], 3
	s_delay_alu instid0(SALU_CYCLE_1)
	s_add_nc_u64 s[6:7], s[6:7], s[8:9]
	s_load_b64 s[6:7], s[6:7], 0x0
	s_wait_kmcnt 0x0
	s_add_nc_u64 s[6:7], s[6:7], s[0:1]
	s_mov_b32 s0, s3
	flat_load_b64 v[6:7], v0, s[6:7] scale_offset
	v_add_nc_u64_e32 v[2:3], s[6:7], v[58:59]
	s_ashr_i32 s1, s3, 31
	s_cmp_lg_u32 s5, 0x84
	s_delay_alu instid0(VALU_DEP_1)
	v_lshl_add_u64 v[4:5], s[0:1], 3, v[2:3]
	s_mov_b32 s0, -1
	s_wait_loadcnt_dscnt 0x0
	scratch_store_b64 off, v[6:7], off
	flat_load_b64 v[8:9], v[4:5]
	s_wait_xcnt 0x1
	v_add3_u32 v6, s3, s3, v0
	s_wait_loadcnt_dscnt 0x0
	scratch_store_b64 off, v[8:9], off offset:8
	flat_load_b64 v[10:11], v6, s[6:7] scale_offset
	s_wait_xcnt 0x1
	v_add_nc_u32_e32 v8, s3, v6
	s_wait_loadcnt_dscnt 0x0
	scratch_store_b64 off, v[10:11], off offset:16
	flat_load_b64 v[12:13], v8, s[6:7] scale_offset
	s_wait_xcnt 0x1
	v_add_nc_u32_e32 v10, s3, v8
	;; [unrolled: 5-line block ×49, first 2 shown]
	s_cselect_b32 s3, -1, 0
	s_delay_alu instid0(SALU_CYCLE_1)
	s_and_b32 vcc_lo, exec_lo, s3
	s_wait_loadcnt_dscnt 0x0
	scratch_store_b64 off, v[108:109], off offset:400
	flat_load_b64 v[108:109], v106, s[6:7] scale_offset
	s_wait_loadcnt_dscnt 0x0
	scratch_store_b64 off, v[108:109], off offset:408
	s_cbranch_vccz .LBB115_7
; %bb.2:
	scratch_load_b64 v[108:109], v0, off scale_offset
                                        ; implicit-def: $vgpr113
                                        ; implicit-def: $vgpr110
	s_wait_loadcnt 0x0
	v_cmp_ngt_f32_e64 s0, |v108|, |v109|
	s_wait_xcnt 0x0
	s_and_saveexec_b32 s1, s0
	s_delay_alu instid0(SALU_CYCLE_1)
	s_xor_b32 s0, exec_lo, s1
	s_cbranch_execz .LBB115_4
; %bb.3:
	v_div_scale_f32 v1, null, v109, v109, v108
	v_div_scale_f32 v11, vcc_lo, v108, v109, v108
	s_delay_alu instid0(VALU_DEP_2) | instskip(SKIP_1) | instid1(TRANS32_DEP_1)
	v_rcp_f32_e32 v7, v1
	v_nop
	v_fma_f32 v9, -v1, v7, 1.0
	s_delay_alu instid0(VALU_DEP_1) | instskip(NEXT) | instid1(VALU_DEP_1)
	v_fmac_f32_e32 v7, v9, v7
	v_mul_f32_e32 v9, v11, v7
	s_delay_alu instid0(VALU_DEP_1) | instskip(NEXT) | instid1(VALU_DEP_1)
	v_fma_f32 v13, -v1, v9, v11
	v_fmac_f32_e32 v9, v13, v7
	s_delay_alu instid0(VALU_DEP_1) | instskip(NEXT) | instid1(VALU_DEP_1)
	v_fma_f32 v1, -v1, v9, v11
	v_div_fmas_f32 v1, v1, v7, v9
	s_delay_alu instid0(VALU_DEP_1) | instskip(NEXT) | instid1(VALU_DEP_1)
	v_div_fixup_f32 v1, v1, v109, v108
	v_fmac_f32_e32 v109, v108, v1
	s_delay_alu instid0(VALU_DEP_1) | instskip(NEXT) | instid1(VALU_DEP_1)
	v_div_scale_f32 v7, null, v109, v109, -1.0
	v_rcp_f32_e32 v9, v7
	v_nop
	s_delay_alu instid0(TRANS32_DEP_1) | instskip(NEXT) | instid1(VALU_DEP_1)
	v_fma_f32 v11, -v7, v9, 1.0
	v_fmac_f32_e32 v9, v11, v9
	v_div_scale_f32 v11, vcc_lo, -1.0, v109, -1.0
	s_delay_alu instid0(VALU_DEP_1) | instskip(NEXT) | instid1(VALU_DEP_1)
	v_mul_f32_e32 v13, v11, v9
	v_fma_f32 v15, -v7, v13, v11
	s_delay_alu instid0(VALU_DEP_1) | instskip(NEXT) | instid1(VALU_DEP_1)
	v_fmac_f32_e32 v13, v15, v9
	v_fma_f32 v7, -v7, v13, v11
	s_delay_alu instid0(VALU_DEP_1) | instskip(NEXT) | instid1(VALU_DEP_1)
	v_div_fmas_f32 v7, v7, v9, v13
	v_div_fixup_f32 v113, v7, v109, -1.0
                                        ; implicit-def: $vgpr108_vgpr109
	s_delay_alu instid0(VALU_DEP_1) | instskip(NEXT) | instid1(VALU_DEP_1)
	v_mul_f32_e32 v110, v1, v113
	v_xor_b32_e32 v112, 0x80000000, v110
.LBB115_4:
	s_or_saveexec_b32 s0, s0
	v_lshl_add_u32 v1, v0, 3, 0
	s_xor_b32 exec_lo, exec_lo, s0
	s_cbranch_execz .LBB115_6
; %bb.5:
	v_div_scale_f32 v7, null, v108, v108, v109
	v_div_scale_f32 v13, vcc_lo, v109, v108, v109
	s_delay_alu instid0(VALU_DEP_2) | instskip(SKIP_1) | instid1(TRANS32_DEP_1)
	v_rcp_f32_e32 v9, v7
	v_nop
	v_fma_f32 v11, -v7, v9, 1.0
	s_delay_alu instid0(VALU_DEP_1) | instskip(NEXT) | instid1(VALU_DEP_1)
	v_fmac_f32_e32 v9, v11, v9
	v_mul_f32_e32 v11, v13, v9
	s_delay_alu instid0(VALU_DEP_1) | instskip(NEXT) | instid1(VALU_DEP_1)
	v_fma_f32 v15, -v7, v11, v13
	v_fmac_f32_e32 v11, v15, v9
	s_delay_alu instid0(VALU_DEP_1) | instskip(NEXT) | instid1(VALU_DEP_1)
	v_fma_f32 v7, -v7, v11, v13
	v_div_fmas_f32 v7, v7, v9, v11
	s_delay_alu instid0(VALU_DEP_1) | instskip(NEXT) | instid1(VALU_DEP_1)
	v_div_fixup_f32 v7, v7, v108, v109
	v_fmac_f32_e32 v108, v109, v7
	s_delay_alu instid0(VALU_DEP_1) | instskip(SKIP_1) | instid1(VALU_DEP_2)
	v_div_scale_f32 v9, null, v108, v108, 1.0
	v_div_scale_f32 v15, vcc_lo, 1.0, v108, 1.0
	v_rcp_f32_e32 v11, v9
	v_nop
	s_delay_alu instid0(TRANS32_DEP_1) | instskip(NEXT) | instid1(VALU_DEP_1)
	v_fma_f32 v13, -v9, v11, 1.0
	v_fmac_f32_e32 v11, v13, v11
	s_delay_alu instid0(VALU_DEP_1) | instskip(NEXT) | instid1(VALU_DEP_1)
	v_mul_f32_e32 v13, v15, v11
	v_fma_f32 v17, -v9, v13, v15
	s_delay_alu instid0(VALU_DEP_1) | instskip(NEXT) | instid1(VALU_DEP_1)
	v_fmac_f32_e32 v13, v17, v11
	v_fma_f32 v9, -v9, v13, v15
	s_delay_alu instid0(VALU_DEP_1) | instskip(NEXT) | instid1(VALU_DEP_1)
	v_div_fmas_f32 v9, v9, v11, v13
	v_div_fixup_f32 v112, v9, v108, 1.0
	s_delay_alu instid0(VALU_DEP_1)
	v_xor_b32_e32 v110, 0x80000000, v112
	v_mul_f32_e64 v113, v7, -v112
.LBB115_6:
	s_or_b32 exec_lo, exec_lo, s0
	s_delay_alu instid0(VALU_DEP_1)
	v_xor_b32_e32 v111, 0x80000000, v113
	s_mov_b32 s0, 0
	scratch_store_b64 v1, v[112:113], off
	ds_store_b64 v58, v[110:111]
.LBB115_7:
	s_and_b32 vcc_lo, exec_lo, s0
	s_cbranch_vccz .LBB115_9
; %bb.8:
	s_mov_b64 s[0:1], 0xbf800000
	s_wait_xcnt 0x0
	v_mov_b64_e32 v[108:109], s[0:1]
	ds_store_b64 v58, v[108:109]
.LBB115_9:
	v_dual_ashrrev_i32 v7, 31, v6 :: v_dual_ashrrev_i32 v9, 31, v8
	v_dual_ashrrev_i32 v11, 31, v10 :: v_dual_ashrrev_i32 v13, 31, v12
	v_dual_ashrrev_i32 v15, 31, v14 :: v_dual_ashrrev_i32 v17, 31, v16
	v_dual_ashrrev_i32 v19, 31, v18 :: v_dual_ashrrev_i32 v21, 31, v20
	v_dual_ashrrev_i32 v23, 31, v22 :: v_dual_ashrrev_i32 v25, 31, v24
	v_dual_ashrrev_i32 v27, 31, v26 :: v_dual_ashrrev_i32 v29, 31, v28
	v_dual_ashrrev_i32 v31, 31, v30 :: v_dual_ashrrev_i32 v33, 31, v32
	v_dual_ashrrev_i32 v35, 31, v34 :: v_dual_ashrrev_i32 v37, 31, v36
	v_dual_ashrrev_i32 v39, 31, v38 :: v_dual_ashrrev_i32 v41, 31, v40
	v_dual_ashrrev_i32 v43, 31, v42 :: v_dual_ashrrev_i32 v45, 31, v44
	v_dual_ashrrev_i32 v47, 31, v46 :: v_dual_ashrrev_i32 v49, 31, v48
	v_dual_ashrrev_i32 v51, 31, v50 :: v_dual_ashrrev_i32 v53, 31, v52
	v_dual_ashrrev_i32 v55, 31, v54 :: v_dual_ashrrev_i32 v57, 31, v56
	v_dual_ashrrev_i32 v61, 31, v60 :: v_dual_ashrrev_i32 v63, 31, v62
	v_dual_ashrrev_i32 v65, 31, v64 :: v_dual_ashrrev_i32 v67, 31, v66
	v_dual_ashrrev_i32 v69, 31, v68 :: v_dual_ashrrev_i32 v71, 31, v70
	v_dual_ashrrev_i32 v73, 31, v72 :: v_dual_ashrrev_i32 v75, 31, v74
	v_dual_ashrrev_i32 v77, 31, v76 :: v_dual_ashrrev_i32 v79, 31, v78
	v_dual_ashrrev_i32 v81, 31, v80 :: v_dual_ashrrev_i32 v83, 31, v82
	v_dual_ashrrev_i32 v85, 31, v84 :: v_dual_ashrrev_i32 v87, 31, v86
	v_dual_ashrrev_i32 v89, 31, v88 :: v_dual_ashrrev_i32 v91, 31, v90
	v_dual_ashrrev_i32 v93, 31, v92 :: v_dual_ashrrev_i32 v95, 31, v94
	v_dual_ashrrev_i32 v97, 31, v96 :: v_dual_ashrrev_i32 v99, 31, v98
	v_dual_ashrrev_i32 v101, 31, v100 :: v_dual_ashrrev_i32 v103, 31, v102
	v_dual_ashrrev_i32 v105, 31, v104 :: v_dual_ashrrev_i32 v107, 31, v106
	s_wait_xcnt 0x0
	v_add_nc_u32_e32 v1, 0x1a0, v58
	v_mov_b32_e32 v59, v58
	s_cmp_eq_u32 s4, 0x79
	s_cbranch_scc1 .LBB115_13
; %bb.10:
	scratch_load_b64 v[108:109], off, off offset:400
	v_cmp_eq_u32_e64 s0, 51, v0
	s_movk_i32 s1, 0x48
	s_movk_i32 s14, 0x50
	;; [unrolled: 1-line block ×41, first 2 shown]
	s_wait_loadcnt 0x0
	ds_store_b64 v1, v[108:109]
	s_wait_storecnt_dscnt 0x0
	s_barrier_signal -1
	s_barrier_wait -1
	s_wait_xcnt 0x0
	s_and_saveexec_b32 s2, s0
	s_cbranch_execz .LBB115_17
; %bb.11:
	s_and_b32 vcc_lo, exec_lo, s3
	s_cbranch_vccz .LBB115_14
; %bb.12:
	scratch_load_b64 v[108:109], v59, off
	ds_load_b64 v[110:111], v1
	s_wait_loadcnt_dscnt 0x0
	v_pk_mul_f32 v[112:113], v[110:111], v[108:109] op_sel:[1,1] op_sel_hi:[0,1]
	v_pk_mul_f32 v[114:115], v[110:111], v[108:109] op_sel_hi:[1,0]
	s_delay_alu instid0(VALU_DEP_2) | instskip(NEXT) | instid1(VALU_DEP_2)
	v_pk_fma_f32 v[108:109], v[110:111], v[108:109], v[112:113] op_sel_hi:[1,0,1]
	v_sub_f32_e32 v108, v114, v112
	s_cbranch_execz .LBB115_15
	s_branch .LBB115_16
.LBB115_13:
	s_mov_b32 s1, 0
                                        ; implicit-def: $vgpr154
                                        ; implicit-def: $sgpr5
	s_cbranch_execnz .LBB115_516
	s_branch .LBB115_1021
.LBB115_14:
                                        ; implicit-def: $vgpr109
.LBB115_15:
	ds_load_b64 v[108:109], v1
.LBB115_16:
	s_wait_dscnt 0x0
	v_dual_mov_b32 v110, 0 :: v_dual_mov_b32 v112, v109
	v_mov_b32_e32 v113, v108
	ds_load_b64 v[110:111], v110 offset:400
	s_wait_dscnt 0x0
	v_pk_mul_f32 v[112:113], v[112:113], v[110:111] op_sel:[0,1]
	s_delay_alu instid0(VALU_DEP_1) | instskip(SKIP_1) | instid1(VALU_DEP_2)
	v_pk_fma_f32 v[114:115], v[108:109], v[110:111], v[112:113] op_sel_hi:[1,0,1]
	v_pk_fma_f32 v[108:109], v[108:109], v[110:111], v[112:113] neg_lo:[0,0,1] neg_hi:[0,0,1]
	v_mov_b32_e32 v109, v115
	scratch_store_b64 off, v[108:109], off offset:400
.LBB115_17:
	s_wait_xcnt 0x0
	s_or_b32 exec_lo, exec_lo, s2
	scratch_load_b64 v[108:109], off, off offset:392
	s_mov_b32 s13, s1
	v_cmp_lt_u32_e64 s1, 49, v0
	s_or_b32 s4, 0, 8
	s_mov_b32 s5, 16
	s_mov_b32 s8, 24
	;; [unrolled: 1-line block ×7, first 2 shown]
	s_wait_loadcnt 0x0
	ds_store_b64 v1, v[108:109]
	s_wait_storecnt_dscnt 0x0
	s_barrier_signal -1
	s_barrier_wait -1
	s_wait_xcnt 0x0
	s_and_saveexec_b32 s55, s1
	s_cbranch_execz .LBB115_25
; %bb.18:
	s_and_not1_b32 vcc_lo, exec_lo, s3
	s_cbranch_vccnz .LBB115_20
; %bb.19:
	scratch_load_b64 v[108:109], v59, off
	ds_load_b64 v[110:111], v1
	s_wait_loadcnt_dscnt 0x0
	v_pk_mul_f32 v[112:113], v[110:111], v[108:109] op_sel:[1,1] op_sel_hi:[0,1]
	s_delay_alu instid0(VALU_DEP_1) | instskip(SKIP_1) | instid1(VALU_DEP_2)
	v_pk_fma_f32 v[114:115], v[110:111], v[108:109], v[112:113] op_sel_hi:[1,0,1]
	v_pk_fma_f32 v[108:109], v[110:111], v[108:109], v[112:113] neg_lo:[0,0,1] neg_hi:[0,0,1]
	v_mov_b32_e32 v109, v115
	s_cbranch_execz .LBB115_21
	s_branch .LBB115_22
.LBB115_20:
                                        ; implicit-def: $vgpr108_vgpr109
.LBB115_21:
	ds_load_b64 v[108:109], v1
.LBB115_22:
	s_and_saveexec_b32 s56, s0
	s_cbranch_execz .LBB115_24
; %bb.23:
	scratch_load_b64 v[110:111], off, off offset:400
	v_mov_b32_e32 v112, 0
	ds_load_b64 v[112:113], v112 offset:816
	s_wait_loadcnt_dscnt 0x0
	v_pk_mul_f32 v[114:115], v[112:113], v[110:111] op_sel:[1,1] op_sel_hi:[0,1]
	s_delay_alu instid0(VALU_DEP_1) | instskip(SKIP_1) | instid1(VALU_DEP_2)
	v_pk_fma_f32 v[116:117], v[112:113], v[110:111], v[114:115] op_sel_hi:[1,0,1]
	v_pk_fma_f32 v[110:111], v[112:113], v[110:111], v[114:115] neg_lo:[0,0,1] neg_hi:[0,0,1]
	v_mov_b32_e32 v111, v117
	s_delay_alu instid0(VALU_DEP_1)
	v_pk_add_f32 v[108:109], v[108:109], v[110:111]
.LBB115_24:
	s_or_b32 exec_lo, exec_lo, s56
	v_mov_b32_e32 v110, 0
	ds_load_b64 v[110:111], v110 offset:392
	s_wait_dscnt 0x0
	v_pk_mul_f32 v[112:113], v[108:109], v[110:111] op_sel:[1,1] op_sel_hi:[0,1]
	s_delay_alu instid0(VALU_DEP_1) | instskip(SKIP_1) | instid1(VALU_DEP_2)
	v_pk_fma_f32 v[114:115], v[108:109], v[110:111], v[112:113] op_sel_hi:[1,0,1]
	v_pk_fma_f32 v[108:109], v[108:109], v[110:111], v[112:113] neg_lo:[0,0,1] neg_hi:[0,0,1]
	v_mov_b32_e32 v109, v115
	scratch_store_b64 off, v[108:109], off offset:392
.LBB115_25:
	s_wait_xcnt 0x0
	s_or_b32 exec_lo, exec_lo, s55
	scratch_load_b64 v[108:109], off, off offset:384
	v_cmp_lt_u32_e64 s0, 48, v0
	s_wait_loadcnt 0x0
	ds_store_b64 v1, v[108:109]
	s_wait_storecnt_dscnt 0x0
	s_barrier_signal -1
	s_barrier_wait -1
	s_wait_xcnt 0x0
	s_and_saveexec_b32 s55, s0
	s_cbranch_execz .LBB115_35
; %bb.26:
	s_and_not1_b32 vcc_lo, exec_lo, s3
	s_cbranch_vccnz .LBB115_28
; %bb.27:
	scratch_load_b64 v[108:109], v59, off
	ds_load_b64 v[110:111], v1
	s_wait_loadcnt_dscnt 0x0
	v_pk_mul_f32 v[112:113], v[110:111], v[108:109] op_sel:[1,1] op_sel_hi:[0,1]
	s_delay_alu instid0(VALU_DEP_1) | instskip(SKIP_1) | instid1(VALU_DEP_2)
	v_pk_fma_f32 v[114:115], v[110:111], v[108:109], v[112:113] op_sel_hi:[1,0,1]
	v_pk_fma_f32 v[108:109], v[110:111], v[108:109], v[112:113] neg_lo:[0,0,1] neg_hi:[0,0,1]
	v_mov_b32_e32 v109, v115
	s_cbranch_execz .LBB115_29
	s_branch .LBB115_30
.LBB115_28:
                                        ; implicit-def: $vgpr108_vgpr109
.LBB115_29:
	ds_load_b64 v[108:109], v1
.LBB115_30:
	s_and_saveexec_b32 s56, s1
	s_cbranch_execz .LBB115_34
; %bb.31:
	v_subrev_nc_u32_e32 v110, 49, v0
	s_movk_i32 s57, 0x328
	s_mov_b32 s1, 0
.LBB115_32:                             ; =>This Inner Loop Header: Depth=1
	scratch_load_b64 v[112:113], off, s54
	v_dual_mov_b32 v111, s57 :: v_dual_add_nc_u32 v110, -1, v110
	s_add_co_i32 s57, s57, 8
	s_wait_xcnt 0x0
	s_add_co_i32 s54, s54, 8
	ds_load_b64 v[114:115], v111
	v_cmp_eq_u32_e32 vcc_lo, 0, v110
	s_or_b32 s1, vcc_lo, s1
	s_wait_loadcnt_dscnt 0x0
	v_pk_mul_f32 v[116:117], v[114:115], v[112:113] op_sel:[1,1] op_sel_hi:[0,1]
	s_delay_alu instid0(VALU_DEP_1) | instskip(SKIP_1) | instid1(VALU_DEP_2)
	v_pk_fma_f32 v[118:119], v[114:115], v[112:113], v[116:117] op_sel_hi:[1,0,1]
	v_pk_fma_f32 v[112:113], v[114:115], v[112:113], v[116:117] neg_lo:[0,0,1] neg_hi:[0,0,1]
	v_mov_b32_e32 v113, v119
	s_delay_alu instid0(VALU_DEP_1)
	v_pk_add_f32 v[108:109], v[108:109], v[112:113]
	s_and_not1_b32 exec_lo, exec_lo, s1
	s_cbranch_execnz .LBB115_32
; %bb.33:
	s_or_b32 exec_lo, exec_lo, s1
.LBB115_34:
	s_delay_alu instid0(SALU_CYCLE_1) | instskip(SKIP_4) | instid1(VALU_DEP_1)
	s_or_b32 exec_lo, exec_lo, s56
	v_mov_b32_e32 v110, 0
	ds_load_b64 v[110:111], v110 offset:384
	s_wait_dscnt 0x0
	v_pk_mul_f32 v[112:113], v[108:109], v[110:111] op_sel:[1,1] op_sel_hi:[0,1]
	v_pk_fma_f32 v[114:115], v[108:109], v[110:111], v[112:113] op_sel_hi:[1,0,1]
	v_pk_fma_f32 v[108:109], v[108:109], v[110:111], v[112:113] neg_lo:[0,0,1] neg_hi:[0,0,1]
	s_delay_alu instid0(VALU_DEP_2)
	v_mov_b32_e32 v109, v115
	scratch_store_b64 off, v[108:109], off offset:384
.LBB115_35:
	s_wait_xcnt 0x0
	s_or_b32 exec_lo, exec_lo, s55
	scratch_load_b64 v[108:109], off, off offset:376
	v_cmp_lt_u32_e64 s1, 47, v0
	s_wait_loadcnt 0x0
	ds_store_b64 v1, v[108:109]
	s_wait_storecnt_dscnt 0x0
	s_barrier_signal -1
	s_barrier_wait -1
	s_wait_xcnt 0x0
	s_and_saveexec_b32 s54, s1
	s_cbranch_execz .LBB115_45
; %bb.36:
	s_and_not1_b32 vcc_lo, exec_lo, s3
	s_cbranch_vccnz .LBB115_38
; %bb.37:
	scratch_load_b64 v[108:109], v59, off
	ds_load_b64 v[110:111], v1
	s_wait_loadcnt_dscnt 0x0
	v_pk_mul_f32 v[112:113], v[110:111], v[108:109] op_sel:[1,1] op_sel_hi:[0,1]
	s_delay_alu instid0(VALU_DEP_1) | instskip(SKIP_1) | instid1(VALU_DEP_2)
	v_pk_fma_f32 v[114:115], v[110:111], v[108:109], v[112:113] op_sel_hi:[1,0,1]
	v_pk_fma_f32 v[108:109], v[110:111], v[108:109], v[112:113] neg_lo:[0,0,1] neg_hi:[0,0,1]
	v_mov_b32_e32 v109, v115
	s_cbranch_execz .LBB115_39
	s_branch .LBB115_40
.LBB115_38:
                                        ; implicit-def: $vgpr108_vgpr109
.LBB115_39:
	ds_load_b64 v[108:109], v1
.LBB115_40:
	s_and_saveexec_b32 s55, s0
	s_cbranch_execz .LBB115_44
; %bb.41:
	v_subrev_nc_u32_e32 v110, 48, v0
	s_movk_i32 s56, 0x320
	s_mov_b32 s0, 0
.LBB115_42:                             ; =>This Inner Loop Header: Depth=1
	scratch_load_b64 v[112:113], off, s53
	v_dual_mov_b32 v111, s56 :: v_dual_add_nc_u32 v110, -1, v110
	s_add_co_i32 s56, s56, 8
	s_wait_xcnt 0x0
	s_add_co_i32 s53, s53, 8
	ds_load_b64 v[114:115], v111
	v_cmp_eq_u32_e32 vcc_lo, 0, v110
	s_or_b32 s0, vcc_lo, s0
	s_wait_loadcnt_dscnt 0x0
	v_pk_mul_f32 v[116:117], v[114:115], v[112:113] op_sel:[1,1] op_sel_hi:[0,1]
	s_delay_alu instid0(VALU_DEP_1) | instskip(SKIP_1) | instid1(VALU_DEP_2)
	v_pk_fma_f32 v[118:119], v[114:115], v[112:113], v[116:117] op_sel_hi:[1,0,1]
	v_pk_fma_f32 v[112:113], v[114:115], v[112:113], v[116:117] neg_lo:[0,0,1] neg_hi:[0,0,1]
	v_mov_b32_e32 v113, v119
	s_delay_alu instid0(VALU_DEP_1)
	v_pk_add_f32 v[108:109], v[108:109], v[112:113]
	s_and_not1_b32 exec_lo, exec_lo, s0
	s_cbranch_execnz .LBB115_42
; %bb.43:
	s_or_b32 exec_lo, exec_lo, s0
.LBB115_44:
	s_delay_alu instid0(SALU_CYCLE_1) | instskip(SKIP_4) | instid1(VALU_DEP_1)
	s_or_b32 exec_lo, exec_lo, s55
	v_mov_b32_e32 v110, 0
	ds_load_b64 v[110:111], v110 offset:376
	s_wait_dscnt 0x0
	v_pk_mul_f32 v[112:113], v[108:109], v[110:111] op_sel:[1,1] op_sel_hi:[0,1]
	v_pk_fma_f32 v[114:115], v[108:109], v[110:111], v[112:113] op_sel_hi:[1,0,1]
	v_pk_fma_f32 v[108:109], v[108:109], v[110:111], v[112:113] neg_lo:[0,0,1] neg_hi:[0,0,1]
	s_delay_alu instid0(VALU_DEP_2)
	v_mov_b32_e32 v109, v115
	scratch_store_b64 off, v[108:109], off offset:376
.LBB115_45:
	s_wait_xcnt 0x0
	s_or_b32 exec_lo, exec_lo, s54
	scratch_load_b64 v[108:109], off, off offset:368
	v_cmp_lt_u32_e64 s0, 46, v0
	s_wait_loadcnt 0x0
	ds_store_b64 v1, v[108:109]
	s_wait_storecnt_dscnt 0x0
	s_barrier_signal -1
	s_barrier_wait -1
	s_wait_xcnt 0x0
	s_and_saveexec_b32 s53, s0
	s_cbranch_execz .LBB115_55
; %bb.46:
	s_and_not1_b32 vcc_lo, exec_lo, s3
	s_cbranch_vccnz .LBB115_48
; %bb.47:
	scratch_load_b64 v[108:109], v59, off
	ds_load_b64 v[110:111], v1
	s_wait_loadcnt_dscnt 0x0
	v_pk_mul_f32 v[112:113], v[110:111], v[108:109] op_sel:[1,1] op_sel_hi:[0,1]
	s_delay_alu instid0(VALU_DEP_1) | instskip(SKIP_1) | instid1(VALU_DEP_2)
	v_pk_fma_f32 v[114:115], v[110:111], v[108:109], v[112:113] op_sel_hi:[1,0,1]
	v_pk_fma_f32 v[108:109], v[110:111], v[108:109], v[112:113] neg_lo:[0,0,1] neg_hi:[0,0,1]
	v_mov_b32_e32 v109, v115
	s_cbranch_execz .LBB115_49
	s_branch .LBB115_50
.LBB115_48:
                                        ; implicit-def: $vgpr108_vgpr109
.LBB115_49:
	ds_load_b64 v[108:109], v1
.LBB115_50:
	s_and_saveexec_b32 s54, s1
	s_cbranch_execz .LBB115_54
; %bb.51:
	v_subrev_nc_u32_e32 v110, 47, v0
	s_movk_i32 s55, 0x318
	s_mov_b32 s1, 0
.LBB115_52:                             ; =>This Inner Loop Header: Depth=1
	scratch_load_b64 v[112:113], off, s52
	v_dual_mov_b32 v111, s55 :: v_dual_add_nc_u32 v110, -1, v110
	s_add_co_i32 s55, s55, 8
	s_wait_xcnt 0x0
	s_add_co_i32 s52, s52, 8
	ds_load_b64 v[114:115], v111
	v_cmp_eq_u32_e32 vcc_lo, 0, v110
	s_or_b32 s1, vcc_lo, s1
	s_wait_loadcnt_dscnt 0x0
	v_pk_mul_f32 v[116:117], v[114:115], v[112:113] op_sel:[1,1] op_sel_hi:[0,1]
	s_delay_alu instid0(VALU_DEP_1) | instskip(SKIP_1) | instid1(VALU_DEP_2)
	v_pk_fma_f32 v[118:119], v[114:115], v[112:113], v[116:117] op_sel_hi:[1,0,1]
	v_pk_fma_f32 v[112:113], v[114:115], v[112:113], v[116:117] neg_lo:[0,0,1] neg_hi:[0,0,1]
	v_mov_b32_e32 v113, v119
	s_delay_alu instid0(VALU_DEP_1)
	v_pk_add_f32 v[108:109], v[108:109], v[112:113]
	s_and_not1_b32 exec_lo, exec_lo, s1
	s_cbranch_execnz .LBB115_52
; %bb.53:
	s_or_b32 exec_lo, exec_lo, s1
.LBB115_54:
	s_delay_alu instid0(SALU_CYCLE_1) | instskip(SKIP_4) | instid1(VALU_DEP_1)
	s_or_b32 exec_lo, exec_lo, s54
	v_mov_b32_e32 v110, 0
	ds_load_b64 v[110:111], v110 offset:368
	s_wait_dscnt 0x0
	v_pk_mul_f32 v[112:113], v[108:109], v[110:111] op_sel:[1,1] op_sel_hi:[0,1]
	v_pk_fma_f32 v[114:115], v[108:109], v[110:111], v[112:113] op_sel_hi:[1,0,1]
	v_pk_fma_f32 v[108:109], v[108:109], v[110:111], v[112:113] neg_lo:[0,0,1] neg_hi:[0,0,1]
	s_delay_alu instid0(VALU_DEP_2)
	v_mov_b32_e32 v109, v115
	scratch_store_b64 off, v[108:109], off offset:368
.LBB115_55:
	s_wait_xcnt 0x0
	s_or_b32 exec_lo, exec_lo, s53
	scratch_load_b64 v[108:109], off, off offset:360
	v_cmp_lt_u32_e64 s1, 45, v0
	s_wait_loadcnt 0x0
	ds_store_b64 v1, v[108:109]
	s_wait_storecnt_dscnt 0x0
	s_barrier_signal -1
	s_barrier_wait -1
	s_wait_xcnt 0x0
	s_and_saveexec_b32 s52, s1
	s_cbranch_execz .LBB115_65
; %bb.56:
	s_and_not1_b32 vcc_lo, exec_lo, s3
	s_cbranch_vccnz .LBB115_58
; %bb.57:
	scratch_load_b64 v[108:109], v59, off
	ds_load_b64 v[110:111], v1
	s_wait_loadcnt_dscnt 0x0
	v_pk_mul_f32 v[112:113], v[110:111], v[108:109] op_sel:[1,1] op_sel_hi:[0,1]
	s_delay_alu instid0(VALU_DEP_1) | instskip(SKIP_1) | instid1(VALU_DEP_2)
	v_pk_fma_f32 v[114:115], v[110:111], v[108:109], v[112:113] op_sel_hi:[1,0,1]
	v_pk_fma_f32 v[108:109], v[110:111], v[108:109], v[112:113] neg_lo:[0,0,1] neg_hi:[0,0,1]
	v_mov_b32_e32 v109, v115
	s_cbranch_execz .LBB115_59
	s_branch .LBB115_60
.LBB115_58:
                                        ; implicit-def: $vgpr108_vgpr109
.LBB115_59:
	ds_load_b64 v[108:109], v1
.LBB115_60:
	s_and_saveexec_b32 s53, s0
	s_cbranch_execz .LBB115_64
; %bb.61:
	v_subrev_nc_u32_e32 v110, 46, v0
	s_movk_i32 s54, 0x310
	s_mov_b32 s0, 0
.LBB115_62:                             ; =>This Inner Loop Header: Depth=1
	scratch_load_b64 v[112:113], off, s51
	v_dual_mov_b32 v111, s54 :: v_dual_add_nc_u32 v110, -1, v110
	s_add_co_i32 s54, s54, 8
	s_wait_xcnt 0x0
	s_add_co_i32 s51, s51, 8
	ds_load_b64 v[114:115], v111
	v_cmp_eq_u32_e32 vcc_lo, 0, v110
	s_or_b32 s0, vcc_lo, s0
	s_wait_loadcnt_dscnt 0x0
	v_pk_mul_f32 v[116:117], v[114:115], v[112:113] op_sel:[1,1] op_sel_hi:[0,1]
	s_delay_alu instid0(VALU_DEP_1) | instskip(SKIP_1) | instid1(VALU_DEP_2)
	v_pk_fma_f32 v[118:119], v[114:115], v[112:113], v[116:117] op_sel_hi:[1,0,1]
	v_pk_fma_f32 v[112:113], v[114:115], v[112:113], v[116:117] neg_lo:[0,0,1] neg_hi:[0,0,1]
	v_mov_b32_e32 v113, v119
	s_delay_alu instid0(VALU_DEP_1)
	v_pk_add_f32 v[108:109], v[108:109], v[112:113]
	s_and_not1_b32 exec_lo, exec_lo, s0
	s_cbranch_execnz .LBB115_62
; %bb.63:
	s_or_b32 exec_lo, exec_lo, s0
.LBB115_64:
	s_delay_alu instid0(SALU_CYCLE_1) | instskip(SKIP_4) | instid1(VALU_DEP_1)
	s_or_b32 exec_lo, exec_lo, s53
	v_mov_b32_e32 v110, 0
	ds_load_b64 v[110:111], v110 offset:360
	s_wait_dscnt 0x0
	v_pk_mul_f32 v[112:113], v[108:109], v[110:111] op_sel:[1,1] op_sel_hi:[0,1]
	v_pk_fma_f32 v[114:115], v[108:109], v[110:111], v[112:113] op_sel_hi:[1,0,1]
	v_pk_fma_f32 v[108:109], v[108:109], v[110:111], v[112:113] neg_lo:[0,0,1] neg_hi:[0,0,1]
	s_delay_alu instid0(VALU_DEP_2)
	v_mov_b32_e32 v109, v115
	scratch_store_b64 off, v[108:109], off offset:360
.LBB115_65:
	s_wait_xcnt 0x0
	s_or_b32 exec_lo, exec_lo, s52
	scratch_load_b64 v[108:109], off, off offset:352
	v_cmp_lt_u32_e64 s0, 44, v0
	s_wait_loadcnt 0x0
	ds_store_b64 v1, v[108:109]
	s_wait_storecnt_dscnt 0x0
	s_barrier_signal -1
	s_barrier_wait -1
	s_wait_xcnt 0x0
	s_and_saveexec_b32 s51, s0
	s_cbranch_execz .LBB115_75
; %bb.66:
	s_and_not1_b32 vcc_lo, exec_lo, s3
	s_cbranch_vccnz .LBB115_68
; %bb.67:
	scratch_load_b64 v[108:109], v59, off
	ds_load_b64 v[110:111], v1
	s_wait_loadcnt_dscnt 0x0
	v_pk_mul_f32 v[112:113], v[110:111], v[108:109] op_sel:[1,1] op_sel_hi:[0,1]
	s_delay_alu instid0(VALU_DEP_1) | instskip(SKIP_1) | instid1(VALU_DEP_2)
	v_pk_fma_f32 v[114:115], v[110:111], v[108:109], v[112:113] op_sel_hi:[1,0,1]
	v_pk_fma_f32 v[108:109], v[110:111], v[108:109], v[112:113] neg_lo:[0,0,1] neg_hi:[0,0,1]
	v_mov_b32_e32 v109, v115
	s_cbranch_execz .LBB115_69
	s_branch .LBB115_70
.LBB115_68:
                                        ; implicit-def: $vgpr108_vgpr109
.LBB115_69:
	ds_load_b64 v[108:109], v1
.LBB115_70:
	s_and_saveexec_b32 s52, s1
	s_cbranch_execz .LBB115_74
; %bb.71:
	v_subrev_nc_u32_e32 v110, 45, v0
	s_movk_i32 s53, 0x308
	s_mov_b32 s1, 0
.LBB115_72:                             ; =>This Inner Loop Header: Depth=1
	scratch_load_b64 v[112:113], off, s50
	v_dual_mov_b32 v111, s53 :: v_dual_add_nc_u32 v110, -1, v110
	s_add_co_i32 s53, s53, 8
	s_wait_xcnt 0x0
	s_add_co_i32 s50, s50, 8
	ds_load_b64 v[114:115], v111
	v_cmp_eq_u32_e32 vcc_lo, 0, v110
	s_or_b32 s1, vcc_lo, s1
	s_wait_loadcnt_dscnt 0x0
	v_pk_mul_f32 v[116:117], v[114:115], v[112:113] op_sel:[1,1] op_sel_hi:[0,1]
	s_delay_alu instid0(VALU_DEP_1) | instskip(SKIP_1) | instid1(VALU_DEP_2)
	v_pk_fma_f32 v[118:119], v[114:115], v[112:113], v[116:117] op_sel_hi:[1,0,1]
	v_pk_fma_f32 v[112:113], v[114:115], v[112:113], v[116:117] neg_lo:[0,0,1] neg_hi:[0,0,1]
	v_mov_b32_e32 v113, v119
	s_delay_alu instid0(VALU_DEP_1)
	v_pk_add_f32 v[108:109], v[108:109], v[112:113]
	s_and_not1_b32 exec_lo, exec_lo, s1
	s_cbranch_execnz .LBB115_72
; %bb.73:
	s_or_b32 exec_lo, exec_lo, s1
.LBB115_74:
	s_delay_alu instid0(SALU_CYCLE_1) | instskip(SKIP_4) | instid1(VALU_DEP_1)
	s_or_b32 exec_lo, exec_lo, s52
	v_mov_b32_e32 v110, 0
	ds_load_b64 v[110:111], v110 offset:352
	s_wait_dscnt 0x0
	v_pk_mul_f32 v[112:113], v[108:109], v[110:111] op_sel:[1,1] op_sel_hi:[0,1]
	v_pk_fma_f32 v[114:115], v[108:109], v[110:111], v[112:113] op_sel_hi:[1,0,1]
	v_pk_fma_f32 v[108:109], v[108:109], v[110:111], v[112:113] neg_lo:[0,0,1] neg_hi:[0,0,1]
	s_delay_alu instid0(VALU_DEP_2)
	v_mov_b32_e32 v109, v115
	scratch_store_b64 off, v[108:109], off offset:352
.LBB115_75:
	s_wait_xcnt 0x0
	s_or_b32 exec_lo, exec_lo, s51
	scratch_load_b64 v[108:109], off, off offset:344
	v_cmp_lt_u32_e64 s1, 43, v0
	s_wait_loadcnt 0x0
	ds_store_b64 v1, v[108:109]
	s_wait_storecnt_dscnt 0x0
	s_barrier_signal -1
	s_barrier_wait -1
	s_wait_xcnt 0x0
	s_and_saveexec_b32 s50, s1
	s_cbranch_execz .LBB115_85
; %bb.76:
	s_and_not1_b32 vcc_lo, exec_lo, s3
	s_cbranch_vccnz .LBB115_78
; %bb.77:
	scratch_load_b64 v[108:109], v59, off
	ds_load_b64 v[110:111], v1
	s_wait_loadcnt_dscnt 0x0
	v_pk_mul_f32 v[112:113], v[110:111], v[108:109] op_sel:[1,1] op_sel_hi:[0,1]
	s_delay_alu instid0(VALU_DEP_1) | instskip(SKIP_1) | instid1(VALU_DEP_2)
	v_pk_fma_f32 v[114:115], v[110:111], v[108:109], v[112:113] op_sel_hi:[1,0,1]
	v_pk_fma_f32 v[108:109], v[110:111], v[108:109], v[112:113] neg_lo:[0,0,1] neg_hi:[0,0,1]
	v_mov_b32_e32 v109, v115
	s_cbranch_execz .LBB115_79
	s_branch .LBB115_80
.LBB115_78:
                                        ; implicit-def: $vgpr108_vgpr109
.LBB115_79:
	ds_load_b64 v[108:109], v1
.LBB115_80:
	s_and_saveexec_b32 s51, s0
	s_cbranch_execz .LBB115_84
; %bb.81:
	v_subrev_nc_u32_e32 v110, 44, v0
	s_movk_i32 s52, 0x300
	s_mov_b32 s0, 0
.LBB115_82:                             ; =>This Inner Loop Header: Depth=1
	scratch_load_b64 v[112:113], off, s49
	v_dual_mov_b32 v111, s52 :: v_dual_add_nc_u32 v110, -1, v110
	s_add_co_i32 s52, s52, 8
	s_wait_xcnt 0x0
	s_add_co_i32 s49, s49, 8
	ds_load_b64 v[114:115], v111
	v_cmp_eq_u32_e32 vcc_lo, 0, v110
	s_or_b32 s0, vcc_lo, s0
	s_wait_loadcnt_dscnt 0x0
	v_pk_mul_f32 v[116:117], v[114:115], v[112:113] op_sel:[1,1] op_sel_hi:[0,1]
	s_delay_alu instid0(VALU_DEP_1) | instskip(SKIP_1) | instid1(VALU_DEP_2)
	v_pk_fma_f32 v[118:119], v[114:115], v[112:113], v[116:117] op_sel_hi:[1,0,1]
	v_pk_fma_f32 v[112:113], v[114:115], v[112:113], v[116:117] neg_lo:[0,0,1] neg_hi:[0,0,1]
	v_mov_b32_e32 v113, v119
	s_delay_alu instid0(VALU_DEP_1)
	v_pk_add_f32 v[108:109], v[108:109], v[112:113]
	s_and_not1_b32 exec_lo, exec_lo, s0
	s_cbranch_execnz .LBB115_82
; %bb.83:
	s_or_b32 exec_lo, exec_lo, s0
.LBB115_84:
	s_delay_alu instid0(SALU_CYCLE_1) | instskip(SKIP_4) | instid1(VALU_DEP_1)
	s_or_b32 exec_lo, exec_lo, s51
	v_mov_b32_e32 v110, 0
	ds_load_b64 v[110:111], v110 offset:344
	s_wait_dscnt 0x0
	v_pk_mul_f32 v[112:113], v[108:109], v[110:111] op_sel:[1,1] op_sel_hi:[0,1]
	v_pk_fma_f32 v[114:115], v[108:109], v[110:111], v[112:113] op_sel_hi:[1,0,1]
	v_pk_fma_f32 v[108:109], v[108:109], v[110:111], v[112:113] neg_lo:[0,0,1] neg_hi:[0,0,1]
	s_delay_alu instid0(VALU_DEP_2)
	v_mov_b32_e32 v109, v115
	scratch_store_b64 off, v[108:109], off offset:344
.LBB115_85:
	s_wait_xcnt 0x0
	s_or_b32 exec_lo, exec_lo, s50
	scratch_load_b64 v[108:109], off, off offset:336
	v_cmp_lt_u32_e64 s0, 42, v0
	s_wait_loadcnt 0x0
	ds_store_b64 v1, v[108:109]
	s_wait_storecnt_dscnt 0x0
	s_barrier_signal -1
	s_barrier_wait -1
	s_wait_xcnt 0x0
	s_and_saveexec_b32 s49, s0
	s_cbranch_execz .LBB115_95
; %bb.86:
	s_and_not1_b32 vcc_lo, exec_lo, s3
	s_cbranch_vccnz .LBB115_88
; %bb.87:
	scratch_load_b64 v[108:109], v59, off
	ds_load_b64 v[110:111], v1
	s_wait_loadcnt_dscnt 0x0
	v_pk_mul_f32 v[112:113], v[110:111], v[108:109] op_sel:[1,1] op_sel_hi:[0,1]
	s_delay_alu instid0(VALU_DEP_1) | instskip(SKIP_1) | instid1(VALU_DEP_2)
	v_pk_fma_f32 v[114:115], v[110:111], v[108:109], v[112:113] op_sel_hi:[1,0,1]
	v_pk_fma_f32 v[108:109], v[110:111], v[108:109], v[112:113] neg_lo:[0,0,1] neg_hi:[0,0,1]
	v_mov_b32_e32 v109, v115
	s_cbranch_execz .LBB115_89
	s_branch .LBB115_90
.LBB115_88:
                                        ; implicit-def: $vgpr108_vgpr109
.LBB115_89:
	ds_load_b64 v[108:109], v1
.LBB115_90:
	s_and_saveexec_b32 s50, s1
	s_cbranch_execz .LBB115_94
; %bb.91:
	v_subrev_nc_u32_e32 v110, 43, v0
	s_movk_i32 s51, 0x2f8
	s_mov_b32 s1, 0
.LBB115_92:                             ; =>This Inner Loop Header: Depth=1
	scratch_load_b64 v[112:113], off, s48
	v_dual_mov_b32 v111, s51 :: v_dual_add_nc_u32 v110, -1, v110
	s_add_co_i32 s51, s51, 8
	s_wait_xcnt 0x0
	s_add_co_i32 s48, s48, 8
	ds_load_b64 v[114:115], v111
	v_cmp_eq_u32_e32 vcc_lo, 0, v110
	s_or_b32 s1, vcc_lo, s1
	s_wait_loadcnt_dscnt 0x0
	v_pk_mul_f32 v[116:117], v[114:115], v[112:113] op_sel:[1,1] op_sel_hi:[0,1]
	s_delay_alu instid0(VALU_DEP_1) | instskip(SKIP_1) | instid1(VALU_DEP_2)
	v_pk_fma_f32 v[118:119], v[114:115], v[112:113], v[116:117] op_sel_hi:[1,0,1]
	v_pk_fma_f32 v[112:113], v[114:115], v[112:113], v[116:117] neg_lo:[0,0,1] neg_hi:[0,0,1]
	v_mov_b32_e32 v113, v119
	s_delay_alu instid0(VALU_DEP_1)
	v_pk_add_f32 v[108:109], v[108:109], v[112:113]
	s_and_not1_b32 exec_lo, exec_lo, s1
	s_cbranch_execnz .LBB115_92
; %bb.93:
	s_or_b32 exec_lo, exec_lo, s1
.LBB115_94:
	s_delay_alu instid0(SALU_CYCLE_1) | instskip(SKIP_4) | instid1(VALU_DEP_1)
	s_or_b32 exec_lo, exec_lo, s50
	v_mov_b32_e32 v110, 0
	ds_load_b64 v[110:111], v110 offset:336
	s_wait_dscnt 0x0
	v_pk_mul_f32 v[112:113], v[108:109], v[110:111] op_sel:[1,1] op_sel_hi:[0,1]
	v_pk_fma_f32 v[114:115], v[108:109], v[110:111], v[112:113] op_sel_hi:[1,0,1]
	v_pk_fma_f32 v[108:109], v[108:109], v[110:111], v[112:113] neg_lo:[0,0,1] neg_hi:[0,0,1]
	s_delay_alu instid0(VALU_DEP_2)
	v_mov_b32_e32 v109, v115
	scratch_store_b64 off, v[108:109], off offset:336
.LBB115_95:
	s_wait_xcnt 0x0
	s_or_b32 exec_lo, exec_lo, s49
	scratch_load_b64 v[108:109], off, off offset:328
	v_cmp_lt_u32_e64 s1, 41, v0
	s_wait_loadcnt 0x0
	ds_store_b64 v1, v[108:109]
	s_wait_storecnt_dscnt 0x0
	s_barrier_signal -1
	s_barrier_wait -1
	s_wait_xcnt 0x0
	s_and_saveexec_b32 s48, s1
	s_cbranch_execz .LBB115_105
; %bb.96:
	s_and_not1_b32 vcc_lo, exec_lo, s3
	s_cbranch_vccnz .LBB115_98
; %bb.97:
	scratch_load_b64 v[108:109], v59, off
	ds_load_b64 v[110:111], v1
	s_wait_loadcnt_dscnt 0x0
	v_pk_mul_f32 v[112:113], v[110:111], v[108:109] op_sel:[1,1] op_sel_hi:[0,1]
	s_delay_alu instid0(VALU_DEP_1) | instskip(SKIP_1) | instid1(VALU_DEP_2)
	v_pk_fma_f32 v[114:115], v[110:111], v[108:109], v[112:113] op_sel_hi:[1,0,1]
	v_pk_fma_f32 v[108:109], v[110:111], v[108:109], v[112:113] neg_lo:[0,0,1] neg_hi:[0,0,1]
	v_mov_b32_e32 v109, v115
	s_cbranch_execz .LBB115_99
	s_branch .LBB115_100
.LBB115_98:
                                        ; implicit-def: $vgpr108_vgpr109
.LBB115_99:
	ds_load_b64 v[108:109], v1
.LBB115_100:
	s_and_saveexec_b32 s49, s0
	s_cbranch_execz .LBB115_104
; %bb.101:
	v_subrev_nc_u32_e32 v110, 42, v0
	s_movk_i32 s50, 0x2f0
	s_mov_b32 s0, 0
.LBB115_102:                            ; =>This Inner Loop Header: Depth=1
	scratch_load_b64 v[112:113], off, s47
	v_dual_mov_b32 v111, s50 :: v_dual_add_nc_u32 v110, -1, v110
	s_add_co_i32 s50, s50, 8
	s_wait_xcnt 0x0
	s_add_co_i32 s47, s47, 8
	ds_load_b64 v[114:115], v111
	v_cmp_eq_u32_e32 vcc_lo, 0, v110
	s_or_b32 s0, vcc_lo, s0
	s_wait_loadcnt_dscnt 0x0
	v_pk_mul_f32 v[116:117], v[114:115], v[112:113] op_sel:[1,1] op_sel_hi:[0,1]
	s_delay_alu instid0(VALU_DEP_1) | instskip(SKIP_1) | instid1(VALU_DEP_2)
	v_pk_fma_f32 v[118:119], v[114:115], v[112:113], v[116:117] op_sel_hi:[1,0,1]
	v_pk_fma_f32 v[112:113], v[114:115], v[112:113], v[116:117] neg_lo:[0,0,1] neg_hi:[0,0,1]
	v_mov_b32_e32 v113, v119
	s_delay_alu instid0(VALU_DEP_1)
	v_pk_add_f32 v[108:109], v[108:109], v[112:113]
	s_and_not1_b32 exec_lo, exec_lo, s0
	s_cbranch_execnz .LBB115_102
; %bb.103:
	s_or_b32 exec_lo, exec_lo, s0
.LBB115_104:
	s_delay_alu instid0(SALU_CYCLE_1) | instskip(SKIP_4) | instid1(VALU_DEP_1)
	s_or_b32 exec_lo, exec_lo, s49
	v_mov_b32_e32 v110, 0
	ds_load_b64 v[110:111], v110 offset:328
	s_wait_dscnt 0x0
	v_pk_mul_f32 v[112:113], v[108:109], v[110:111] op_sel:[1,1] op_sel_hi:[0,1]
	v_pk_fma_f32 v[114:115], v[108:109], v[110:111], v[112:113] op_sel_hi:[1,0,1]
	v_pk_fma_f32 v[108:109], v[108:109], v[110:111], v[112:113] neg_lo:[0,0,1] neg_hi:[0,0,1]
	s_delay_alu instid0(VALU_DEP_2)
	v_mov_b32_e32 v109, v115
	scratch_store_b64 off, v[108:109], off offset:328
.LBB115_105:
	s_wait_xcnt 0x0
	s_or_b32 exec_lo, exec_lo, s48
	scratch_load_b64 v[108:109], off, off offset:320
	v_cmp_lt_u32_e64 s0, 40, v0
	s_wait_loadcnt 0x0
	ds_store_b64 v1, v[108:109]
	s_wait_storecnt_dscnt 0x0
	s_barrier_signal -1
	s_barrier_wait -1
	s_wait_xcnt 0x0
	s_and_saveexec_b32 s47, s0
	s_cbranch_execz .LBB115_115
; %bb.106:
	s_and_not1_b32 vcc_lo, exec_lo, s3
	s_cbranch_vccnz .LBB115_108
; %bb.107:
	scratch_load_b64 v[108:109], v59, off
	ds_load_b64 v[110:111], v1
	s_wait_loadcnt_dscnt 0x0
	v_pk_mul_f32 v[112:113], v[110:111], v[108:109] op_sel:[1,1] op_sel_hi:[0,1]
	s_delay_alu instid0(VALU_DEP_1) | instskip(SKIP_1) | instid1(VALU_DEP_2)
	v_pk_fma_f32 v[114:115], v[110:111], v[108:109], v[112:113] op_sel_hi:[1,0,1]
	v_pk_fma_f32 v[108:109], v[110:111], v[108:109], v[112:113] neg_lo:[0,0,1] neg_hi:[0,0,1]
	v_mov_b32_e32 v109, v115
	s_cbranch_execz .LBB115_109
	s_branch .LBB115_110
.LBB115_108:
                                        ; implicit-def: $vgpr108_vgpr109
.LBB115_109:
	ds_load_b64 v[108:109], v1
.LBB115_110:
	s_and_saveexec_b32 s48, s1
	s_cbranch_execz .LBB115_114
; %bb.111:
	v_subrev_nc_u32_e32 v110, 41, v0
	s_movk_i32 s49, 0x2e8
	s_mov_b32 s1, 0
.LBB115_112:                            ; =>This Inner Loop Header: Depth=1
	scratch_load_b64 v[112:113], off, s46
	v_dual_mov_b32 v111, s49 :: v_dual_add_nc_u32 v110, -1, v110
	s_add_co_i32 s49, s49, 8
	s_wait_xcnt 0x0
	s_add_co_i32 s46, s46, 8
	ds_load_b64 v[114:115], v111
	v_cmp_eq_u32_e32 vcc_lo, 0, v110
	s_or_b32 s1, vcc_lo, s1
	s_wait_loadcnt_dscnt 0x0
	v_pk_mul_f32 v[116:117], v[114:115], v[112:113] op_sel:[1,1] op_sel_hi:[0,1]
	s_delay_alu instid0(VALU_DEP_1) | instskip(SKIP_1) | instid1(VALU_DEP_2)
	v_pk_fma_f32 v[118:119], v[114:115], v[112:113], v[116:117] op_sel_hi:[1,0,1]
	v_pk_fma_f32 v[112:113], v[114:115], v[112:113], v[116:117] neg_lo:[0,0,1] neg_hi:[0,0,1]
	v_mov_b32_e32 v113, v119
	s_delay_alu instid0(VALU_DEP_1)
	v_pk_add_f32 v[108:109], v[108:109], v[112:113]
	s_and_not1_b32 exec_lo, exec_lo, s1
	s_cbranch_execnz .LBB115_112
; %bb.113:
	s_or_b32 exec_lo, exec_lo, s1
.LBB115_114:
	s_delay_alu instid0(SALU_CYCLE_1) | instskip(SKIP_4) | instid1(VALU_DEP_1)
	s_or_b32 exec_lo, exec_lo, s48
	v_mov_b32_e32 v110, 0
	ds_load_b64 v[110:111], v110 offset:320
	s_wait_dscnt 0x0
	v_pk_mul_f32 v[112:113], v[108:109], v[110:111] op_sel:[1,1] op_sel_hi:[0,1]
	v_pk_fma_f32 v[114:115], v[108:109], v[110:111], v[112:113] op_sel_hi:[1,0,1]
	v_pk_fma_f32 v[108:109], v[108:109], v[110:111], v[112:113] neg_lo:[0,0,1] neg_hi:[0,0,1]
	s_delay_alu instid0(VALU_DEP_2)
	v_mov_b32_e32 v109, v115
	scratch_store_b64 off, v[108:109], off offset:320
.LBB115_115:
	s_wait_xcnt 0x0
	s_or_b32 exec_lo, exec_lo, s47
	scratch_load_b64 v[108:109], off, off offset:312
	v_cmp_lt_u32_e64 s1, 39, v0
	s_wait_loadcnt 0x0
	ds_store_b64 v1, v[108:109]
	s_wait_storecnt_dscnt 0x0
	s_barrier_signal -1
	s_barrier_wait -1
	s_wait_xcnt 0x0
	s_and_saveexec_b32 s46, s1
	s_cbranch_execz .LBB115_125
; %bb.116:
	s_and_not1_b32 vcc_lo, exec_lo, s3
	s_cbranch_vccnz .LBB115_118
; %bb.117:
	scratch_load_b64 v[108:109], v59, off
	ds_load_b64 v[110:111], v1
	s_wait_loadcnt_dscnt 0x0
	v_pk_mul_f32 v[112:113], v[110:111], v[108:109] op_sel:[1,1] op_sel_hi:[0,1]
	s_delay_alu instid0(VALU_DEP_1) | instskip(SKIP_1) | instid1(VALU_DEP_2)
	v_pk_fma_f32 v[114:115], v[110:111], v[108:109], v[112:113] op_sel_hi:[1,0,1]
	v_pk_fma_f32 v[108:109], v[110:111], v[108:109], v[112:113] neg_lo:[0,0,1] neg_hi:[0,0,1]
	v_mov_b32_e32 v109, v115
	s_cbranch_execz .LBB115_119
	s_branch .LBB115_120
.LBB115_118:
                                        ; implicit-def: $vgpr108_vgpr109
.LBB115_119:
	ds_load_b64 v[108:109], v1
.LBB115_120:
	s_and_saveexec_b32 s47, s0
	s_cbranch_execz .LBB115_124
; %bb.121:
	v_subrev_nc_u32_e32 v110, 40, v0
	s_movk_i32 s48, 0x2e0
	s_mov_b32 s0, 0
.LBB115_122:                            ; =>This Inner Loop Header: Depth=1
	scratch_load_b64 v[112:113], off, s45
	v_dual_mov_b32 v111, s48 :: v_dual_add_nc_u32 v110, -1, v110
	s_add_co_i32 s48, s48, 8
	s_wait_xcnt 0x0
	s_add_co_i32 s45, s45, 8
	ds_load_b64 v[114:115], v111
	v_cmp_eq_u32_e32 vcc_lo, 0, v110
	s_or_b32 s0, vcc_lo, s0
	s_wait_loadcnt_dscnt 0x0
	v_pk_mul_f32 v[116:117], v[114:115], v[112:113] op_sel:[1,1] op_sel_hi:[0,1]
	s_delay_alu instid0(VALU_DEP_1) | instskip(SKIP_1) | instid1(VALU_DEP_2)
	v_pk_fma_f32 v[118:119], v[114:115], v[112:113], v[116:117] op_sel_hi:[1,0,1]
	v_pk_fma_f32 v[112:113], v[114:115], v[112:113], v[116:117] neg_lo:[0,0,1] neg_hi:[0,0,1]
	v_mov_b32_e32 v113, v119
	s_delay_alu instid0(VALU_DEP_1)
	v_pk_add_f32 v[108:109], v[108:109], v[112:113]
	s_and_not1_b32 exec_lo, exec_lo, s0
	s_cbranch_execnz .LBB115_122
; %bb.123:
	s_or_b32 exec_lo, exec_lo, s0
.LBB115_124:
	s_delay_alu instid0(SALU_CYCLE_1) | instskip(SKIP_4) | instid1(VALU_DEP_1)
	s_or_b32 exec_lo, exec_lo, s47
	v_mov_b32_e32 v110, 0
	ds_load_b64 v[110:111], v110 offset:312
	s_wait_dscnt 0x0
	v_pk_mul_f32 v[112:113], v[108:109], v[110:111] op_sel:[1,1] op_sel_hi:[0,1]
	v_pk_fma_f32 v[114:115], v[108:109], v[110:111], v[112:113] op_sel_hi:[1,0,1]
	v_pk_fma_f32 v[108:109], v[108:109], v[110:111], v[112:113] neg_lo:[0,0,1] neg_hi:[0,0,1]
	s_delay_alu instid0(VALU_DEP_2)
	v_mov_b32_e32 v109, v115
	scratch_store_b64 off, v[108:109], off offset:312
.LBB115_125:
	s_wait_xcnt 0x0
	s_or_b32 exec_lo, exec_lo, s46
	scratch_load_b64 v[108:109], off, off offset:304
	v_cmp_lt_u32_e64 s0, 38, v0
	s_wait_loadcnt 0x0
	ds_store_b64 v1, v[108:109]
	s_wait_storecnt_dscnt 0x0
	s_barrier_signal -1
	s_barrier_wait -1
	s_wait_xcnt 0x0
	s_and_saveexec_b32 s45, s0
	s_cbranch_execz .LBB115_135
; %bb.126:
	s_and_not1_b32 vcc_lo, exec_lo, s3
	s_cbranch_vccnz .LBB115_128
; %bb.127:
	scratch_load_b64 v[108:109], v59, off
	ds_load_b64 v[110:111], v1
	s_wait_loadcnt_dscnt 0x0
	v_pk_mul_f32 v[112:113], v[110:111], v[108:109] op_sel:[1,1] op_sel_hi:[0,1]
	s_delay_alu instid0(VALU_DEP_1) | instskip(SKIP_1) | instid1(VALU_DEP_2)
	v_pk_fma_f32 v[114:115], v[110:111], v[108:109], v[112:113] op_sel_hi:[1,0,1]
	v_pk_fma_f32 v[108:109], v[110:111], v[108:109], v[112:113] neg_lo:[0,0,1] neg_hi:[0,0,1]
	v_mov_b32_e32 v109, v115
	s_cbranch_execz .LBB115_129
	s_branch .LBB115_130
.LBB115_128:
                                        ; implicit-def: $vgpr108_vgpr109
.LBB115_129:
	ds_load_b64 v[108:109], v1
.LBB115_130:
	s_and_saveexec_b32 s46, s1
	s_cbranch_execz .LBB115_134
; %bb.131:
	v_subrev_nc_u32_e32 v110, 39, v0
	s_movk_i32 s47, 0x2d8
	s_mov_b32 s1, 0
.LBB115_132:                            ; =>This Inner Loop Header: Depth=1
	scratch_load_b64 v[112:113], off, s44
	v_dual_mov_b32 v111, s47 :: v_dual_add_nc_u32 v110, -1, v110
	s_add_co_i32 s47, s47, 8
	s_wait_xcnt 0x0
	s_add_co_i32 s44, s44, 8
	ds_load_b64 v[114:115], v111
	v_cmp_eq_u32_e32 vcc_lo, 0, v110
	s_or_b32 s1, vcc_lo, s1
	s_wait_loadcnt_dscnt 0x0
	v_pk_mul_f32 v[116:117], v[114:115], v[112:113] op_sel:[1,1] op_sel_hi:[0,1]
	s_delay_alu instid0(VALU_DEP_1) | instskip(SKIP_1) | instid1(VALU_DEP_2)
	v_pk_fma_f32 v[118:119], v[114:115], v[112:113], v[116:117] op_sel_hi:[1,0,1]
	v_pk_fma_f32 v[112:113], v[114:115], v[112:113], v[116:117] neg_lo:[0,0,1] neg_hi:[0,0,1]
	v_mov_b32_e32 v113, v119
	s_delay_alu instid0(VALU_DEP_1)
	v_pk_add_f32 v[108:109], v[108:109], v[112:113]
	s_and_not1_b32 exec_lo, exec_lo, s1
	s_cbranch_execnz .LBB115_132
; %bb.133:
	s_or_b32 exec_lo, exec_lo, s1
.LBB115_134:
	s_delay_alu instid0(SALU_CYCLE_1) | instskip(SKIP_4) | instid1(VALU_DEP_1)
	s_or_b32 exec_lo, exec_lo, s46
	v_mov_b32_e32 v110, 0
	ds_load_b64 v[110:111], v110 offset:304
	s_wait_dscnt 0x0
	v_pk_mul_f32 v[112:113], v[108:109], v[110:111] op_sel:[1,1] op_sel_hi:[0,1]
	v_pk_fma_f32 v[114:115], v[108:109], v[110:111], v[112:113] op_sel_hi:[1,0,1]
	v_pk_fma_f32 v[108:109], v[108:109], v[110:111], v[112:113] neg_lo:[0,0,1] neg_hi:[0,0,1]
	s_delay_alu instid0(VALU_DEP_2)
	v_mov_b32_e32 v109, v115
	scratch_store_b64 off, v[108:109], off offset:304
.LBB115_135:
	s_wait_xcnt 0x0
	s_or_b32 exec_lo, exec_lo, s45
	scratch_load_b64 v[108:109], off, off offset:296
	v_cmp_lt_u32_e64 s1, 37, v0
	s_wait_loadcnt 0x0
	ds_store_b64 v1, v[108:109]
	s_wait_storecnt_dscnt 0x0
	s_barrier_signal -1
	s_barrier_wait -1
	s_wait_xcnt 0x0
	s_and_saveexec_b32 s44, s1
	s_cbranch_execz .LBB115_145
; %bb.136:
	s_and_not1_b32 vcc_lo, exec_lo, s3
	s_cbranch_vccnz .LBB115_138
; %bb.137:
	scratch_load_b64 v[108:109], v59, off
	ds_load_b64 v[110:111], v1
	s_wait_loadcnt_dscnt 0x0
	v_pk_mul_f32 v[112:113], v[110:111], v[108:109] op_sel:[1,1] op_sel_hi:[0,1]
	s_delay_alu instid0(VALU_DEP_1) | instskip(SKIP_1) | instid1(VALU_DEP_2)
	v_pk_fma_f32 v[114:115], v[110:111], v[108:109], v[112:113] op_sel_hi:[1,0,1]
	v_pk_fma_f32 v[108:109], v[110:111], v[108:109], v[112:113] neg_lo:[0,0,1] neg_hi:[0,0,1]
	v_mov_b32_e32 v109, v115
	s_cbranch_execz .LBB115_139
	s_branch .LBB115_140
.LBB115_138:
                                        ; implicit-def: $vgpr108_vgpr109
.LBB115_139:
	ds_load_b64 v[108:109], v1
.LBB115_140:
	s_and_saveexec_b32 s45, s0
	s_cbranch_execz .LBB115_144
; %bb.141:
	v_subrev_nc_u32_e32 v110, 38, v0
	s_movk_i32 s46, 0x2d0
	s_mov_b32 s0, 0
.LBB115_142:                            ; =>This Inner Loop Header: Depth=1
	scratch_load_b64 v[112:113], off, s43
	v_dual_mov_b32 v111, s46 :: v_dual_add_nc_u32 v110, -1, v110
	s_add_co_i32 s46, s46, 8
	s_wait_xcnt 0x0
	s_add_co_i32 s43, s43, 8
	ds_load_b64 v[114:115], v111
	v_cmp_eq_u32_e32 vcc_lo, 0, v110
	s_or_b32 s0, vcc_lo, s0
	s_wait_loadcnt_dscnt 0x0
	v_pk_mul_f32 v[116:117], v[114:115], v[112:113] op_sel:[1,1] op_sel_hi:[0,1]
	s_delay_alu instid0(VALU_DEP_1) | instskip(SKIP_1) | instid1(VALU_DEP_2)
	v_pk_fma_f32 v[118:119], v[114:115], v[112:113], v[116:117] op_sel_hi:[1,0,1]
	v_pk_fma_f32 v[112:113], v[114:115], v[112:113], v[116:117] neg_lo:[0,0,1] neg_hi:[0,0,1]
	v_mov_b32_e32 v113, v119
	s_delay_alu instid0(VALU_DEP_1)
	v_pk_add_f32 v[108:109], v[108:109], v[112:113]
	s_and_not1_b32 exec_lo, exec_lo, s0
	s_cbranch_execnz .LBB115_142
; %bb.143:
	s_or_b32 exec_lo, exec_lo, s0
.LBB115_144:
	s_delay_alu instid0(SALU_CYCLE_1) | instskip(SKIP_4) | instid1(VALU_DEP_1)
	s_or_b32 exec_lo, exec_lo, s45
	v_mov_b32_e32 v110, 0
	ds_load_b64 v[110:111], v110 offset:296
	s_wait_dscnt 0x0
	v_pk_mul_f32 v[112:113], v[108:109], v[110:111] op_sel:[1,1] op_sel_hi:[0,1]
	v_pk_fma_f32 v[114:115], v[108:109], v[110:111], v[112:113] op_sel_hi:[1,0,1]
	v_pk_fma_f32 v[108:109], v[108:109], v[110:111], v[112:113] neg_lo:[0,0,1] neg_hi:[0,0,1]
	s_delay_alu instid0(VALU_DEP_2)
	v_mov_b32_e32 v109, v115
	scratch_store_b64 off, v[108:109], off offset:296
.LBB115_145:
	s_wait_xcnt 0x0
	s_or_b32 exec_lo, exec_lo, s44
	scratch_load_b64 v[108:109], off, off offset:288
	v_cmp_lt_u32_e64 s0, 36, v0
	s_wait_loadcnt 0x0
	ds_store_b64 v1, v[108:109]
	s_wait_storecnt_dscnt 0x0
	s_barrier_signal -1
	s_barrier_wait -1
	s_wait_xcnt 0x0
	s_and_saveexec_b32 s43, s0
	s_cbranch_execz .LBB115_155
; %bb.146:
	s_and_not1_b32 vcc_lo, exec_lo, s3
	s_cbranch_vccnz .LBB115_148
; %bb.147:
	scratch_load_b64 v[108:109], v59, off
	ds_load_b64 v[110:111], v1
	s_wait_loadcnt_dscnt 0x0
	v_pk_mul_f32 v[112:113], v[110:111], v[108:109] op_sel:[1,1] op_sel_hi:[0,1]
	s_delay_alu instid0(VALU_DEP_1) | instskip(SKIP_1) | instid1(VALU_DEP_2)
	v_pk_fma_f32 v[114:115], v[110:111], v[108:109], v[112:113] op_sel_hi:[1,0,1]
	v_pk_fma_f32 v[108:109], v[110:111], v[108:109], v[112:113] neg_lo:[0,0,1] neg_hi:[0,0,1]
	v_mov_b32_e32 v109, v115
	s_cbranch_execz .LBB115_149
	s_branch .LBB115_150
.LBB115_148:
                                        ; implicit-def: $vgpr108_vgpr109
.LBB115_149:
	ds_load_b64 v[108:109], v1
.LBB115_150:
	s_and_saveexec_b32 s44, s1
	s_cbranch_execz .LBB115_154
; %bb.151:
	v_subrev_nc_u32_e32 v110, 37, v0
	s_movk_i32 s45, 0x2c8
	s_mov_b32 s1, 0
.LBB115_152:                            ; =>This Inner Loop Header: Depth=1
	scratch_load_b64 v[112:113], off, s42
	v_dual_mov_b32 v111, s45 :: v_dual_add_nc_u32 v110, -1, v110
	s_add_co_i32 s45, s45, 8
	s_wait_xcnt 0x0
	s_add_co_i32 s42, s42, 8
	ds_load_b64 v[114:115], v111
	v_cmp_eq_u32_e32 vcc_lo, 0, v110
	s_or_b32 s1, vcc_lo, s1
	s_wait_loadcnt_dscnt 0x0
	v_pk_mul_f32 v[116:117], v[114:115], v[112:113] op_sel:[1,1] op_sel_hi:[0,1]
	s_delay_alu instid0(VALU_DEP_1) | instskip(SKIP_1) | instid1(VALU_DEP_2)
	v_pk_fma_f32 v[118:119], v[114:115], v[112:113], v[116:117] op_sel_hi:[1,0,1]
	v_pk_fma_f32 v[112:113], v[114:115], v[112:113], v[116:117] neg_lo:[0,0,1] neg_hi:[0,0,1]
	v_mov_b32_e32 v113, v119
	s_delay_alu instid0(VALU_DEP_1)
	v_pk_add_f32 v[108:109], v[108:109], v[112:113]
	s_and_not1_b32 exec_lo, exec_lo, s1
	s_cbranch_execnz .LBB115_152
; %bb.153:
	s_or_b32 exec_lo, exec_lo, s1
.LBB115_154:
	s_delay_alu instid0(SALU_CYCLE_1) | instskip(SKIP_4) | instid1(VALU_DEP_1)
	s_or_b32 exec_lo, exec_lo, s44
	v_mov_b32_e32 v110, 0
	ds_load_b64 v[110:111], v110 offset:288
	s_wait_dscnt 0x0
	v_pk_mul_f32 v[112:113], v[108:109], v[110:111] op_sel:[1,1] op_sel_hi:[0,1]
	v_pk_fma_f32 v[114:115], v[108:109], v[110:111], v[112:113] op_sel_hi:[1,0,1]
	v_pk_fma_f32 v[108:109], v[108:109], v[110:111], v[112:113] neg_lo:[0,0,1] neg_hi:[0,0,1]
	s_delay_alu instid0(VALU_DEP_2)
	v_mov_b32_e32 v109, v115
	scratch_store_b64 off, v[108:109], off offset:288
.LBB115_155:
	s_wait_xcnt 0x0
	s_or_b32 exec_lo, exec_lo, s43
	scratch_load_b64 v[108:109], off, off offset:280
	v_cmp_lt_u32_e64 s1, 35, v0
	s_wait_loadcnt 0x0
	ds_store_b64 v1, v[108:109]
	s_wait_storecnt_dscnt 0x0
	s_barrier_signal -1
	s_barrier_wait -1
	s_wait_xcnt 0x0
	s_and_saveexec_b32 s42, s1
	s_cbranch_execz .LBB115_165
; %bb.156:
	s_and_not1_b32 vcc_lo, exec_lo, s3
	s_cbranch_vccnz .LBB115_158
; %bb.157:
	scratch_load_b64 v[108:109], v59, off
	ds_load_b64 v[110:111], v1
	s_wait_loadcnt_dscnt 0x0
	v_pk_mul_f32 v[112:113], v[110:111], v[108:109] op_sel:[1,1] op_sel_hi:[0,1]
	s_delay_alu instid0(VALU_DEP_1) | instskip(SKIP_1) | instid1(VALU_DEP_2)
	v_pk_fma_f32 v[114:115], v[110:111], v[108:109], v[112:113] op_sel_hi:[1,0,1]
	v_pk_fma_f32 v[108:109], v[110:111], v[108:109], v[112:113] neg_lo:[0,0,1] neg_hi:[0,0,1]
	v_mov_b32_e32 v109, v115
	s_cbranch_execz .LBB115_159
	s_branch .LBB115_160
.LBB115_158:
                                        ; implicit-def: $vgpr108_vgpr109
.LBB115_159:
	ds_load_b64 v[108:109], v1
.LBB115_160:
	s_and_saveexec_b32 s43, s0
	s_cbranch_execz .LBB115_164
; %bb.161:
	v_subrev_nc_u32_e32 v110, 36, v0
	s_movk_i32 s44, 0x2c0
	s_mov_b32 s0, 0
.LBB115_162:                            ; =>This Inner Loop Header: Depth=1
	scratch_load_b64 v[112:113], off, s41
	v_dual_mov_b32 v111, s44 :: v_dual_add_nc_u32 v110, -1, v110
	s_add_co_i32 s44, s44, 8
	s_wait_xcnt 0x0
	s_add_co_i32 s41, s41, 8
	ds_load_b64 v[114:115], v111
	v_cmp_eq_u32_e32 vcc_lo, 0, v110
	s_or_b32 s0, vcc_lo, s0
	s_wait_loadcnt_dscnt 0x0
	v_pk_mul_f32 v[116:117], v[114:115], v[112:113] op_sel:[1,1] op_sel_hi:[0,1]
	s_delay_alu instid0(VALU_DEP_1) | instskip(SKIP_1) | instid1(VALU_DEP_2)
	v_pk_fma_f32 v[118:119], v[114:115], v[112:113], v[116:117] op_sel_hi:[1,0,1]
	v_pk_fma_f32 v[112:113], v[114:115], v[112:113], v[116:117] neg_lo:[0,0,1] neg_hi:[0,0,1]
	v_mov_b32_e32 v113, v119
	s_delay_alu instid0(VALU_DEP_1)
	v_pk_add_f32 v[108:109], v[108:109], v[112:113]
	s_and_not1_b32 exec_lo, exec_lo, s0
	s_cbranch_execnz .LBB115_162
; %bb.163:
	s_or_b32 exec_lo, exec_lo, s0
.LBB115_164:
	s_delay_alu instid0(SALU_CYCLE_1) | instskip(SKIP_4) | instid1(VALU_DEP_1)
	s_or_b32 exec_lo, exec_lo, s43
	v_mov_b32_e32 v110, 0
	ds_load_b64 v[110:111], v110 offset:280
	s_wait_dscnt 0x0
	v_pk_mul_f32 v[112:113], v[108:109], v[110:111] op_sel:[1,1] op_sel_hi:[0,1]
	v_pk_fma_f32 v[114:115], v[108:109], v[110:111], v[112:113] op_sel_hi:[1,0,1]
	v_pk_fma_f32 v[108:109], v[108:109], v[110:111], v[112:113] neg_lo:[0,0,1] neg_hi:[0,0,1]
	s_delay_alu instid0(VALU_DEP_2)
	v_mov_b32_e32 v109, v115
	scratch_store_b64 off, v[108:109], off offset:280
.LBB115_165:
	s_wait_xcnt 0x0
	s_or_b32 exec_lo, exec_lo, s42
	scratch_load_b64 v[108:109], off, off offset:272
	v_cmp_lt_u32_e64 s0, 34, v0
	s_wait_loadcnt 0x0
	ds_store_b64 v1, v[108:109]
	s_wait_storecnt_dscnt 0x0
	s_barrier_signal -1
	s_barrier_wait -1
	s_wait_xcnt 0x0
	s_and_saveexec_b32 s41, s0
	s_cbranch_execz .LBB115_175
; %bb.166:
	s_and_not1_b32 vcc_lo, exec_lo, s3
	s_cbranch_vccnz .LBB115_168
; %bb.167:
	scratch_load_b64 v[108:109], v59, off
	ds_load_b64 v[110:111], v1
	s_wait_loadcnt_dscnt 0x0
	v_pk_mul_f32 v[112:113], v[110:111], v[108:109] op_sel:[1,1] op_sel_hi:[0,1]
	s_delay_alu instid0(VALU_DEP_1) | instskip(SKIP_1) | instid1(VALU_DEP_2)
	v_pk_fma_f32 v[114:115], v[110:111], v[108:109], v[112:113] op_sel_hi:[1,0,1]
	v_pk_fma_f32 v[108:109], v[110:111], v[108:109], v[112:113] neg_lo:[0,0,1] neg_hi:[0,0,1]
	v_mov_b32_e32 v109, v115
	s_cbranch_execz .LBB115_169
	s_branch .LBB115_170
.LBB115_168:
                                        ; implicit-def: $vgpr108_vgpr109
.LBB115_169:
	ds_load_b64 v[108:109], v1
.LBB115_170:
	s_and_saveexec_b32 s42, s1
	s_cbranch_execz .LBB115_174
; %bb.171:
	v_subrev_nc_u32_e32 v110, 35, v0
	s_movk_i32 s43, 0x2b8
	s_mov_b32 s1, 0
.LBB115_172:                            ; =>This Inner Loop Header: Depth=1
	scratch_load_b64 v[112:113], off, s40
	v_dual_mov_b32 v111, s43 :: v_dual_add_nc_u32 v110, -1, v110
	s_add_co_i32 s43, s43, 8
	s_wait_xcnt 0x0
	s_add_co_i32 s40, s40, 8
	ds_load_b64 v[114:115], v111
	v_cmp_eq_u32_e32 vcc_lo, 0, v110
	s_or_b32 s1, vcc_lo, s1
	s_wait_loadcnt_dscnt 0x0
	v_pk_mul_f32 v[116:117], v[114:115], v[112:113] op_sel:[1,1] op_sel_hi:[0,1]
	s_delay_alu instid0(VALU_DEP_1) | instskip(SKIP_1) | instid1(VALU_DEP_2)
	v_pk_fma_f32 v[118:119], v[114:115], v[112:113], v[116:117] op_sel_hi:[1,0,1]
	v_pk_fma_f32 v[112:113], v[114:115], v[112:113], v[116:117] neg_lo:[0,0,1] neg_hi:[0,0,1]
	v_mov_b32_e32 v113, v119
	s_delay_alu instid0(VALU_DEP_1)
	v_pk_add_f32 v[108:109], v[108:109], v[112:113]
	s_and_not1_b32 exec_lo, exec_lo, s1
	s_cbranch_execnz .LBB115_172
; %bb.173:
	s_or_b32 exec_lo, exec_lo, s1
.LBB115_174:
	s_delay_alu instid0(SALU_CYCLE_1) | instskip(SKIP_4) | instid1(VALU_DEP_1)
	s_or_b32 exec_lo, exec_lo, s42
	v_mov_b32_e32 v110, 0
	ds_load_b64 v[110:111], v110 offset:272
	s_wait_dscnt 0x0
	v_pk_mul_f32 v[112:113], v[108:109], v[110:111] op_sel:[1,1] op_sel_hi:[0,1]
	v_pk_fma_f32 v[114:115], v[108:109], v[110:111], v[112:113] op_sel_hi:[1,0,1]
	v_pk_fma_f32 v[108:109], v[108:109], v[110:111], v[112:113] neg_lo:[0,0,1] neg_hi:[0,0,1]
	s_delay_alu instid0(VALU_DEP_2)
	v_mov_b32_e32 v109, v115
	scratch_store_b64 off, v[108:109], off offset:272
.LBB115_175:
	s_wait_xcnt 0x0
	s_or_b32 exec_lo, exec_lo, s41
	scratch_load_b64 v[108:109], off, off offset:264
	v_cmp_lt_u32_e64 s1, 33, v0
	s_wait_loadcnt 0x0
	ds_store_b64 v1, v[108:109]
	s_wait_storecnt_dscnt 0x0
	s_barrier_signal -1
	s_barrier_wait -1
	s_wait_xcnt 0x0
	s_and_saveexec_b32 s40, s1
	s_cbranch_execz .LBB115_185
; %bb.176:
	s_and_not1_b32 vcc_lo, exec_lo, s3
	s_cbranch_vccnz .LBB115_178
; %bb.177:
	scratch_load_b64 v[108:109], v59, off
	ds_load_b64 v[110:111], v1
	s_wait_loadcnt_dscnt 0x0
	v_pk_mul_f32 v[112:113], v[110:111], v[108:109] op_sel:[1,1] op_sel_hi:[0,1]
	s_delay_alu instid0(VALU_DEP_1) | instskip(SKIP_1) | instid1(VALU_DEP_2)
	v_pk_fma_f32 v[114:115], v[110:111], v[108:109], v[112:113] op_sel_hi:[1,0,1]
	v_pk_fma_f32 v[108:109], v[110:111], v[108:109], v[112:113] neg_lo:[0,0,1] neg_hi:[0,0,1]
	v_mov_b32_e32 v109, v115
	s_cbranch_execz .LBB115_179
	s_branch .LBB115_180
.LBB115_178:
                                        ; implicit-def: $vgpr108_vgpr109
.LBB115_179:
	ds_load_b64 v[108:109], v1
.LBB115_180:
	s_and_saveexec_b32 s41, s0
	s_cbranch_execz .LBB115_184
; %bb.181:
	v_subrev_nc_u32_e32 v110, 34, v0
	s_movk_i32 s42, 0x2b0
	s_mov_b32 s0, 0
.LBB115_182:                            ; =>This Inner Loop Header: Depth=1
	scratch_load_b64 v[112:113], off, s39
	v_dual_mov_b32 v111, s42 :: v_dual_add_nc_u32 v110, -1, v110
	s_add_co_i32 s42, s42, 8
	s_wait_xcnt 0x0
	s_add_co_i32 s39, s39, 8
	ds_load_b64 v[114:115], v111
	v_cmp_eq_u32_e32 vcc_lo, 0, v110
	s_or_b32 s0, vcc_lo, s0
	s_wait_loadcnt_dscnt 0x0
	v_pk_mul_f32 v[116:117], v[114:115], v[112:113] op_sel:[1,1] op_sel_hi:[0,1]
	s_delay_alu instid0(VALU_DEP_1) | instskip(SKIP_1) | instid1(VALU_DEP_2)
	v_pk_fma_f32 v[118:119], v[114:115], v[112:113], v[116:117] op_sel_hi:[1,0,1]
	v_pk_fma_f32 v[112:113], v[114:115], v[112:113], v[116:117] neg_lo:[0,0,1] neg_hi:[0,0,1]
	v_mov_b32_e32 v113, v119
	s_delay_alu instid0(VALU_DEP_1)
	v_pk_add_f32 v[108:109], v[108:109], v[112:113]
	s_and_not1_b32 exec_lo, exec_lo, s0
	s_cbranch_execnz .LBB115_182
; %bb.183:
	s_or_b32 exec_lo, exec_lo, s0
.LBB115_184:
	s_delay_alu instid0(SALU_CYCLE_1) | instskip(SKIP_4) | instid1(VALU_DEP_1)
	s_or_b32 exec_lo, exec_lo, s41
	v_mov_b32_e32 v110, 0
	ds_load_b64 v[110:111], v110 offset:264
	s_wait_dscnt 0x0
	v_pk_mul_f32 v[112:113], v[108:109], v[110:111] op_sel:[1,1] op_sel_hi:[0,1]
	v_pk_fma_f32 v[114:115], v[108:109], v[110:111], v[112:113] op_sel_hi:[1,0,1]
	v_pk_fma_f32 v[108:109], v[108:109], v[110:111], v[112:113] neg_lo:[0,0,1] neg_hi:[0,0,1]
	s_delay_alu instid0(VALU_DEP_2)
	v_mov_b32_e32 v109, v115
	scratch_store_b64 off, v[108:109], off offset:264
.LBB115_185:
	s_wait_xcnt 0x0
	s_or_b32 exec_lo, exec_lo, s40
	scratch_load_b64 v[108:109], off, off offset:256
	v_cmp_lt_u32_e64 s0, 32, v0
	s_wait_loadcnt 0x0
	ds_store_b64 v1, v[108:109]
	s_wait_storecnt_dscnt 0x0
	s_barrier_signal -1
	s_barrier_wait -1
	s_wait_xcnt 0x0
	s_and_saveexec_b32 s39, s0
	s_cbranch_execz .LBB115_195
; %bb.186:
	s_and_not1_b32 vcc_lo, exec_lo, s3
	s_cbranch_vccnz .LBB115_188
; %bb.187:
	scratch_load_b64 v[108:109], v59, off
	ds_load_b64 v[110:111], v1
	s_wait_loadcnt_dscnt 0x0
	v_pk_mul_f32 v[112:113], v[110:111], v[108:109] op_sel:[1,1] op_sel_hi:[0,1]
	s_delay_alu instid0(VALU_DEP_1) | instskip(SKIP_1) | instid1(VALU_DEP_2)
	v_pk_fma_f32 v[114:115], v[110:111], v[108:109], v[112:113] op_sel_hi:[1,0,1]
	v_pk_fma_f32 v[108:109], v[110:111], v[108:109], v[112:113] neg_lo:[0,0,1] neg_hi:[0,0,1]
	v_mov_b32_e32 v109, v115
	s_cbranch_execz .LBB115_189
	s_branch .LBB115_190
.LBB115_188:
                                        ; implicit-def: $vgpr108_vgpr109
.LBB115_189:
	ds_load_b64 v[108:109], v1
.LBB115_190:
	s_and_saveexec_b32 s40, s1
	s_cbranch_execz .LBB115_194
; %bb.191:
	v_subrev_nc_u32_e32 v110, 33, v0
	s_movk_i32 s41, 0x2a8
	s_mov_b32 s1, 0
.LBB115_192:                            ; =>This Inner Loop Header: Depth=1
	scratch_load_b64 v[112:113], off, s38
	v_dual_mov_b32 v111, s41 :: v_dual_add_nc_u32 v110, -1, v110
	s_add_co_i32 s41, s41, 8
	s_wait_xcnt 0x0
	s_add_co_i32 s38, s38, 8
	ds_load_b64 v[114:115], v111
	v_cmp_eq_u32_e32 vcc_lo, 0, v110
	s_or_b32 s1, vcc_lo, s1
	s_wait_loadcnt_dscnt 0x0
	v_pk_mul_f32 v[116:117], v[114:115], v[112:113] op_sel:[1,1] op_sel_hi:[0,1]
	s_delay_alu instid0(VALU_DEP_1) | instskip(SKIP_1) | instid1(VALU_DEP_2)
	v_pk_fma_f32 v[118:119], v[114:115], v[112:113], v[116:117] op_sel_hi:[1,0,1]
	v_pk_fma_f32 v[112:113], v[114:115], v[112:113], v[116:117] neg_lo:[0,0,1] neg_hi:[0,0,1]
	v_mov_b32_e32 v113, v119
	s_delay_alu instid0(VALU_DEP_1)
	v_pk_add_f32 v[108:109], v[108:109], v[112:113]
	s_and_not1_b32 exec_lo, exec_lo, s1
	s_cbranch_execnz .LBB115_192
; %bb.193:
	s_or_b32 exec_lo, exec_lo, s1
.LBB115_194:
	s_delay_alu instid0(SALU_CYCLE_1) | instskip(SKIP_4) | instid1(VALU_DEP_1)
	s_or_b32 exec_lo, exec_lo, s40
	v_mov_b32_e32 v110, 0
	ds_load_b64 v[110:111], v110 offset:256
	s_wait_dscnt 0x0
	v_pk_mul_f32 v[112:113], v[108:109], v[110:111] op_sel:[1,1] op_sel_hi:[0,1]
	v_pk_fma_f32 v[114:115], v[108:109], v[110:111], v[112:113] op_sel_hi:[1,0,1]
	v_pk_fma_f32 v[108:109], v[108:109], v[110:111], v[112:113] neg_lo:[0,0,1] neg_hi:[0,0,1]
	s_delay_alu instid0(VALU_DEP_2)
	v_mov_b32_e32 v109, v115
	scratch_store_b64 off, v[108:109], off offset:256
.LBB115_195:
	s_wait_xcnt 0x0
	s_or_b32 exec_lo, exec_lo, s39
	scratch_load_b64 v[108:109], off, off offset:248
	v_cmp_lt_u32_e64 s1, 31, v0
	s_wait_loadcnt 0x0
	ds_store_b64 v1, v[108:109]
	s_wait_storecnt_dscnt 0x0
	s_barrier_signal -1
	s_barrier_wait -1
	s_wait_xcnt 0x0
	s_and_saveexec_b32 s38, s1
	s_cbranch_execz .LBB115_205
; %bb.196:
	s_and_not1_b32 vcc_lo, exec_lo, s3
	s_cbranch_vccnz .LBB115_198
; %bb.197:
	scratch_load_b64 v[108:109], v59, off
	ds_load_b64 v[110:111], v1
	s_wait_loadcnt_dscnt 0x0
	v_pk_mul_f32 v[112:113], v[110:111], v[108:109] op_sel:[1,1] op_sel_hi:[0,1]
	s_delay_alu instid0(VALU_DEP_1) | instskip(SKIP_1) | instid1(VALU_DEP_2)
	v_pk_fma_f32 v[114:115], v[110:111], v[108:109], v[112:113] op_sel_hi:[1,0,1]
	v_pk_fma_f32 v[108:109], v[110:111], v[108:109], v[112:113] neg_lo:[0,0,1] neg_hi:[0,0,1]
	v_mov_b32_e32 v109, v115
	s_cbranch_execz .LBB115_199
	s_branch .LBB115_200
.LBB115_198:
                                        ; implicit-def: $vgpr108_vgpr109
.LBB115_199:
	ds_load_b64 v[108:109], v1
.LBB115_200:
	s_and_saveexec_b32 s39, s0
	s_cbranch_execz .LBB115_204
; %bb.201:
	v_subrev_nc_u32_e32 v110, 32, v0
	s_movk_i32 s40, 0x2a0
	s_mov_b32 s0, 0
.LBB115_202:                            ; =>This Inner Loop Header: Depth=1
	scratch_load_b64 v[112:113], off, s37
	v_dual_mov_b32 v111, s40 :: v_dual_add_nc_u32 v110, -1, v110
	s_add_co_i32 s40, s40, 8
	s_wait_xcnt 0x0
	s_add_co_i32 s37, s37, 8
	ds_load_b64 v[114:115], v111
	v_cmp_eq_u32_e32 vcc_lo, 0, v110
	s_or_b32 s0, vcc_lo, s0
	s_wait_loadcnt_dscnt 0x0
	v_pk_mul_f32 v[116:117], v[114:115], v[112:113] op_sel:[1,1] op_sel_hi:[0,1]
	s_delay_alu instid0(VALU_DEP_1) | instskip(SKIP_1) | instid1(VALU_DEP_2)
	v_pk_fma_f32 v[118:119], v[114:115], v[112:113], v[116:117] op_sel_hi:[1,0,1]
	v_pk_fma_f32 v[112:113], v[114:115], v[112:113], v[116:117] neg_lo:[0,0,1] neg_hi:[0,0,1]
	v_mov_b32_e32 v113, v119
	s_delay_alu instid0(VALU_DEP_1)
	v_pk_add_f32 v[108:109], v[108:109], v[112:113]
	s_and_not1_b32 exec_lo, exec_lo, s0
	s_cbranch_execnz .LBB115_202
; %bb.203:
	s_or_b32 exec_lo, exec_lo, s0
.LBB115_204:
	s_delay_alu instid0(SALU_CYCLE_1) | instskip(SKIP_4) | instid1(VALU_DEP_1)
	s_or_b32 exec_lo, exec_lo, s39
	v_mov_b32_e32 v110, 0
	ds_load_b64 v[110:111], v110 offset:248
	s_wait_dscnt 0x0
	v_pk_mul_f32 v[112:113], v[108:109], v[110:111] op_sel:[1,1] op_sel_hi:[0,1]
	v_pk_fma_f32 v[114:115], v[108:109], v[110:111], v[112:113] op_sel_hi:[1,0,1]
	v_pk_fma_f32 v[108:109], v[108:109], v[110:111], v[112:113] neg_lo:[0,0,1] neg_hi:[0,0,1]
	s_delay_alu instid0(VALU_DEP_2)
	v_mov_b32_e32 v109, v115
	scratch_store_b64 off, v[108:109], off offset:248
.LBB115_205:
	s_wait_xcnt 0x0
	s_or_b32 exec_lo, exec_lo, s38
	scratch_load_b64 v[108:109], off, off offset:240
	v_cmp_lt_u32_e64 s0, 30, v0
	s_wait_loadcnt 0x0
	ds_store_b64 v1, v[108:109]
	s_wait_storecnt_dscnt 0x0
	s_barrier_signal -1
	s_barrier_wait -1
	s_wait_xcnt 0x0
	s_and_saveexec_b32 s37, s0
	s_cbranch_execz .LBB115_215
; %bb.206:
	s_and_not1_b32 vcc_lo, exec_lo, s3
	s_cbranch_vccnz .LBB115_208
; %bb.207:
	scratch_load_b64 v[108:109], v59, off
	ds_load_b64 v[110:111], v1
	s_wait_loadcnt_dscnt 0x0
	v_pk_mul_f32 v[112:113], v[110:111], v[108:109] op_sel:[1,1] op_sel_hi:[0,1]
	s_delay_alu instid0(VALU_DEP_1) | instskip(SKIP_1) | instid1(VALU_DEP_2)
	v_pk_fma_f32 v[114:115], v[110:111], v[108:109], v[112:113] op_sel_hi:[1,0,1]
	v_pk_fma_f32 v[108:109], v[110:111], v[108:109], v[112:113] neg_lo:[0,0,1] neg_hi:[0,0,1]
	v_mov_b32_e32 v109, v115
	s_cbranch_execz .LBB115_209
	s_branch .LBB115_210
.LBB115_208:
                                        ; implicit-def: $vgpr108_vgpr109
.LBB115_209:
	ds_load_b64 v[108:109], v1
.LBB115_210:
	s_and_saveexec_b32 s38, s1
	s_cbranch_execz .LBB115_214
; %bb.211:
	v_subrev_nc_u32_e32 v110, 31, v0
	s_movk_i32 s39, 0x298
	s_mov_b32 s1, 0
.LBB115_212:                            ; =>This Inner Loop Header: Depth=1
	scratch_load_b64 v[112:113], off, s36
	v_dual_mov_b32 v111, s39 :: v_dual_add_nc_u32 v110, -1, v110
	s_add_co_i32 s39, s39, 8
	s_wait_xcnt 0x0
	s_add_co_i32 s36, s36, 8
	ds_load_b64 v[114:115], v111
	v_cmp_eq_u32_e32 vcc_lo, 0, v110
	s_or_b32 s1, vcc_lo, s1
	s_wait_loadcnt_dscnt 0x0
	v_pk_mul_f32 v[116:117], v[114:115], v[112:113] op_sel:[1,1] op_sel_hi:[0,1]
	s_delay_alu instid0(VALU_DEP_1) | instskip(SKIP_1) | instid1(VALU_DEP_2)
	v_pk_fma_f32 v[118:119], v[114:115], v[112:113], v[116:117] op_sel_hi:[1,0,1]
	v_pk_fma_f32 v[112:113], v[114:115], v[112:113], v[116:117] neg_lo:[0,0,1] neg_hi:[0,0,1]
	v_mov_b32_e32 v113, v119
	s_delay_alu instid0(VALU_DEP_1)
	v_pk_add_f32 v[108:109], v[108:109], v[112:113]
	s_and_not1_b32 exec_lo, exec_lo, s1
	s_cbranch_execnz .LBB115_212
; %bb.213:
	s_or_b32 exec_lo, exec_lo, s1
.LBB115_214:
	s_delay_alu instid0(SALU_CYCLE_1) | instskip(SKIP_4) | instid1(VALU_DEP_1)
	s_or_b32 exec_lo, exec_lo, s38
	v_mov_b32_e32 v110, 0
	ds_load_b64 v[110:111], v110 offset:240
	s_wait_dscnt 0x0
	v_pk_mul_f32 v[112:113], v[108:109], v[110:111] op_sel:[1,1] op_sel_hi:[0,1]
	v_pk_fma_f32 v[114:115], v[108:109], v[110:111], v[112:113] op_sel_hi:[1,0,1]
	v_pk_fma_f32 v[108:109], v[108:109], v[110:111], v[112:113] neg_lo:[0,0,1] neg_hi:[0,0,1]
	s_delay_alu instid0(VALU_DEP_2)
	v_mov_b32_e32 v109, v115
	scratch_store_b64 off, v[108:109], off offset:240
.LBB115_215:
	s_wait_xcnt 0x0
	s_or_b32 exec_lo, exec_lo, s37
	scratch_load_b64 v[108:109], off, off offset:232
	v_cmp_lt_u32_e64 s1, 29, v0
	s_wait_loadcnt 0x0
	ds_store_b64 v1, v[108:109]
	s_wait_storecnt_dscnt 0x0
	s_barrier_signal -1
	s_barrier_wait -1
	s_wait_xcnt 0x0
	s_and_saveexec_b32 s36, s1
	s_cbranch_execz .LBB115_225
; %bb.216:
	s_and_not1_b32 vcc_lo, exec_lo, s3
	s_cbranch_vccnz .LBB115_218
; %bb.217:
	scratch_load_b64 v[108:109], v59, off
	ds_load_b64 v[110:111], v1
	s_wait_loadcnt_dscnt 0x0
	v_pk_mul_f32 v[112:113], v[110:111], v[108:109] op_sel:[1,1] op_sel_hi:[0,1]
	s_delay_alu instid0(VALU_DEP_1) | instskip(SKIP_1) | instid1(VALU_DEP_2)
	v_pk_fma_f32 v[114:115], v[110:111], v[108:109], v[112:113] op_sel_hi:[1,0,1]
	v_pk_fma_f32 v[108:109], v[110:111], v[108:109], v[112:113] neg_lo:[0,0,1] neg_hi:[0,0,1]
	v_mov_b32_e32 v109, v115
	s_cbranch_execz .LBB115_219
	s_branch .LBB115_220
.LBB115_218:
                                        ; implicit-def: $vgpr108_vgpr109
.LBB115_219:
	ds_load_b64 v[108:109], v1
.LBB115_220:
	s_and_saveexec_b32 s37, s0
	s_cbranch_execz .LBB115_224
; %bb.221:
	v_subrev_nc_u32_e32 v110, 30, v0
	s_movk_i32 s38, 0x290
	s_mov_b32 s0, 0
.LBB115_222:                            ; =>This Inner Loop Header: Depth=1
	scratch_load_b64 v[112:113], off, s35
	v_dual_mov_b32 v111, s38 :: v_dual_add_nc_u32 v110, -1, v110
	s_add_co_i32 s38, s38, 8
	s_wait_xcnt 0x0
	s_add_co_i32 s35, s35, 8
	ds_load_b64 v[114:115], v111
	v_cmp_eq_u32_e32 vcc_lo, 0, v110
	s_or_b32 s0, vcc_lo, s0
	s_wait_loadcnt_dscnt 0x0
	v_pk_mul_f32 v[116:117], v[114:115], v[112:113] op_sel:[1,1] op_sel_hi:[0,1]
	s_delay_alu instid0(VALU_DEP_1) | instskip(SKIP_1) | instid1(VALU_DEP_2)
	v_pk_fma_f32 v[118:119], v[114:115], v[112:113], v[116:117] op_sel_hi:[1,0,1]
	v_pk_fma_f32 v[112:113], v[114:115], v[112:113], v[116:117] neg_lo:[0,0,1] neg_hi:[0,0,1]
	v_mov_b32_e32 v113, v119
	s_delay_alu instid0(VALU_DEP_1)
	v_pk_add_f32 v[108:109], v[108:109], v[112:113]
	s_and_not1_b32 exec_lo, exec_lo, s0
	s_cbranch_execnz .LBB115_222
; %bb.223:
	s_or_b32 exec_lo, exec_lo, s0
.LBB115_224:
	s_delay_alu instid0(SALU_CYCLE_1) | instskip(SKIP_4) | instid1(VALU_DEP_1)
	s_or_b32 exec_lo, exec_lo, s37
	v_mov_b32_e32 v110, 0
	ds_load_b64 v[110:111], v110 offset:232
	s_wait_dscnt 0x0
	v_pk_mul_f32 v[112:113], v[108:109], v[110:111] op_sel:[1,1] op_sel_hi:[0,1]
	v_pk_fma_f32 v[114:115], v[108:109], v[110:111], v[112:113] op_sel_hi:[1,0,1]
	v_pk_fma_f32 v[108:109], v[108:109], v[110:111], v[112:113] neg_lo:[0,0,1] neg_hi:[0,0,1]
	s_delay_alu instid0(VALU_DEP_2)
	v_mov_b32_e32 v109, v115
	scratch_store_b64 off, v[108:109], off offset:232
.LBB115_225:
	s_wait_xcnt 0x0
	s_or_b32 exec_lo, exec_lo, s36
	scratch_load_b64 v[108:109], off, off offset:224
	v_cmp_lt_u32_e64 s0, 28, v0
	s_wait_loadcnt 0x0
	ds_store_b64 v1, v[108:109]
	s_wait_storecnt_dscnt 0x0
	s_barrier_signal -1
	s_barrier_wait -1
	s_wait_xcnt 0x0
	s_and_saveexec_b32 s35, s0
	s_cbranch_execz .LBB115_235
; %bb.226:
	s_and_not1_b32 vcc_lo, exec_lo, s3
	s_cbranch_vccnz .LBB115_228
; %bb.227:
	scratch_load_b64 v[108:109], v59, off
	ds_load_b64 v[110:111], v1
	s_wait_loadcnt_dscnt 0x0
	v_pk_mul_f32 v[112:113], v[110:111], v[108:109] op_sel:[1,1] op_sel_hi:[0,1]
	s_delay_alu instid0(VALU_DEP_1) | instskip(SKIP_1) | instid1(VALU_DEP_2)
	v_pk_fma_f32 v[114:115], v[110:111], v[108:109], v[112:113] op_sel_hi:[1,0,1]
	v_pk_fma_f32 v[108:109], v[110:111], v[108:109], v[112:113] neg_lo:[0,0,1] neg_hi:[0,0,1]
	v_mov_b32_e32 v109, v115
	s_cbranch_execz .LBB115_229
	s_branch .LBB115_230
.LBB115_228:
                                        ; implicit-def: $vgpr108_vgpr109
.LBB115_229:
	ds_load_b64 v[108:109], v1
.LBB115_230:
	s_and_saveexec_b32 s36, s1
	s_cbranch_execz .LBB115_234
; %bb.231:
	v_subrev_nc_u32_e32 v110, 29, v0
	s_movk_i32 s37, 0x288
	s_mov_b32 s1, 0
.LBB115_232:                            ; =>This Inner Loop Header: Depth=1
	scratch_load_b64 v[112:113], off, s34
	v_dual_mov_b32 v111, s37 :: v_dual_add_nc_u32 v110, -1, v110
	s_add_co_i32 s37, s37, 8
	s_wait_xcnt 0x0
	s_add_co_i32 s34, s34, 8
	ds_load_b64 v[114:115], v111
	v_cmp_eq_u32_e32 vcc_lo, 0, v110
	s_or_b32 s1, vcc_lo, s1
	s_wait_loadcnt_dscnt 0x0
	v_pk_mul_f32 v[116:117], v[114:115], v[112:113] op_sel:[1,1] op_sel_hi:[0,1]
	s_delay_alu instid0(VALU_DEP_1) | instskip(SKIP_1) | instid1(VALU_DEP_2)
	v_pk_fma_f32 v[118:119], v[114:115], v[112:113], v[116:117] op_sel_hi:[1,0,1]
	v_pk_fma_f32 v[112:113], v[114:115], v[112:113], v[116:117] neg_lo:[0,0,1] neg_hi:[0,0,1]
	v_mov_b32_e32 v113, v119
	s_delay_alu instid0(VALU_DEP_1)
	v_pk_add_f32 v[108:109], v[108:109], v[112:113]
	s_and_not1_b32 exec_lo, exec_lo, s1
	s_cbranch_execnz .LBB115_232
; %bb.233:
	s_or_b32 exec_lo, exec_lo, s1
.LBB115_234:
	s_delay_alu instid0(SALU_CYCLE_1) | instskip(SKIP_4) | instid1(VALU_DEP_1)
	s_or_b32 exec_lo, exec_lo, s36
	v_mov_b32_e32 v110, 0
	ds_load_b64 v[110:111], v110 offset:224
	s_wait_dscnt 0x0
	v_pk_mul_f32 v[112:113], v[108:109], v[110:111] op_sel:[1,1] op_sel_hi:[0,1]
	v_pk_fma_f32 v[114:115], v[108:109], v[110:111], v[112:113] op_sel_hi:[1,0,1]
	v_pk_fma_f32 v[108:109], v[108:109], v[110:111], v[112:113] neg_lo:[0,0,1] neg_hi:[0,0,1]
	s_delay_alu instid0(VALU_DEP_2)
	v_mov_b32_e32 v109, v115
	scratch_store_b64 off, v[108:109], off offset:224
.LBB115_235:
	s_wait_xcnt 0x0
	s_or_b32 exec_lo, exec_lo, s35
	scratch_load_b64 v[108:109], off, off offset:216
	v_cmp_lt_u32_e64 s1, 27, v0
	s_wait_loadcnt 0x0
	ds_store_b64 v1, v[108:109]
	s_wait_storecnt_dscnt 0x0
	s_barrier_signal -1
	s_barrier_wait -1
	s_wait_xcnt 0x0
	s_and_saveexec_b32 s34, s1
	s_cbranch_execz .LBB115_245
; %bb.236:
	s_and_not1_b32 vcc_lo, exec_lo, s3
	s_cbranch_vccnz .LBB115_238
; %bb.237:
	scratch_load_b64 v[108:109], v59, off
	ds_load_b64 v[110:111], v1
	s_wait_loadcnt_dscnt 0x0
	v_pk_mul_f32 v[112:113], v[110:111], v[108:109] op_sel:[1,1] op_sel_hi:[0,1]
	s_delay_alu instid0(VALU_DEP_1) | instskip(SKIP_1) | instid1(VALU_DEP_2)
	v_pk_fma_f32 v[114:115], v[110:111], v[108:109], v[112:113] op_sel_hi:[1,0,1]
	v_pk_fma_f32 v[108:109], v[110:111], v[108:109], v[112:113] neg_lo:[0,0,1] neg_hi:[0,0,1]
	v_mov_b32_e32 v109, v115
	s_cbranch_execz .LBB115_239
	s_branch .LBB115_240
.LBB115_238:
                                        ; implicit-def: $vgpr108_vgpr109
.LBB115_239:
	ds_load_b64 v[108:109], v1
.LBB115_240:
	s_and_saveexec_b32 s35, s0
	s_cbranch_execz .LBB115_244
; %bb.241:
	v_subrev_nc_u32_e32 v110, 28, v0
	s_movk_i32 s36, 0x280
	s_mov_b32 s0, 0
.LBB115_242:                            ; =>This Inner Loop Header: Depth=1
	scratch_load_b64 v[112:113], off, s33
	v_dual_mov_b32 v111, s36 :: v_dual_add_nc_u32 v110, -1, v110
	s_add_co_i32 s36, s36, 8
	s_wait_xcnt 0x0
	s_add_co_i32 s33, s33, 8
	ds_load_b64 v[114:115], v111
	v_cmp_eq_u32_e32 vcc_lo, 0, v110
	s_or_b32 s0, vcc_lo, s0
	s_wait_loadcnt_dscnt 0x0
	v_pk_mul_f32 v[116:117], v[114:115], v[112:113] op_sel:[1,1] op_sel_hi:[0,1]
	s_delay_alu instid0(VALU_DEP_1) | instskip(SKIP_1) | instid1(VALU_DEP_2)
	v_pk_fma_f32 v[118:119], v[114:115], v[112:113], v[116:117] op_sel_hi:[1,0,1]
	v_pk_fma_f32 v[112:113], v[114:115], v[112:113], v[116:117] neg_lo:[0,0,1] neg_hi:[0,0,1]
	v_mov_b32_e32 v113, v119
	s_delay_alu instid0(VALU_DEP_1)
	v_pk_add_f32 v[108:109], v[108:109], v[112:113]
	s_and_not1_b32 exec_lo, exec_lo, s0
	s_cbranch_execnz .LBB115_242
; %bb.243:
	s_or_b32 exec_lo, exec_lo, s0
.LBB115_244:
	s_delay_alu instid0(SALU_CYCLE_1) | instskip(SKIP_4) | instid1(VALU_DEP_1)
	s_or_b32 exec_lo, exec_lo, s35
	v_mov_b32_e32 v110, 0
	ds_load_b64 v[110:111], v110 offset:216
	s_wait_dscnt 0x0
	v_pk_mul_f32 v[112:113], v[108:109], v[110:111] op_sel:[1,1] op_sel_hi:[0,1]
	v_pk_fma_f32 v[114:115], v[108:109], v[110:111], v[112:113] op_sel_hi:[1,0,1]
	v_pk_fma_f32 v[108:109], v[108:109], v[110:111], v[112:113] neg_lo:[0,0,1] neg_hi:[0,0,1]
	s_delay_alu instid0(VALU_DEP_2)
	v_mov_b32_e32 v109, v115
	scratch_store_b64 off, v[108:109], off offset:216
.LBB115_245:
	s_wait_xcnt 0x0
	s_or_b32 exec_lo, exec_lo, s34
	scratch_load_b64 v[108:109], off, off offset:208
	v_cmp_lt_u32_e64 s0, 26, v0
	s_wait_loadcnt 0x0
	ds_store_b64 v1, v[108:109]
	s_wait_storecnt_dscnt 0x0
	s_barrier_signal -1
	s_barrier_wait -1
	s_wait_xcnt 0x0
	s_and_saveexec_b32 s33, s0
	s_cbranch_execz .LBB115_255
; %bb.246:
	s_and_not1_b32 vcc_lo, exec_lo, s3
	s_cbranch_vccnz .LBB115_248
; %bb.247:
	scratch_load_b64 v[108:109], v59, off
	ds_load_b64 v[110:111], v1
	s_wait_loadcnt_dscnt 0x0
	v_pk_mul_f32 v[112:113], v[110:111], v[108:109] op_sel:[1,1] op_sel_hi:[0,1]
	s_delay_alu instid0(VALU_DEP_1) | instskip(SKIP_1) | instid1(VALU_DEP_2)
	v_pk_fma_f32 v[114:115], v[110:111], v[108:109], v[112:113] op_sel_hi:[1,0,1]
	v_pk_fma_f32 v[108:109], v[110:111], v[108:109], v[112:113] neg_lo:[0,0,1] neg_hi:[0,0,1]
	v_mov_b32_e32 v109, v115
	s_cbranch_execz .LBB115_249
	s_branch .LBB115_250
.LBB115_248:
                                        ; implicit-def: $vgpr108_vgpr109
.LBB115_249:
	ds_load_b64 v[108:109], v1
.LBB115_250:
	s_and_saveexec_b32 s34, s1
	s_cbranch_execz .LBB115_254
; %bb.251:
	v_subrev_nc_u32_e32 v110, 27, v0
	s_movk_i32 s35, 0x278
	s_mov_b32 s1, 0
.LBB115_252:                            ; =>This Inner Loop Header: Depth=1
	scratch_load_b64 v[112:113], off, s31
	v_dual_mov_b32 v111, s35 :: v_dual_add_nc_u32 v110, -1, v110
	s_add_co_i32 s35, s35, 8
	s_wait_xcnt 0x0
	s_add_co_i32 s31, s31, 8
	ds_load_b64 v[114:115], v111
	v_cmp_eq_u32_e32 vcc_lo, 0, v110
	s_or_b32 s1, vcc_lo, s1
	s_wait_loadcnt_dscnt 0x0
	v_pk_mul_f32 v[116:117], v[114:115], v[112:113] op_sel:[1,1] op_sel_hi:[0,1]
	s_delay_alu instid0(VALU_DEP_1) | instskip(SKIP_1) | instid1(VALU_DEP_2)
	v_pk_fma_f32 v[118:119], v[114:115], v[112:113], v[116:117] op_sel_hi:[1,0,1]
	v_pk_fma_f32 v[112:113], v[114:115], v[112:113], v[116:117] neg_lo:[0,0,1] neg_hi:[0,0,1]
	v_mov_b32_e32 v113, v119
	s_delay_alu instid0(VALU_DEP_1)
	v_pk_add_f32 v[108:109], v[108:109], v[112:113]
	s_and_not1_b32 exec_lo, exec_lo, s1
	s_cbranch_execnz .LBB115_252
; %bb.253:
	s_or_b32 exec_lo, exec_lo, s1
.LBB115_254:
	s_delay_alu instid0(SALU_CYCLE_1) | instskip(SKIP_4) | instid1(VALU_DEP_1)
	s_or_b32 exec_lo, exec_lo, s34
	v_mov_b32_e32 v110, 0
	ds_load_b64 v[110:111], v110 offset:208
	s_wait_dscnt 0x0
	v_pk_mul_f32 v[112:113], v[108:109], v[110:111] op_sel:[1,1] op_sel_hi:[0,1]
	v_pk_fma_f32 v[114:115], v[108:109], v[110:111], v[112:113] op_sel_hi:[1,0,1]
	v_pk_fma_f32 v[108:109], v[108:109], v[110:111], v[112:113] neg_lo:[0,0,1] neg_hi:[0,0,1]
	s_delay_alu instid0(VALU_DEP_2)
	v_mov_b32_e32 v109, v115
	scratch_store_b64 off, v[108:109], off offset:208
.LBB115_255:
	s_wait_xcnt 0x0
	s_or_b32 exec_lo, exec_lo, s33
	scratch_load_b64 v[108:109], off, off offset:200
	v_cmp_lt_u32_e64 s1, 25, v0
	s_wait_loadcnt 0x0
	ds_store_b64 v1, v[108:109]
	s_wait_storecnt_dscnt 0x0
	s_barrier_signal -1
	s_barrier_wait -1
	s_wait_xcnt 0x0
	s_and_saveexec_b32 s31, s1
	s_cbranch_execz .LBB115_265
; %bb.256:
	s_and_not1_b32 vcc_lo, exec_lo, s3
	s_cbranch_vccnz .LBB115_258
; %bb.257:
	scratch_load_b64 v[108:109], v59, off
	ds_load_b64 v[110:111], v1
	s_wait_loadcnt_dscnt 0x0
	v_pk_mul_f32 v[112:113], v[110:111], v[108:109] op_sel:[1,1] op_sel_hi:[0,1]
	s_delay_alu instid0(VALU_DEP_1) | instskip(SKIP_1) | instid1(VALU_DEP_2)
	v_pk_fma_f32 v[114:115], v[110:111], v[108:109], v[112:113] op_sel_hi:[1,0,1]
	v_pk_fma_f32 v[108:109], v[110:111], v[108:109], v[112:113] neg_lo:[0,0,1] neg_hi:[0,0,1]
	v_mov_b32_e32 v109, v115
	s_cbranch_execz .LBB115_259
	s_branch .LBB115_260
.LBB115_258:
                                        ; implicit-def: $vgpr108_vgpr109
.LBB115_259:
	ds_load_b64 v[108:109], v1
.LBB115_260:
	s_and_saveexec_b32 s33, s0
	s_cbranch_execz .LBB115_264
; %bb.261:
	v_subrev_nc_u32_e32 v110, 26, v0
	s_movk_i32 s34, 0x270
	s_mov_b32 s0, 0
.LBB115_262:                            ; =>This Inner Loop Header: Depth=1
	scratch_load_b64 v[112:113], off, s30
	v_dual_mov_b32 v111, s34 :: v_dual_add_nc_u32 v110, -1, v110
	s_add_co_i32 s34, s34, 8
	s_wait_xcnt 0x0
	s_add_co_i32 s30, s30, 8
	ds_load_b64 v[114:115], v111
	v_cmp_eq_u32_e32 vcc_lo, 0, v110
	s_or_b32 s0, vcc_lo, s0
	s_wait_loadcnt_dscnt 0x0
	v_pk_mul_f32 v[116:117], v[114:115], v[112:113] op_sel:[1,1] op_sel_hi:[0,1]
	s_delay_alu instid0(VALU_DEP_1) | instskip(SKIP_1) | instid1(VALU_DEP_2)
	v_pk_fma_f32 v[118:119], v[114:115], v[112:113], v[116:117] op_sel_hi:[1,0,1]
	v_pk_fma_f32 v[112:113], v[114:115], v[112:113], v[116:117] neg_lo:[0,0,1] neg_hi:[0,0,1]
	v_mov_b32_e32 v113, v119
	s_delay_alu instid0(VALU_DEP_1)
	v_pk_add_f32 v[108:109], v[108:109], v[112:113]
	s_and_not1_b32 exec_lo, exec_lo, s0
	s_cbranch_execnz .LBB115_262
; %bb.263:
	s_or_b32 exec_lo, exec_lo, s0
.LBB115_264:
	s_delay_alu instid0(SALU_CYCLE_1) | instskip(SKIP_4) | instid1(VALU_DEP_1)
	s_or_b32 exec_lo, exec_lo, s33
	v_mov_b32_e32 v110, 0
	ds_load_b64 v[110:111], v110 offset:200
	s_wait_dscnt 0x0
	v_pk_mul_f32 v[112:113], v[108:109], v[110:111] op_sel:[1,1] op_sel_hi:[0,1]
	v_pk_fma_f32 v[114:115], v[108:109], v[110:111], v[112:113] op_sel_hi:[1,0,1]
	v_pk_fma_f32 v[108:109], v[108:109], v[110:111], v[112:113] neg_lo:[0,0,1] neg_hi:[0,0,1]
	s_delay_alu instid0(VALU_DEP_2)
	v_mov_b32_e32 v109, v115
	scratch_store_b64 off, v[108:109], off offset:200
.LBB115_265:
	s_wait_xcnt 0x0
	s_or_b32 exec_lo, exec_lo, s31
	scratch_load_b64 v[108:109], off, off offset:192
	v_cmp_lt_u32_e64 s0, 24, v0
	s_wait_loadcnt 0x0
	ds_store_b64 v1, v[108:109]
	s_wait_storecnt_dscnt 0x0
	s_barrier_signal -1
	s_barrier_wait -1
	s_wait_xcnt 0x0
	s_and_saveexec_b32 s30, s0
	s_cbranch_execz .LBB115_275
; %bb.266:
	s_and_not1_b32 vcc_lo, exec_lo, s3
	s_cbranch_vccnz .LBB115_268
; %bb.267:
	scratch_load_b64 v[108:109], v59, off
	ds_load_b64 v[110:111], v1
	s_wait_loadcnt_dscnt 0x0
	v_pk_mul_f32 v[112:113], v[110:111], v[108:109] op_sel:[1,1] op_sel_hi:[0,1]
	s_delay_alu instid0(VALU_DEP_1) | instskip(SKIP_1) | instid1(VALU_DEP_2)
	v_pk_fma_f32 v[114:115], v[110:111], v[108:109], v[112:113] op_sel_hi:[1,0,1]
	v_pk_fma_f32 v[108:109], v[110:111], v[108:109], v[112:113] neg_lo:[0,0,1] neg_hi:[0,0,1]
	v_mov_b32_e32 v109, v115
	s_cbranch_execz .LBB115_269
	s_branch .LBB115_270
.LBB115_268:
                                        ; implicit-def: $vgpr108_vgpr109
.LBB115_269:
	ds_load_b64 v[108:109], v1
.LBB115_270:
	s_and_saveexec_b32 s31, s1
	s_cbranch_execz .LBB115_274
; %bb.271:
	v_subrev_nc_u32_e32 v110, 25, v0
	s_movk_i32 s33, 0x268
	s_mov_b32 s1, 0
.LBB115_272:                            ; =>This Inner Loop Header: Depth=1
	scratch_load_b64 v[112:113], off, s29
	v_dual_mov_b32 v111, s33 :: v_dual_add_nc_u32 v110, -1, v110
	s_add_co_i32 s33, s33, 8
	s_wait_xcnt 0x0
	s_add_co_i32 s29, s29, 8
	ds_load_b64 v[114:115], v111
	v_cmp_eq_u32_e32 vcc_lo, 0, v110
	s_or_b32 s1, vcc_lo, s1
	s_wait_loadcnt_dscnt 0x0
	v_pk_mul_f32 v[116:117], v[114:115], v[112:113] op_sel:[1,1] op_sel_hi:[0,1]
	s_delay_alu instid0(VALU_DEP_1) | instskip(SKIP_1) | instid1(VALU_DEP_2)
	v_pk_fma_f32 v[118:119], v[114:115], v[112:113], v[116:117] op_sel_hi:[1,0,1]
	v_pk_fma_f32 v[112:113], v[114:115], v[112:113], v[116:117] neg_lo:[0,0,1] neg_hi:[0,0,1]
	v_mov_b32_e32 v113, v119
	s_delay_alu instid0(VALU_DEP_1)
	v_pk_add_f32 v[108:109], v[108:109], v[112:113]
	s_and_not1_b32 exec_lo, exec_lo, s1
	s_cbranch_execnz .LBB115_272
; %bb.273:
	s_or_b32 exec_lo, exec_lo, s1
.LBB115_274:
	s_delay_alu instid0(SALU_CYCLE_1) | instskip(SKIP_4) | instid1(VALU_DEP_1)
	s_or_b32 exec_lo, exec_lo, s31
	v_mov_b32_e32 v110, 0
	ds_load_b64 v[110:111], v110 offset:192
	s_wait_dscnt 0x0
	v_pk_mul_f32 v[112:113], v[108:109], v[110:111] op_sel:[1,1] op_sel_hi:[0,1]
	v_pk_fma_f32 v[114:115], v[108:109], v[110:111], v[112:113] op_sel_hi:[1,0,1]
	v_pk_fma_f32 v[108:109], v[108:109], v[110:111], v[112:113] neg_lo:[0,0,1] neg_hi:[0,0,1]
	s_delay_alu instid0(VALU_DEP_2)
	v_mov_b32_e32 v109, v115
	scratch_store_b64 off, v[108:109], off offset:192
.LBB115_275:
	s_wait_xcnt 0x0
	s_or_b32 exec_lo, exec_lo, s30
	scratch_load_b64 v[108:109], off, off offset:184
	v_cmp_lt_u32_e64 s1, 23, v0
	s_wait_loadcnt 0x0
	ds_store_b64 v1, v[108:109]
	s_wait_storecnt_dscnt 0x0
	s_barrier_signal -1
	s_barrier_wait -1
	s_wait_xcnt 0x0
	s_and_saveexec_b32 s29, s1
	s_cbranch_execz .LBB115_285
; %bb.276:
	s_and_not1_b32 vcc_lo, exec_lo, s3
	s_cbranch_vccnz .LBB115_278
; %bb.277:
	scratch_load_b64 v[108:109], v59, off
	ds_load_b64 v[110:111], v1
	s_wait_loadcnt_dscnt 0x0
	v_pk_mul_f32 v[112:113], v[110:111], v[108:109] op_sel:[1,1] op_sel_hi:[0,1]
	s_delay_alu instid0(VALU_DEP_1) | instskip(SKIP_1) | instid1(VALU_DEP_2)
	v_pk_fma_f32 v[114:115], v[110:111], v[108:109], v[112:113] op_sel_hi:[1,0,1]
	v_pk_fma_f32 v[108:109], v[110:111], v[108:109], v[112:113] neg_lo:[0,0,1] neg_hi:[0,0,1]
	v_mov_b32_e32 v109, v115
	s_cbranch_execz .LBB115_279
	s_branch .LBB115_280
.LBB115_278:
                                        ; implicit-def: $vgpr108_vgpr109
.LBB115_279:
	ds_load_b64 v[108:109], v1
.LBB115_280:
	s_and_saveexec_b32 s30, s0
	s_cbranch_execz .LBB115_284
; %bb.281:
	v_subrev_nc_u32_e32 v110, 24, v0
	s_movk_i32 s31, 0x260
	s_mov_b32 s0, 0
.LBB115_282:                            ; =>This Inner Loop Header: Depth=1
	scratch_load_b64 v[112:113], off, s28
	v_dual_mov_b32 v111, s31 :: v_dual_add_nc_u32 v110, -1, v110
	s_add_co_i32 s31, s31, 8
	s_wait_xcnt 0x0
	s_add_co_i32 s28, s28, 8
	ds_load_b64 v[114:115], v111
	v_cmp_eq_u32_e32 vcc_lo, 0, v110
	s_or_b32 s0, vcc_lo, s0
	s_wait_loadcnt_dscnt 0x0
	v_pk_mul_f32 v[116:117], v[114:115], v[112:113] op_sel:[1,1] op_sel_hi:[0,1]
	s_delay_alu instid0(VALU_DEP_1) | instskip(SKIP_1) | instid1(VALU_DEP_2)
	v_pk_fma_f32 v[118:119], v[114:115], v[112:113], v[116:117] op_sel_hi:[1,0,1]
	v_pk_fma_f32 v[112:113], v[114:115], v[112:113], v[116:117] neg_lo:[0,0,1] neg_hi:[0,0,1]
	v_mov_b32_e32 v113, v119
	s_delay_alu instid0(VALU_DEP_1)
	v_pk_add_f32 v[108:109], v[108:109], v[112:113]
	s_and_not1_b32 exec_lo, exec_lo, s0
	s_cbranch_execnz .LBB115_282
; %bb.283:
	s_or_b32 exec_lo, exec_lo, s0
.LBB115_284:
	s_delay_alu instid0(SALU_CYCLE_1) | instskip(SKIP_4) | instid1(VALU_DEP_1)
	s_or_b32 exec_lo, exec_lo, s30
	v_mov_b32_e32 v110, 0
	ds_load_b64 v[110:111], v110 offset:184
	s_wait_dscnt 0x0
	v_pk_mul_f32 v[112:113], v[108:109], v[110:111] op_sel:[1,1] op_sel_hi:[0,1]
	v_pk_fma_f32 v[114:115], v[108:109], v[110:111], v[112:113] op_sel_hi:[1,0,1]
	v_pk_fma_f32 v[108:109], v[108:109], v[110:111], v[112:113] neg_lo:[0,0,1] neg_hi:[0,0,1]
	s_delay_alu instid0(VALU_DEP_2)
	v_mov_b32_e32 v109, v115
	scratch_store_b64 off, v[108:109], off offset:184
.LBB115_285:
	s_wait_xcnt 0x0
	s_or_b32 exec_lo, exec_lo, s29
	scratch_load_b64 v[108:109], off, off offset:176
	v_cmp_lt_u32_e64 s0, 22, v0
	s_wait_loadcnt 0x0
	ds_store_b64 v1, v[108:109]
	s_wait_storecnt_dscnt 0x0
	s_barrier_signal -1
	s_barrier_wait -1
	s_wait_xcnt 0x0
	s_and_saveexec_b32 s28, s0
	s_cbranch_execz .LBB115_295
; %bb.286:
	s_and_not1_b32 vcc_lo, exec_lo, s3
	s_cbranch_vccnz .LBB115_288
; %bb.287:
	scratch_load_b64 v[108:109], v59, off
	ds_load_b64 v[110:111], v1
	s_wait_loadcnt_dscnt 0x0
	v_pk_mul_f32 v[112:113], v[110:111], v[108:109] op_sel:[1,1] op_sel_hi:[0,1]
	s_delay_alu instid0(VALU_DEP_1) | instskip(SKIP_1) | instid1(VALU_DEP_2)
	v_pk_fma_f32 v[114:115], v[110:111], v[108:109], v[112:113] op_sel_hi:[1,0,1]
	v_pk_fma_f32 v[108:109], v[110:111], v[108:109], v[112:113] neg_lo:[0,0,1] neg_hi:[0,0,1]
	v_mov_b32_e32 v109, v115
	s_cbranch_execz .LBB115_289
	s_branch .LBB115_290
.LBB115_288:
                                        ; implicit-def: $vgpr108_vgpr109
.LBB115_289:
	ds_load_b64 v[108:109], v1
.LBB115_290:
	s_and_saveexec_b32 s29, s1
	s_cbranch_execz .LBB115_294
; %bb.291:
	v_subrev_nc_u32_e32 v110, 23, v0
	s_movk_i32 s30, 0x258
	s_mov_b32 s1, 0
.LBB115_292:                            ; =>This Inner Loop Header: Depth=1
	scratch_load_b64 v[112:113], off, s27
	v_dual_mov_b32 v111, s30 :: v_dual_add_nc_u32 v110, -1, v110
	s_add_co_i32 s30, s30, 8
	s_wait_xcnt 0x0
	s_add_co_i32 s27, s27, 8
	ds_load_b64 v[114:115], v111
	v_cmp_eq_u32_e32 vcc_lo, 0, v110
	s_or_b32 s1, vcc_lo, s1
	s_wait_loadcnt_dscnt 0x0
	v_pk_mul_f32 v[116:117], v[114:115], v[112:113] op_sel:[1,1] op_sel_hi:[0,1]
	s_delay_alu instid0(VALU_DEP_1) | instskip(SKIP_1) | instid1(VALU_DEP_2)
	v_pk_fma_f32 v[118:119], v[114:115], v[112:113], v[116:117] op_sel_hi:[1,0,1]
	v_pk_fma_f32 v[112:113], v[114:115], v[112:113], v[116:117] neg_lo:[0,0,1] neg_hi:[0,0,1]
	v_mov_b32_e32 v113, v119
	s_delay_alu instid0(VALU_DEP_1)
	v_pk_add_f32 v[108:109], v[108:109], v[112:113]
	s_and_not1_b32 exec_lo, exec_lo, s1
	s_cbranch_execnz .LBB115_292
; %bb.293:
	s_or_b32 exec_lo, exec_lo, s1
.LBB115_294:
	s_delay_alu instid0(SALU_CYCLE_1) | instskip(SKIP_4) | instid1(VALU_DEP_1)
	s_or_b32 exec_lo, exec_lo, s29
	v_mov_b32_e32 v110, 0
	ds_load_b64 v[110:111], v110 offset:176
	s_wait_dscnt 0x0
	v_pk_mul_f32 v[112:113], v[108:109], v[110:111] op_sel:[1,1] op_sel_hi:[0,1]
	v_pk_fma_f32 v[114:115], v[108:109], v[110:111], v[112:113] op_sel_hi:[1,0,1]
	v_pk_fma_f32 v[108:109], v[108:109], v[110:111], v[112:113] neg_lo:[0,0,1] neg_hi:[0,0,1]
	s_delay_alu instid0(VALU_DEP_2)
	v_mov_b32_e32 v109, v115
	scratch_store_b64 off, v[108:109], off offset:176
.LBB115_295:
	s_wait_xcnt 0x0
	s_or_b32 exec_lo, exec_lo, s28
	scratch_load_b64 v[108:109], off, off offset:168
	v_cmp_lt_u32_e64 s1, 21, v0
	s_wait_loadcnt 0x0
	ds_store_b64 v1, v[108:109]
	s_wait_storecnt_dscnt 0x0
	s_barrier_signal -1
	s_barrier_wait -1
	s_wait_xcnt 0x0
	s_and_saveexec_b32 s27, s1
	s_cbranch_execz .LBB115_305
; %bb.296:
	s_and_not1_b32 vcc_lo, exec_lo, s3
	s_cbranch_vccnz .LBB115_298
; %bb.297:
	scratch_load_b64 v[108:109], v59, off
	ds_load_b64 v[110:111], v1
	s_wait_loadcnt_dscnt 0x0
	v_pk_mul_f32 v[112:113], v[110:111], v[108:109] op_sel:[1,1] op_sel_hi:[0,1]
	s_delay_alu instid0(VALU_DEP_1) | instskip(SKIP_1) | instid1(VALU_DEP_2)
	v_pk_fma_f32 v[114:115], v[110:111], v[108:109], v[112:113] op_sel_hi:[1,0,1]
	v_pk_fma_f32 v[108:109], v[110:111], v[108:109], v[112:113] neg_lo:[0,0,1] neg_hi:[0,0,1]
	v_mov_b32_e32 v109, v115
	s_cbranch_execz .LBB115_299
	s_branch .LBB115_300
.LBB115_298:
                                        ; implicit-def: $vgpr108_vgpr109
.LBB115_299:
	ds_load_b64 v[108:109], v1
.LBB115_300:
	s_and_saveexec_b32 s28, s0
	s_cbranch_execz .LBB115_304
; %bb.301:
	v_subrev_nc_u32_e32 v110, 22, v0
	s_movk_i32 s29, 0x250
	s_mov_b32 s0, 0
.LBB115_302:                            ; =>This Inner Loop Header: Depth=1
	scratch_load_b64 v[112:113], off, s26
	v_dual_mov_b32 v111, s29 :: v_dual_add_nc_u32 v110, -1, v110
	s_add_co_i32 s29, s29, 8
	s_wait_xcnt 0x0
	s_add_co_i32 s26, s26, 8
	ds_load_b64 v[114:115], v111
	v_cmp_eq_u32_e32 vcc_lo, 0, v110
	s_or_b32 s0, vcc_lo, s0
	s_wait_loadcnt_dscnt 0x0
	v_pk_mul_f32 v[116:117], v[114:115], v[112:113] op_sel:[1,1] op_sel_hi:[0,1]
	s_delay_alu instid0(VALU_DEP_1) | instskip(SKIP_1) | instid1(VALU_DEP_2)
	v_pk_fma_f32 v[118:119], v[114:115], v[112:113], v[116:117] op_sel_hi:[1,0,1]
	v_pk_fma_f32 v[112:113], v[114:115], v[112:113], v[116:117] neg_lo:[0,0,1] neg_hi:[0,0,1]
	v_mov_b32_e32 v113, v119
	s_delay_alu instid0(VALU_DEP_1)
	v_pk_add_f32 v[108:109], v[108:109], v[112:113]
	s_and_not1_b32 exec_lo, exec_lo, s0
	s_cbranch_execnz .LBB115_302
; %bb.303:
	s_or_b32 exec_lo, exec_lo, s0
.LBB115_304:
	s_delay_alu instid0(SALU_CYCLE_1) | instskip(SKIP_4) | instid1(VALU_DEP_1)
	s_or_b32 exec_lo, exec_lo, s28
	v_mov_b32_e32 v110, 0
	ds_load_b64 v[110:111], v110 offset:168
	s_wait_dscnt 0x0
	v_pk_mul_f32 v[112:113], v[108:109], v[110:111] op_sel:[1,1] op_sel_hi:[0,1]
	v_pk_fma_f32 v[114:115], v[108:109], v[110:111], v[112:113] op_sel_hi:[1,0,1]
	v_pk_fma_f32 v[108:109], v[108:109], v[110:111], v[112:113] neg_lo:[0,0,1] neg_hi:[0,0,1]
	s_delay_alu instid0(VALU_DEP_2)
	v_mov_b32_e32 v109, v115
	scratch_store_b64 off, v[108:109], off offset:168
.LBB115_305:
	s_wait_xcnt 0x0
	s_or_b32 exec_lo, exec_lo, s27
	scratch_load_b64 v[108:109], off, off offset:160
	v_cmp_lt_u32_e64 s0, 20, v0
	s_wait_loadcnt 0x0
	ds_store_b64 v1, v[108:109]
	s_wait_storecnt_dscnt 0x0
	s_barrier_signal -1
	s_barrier_wait -1
	s_wait_xcnt 0x0
	s_and_saveexec_b32 s26, s0
	s_cbranch_execz .LBB115_315
; %bb.306:
	s_and_not1_b32 vcc_lo, exec_lo, s3
	s_cbranch_vccnz .LBB115_308
; %bb.307:
	scratch_load_b64 v[108:109], v59, off
	ds_load_b64 v[110:111], v1
	s_wait_loadcnt_dscnt 0x0
	v_pk_mul_f32 v[112:113], v[110:111], v[108:109] op_sel:[1,1] op_sel_hi:[0,1]
	s_delay_alu instid0(VALU_DEP_1) | instskip(SKIP_1) | instid1(VALU_DEP_2)
	v_pk_fma_f32 v[114:115], v[110:111], v[108:109], v[112:113] op_sel_hi:[1,0,1]
	v_pk_fma_f32 v[108:109], v[110:111], v[108:109], v[112:113] neg_lo:[0,0,1] neg_hi:[0,0,1]
	v_mov_b32_e32 v109, v115
	s_cbranch_execz .LBB115_309
	s_branch .LBB115_310
.LBB115_308:
                                        ; implicit-def: $vgpr108_vgpr109
.LBB115_309:
	ds_load_b64 v[108:109], v1
.LBB115_310:
	s_and_saveexec_b32 s27, s1
	s_cbranch_execz .LBB115_314
; %bb.311:
	v_subrev_nc_u32_e32 v110, 21, v0
	s_movk_i32 s28, 0x248
	s_mov_b32 s1, 0
.LBB115_312:                            ; =>This Inner Loop Header: Depth=1
	scratch_load_b64 v[112:113], off, s25
	v_dual_mov_b32 v111, s28 :: v_dual_add_nc_u32 v110, -1, v110
	s_add_co_i32 s28, s28, 8
	s_wait_xcnt 0x0
	s_add_co_i32 s25, s25, 8
	ds_load_b64 v[114:115], v111
	v_cmp_eq_u32_e32 vcc_lo, 0, v110
	s_or_b32 s1, vcc_lo, s1
	s_wait_loadcnt_dscnt 0x0
	v_pk_mul_f32 v[116:117], v[114:115], v[112:113] op_sel:[1,1] op_sel_hi:[0,1]
	s_delay_alu instid0(VALU_DEP_1) | instskip(SKIP_1) | instid1(VALU_DEP_2)
	v_pk_fma_f32 v[118:119], v[114:115], v[112:113], v[116:117] op_sel_hi:[1,0,1]
	v_pk_fma_f32 v[112:113], v[114:115], v[112:113], v[116:117] neg_lo:[0,0,1] neg_hi:[0,0,1]
	v_mov_b32_e32 v113, v119
	s_delay_alu instid0(VALU_DEP_1)
	v_pk_add_f32 v[108:109], v[108:109], v[112:113]
	s_and_not1_b32 exec_lo, exec_lo, s1
	s_cbranch_execnz .LBB115_312
; %bb.313:
	s_or_b32 exec_lo, exec_lo, s1
.LBB115_314:
	s_delay_alu instid0(SALU_CYCLE_1) | instskip(SKIP_4) | instid1(VALU_DEP_1)
	s_or_b32 exec_lo, exec_lo, s27
	v_mov_b32_e32 v110, 0
	ds_load_b64 v[110:111], v110 offset:160
	s_wait_dscnt 0x0
	v_pk_mul_f32 v[112:113], v[108:109], v[110:111] op_sel:[1,1] op_sel_hi:[0,1]
	v_pk_fma_f32 v[114:115], v[108:109], v[110:111], v[112:113] op_sel_hi:[1,0,1]
	v_pk_fma_f32 v[108:109], v[108:109], v[110:111], v[112:113] neg_lo:[0,0,1] neg_hi:[0,0,1]
	s_delay_alu instid0(VALU_DEP_2)
	v_mov_b32_e32 v109, v115
	scratch_store_b64 off, v[108:109], off offset:160
.LBB115_315:
	s_wait_xcnt 0x0
	s_or_b32 exec_lo, exec_lo, s26
	scratch_load_b64 v[108:109], off, off offset:152
	v_cmp_lt_u32_e64 s1, 19, v0
	s_wait_loadcnt 0x0
	ds_store_b64 v1, v[108:109]
	s_wait_storecnt_dscnt 0x0
	s_barrier_signal -1
	s_barrier_wait -1
	s_wait_xcnt 0x0
	s_and_saveexec_b32 s25, s1
	s_cbranch_execz .LBB115_325
; %bb.316:
	s_and_not1_b32 vcc_lo, exec_lo, s3
	s_cbranch_vccnz .LBB115_318
; %bb.317:
	scratch_load_b64 v[108:109], v59, off
	ds_load_b64 v[110:111], v1
	s_wait_loadcnt_dscnt 0x0
	v_pk_mul_f32 v[112:113], v[110:111], v[108:109] op_sel:[1,1] op_sel_hi:[0,1]
	s_delay_alu instid0(VALU_DEP_1) | instskip(SKIP_1) | instid1(VALU_DEP_2)
	v_pk_fma_f32 v[114:115], v[110:111], v[108:109], v[112:113] op_sel_hi:[1,0,1]
	v_pk_fma_f32 v[108:109], v[110:111], v[108:109], v[112:113] neg_lo:[0,0,1] neg_hi:[0,0,1]
	v_mov_b32_e32 v109, v115
	s_cbranch_execz .LBB115_319
	s_branch .LBB115_320
.LBB115_318:
                                        ; implicit-def: $vgpr108_vgpr109
.LBB115_319:
	ds_load_b64 v[108:109], v1
.LBB115_320:
	s_and_saveexec_b32 s26, s0
	s_cbranch_execz .LBB115_324
; %bb.321:
	v_subrev_nc_u32_e32 v110, 20, v0
	s_movk_i32 s27, 0x240
	s_mov_b32 s0, 0
.LBB115_322:                            ; =>This Inner Loop Header: Depth=1
	scratch_load_b64 v[112:113], off, s24
	v_dual_mov_b32 v111, s27 :: v_dual_add_nc_u32 v110, -1, v110
	s_add_co_i32 s27, s27, 8
	s_wait_xcnt 0x0
	s_add_co_i32 s24, s24, 8
	ds_load_b64 v[114:115], v111
	v_cmp_eq_u32_e32 vcc_lo, 0, v110
	s_or_b32 s0, vcc_lo, s0
	s_wait_loadcnt_dscnt 0x0
	v_pk_mul_f32 v[116:117], v[114:115], v[112:113] op_sel:[1,1] op_sel_hi:[0,1]
	s_delay_alu instid0(VALU_DEP_1) | instskip(SKIP_1) | instid1(VALU_DEP_2)
	v_pk_fma_f32 v[118:119], v[114:115], v[112:113], v[116:117] op_sel_hi:[1,0,1]
	v_pk_fma_f32 v[112:113], v[114:115], v[112:113], v[116:117] neg_lo:[0,0,1] neg_hi:[0,0,1]
	v_mov_b32_e32 v113, v119
	s_delay_alu instid0(VALU_DEP_1)
	v_pk_add_f32 v[108:109], v[108:109], v[112:113]
	s_and_not1_b32 exec_lo, exec_lo, s0
	s_cbranch_execnz .LBB115_322
; %bb.323:
	s_or_b32 exec_lo, exec_lo, s0
.LBB115_324:
	s_delay_alu instid0(SALU_CYCLE_1) | instskip(SKIP_4) | instid1(VALU_DEP_1)
	s_or_b32 exec_lo, exec_lo, s26
	v_mov_b32_e32 v110, 0
	ds_load_b64 v[110:111], v110 offset:152
	s_wait_dscnt 0x0
	v_pk_mul_f32 v[112:113], v[108:109], v[110:111] op_sel:[1,1] op_sel_hi:[0,1]
	v_pk_fma_f32 v[114:115], v[108:109], v[110:111], v[112:113] op_sel_hi:[1,0,1]
	v_pk_fma_f32 v[108:109], v[108:109], v[110:111], v[112:113] neg_lo:[0,0,1] neg_hi:[0,0,1]
	s_delay_alu instid0(VALU_DEP_2)
	v_mov_b32_e32 v109, v115
	scratch_store_b64 off, v[108:109], off offset:152
.LBB115_325:
	s_wait_xcnt 0x0
	s_or_b32 exec_lo, exec_lo, s25
	scratch_load_b64 v[108:109], off, off offset:144
	v_cmp_lt_u32_e64 s0, 18, v0
	s_wait_loadcnt 0x0
	ds_store_b64 v1, v[108:109]
	s_wait_storecnt_dscnt 0x0
	s_barrier_signal -1
	s_barrier_wait -1
	s_wait_xcnt 0x0
	s_and_saveexec_b32 s24, s0
	s_cbranch_execz .LBB115_335
; %bb.326:
	s_and_not1_b32 vcc_lo, exec_lo, s3
	s_cbranch_vccnz .LBB115_328
; %bb.327:
	scratch_load_b64 v[108:109], v59, off
	ds_load_b64 v[110:111], v1
	s_wait_loadcnt_dscnt 0x0
	v_pk_mul_f32 v[112:113], v[110:111], v[108:109] op_sel:[1,1] op_sel_hi:[0,1]
	s_delay_alu instid0(VALU_DEP_1) | instskip(SKIP_1) | instid1(VALU_DEP_2)
	v_pk_fma_f32 v[114:115], v[110:111], v[108:109], v[112:113] op_sel_hi:[1,0,1]
	v_pk_fma_f32 v[108:109], v[110:111], v[108:109], v[112:113] neg_lo:[0,0,1] neg_hi:[0,0,1]
	v_mov_b32_e32 v109, v115
	s_cbranch_execz .LBB115_329
	s_branch .LBB115_330
.LBB115_328:
                                        ; implicit-def: $vgpr108_vgpr109
.LBB115_329:
	ds_load_b64 v[108:109], v1
.LBB115_330:
	s_and_saveexec_b32 s25, s1
	s_cbranch_execz .LBB115_334
; %bb.331:
	v_subrev_nc_u32_e32 v110, 19, v0
	s_movk_i32 s26, 0x238
	s_mov_b32 s1, 0
.LBB115_332:                            ; =>This Inner Loop Header: Depth=1
	scratch_load_b64 v[112:113], off, s23
	v_dual_mov_b32 v111, s26 :: v_dual_add_nc_u32 v110, -1, v110
	s_add_co_i32 s26, s26, 8
	s_wait_xcnt 0x0
	s_add_co_i32 s23, s23, 8
	ds_load_b64 v[114:115], v111
	v_cmp_eq_u32_e32 vcc_lo, 0, v110
	s_or_b32 s1, vcc_lo, s1
	s_wait_loadcnt_dscnt 0x0
	v_pk_mul_f32 v[116:117], v[114:115], v[112:113] op_sel:[1,1] op_sel_hi:[0,1]
	s_delay_alu instid0(VALU_DEP_1) | instskip(SKIP_1) | instid1(VALU_DEP_2)
	v_pk_fma_f32 v[118:119], v[114:115], v[112:113], v[116:117] op_sel_hi:[1,0,1]
	v_pk_fma_f32 v[112:113], v[114:115], v[112:113], v[116:117] neg_lo:[0,0,1] neg_hi:[0,0,1]
	v_mov_b32_e32 v113, v119
	s_delay_alu instid0(VALU_DEP_1)
	v_pk_add_f32 v[108:109], v[108:109], v[112:113]
	s_and_not1_b32 exec_lo, exec_lo, s1
	s_cbranch_execnz .LBB115_332
; %bb.333:
	s_or_b32 exec_lo, exec_lo, s1
.LBB115_334:
	s_delay_alu instid0(SALU_CYCLE_1) | instskip(SKIP_4) | instid1(VALU_DEP_1)
	s_or_b32 exec_lo, exec_lo, s25
	v_mov_b32_e32 v110, 0
	ds_load_b64 v[110:111], v110 offset:144
	s_wait_dscnt 0x0
	v_pk_mul_f32 v[112:113], v[108:109], v[110:111] op_sel:[1,1] op_sel_hi:[0,1]
	v_pk_fma_f32 v[114:115], v[108:109], v[110:111], v[112:113] op_sel_hi:[1,0,1]
	v_pk_fma_f32 v[108:109], v[108:109], v[110:111], v[112:113] neg_lo:[0,0,1] neg_hi:[0,0,1]
	s_delay_alu instid0(VALU_DEP_2)
	v_mov_b32_e32 v109, v115
	scratch_store_b64 off, v[108:109], off offset:144
.LBB115_335:
	s_wait_xcnt 0x0
	s_or_b32 exec_lo, exec_lo, s24
	scratch_load_b64 v[108:109], off, off offset:136
	v_cmp_lt_u32_e64 s1, 17, v0
	s_wait_loadcnt 0x0
	ds_store_b64 v1, v[108:109]
	s_wait_storecnt_dscnt 0x0
	s_barrier_signal -1
	s_barrier_wait -1
	s_wait_xcnt 0x0
	s_and_saveexec_b32 s23, s1
	s_cbranch_execz .LBB115_345
; %bb.336:
	s_and_not1_b32 vcc_lo, exec_lo, s3
	s_cbranch_vccnz .LBB115_338
; %bb.337:
	scratch_load_b64 v[108:109], v59, off
	ds_load_b64 v[110:111], v1
	s_wait_loadcnt_dscnt 0x0
	v_pk_mul_f32 v[112:113], v[110:111], v[108:109] op_sel:[1,1] op_sel_hi:[0,1]
	s_delay_alu instid0(VALU_DEP_1) | instskip(SKIP_1) | instid1(VALU_DEP_2)
	v_pk_fma_f32 v[114:115], v[110:111], v[108:109], v[112:113] op_sel_hi:[1,0,1]
	v_pk_fma_f32 v[108:109], v[110:111], v[108:109], v[112:113] neg_lo:[0,0,1] neg_hi:[0,0,1]
	v_mov_b32_e32 v109, v115
	s_cbranch_execz .LBB115_339
	s_branch .LBB115_340
.LBB115_338:
                                        ; implicit-def: $vgpr108_vgpr109
.LBB115_339:
	ds_load_b64 v[108:109], v1
.LBB115_340:
	s_and_saveexec_b32 s24, s0
	s_cbranch_execz .LBB115_344
; %bb.341:
	v_subrev_nc_u32_e32 v110, 18, v0
	s_movk_i32 s25, 0x230
	s_mov_b32 s0, 0
.LBB115_342:                            ; =>This Inner Loop Header: Depth=1
	scratch_load_b64 v[112:113], off, s22
	v_dual_mov_b32 v111, s25 :: v_dual_add_nc_u32 v110, -1, v110
	s_add_co_i32 s25, s25, 8
	s_wait_xcnt 0x0
	s_add_co_i32 s22, s22, 8
	ds_load_b64 v[114:115], v111
	v_cmp_eq_u32_e32 vcc_lo, 0, v110
	s_or_b32 s0, vcc_lo, s0
	s_wait_loadcnt_dscnt 0x0
	v_pk_mul_f32 v[116:117], v[114:115], v[112:113] op_sel:[1,1] op_sel_hi:[0,1]
	s_delay_alu instid0(VALU_DEP_1) | instskip(SKIP_1) | instid1(VALU_DEP_2)
	v_pk_fma_f32 v[118:119], v[114:115], v[112:113], v[116:117] op_sel_hi:[1,0,1]
	v_pk_fma_f32 v[112:113], v[114:115], v[112:113], v[116:117] neg_lo:[0,0,1] neg_hi:[0,0,1]
	v_mov_b32_e32 v113, v119
	s_delay_alu instid0(VALU_DEP_1)
	v_pk_add_f32 v[108:109], v[108:109], v[112:113]
	s_and_not1_b32 exec_lo, exec_lo, s0
	s_cbranch_execnz .LBB115_342
; %bb.343:
	s_or_b32 exec_lo, exec_lo, s0
.LBB115_344:
	s_delay_alu instid0(SALU_CYCLE_1) | instskip(SKIP_4) | instid1(VALU_DEP_1)
	s_or_b32 exec_lo, exec_lo, s24
	v_mov_b32_e32 v110, 0
	ds_load_b64 v[110:111], v110 offset:136
	s_wait_dscnt 0x0
	v_pk_mul_f32 v[112:113], v[108:109], v[110:111] op_sel:[1,1] op_sel_hi:[0,1]
	v_pk_fma_f32 v[114:115], v[108:109], v[110:111], v[112:113] op_sel_hi:[1,0,1]
	v_pk_fma_f32 v[108:109], v[108:109], v[110:111], v[112:113] neg_lo:[0,0,1] neg_hi:[0,0,1]
	s_delay_alu instid0(VALU_DEP_2)
	v_mov_b32_e32 v109, v115
	scratch_store_b64 off, v[108:109], off offset:136
.LBB115_345:
	s_wait_xcnt 0x0
	s_or_b32 exec_lo, exec_lo, s23
	scratch_load_b64 v[108:109], off, off offset:128
	v_cmp_lt_u32_e64 s0, 16, v0
	s_wait_loadcnt 0x0
	ds_store_b64 v1, v[108:109]
	s_wait_storecnt_dscnt 0x0
	s_barrier_signal -1
	s_barrier_wait -1
	s_wait_xcnt 0x0
	s_and_saveexec_b32 s22, s0
	s_cbranch_execz .LBB115_355
; %bb.346:
	s_and_not1_b32 vcc_lo, exec_lo, s3
	s_cbranch_vccnz .LBB115_348
; %bb.347:
	scratch_load_b64 v[108:109], v59, off
	ds_load_b64 v[110:111], v1
	s_wait_loadcnt_dscnt 0x0
	v_pk_mul_f32 v[112:113], v[110:111], v[108:109] op_sel:[1,1] op_sel_hi:[0,1]
	s_delay_alu instid0(VALU_DEP_1) | instskip(SKIP_1) | instid1(VALU_DEP_2)
	v_pk_fma_f32 v[114:115], v[110:111], v[108:109], v[112:113] op_sel_hi:[1,0,1]
	v_pk_fma_f32 v[108:109], v[110:111], v[108:109], v[112:113] neg_lo:[0,0,1] neg_hi:[0,0,1]
	v_mov_b32_e32 v109, v115
	s_cbranch_execz .LBB115_349
	s_branch .LBB115_350
.LBB115_348:
                                        ; implicit-def: $vgpr108_vgpr109
.LBB115_349:
	ds_load_b64 v[108:109], v1
.LBB115_350:
	s_and_saveexec_b32 s23, s1
	s_cbranch_execz .LBB115_354
; %bb.351:
	v_subrev_nc_u32_e32 v110, 17, v0
	s_movk_i32 s24, 0x228
	s_mov_b32 s1, 0
.LBB115_352:                            ; =>This Inner Loop Header: Depth=1
	scratch_load_b64 v[112:113], off, s21
	v_dual_mov_b32 v111, s24 :: v_dual_add_nc_u32 v110, -1, v110
	s_add_co_i32 s24, s24, 8
	s_wait_xcnt 0x0
	s_add_co_i32 s21, s21, 8
	ds_load_b64 v[114:115], v111
	v_cmp_eq_u32_e32 vcc_lo, 0, v110
	s_or_b32 s1, vcc_lo, s1
	s_wait_loadcnt_dscnt 0x0
	v_pk_mul_f32 v[116:117], v[114:115], v[112:113] op_sel:[1,1] op_sel_hi:[0,1]
	s_delay_alu instid0(VALU_DEP_1) | instskip(SKIP_1) | instid1(VALU_DEP_2)
	v_pk_fma_f32 v[118:119], v[114:115], v[112:113], v[116:117] op_sel_hi:[1,0,1]
	v_pk_fma_f32 v[112:113], v[114:115], v[112:113], v[116:117] neg_lo:[0,0,1] neg_hi:[0,0,1]
	v_mov_b32_e32 v113, v119
	s_delay_alu instid0(VALU_DEP_1)
	v_pk_add_f32 v[108:109], v[108:109], v[112:113]
	s_and_not1_b32 exec_lo, exec_lo, s1
	s_cbranch_execnz .LBB115_352
; %bb.353:
	s_or_b32 exec_lo, exec_lo, s1
.LBB115_354:
	s_delay_alu instid0(SALU_CYCLE_1) | instskip(SKIP_4) | instid1(VALU_DEP_1)
	s_or_b32 exec_lo, exec_lo, s23
	v_mov_b32_e32 v110, 0
	ds_load_b64 v[110:111], v110 offset:128
	s_wait_dscnt 0x0
	v_pk_mul_f32 v[112:113], v[108:109], v[110:111] op_sel:[1,1] op_sel_hi:[0,1]
	v_pk_fma_f32 v[114:115], v[108:109], v[110:111], v[112:113] op_sel_hi:[1,0,1]
	v_pk_fma_f32 v[108:109], v[108:109], v[110:111], v[112:113] neg_lo:[0,0,1] neg_hi:[0,0,1]
	s_delay_alu instid0(VALU_DEP_2)
	v_mov_b32_e32 v109, v115
	scratch_store_b64 off, v[108:109], off offset:128
.LBB115_355:
	s_wait_xcnt 0x0
	s_or_b32 exec_lo, exec_lo, s22
	scratch_load_b64 v[108:109], off, off offset:120
	v_cmp_lt_u32_e64 s1, 15, v0
	s_wait_loadcnt 0x0
	ds_store_b64 v1, v[108:109]
	s_wait_storecnt_dscnt 0x0
	s_barrier_signal -1
	s_barrier_wait -1
	s_wait_xcnt 0x0
	s_and_saveexec_b32 s21, s1
	s_cbranch_execz .LBB115_365
; %bb.356:
	s_and_not1_b32 vcc_lo, exec_lo, s3
	s_cbranch_vccnz .LBB115_358
; %bb.357:
	scratch_load_b64 v[108:109], v59, off
	ds_load_b64 v[110:111], v1
	s_wait_loadcnt_dscnt 0x0
	v_pk_mul_f32 v[112:113], v[110:111], v[108:109] op_sel:[1,1] op_sel_hi:[0,1]
	s_delay_alu instid0(VALU_DEP_1) | instskip(SKIP_1) | instid1(VALU_DEP_2)
	v_pk_fma_f32 v[114:115], v[110:111], v[108:109], v[112:113] op_sel_hi:[1,0,1]
	v_pk_fma_f32 v[108:109], v[110:111], v[108:109], v[112:113] neg_lo:[0,0,1] neg_hi:[0,0,1]
	v_mov_b32_e32 v109, v115
	s_cbranch_execz .LBB115_359
	s_branch .LBB115_360
.LBB115_358:
                                        ; implicit-def: $vgpr108_vgpr109
.LBB115_359:
	ds_load_b64 v[108:109], v1
.LBB115_360:
	s_and_saveexec_b32 s22, s0
	s_cbranch_execz .LBB115_364
; %bb.361:
	v_add_nc_u32_e32 v110, -16, v0
	s_movk_i32 s23, 0x220
	s_mov_b32 s0, 0
.LBB115_362:                            ; =>This Inner Loop Header: Depth=1
	scratch_load_b64 v[112:113], off, s20
	v_dual_mov_b32 v111, s23 :: v_dual_add_nc_u32 v110, -1, v110
	s_add_co_i32 s23, s23, 8
	s_wait_xcnt 0x0
	s_add_co_i32 s20, s20, 8
	ds_load_b64 v[114:115], v111
	v_cmp_eq_u32_e32 vcc_lo, 0, v110
	s_or_b32 s0, vcc_lo, s0
	s_wait_loadcnt_dscnt 0x0
	v_pk_mul_f32 v[116:117], v[114:115], v[112:113] op_sel:[1,1] op_sel_hi:[0,1]
	s_delay_alu instid0(VALU_DEP_1) | instskip(SKIP_1) | instid1(VALU_DEP_2)
	v_pk_fma_f32 v[118:119], v[114:115], v[112:113], v[116:117] op_sel_hi:[1,0,1]
	v_pk_fma_f32 v[112:113], v[114:115], v[112:113], v[116:117] neg_lo:[0,0,1] neg_hi:[0,0,1]
	v_mov_b32_e32 v113, v119
	s_delay_alu instid0(VALU_DEP_1)
	v_pk_add_f32 v[108:109], v[108:109], v[112:113]
	s_and_not1_b32 exec_lo, exec_lo, s0
	s_cbranch_execnz .LBB115_362
; %bb.363:
	s_or_b32 exec_lo, exec_lo, s0
.LBB115_364:
	s_delay_alu instid0(SALU_CYCLE_1) | instskip(SKIP_4) | instid1(VALU_DEP_1)
	s_or_b32 exec_lo, exec_lo, s22
	v_mov_b32_e32 v110, 0
	ds_load_b64 v[110:111], v110 offset:120
	s_wait_dscnt 0x0
	v_pk_mul_f32 v[112:113], v[108:109], v[110:111] op_sel:[1,1] op_sel_hi:[0,1]
	v_pk_fma_f32 v[114:115], v[108:109], v[110:111], v[112:113] op_sel_hi:[1,0,1]
	v_pk_fma_f32 v[108:109], v[108:109], v[110:111], v[112:113] neg_lo:[0,0,1] neg_hi:[0,0,1]
	s_delay_alu instid0(VALU_DEP_2)
	v_mov_b32_e32 v109, v115
	scratch_store_b64 off, v[108:109], off offset:120
.LBB115_365:
	s_wait_xcnt 0x0
	s_or_b32 exec_lo, exec_lo, s21
	scratch_load_b64 v[108:109], off, off offset:112
	v_cmp_lt_u32_e64 s0, 14, v0
	s_wait_loadcnt 0x0
	ds_store_b64 v1, v[108:109]
	s_wait_storecnt_dscnt 0x0
	s_barrier_signal -1
	s_barrier_wait -1
	s_wait_xcnt 0x0
	s_and_saveexec_b32 s20, s0
	s_cbranch_execz .LBB115_375
; %bb.366:
	s_and_not1_b32 vcc_lo, exec_lo, s3
	s_cbranch_vccnz .LBB115_368
; %bb.367:
	scratch_load_b64 v[108:109], v59, off
	ds_load_b64 v[110:111], v1
	s_wait_loadcnt_dscnt 0x0
	v_pk_mul_f32 v[112:113], v[110:111], v[108:109] op_sel:[1,1] op_sel_hi:[0,1]
	s_delay_alu instid0(VALU_DEP_1) | instskip(SKIP_1) | instid1(VALU_DEP_2)
	v_pk_fma_f32 v[114:115], v[110:111], v[108:109], v[112:113] op_sel_hi:[1,0,1]
	v_pk_fma_f32 v[108:109], v[110:111], v[108:109], v[112:113] neg_lo:[0,0,1] neg_hi:[0,0,1]
	v_mov_b32_e32 v109, v115
	s_cbranch_execz .LBB115_369
	s_branch .LBB115_370
.LBB115_368:
                                        ; implicit-def: $vgpr108_vgpr109
.LBB115_369:
	ds_load_b64 v[108:109], v1
.LBB115_370:
	s_and_saveexec_b32 s21, s1
	s_cbranch_execz .LBB115_374
; %bb.371:
	v_add_nc_u32_e32 v110, -15, v0
	s_movk_i32 s22, 0x218
	s_mov_b32 s1, 0
.LBB115_372:                            ; =>This Inner Loop Header: Depth=1
	scratch_load_b64 v[112:113], off, s19
	v_dual_mov_b32 v111, s22 :: v_dual_add_nc_u32 v110, -1, v110
	s_add_co_i32 s22, s22, 8
	s_wait_xcnt 0x0
	s_add_co_i32 s19, s19, 8
	ds_load_b64 v[114:115], v111
	v_cmp_eq_u32_e32 vcc_lo, 0, v110
	s_or_b32 s1, vcc_lo, s1
	s_wait_loadcnt_dscnt 0x0
	v_pk_mul_f32 v[116:117], v[114:115], v[112:113] op_sel:[1,1] op_sel_hi:[0,1]
	s_delay_alu instid0(VALU_DEP_1) | instskip(SKIP_1) | instid1(VALU_DEP_2)
	v_pk_fma_f32 v[118:119], v[114:115], v[112:113], v[116:117] op_sel_hi:[1,0,1]
	v_pk_fma_f32 v[112:113], v[114:115], v[112:113], v[116:117] neg_lo:[0,0,1] neg_hi:[0,0,1]
	v_mov_b32_e32 v113, v119
	s_delay_alu instid0(VALU_DEP_1)
	v_pk_add_f32 v[108:109], v[108:109], v[112:113]
	s_and_not1_b32 exec_lo, exec_lo, s1
	s_cbranch_execnz .LBB115_372
; %bb.373:
	s_or_b32 exec_lo, exec_lo, s1
.LBB115_374:
	s_delay_alu instid0(SALU_CYCLE_1) | instskip(SKIP_4) | instid1(VALU_DEP_1)
	s_or_b32 exec_lo, exec_lo, s21
	v_mov_b32_e32 v110, 0
	ds_load_b64 v[110:111], v110 offset:112
	s_wait_dscnt 0x0
	v_pk_mul_f32 v[112:113], v[108:109], v[110:111] op_sel:[1,1] op_sel_hi:[0,1]
	v_pk_fma_f32 v[114:115], v[108:109], v[110:111], v[112:113] op_sel_hi:[1,0,1]
	v_pk_fma_f32 v[108:109], v[108:109], v[110:111], v[112:113] neg_lo:[0,0,1] neg_hi:[0,0,1]
	s_delay_alu instid0(VALU_DEP_2)
	v_mov_b32_e32 v109, v115
	scratch_store_b64 off, v[108:109], off offset:112
.LBB115_375:
	s_wait_xcnt 0x0
	s_or_b32 exec_lo, exec_lo, s20
	scratch_load_b64 v[108:109], off, off offset:104
	v_cmp_lt_u32_e64 s1, 13, v0
	s_wait_loadcnt 0x0
	ds_store_b64 v1, v[108:109]
	s_wait_storecnt_dscnt 0x0
	s_barrier_signal -1
	s_barrier_wait -1
	s_wait_xcnt 0x0
	s_and_saveexec_b32 s19, s1
	s_cbranch_execz .LBB115_385
; %bb.376:
	s_and_not1_b32 vcc_lo, exec_lo, s3
	s_cbranch_vccnz .LBB115_378
; %bb.377:
	scratch_load_b64 v[108:109], v59, off
	ds_load_b64 v[110:111], v1
	s_wait_loadcnt_dscnt 0x0
	v_pk_mul_f32 v[112:113], v[110:111], v[108:109] op_sel:[1,1] op_sel_hi:[0,1]
	s_delay_alu instid0(VALU_DEP_1) | instskip(SKIP_1) | instid1(VALU_DEP_2)
	v_pk_fma_f32 v[114:115], v[110:111], v[108:109], v[112:113] op_sel_hi:[1,0,1]
	v_pk_fma_f32 v[108:109], v[110:111], v[108:109], v[112:113] neg_lo:[0,0,1] neg_hi:[0,0,1]
	v_mov_b32_e32 v109, v115
	s_cbranch_execz .LBB115_379
	s_branch .LBB115_380
.LBB115_378:
                                        ; implicit-def: $vgpr108_vgpr109
.LBB115_379:
	ds_load_b64 v[108:109], v1
.LBB115_380:
	s_and_saveexec_b32 s20, s0
	s_cbranch_execz .LBB115_384
; %bb.381:
	v_add_nc_u32_e32 v110, -14, v0
	s_movk_i32 s21, 0x210
	s_mov_b32 s0, 0
.LBB115_382:                            ; =>This Inner Loop Header: Depth=1
	scratch_load_b64 v[112:113], off, s18
	v_dual_mov_b32 v111, s21 :: v_dual_add_nc_u32 v110, -1, v110
	s_add_co_i32 s21, s21, 8
	s_wait_xcnt 0x0
	s_add_co_i32 s18, s18, 8
	ds_load_b64 v[114:115], v111
	v_cmp_eq_u32_e32 vcc_lo, 0, v110
	s_or_b32 s0, vcc_lo, s0
	s_wait_loadcnt_dscnt 0x0
	v_pk_mul_f32 v[116:117], v[114:115], v[112:113] op_sel:[1,1] op_sel_hi:[0,1]
	s_delay_alu instid0(VALU_DEP_1) | instskip(SKIP_1) | instid1(VALU_DEP_2)
	v_pk_fma_f32 v[118:119], v[114:115], v[112:113], v[116:117] op_sel_hi:[1,0,1]
	v_pk_fma_f32 v[112:113], v[114:115], v[112:113], v[116:117] neg_lo:[0,0,1] neg_hi:[0,0,1]
	v_mov_b32_e32 v113, v119
	s_delay_alu instid0(VALU_DEP_1)
	v_pk_add_f32 v[108:109], v[108:109], v[112:113]
	s_and_not1_b32 exec_lo, exec_lo, s0
	s_cbranch_execnz .LBB115_382
; %bb.383:
	s_or_b32 exec_lo, exec_lo, s0
.LBB115_384:
	s_delay_alu instid0(SALU_CYCLE_1) | instskip(SKIP_4) | instid1(VALU_DEP_1)
	s_or_b32 exec_lo, exec_lo, s20
	v_mov_b32_e32 v110, 0
	ds_load_b64 v[110:111], v110 offset:104
	s_wait_dscnt 0x0
	v_pk_mul_f32 v[112:113], v[108:109], v[110:111] op_sel:[1,1] op_sel_hi:[0,1]
	v_pk_fma_f32 v[114:115], v[108:109], v[110:111], v[112:113] op_sel_hi:[1,0,1]
	v_pk_fma_f32 v[108:109], v[108:109], v[110:111], v[112:113] neg_lo:[0,0,1] neg_hi:[0,0,1]
	s_delay_alu instid0(VALU_DEP_2)
	v_mov_b32_e32 v109, v115
	scratch_store_b64 off, v[108:109], off offset:104
.LBB115_385:
	s_wait_xcnt 0x0
	s_or_b32 exec_lo, exec_lo, s19
	scratch_load_b64 v[108:109], off, off offset:96
	v_cmp_lt_u32_e64 s0, 12, v0
	s_wait_loadcnt 0x0
	ds_store_b64 v1, v[108:109]
	s_wait_storecnt_dscnt 0x0
	s_barrier_signal -1
	s_barrier_wait -1
	s_wait_xcnt 0x0
	s_and_saveexec_b32 s18, s0
	s_cbranch_execz .LBB115_395
; %bb.386:
	s_and_not1_b32 vcc_lo, exec_lo, s3
	s_cbranch_vccnz .LBB115_388
; %bb.387:
	scratch_load_b64 v[108:109], v59, off
	ds_load_b64 v[110:111], v1
	s_wait_loadcnt_dscnt 0x0
	v_pk_mul_f32 v[112:113], v[110:111], v[108:109] op_sel:[1,1] op_sel_hi:[0,1]
	s_delay_alu instid0(VALU_DEP_1) | instskip(SKIP_1) | instid1(VALU_DEP_2)
	v_pk_fma_f32 v[114:115], v[110:111], v[108:109], v[112:113] op_sel_hi:[1,0,1]
	v_pk_fma_f32 v[108:109], v[110:111], v[108:109], v[112:113] neg_lo:[0,0,1] neg_hi:[0,0,1]
	v_mov_b32_e32 v109, v115
	s_cbranch_execz .LBB115_389
	s_branch .LBB115_390
.LBB115_388:
                                        ; implicit-def: $vgpr108_vgpr109
.LBB115_389:
	ds_load_b64 v[108:109], v1
.LBB115_390:
	s_and_saveexec_b32 s19, s1
	s_cbranch_execz .LBB115_394
; %bb.391:
	v_add_nc_u32_e32 v110, -13, v0
	s_movk_i32 s20, 0x208
	s_mov_b32 s1, 0
.LBB115_392:                            ; =>This Inner Loop Header: Depth=1
	scratch_load_b64 v[112:113], off, s17
	v_dual_mov_b32 v111, s20 :: v_dual_add_nc_u32 v110, -1, v110
	s_add_co_i32 s20, s20, 8
	s_wait_xcnt 0x0
	s_add_co_i32 s17, s17, 8
	ds_load_b64 v[114:115], v111
	v_cmp_eq_u32_e32 vcc_lo, 0, v110
	s_or_b32 s1, vcc_lo, s1
	s_wait_loadcnt_dscnt 0x0
	v_pk_mul_f32 v[116:117], v[114:115], v[112:113] op_sel:[1,1] op_sel_hi:[0,1]
	s_delay_alu instid0(VALU_DEP_1) | instskip(SKIP_1) | instid1(VALU_DEP_2)
	v_pk_fma_f32 v[118:119], v[114:115], v[112:113], v[116:117] op_sel_hi:[1,0,1]
	v_pk_fma_f32 v[112:113], v[114:115], v[112:113], v[116:117] neg_lo:[0,0,1] neg_hi:[0,0,1]
	v_mov_b32_e32 v113, v119
	s_delay_alu instid0(VALU_DEP_1)
	v_pk_add_f32 v[108:109], v[108:109], v[112:113]
	s_and_not1_b32 exec_lo, exec_lo, s1
	s_cbranch_execnz .LBB115_392
; %bb.393:
	s_or_b32 exec_lo, exec_lo, s1
.LBB115_394:
	s_delay_alu instid0(SALU_CYCLE_1) | instskip(SKIP_4) | instid1(VALU_DEP_1)
	s_or_b32 exec_lo, exec_lo, s19
	v_mov_b32_e32 v110, 0
	ds_load_b64 v[110:111], v110 offset:96
	s_wait_dscnt 0x0
	v_pk_mul_f32 v[112:113], v[108:109], v[110:111] op_sel:[1,1] op_sel_hi:[0,1]
	v_pk_fma_f32 v[114:115], v[108:109], v[110:111], v[112:113] op_sel_hi:[1,0,1]
	v_pk_fma_f32 v[108:109], v[108:109], v[110:111], v[112:113] neg_lo:[0,0,1] neg_hi:[0,0,1]
	s_delay_alu instid0(VALU_DEP_2)
	v_mov_b32_e32 v109, v115
	scratch_store_b64 off, v[108:109], off offset:96
.LBB115_395:
	s_wait_xcnt 0x0
	s_or_b32 exec_lo, exec_lo, s18
	scratch_load_b64 v[108:109], off, off offset:88
	v_cmp_lt_u32_e64 s1, 11, v0
	s_wait_loadcnt 0x0
	ds_store_b64 v1, v[108:109]
	s_wait_storecnt_dscnt 0x0
	s_barrier_signal -1
	s_barrier_wait -1
	s_wait_xcnt 0x0
	s_and_saveexec_b32 s17, s1
	s_cbranch_execz .LBB115_405
; %bb.396:
	s_and_not1_b32 vcc_lo, exec_lo, s3
	s_cbranch_vccnz .LBB115_398
; %bb.397:
	scratch_load_b64 v[108:109], v59, off
	ds_load_b64 v[110:111], v1
	s_wait_loadcnt_dscnt 0x0
	v_pk_mul_f32 v[112:113], v[110:111], v[108:109] op_sel:[1,1] op_sel_hi:[0,1]
	s_delay_alu instid0(VALU_DEP_1) | instskip(SKIP_1) | instid1(VALU_DEP_2)
	v_pk_fma_f32 v[114:115], v[110:111], v[108:109], v[112:113] op_sel_hi:[1,0,1]
	v_pk_fma_f32 v[108:109], v[110:111], v[108:109], v[112:113] neg_lo:[0,0,1] neg_hi:[0,0,1]
	v_mov_b32_e32 v109, v115
	s_cbranch_execz .LBB115_399
	s_branch .LBB115_400
.LBB115_398:
                                        ; implicit-def: $vgpr108_vgpr109
.LBB115_399:
	ds_load_b64 v[108:109], v1
.LBB115_400:
	s_and_saveexec_b32 s18, s0
	s_cbranch_execz .LBB115_404
; %bb.401:
	v_add_nc_u32_e32 v110, -12, v0
	s_movk_i32 s19, 0x200
	s_mov_b32 s0, 0
.LBB115_402:                            ; =>This Inner Loop Header: Depth=1
	scratch_load_b64 v[112:113], off, s16
	v_dual_mov_b32 v111, s19 :: v_dual_add_nc_u32 v110, -1, v110
	s_add_co_i32 s19, s19, 8
	s_wait_xcnt 0x0
	s_add_co_i32 s16, s16, 8
	ds_load_b64 v[114:115], v111
	v_cmp_eq_u32_e32 vcc_lo, 0, v110
	s_or_b32 s0, vcc_lo, s0
	s_wait_loadcnt_dscnt 0x0
	v_pk_mul_f32 v[116:117], v[114:115], v[112:113] op_sel:[1,1] op_sel_hi:[0,1]
	s_delay_alu instid0(VALU_DEP_1) | instskip(SKIP_1) | instid1(VALU_DEP_2)
	v_pk_fma_f32 v[118:119], v[114:115], v[112:113], v[116:117] op_sel_hi:[1,0,1]
	v_pk_fma_f32 v[112:113], v[114:115], v[112:113], v[116:117] neg_lo:[0,0,1] neg_hi:[0,0,1]
	v_mov_b32_e32 v113, v119
	s_delay_alu instid0(VALU_DEP_1)
	v_pk_add_f32 v[108:109], v[108:109], v[112:113]
	s_and_not1_b32 exec_lo, exec_lo, s0
	s_cbranch_execnz .LBB115_402
; %bb.403:
	s_or_b32 exec_lo, exec_lo, s0
.LBB115_404:
	s_delay_alu instid0(SALU_CYCLE_1) | instskip(SKIP_4) | instid1(VALU_DEP_1)
	s_or_b32 exec_lo, exec_lo, s18
	v_mov_b32_e32 v110, 0
	ds_load_b64 v[110:111], v110 offset:88
	s_wait_dscnt 0x0
	v_pk_mul_f32 v[112:113], v[108:109], v[110:111] op_sel:[1,1] op_sel_hi:[0,1]
	v_pk_fma_f32 v[114:115], v[108:109], v[110:111], v[112:113] op_sel_hi:[1,0,1]
	v_pk_fma_f32 v[108:109], v[108:109], v[110:111], v[112:113] neg_lo:[0,0,1] neg_hi:[0,0,1]
	s_delay_alu instid0(VALU_DEP_2)
	v_mov_b32_e32 v109, v115
	scratch_store_b64 off, v[108:109], off offset:88
.LBB115_405:
	s_wait_xcnt 0x0
	s_or_b32 exec_lo, exec_lo, s17
	scratch_load_b64 v[108:109], off, off offset:80
	v_cmp_lt_u32_e64 s0, 10, v0
	s_wait_loadcnt 0x0
	ds_store_b64 v1, v[108:109]
	s_wait_storecnt_dscnt 0x0
	s_barrier_signal -1
	s_barrier_wait -1
	s_wait_xcnt 0x0
	s_and_saveexec_b32 s16, s0
	s_cbranch_execz .LBB115_415
; %bb.406:
	s_and_not1_b32 vcc_lo, exec_lo, s3
	s_cbranch_vccnz .LBB115_408
; %bb.407:
	scratch_load_b64 v[108:109], v59, off
	ds_load_b64 v[110:111], v1
	s_wait_loadcnt_dscnt 0x0
	v_pk_mul_f32 v[112:113], v[110:111], v[108:109] op_sel:[1,1] op_sel_hi:[0,1]
	s_delay_alu instid0(VALU_DEP_1) | instskip(SKIP_1) | instid1(VALU_DEP_2)
	v_pk_fma_f32 v[114:115], v[110:111], v[108:109], v[112:113] op_sel_hi:[1,0,1]
	v_pk_fma_f32 v[108:109], v[110:111], v[108:109], v[112:113] neg_lo:[0,0,1] neg_hi:[0,0,1]
	v_mov_b32_e32 v109, v115
	s_cbranch_execz .LBB115_409
	s_branch .LBB115_410
.LBB115_408:
                                        ; implicit-def: $vgpr108_vgpr109
.LBB115_409:
	ds_load_b64 v[108:109], v1
.LBB115_410:
	s_and_saveexec_b32 s17, s1
	s_cbranch_execz .LBB115_414
; %bb.411:
	v_add_nc_u32_e32 v110, -11, v0
	s_movk_i32 s18, 0x1f8
	s_mov_b32 s1, 0
.LBB115_412:                            ; =>This Inner Loop Header: Depth=1
	scratch_load_b64 v[112:113], off, s15
	v_dual_mov_b32 v111, s18 :: v_dual_add_nc_u32 v110, -1, v110
	s_add_co_i32 s18, s18, 8
	s_wait_xcnt 0x0
	s_add_co_i32 s15, s15, 8
	ds_load_b64 v[114:115], v111
	v_cmp_eq_u32_e32 vcc_lo, 0, v110
	s_or_b32 s1, vcc_lo, s1
	s_wait_loadcnt_dscnt 0x0
	v_pk_mul_f32 v[116:117], v[114:115], v[112:113] op_sel:[1,1] op_sel_hi:[0,1]
	s_delay_alu instid0(VALU_DEP_1) | instskip(SKIP_1) | instid1(VALU_DEP_2)
	v_pk_fma_f32 v[118:119], v[114:115], v[112:113], v[116:117] op_sel_hi:[1,0,1]
	v_pk_fma_f32 v[112:113], v[114:115], v[112:113], v[116:117] neg_lo:[0,0,1] neg_hi:[0,0,1]
	v_mov_b32_e32 v113, v119
	s_delay_alu instid0(VALU_DEP_1)
	v_pk_add_f32 v[108:109], v[108:109], v[112:113]
	s_and_not1_b32 exec_lo, exec_lo, s1
	s_cbranch_execnz .LBB115_412
; %bb.413:
	s_or_b32 exec_lo, exec_lo, s1
.LBB115_414:
	s_delay_alu instid0(SALU_CYCLE_1) | instskip(SKIP_4) | instid1(VALU_DEP_1)
	s_or_b32 exec_lo, exec_lo, s17
	v_mov_b32_e32 v110, 0
	ds_load_b64 v[110:111], v110 offset:80
	s_wait_dscnt 0x0
	v_pk_mul_f32 v[112:113], v[108:109], v[110:111] op_sel:[1,1] op_sel_hi:[0,1]
	v_pk_fma_f32 v[114:115], v[108:109], v[110:111], v[112:113] op_sel_hi:[1,0,1]
	v_pk_fma_f32 v[108:109], v[108:109], v[110:111], v[112:113] neg_lo:[0,0,1] neg_hi:[0,0,1]
	s_delay_alu instid0(VALU_DEP_2)
	v_mov_b32_e32 v109, v115
	scratch_store_b64 off, v[108:109], off offset:80
.LBB115_415:
	s_wait_xcnt 0x0
	s_or_b32 exec_lo, exec_lo, s16
	scratch_load_b64 v[108:109], off, off offset:72
	v_cmp_lt_u32_e64 s1, 9, v0
	s_wait_loadcnt 0x0
	ds_store_b64 v1, v[108:109]
	s_wait_storecnt_dscnt 0x0
	s_barrier_signal -1
	s_barrier_wait -1
	s_wait_xcnt 0x0
	s_and_saveexec_b32 s15, s1
	s_cbranch_execz .LBB115_425
; %bb.416:
	s_and_not1_b32 vcc_lo, exec_lo, s3
	s_cbranch_vccnz .LBB115_418
; %bb.417:
	scratch_load_b64 v[108:109], v59, off
	ds_load_b64 v[110:111], v1
	s_wait_loadcnt_dscnt 0x0
	v_pk_mul_f32 v[112:113], v[110:111], v[108:109] op_sel:[1,1] op_sel_hi:[0,1]
	s_delay_alu instid0(VALU_DEP_1) | instskip(SKIP_1) | instid1(VALU_DEP_2)
	v_pk_fma_f32 v[114:115], v[110:111], v[108:109], v[112:113] op_sel_hi:[1,0,1]
	v_pk_fma_f32 v[108:109], v[110:111], v[108:109], v[112:113] neg_lo:[0,0,1] neg_hi:[0,0,1]
	v_mov_b32_e32 v109, v115
	s_cbranch_execz .LBB115_419
	s_branch .LBB115_420
.LBB115_418:
                                        ; implicit-def: $vgpr108_vgpr109
.LBB115_419:
	ds_load_b64 v[108:109], v1
.LBB115_420:
	s_and_saveexec_b32 s16, s0
	s_cbranch_execz .LBB115_424
; %bb.421:
	v_add_nc_u32_e32 v110, -10, v0
	s_movk_i32 s17, 0x1f0
	s_mov_b32 s0, 0
.LBB115_422:                            ; =>This Inner Loop Header: Depth=1
	scratch_load_b64 v[112:113], off, s14
	v_dual_mov_b32 v111, s17 :: v_dual_add_nc_u32 v110, -1, v110
	s_add_co_i32 s17, s17, 8
	s_wait_xcnt 0x0
	s_add_co_i32 s14, s14, 8
	ds_load_b64 v[114:115], v111
	v_cmp_eq_u32_e32 vcc_lo, 0, v110
	s_or_b32 s0, vcc_lo, s0
	s_wait_loadcnt_dscnt 0x0
	v_pk_mul_f32 v[116:117], v[114:115], v[112:113] op_sel:[1,1] op_sel_hi:[0,1]
	s_delay_alu instid0(VALU_DEP_1) | instskip(SKIP_1) | instid1(VALU_DEP_2)
	v_pk_fma_f32 v[118:119], v[114:115], v[112:113], v[116:117] op_sel_hi:[1,0,1]
	v_pk_fma_f32 v[112:113], v[114:115], v[112:113], v[116:117] neg_lo:[0,0,1] neg_hi:[0,0,1]
	v_mov_b32_e32 v113, v119
	s_delay_alu instid0(VALU_DEP_1)
	v_pk_add_f32 v[108:109], v[108:109], v[112:113]
	s_and_not1_b32 exec_lo, exec_lo, s0
	s_cbranch_execnz .LBB115_422
; %bb.423:
	s_or_b32 exec_lo, exec_lo, s0
.LBB115_424:
	s_delay_alu instid0(SALU_CYCLE_1) | instskip(SKIP_4) | instid1(VALU_DEP_1)
	s_or_b32 exec_lo, exec_lo, s16
	v_mov_b32_e32 v110, 0
	ds_load_b64 v[110:111], v110 offset:72
	s_wait_dscnt 0x0
	v_pk_mul_f32 v[112:113], v[108:109], v[110:111] op_sel:[1,1] op_sel_hi:[0,1]
	v_pk_fma_f32 v[114:115], v[108:109], v[110:111], v[112:113] op_sel_hi:[1,0,1]
	v_pk_fma_f32 v[108:109], v[108:109], v[110:111], v[112:113] neg_lo:[0,0,1] neg_hi:[0,0,1]
	s_delay_alu instid0(VALU_DEP_2)
	v_mov_b32_e32 v109, v115
	scratch_store_b64 off, v[108:109], off offset:72
.LBB115_425:
	s_wait_xcnt 0x0
	s_or_b32 exec_lo, exec_lo, s15
	scratch_load_b64 v[108:109], off, off offset:64
	v_cmp_lt_u32_e64 s0, 8, v0
	s_wait_loadcnt 0x0
	ds_store_b64 v1, v[108:109]
	s_wait_storecnt_dscnt 0x0
	s_barrier_signal -1
	s_barrier_wait -1
	s_wait_xcnt 0x0
	s_and_saveexec_b32 s14, s0
	s_cbranch_execz .LBB115_435
; %bb.426:
	s_and_not1_b32 vcc_lo, exec_lo, s3
	s_cbranch_vccnz .LBB115_428
; %bb.427:
	scratch_load_b64 v[108:109], v59, off
	ds_load_b64 v[110:111], v1
	s_wait_loadcnt_dscnt 0x0
	v_pk_mul_f32 v[112:113], v[110:111], v[108:109] op_sel:[1,1] op_sel_hi:[0,1]
	s_delay_alu instid0(VALU_DEP_1) | instskip(SKIP_1) | instid1(VALU_DEP_2)
	v_pk_fma_f32 v[114:115], v[110:111], v[108:109], v[112:113] op_sel_hi:[1,0,1]
	v_pk_fma_f32 v[108:109], v[110:111], v[108:109], v[112:113] neg_lo:[0,0,1] neg_hi:[0,0,1]
	v_mov_b32_e32 v109, v115
	s_cbranch_execz .LBB115_429
	s_branch .LBB115_430
.LBB115_428:
                                        ; implicit-def: $vgpr108_vgpr109
.LBB115_429:
	ds_load_b64 v[108:109], v1
.LBB115_430:
	s_and_saveexec_b32 s15, s1
	s_cbranch_execz .LBB115_434
; %bb.431:
	v_add_nc_u32_e32 v110, -9, v0
	s_movk_i32 s16, 0x1e8
	s_mov_b32 s1, 0
.LBB115_432:                            ; =>This Inner Loop Header: Depth=1
	scratch_load_b64 v[112:113], off, s13
	v_dual_mov_b32 v111, s16 :: v_dual_add_nc_u32 v110, -1, v110
	s_add_co_i32 s16, s16, 8
	s_wait_xcnt 0x0
	s_add_co_i32 s13, s13, 8
	ds_load_b64 v[114:115], v111
	v_cmp_eq_u32_e32 vcc_lo, 0, v110
	s_or_b32 s1, vcc_lo, s1
	s_wait_loadcnt_dscnt 0x0
	v_pk_mul_f32 v[116:117], v[114:115], v[112:113] op_sel:[1,1] op_sel_hi:[0,1]
	s_delay_alu instid0(VALU_DEP_1) | instskip(SKIP_1) | instid1(VALU_DEP_2)
	v_pk_fma_f32 v[118:119], v[114:115], v[112:113], v[116:117] op_sel_hi:[1,0,1]
	v_pk_fma_f32 v[112:113], v[114:115], v[112:113], v[116:117] neg_lo:[0,0,1] neg_hi:[0,0,1]
	v_mov_b32_e32 v113, v119
	s_delay_alu instid0(VALU_DEP_1)
	v_pk_add_f32 v[108:109], v[108:109], v[112:113]
	s_and_not1_b32 exec_lo, exec_lo, s1
	s_cbranch_execnz .LBB115_432
; %bb.433:
	s_or_b32 exec_lo, exec_lo, s1
.LBB115_434:
	s_delay_alu instid0(SALU_CYCLE_1) | instskip(SKIP_4) | instid1(VALU_DEP_1)
	s_or_b32 exec_lo, exec_lo, s15
	v_mov_b32_e32 v110, 0
	ds_load_b64 v[110:111], v110 offset:64
	s_wait_dscnt 0x0
	v_pk_mul_f32 v[112:113], v[108:109], v[110:111] op_sel:[1,1] op_sel_hi:[0,1]
	v_pk_fma_f32 v[114:115], v[108:109], v[110:111], v[112:113] op_sel_hi:[1,0,1]
	v_pk_fma_f32 v[108:109], v[108:109], v[110:111], v[112:113] neg_lo:[0,0,1] neg_hi:[0,0,1]
	s_delay_alu instid0(VALU_DEP_2)
	v_mov_b32_e32 v109, v115
	scratch_store_b64 off, v[108:109], off offset:64
.LBB115_435:
	s_wait_xcnt 0x0
	s_or_b32 exec_lo, exec_lo, s14
	scratch_load_b64 v[108:109], off, off offset:56
	v_cmp_lt_u32_e64 s1, 7, v0
	s_wait_loadcnt 0x0
	ds_store_b64 v1, v[108:109]
	s_wait_storecnt_dscnt 0x0
	s_barrier_signal -1
	s_barrier_wait -1
	s_wait_xcnt 0x0
	s_and_saveexec_b32 s13, s1
	s_cbranch_execz .LBB115_445
; %bb.436:
	s_and_not1_b32 vcc_lo, exec_lo, s3
	s_cbranch_vccnz .LBB115_438
; %bb.437:
	scratch_load_b64 v[108:109], v59, off
	ds_load_b64 v[110:111], v1
	s_wait_loadcnt_dscnt 0x0
	v_pk_mul_f32 v[112:113], v[110:111], v[108:109] op_sel:[1,1] op_sel_hi:[0,1]
	s_delay_alu instid0(VALU_DEP_1) | instskip(SKIP_1) | instid1(VALU_DEP_2)
	v_pk_fma_f32 v[114:115], v[110:111], v[108:109], v[112:113] op_sel_hi:[1,0,1]
	v_pk_fma_f32 v[108:109], v[110:111], v[108:109], v[112:113] neg_lo:[0,0,1] neg_hi:[0,0,1]
	v_mov_b32_e32 v109, v115
	s_cbranch_execz .LBB115_439
	s_branch .LBB115_440
.LBB115_438:
                                        ; implicit-def: $vgpr108_vgpr109
.LBB115_439:
	ds_load_b64 v[108:109], v1
.LBB115_440:
	s_and_saveexec_b32 s14, s0
	s_cbranch_execz .LBB115_444
; %bb.441:
	v_add_nc_u32_e32 v110, -8, v0
	s_movk_i32 s15, 0x1e0
	s_mov_b32 s0, 0
.LBB115_442:                            ; =>This Inner Loop Header: Depth=1
	scratch_load_b64 v[112:113], off, s12
	v_dual_mov_b32 v111, s15 :: v_dual_add_nc_u32 v110, -1, v110
	s_add_co_i32 s15, s15, 8
	s_wait_xcnt 0x0
	s_add_co_i32 s12, s12, 8
	ds_load_b64 v[114:115], v111
	v_cmp_eq_u32_e32 vcc_lo, 0, v110
	s_or_b32 s0, vcc_lo, s0
	s_wait_loadcnt_dscnt 0x0
	v_pk_mul_f32 v[116:117], v[114:115], v[112:113] op_sel:[1,1] op_sel_hi:[0,1]
	s_delay_alu instid0(VALU_DEP_1) | instskip(SKIP_1) | instid1(VALU_DEP_2)
	v_pk_fma_f32 v[118:119], v[114:115], v[112:113], v[116:117] op_sel_hi:[1,0,1]
	v_pk_fma_f32 v[112:113], v[114:115], v[112:113], v[116:117] neg_lo:[0,0,1] neg_hi:[0,0,1]
	v_mov_b32_e32 v113, v119
	s_delay_alu instid0(VALU_DEP_1)
	v_pk_add_f32 v[108:109], v[108:109], v[112:113]
	s_and_not1_b32 exec_lo, exec_lo, s0
	s_cbranch_execnz .LBB115_442
; %bb.443:
	s_or_b32 exec_lo, exec_lo, s0
.LBB115_444:
	s_delay_alu instid0(SALU_CYCLE_1) | instskip(SKIP_4) | instid1(VALU_DEP_1)
	s_or_b32 exec_lo, exec_lo, s14
	v_mov_b32_e32 v110, 0
	ds_load_b64 v[110:111], v110 offset:56
	s_wait_dscnt 0x0
	v_pk_mul_f32 v[112:113], v[108:109], v[110:111] op_sel:[1,1] op_sel_hi:[0,1]
	v_pk_fma_f32 v[114:115], v[108:109], v[110:111], v[112:113] op_sel_hi:[1,0,1]
	v_pk_fma_f32 v[108:109], v[108:109], v[110:111], v[112:113] neg_lo:[0,0,1] neg_hi:[0,0,1]
	s_delay_alu instid0(VALU_DEP_2)
	v_mov_b32_e32 v109, v115
	scratch_store_b64 off, v[108:109], off offset:56
.LBB115_445:
	s_wait_xcnt 0x0
	s_or_b32 exec_lo, exec_lo, s13
	scratch_load_b64 v[108:109], off, off offset:48
	v_cmp_lt_u32_e64 s0, 6, v0
	s_wait_loadcnt 0x0
	ds_store_b64 v1, v[108:109]
	s_wait_storecnt_dscnt 0x0
	s_barrier_signal -1
	s_barrier_wait -1
	s_wait_xcnt 0x0
	s_and_saveexec_b32 s12, s0
	s_cbranch_execz .LBB115_455
; %bb.446:
	s_and_not1_b32 vcc_lo, exec_lo, s3
	s_cbranch_vccnz .LBB115_448
; %bb.447:
	scratch_load_b64 v[108:109], v59, off
	ds_load_b64 v[110:111], v1
	s_wait_loadcnt_dscnt 0x0
	v_pk_mul_f32 v[112:113], v[110:111], v[108:109] op_sel:[1,1] op_sel_hi:[0,1]
	s_delay_alu instid0(VALU_DEP_1) | instskip(SKIP_1) | instid1(VALU_DEP_2)
	v_pk_fma_f32 v[114:115], v[110:111], v[108:109], v[112:113] op_sel_hi:[1,0,1]
	v_pk_fma_f32 v[108:109], v[110:111], v[108:109], v[112:113] neg_lo:[0,0,1] neg_hi:[0,0,1]
	v_mov_b32_e32 v109, v115
	s_cbranch_execz .LBB115_449
	s_branch .LBB115_450
.LBB115_448:
                                        ; implicit-def: $vgpr108_vgpr109
.LBB115_449:
	ds_load_b64 v[108:109], v1
.LBB115_450:
	s_and_saveexec_b32 s13, s1
	s_cbranch_execz .LBB115_454
; %bb.451:
	v_add_nc_u32_e32 v110, -7, v0
	s_movk_i32 s14, 0x1d8
	s_mov_b32 s1, 0
.LBB115_452:                            ; =>This Inner Loop Header: Depth=1
	scratch_load_b64 v[112:113], off, s11
	v_dual_mov_b32 v111, s14 :: v_dual_add_nc_u32 v110, -1, v110
	s_add_co_i32 s14, s14, 8
	s_wait_xcnt 0x0
	s_add_co_i32 s11, s11, 8
	ds_load_b64 v[114:115], v111
	v_cmp_eq_u32_e32 vcc_lo, 0, v110
	s_or_b32 s1, vcc_lo, s1
	s_wait_loadcnt_dscnt 0x0
	v_pk_mul_f32 v[116:117], v[114:115], v[112:113] op_sel:[1,1] op_sel_hi:[0,1]
	s_delay_alu instid0(VALU_DEP_1) | instskip(SKIP_1) | instid1(VALU_DEP_2)
	v_pk_fma_f32 v[118:119], v[114:115], v[112:113], v[116:117] op_sel_hi:[1,0,1]
	v_pk_fma_f32 v[112:113], v[114:115], v[112:113], v[116:117] neg_lo:[0,0,1] neg_hi:[0,0,1]
	v_mov_b32_e32 v113, v119
	s_delay_alu instid0(VALU_DEP_1)
	v_pk_add_f32 v[108:109], v[108:109], v[112:113]
	s_and_not1_b32 exec_lo, exec_lo, s1
	s_cbranch_execnz .LBB115_452
; %bb.453:
	s_or_b32 exec_lo, exec_lo, s1
.LBB115_454:
	s_delay_alu instid0(SALU_CYCLE_1) | instskip(SKIP_4) | instid1(VALU_DEP_1)
	s_or_b32 exec_lo, exec_lo, s13
	v_mov_b32_e32 v110, 0
	ds_load_b64 v[110:111], v110 offset:48
	s_wait_dscnt 0x0
	v_pk_mul_f32 v[112:113], v[108:109], v[110:111] op_sel:[1,1] op_sel_hi:[0,1]
	v_pk_fma_f32 v[114:115], v[108:109], v[110:111], v[112:113] op_sel_hi:[1,0,1]
	v_pk_fma_f32 v[108:109], v[108:109], v[110:111], v[112:113] neg_lo:[0,0,1] neg_hi:[0,0,1]
	s_delay_alu instid0(VALU_DEP_2)
	v_mov_b32_e32 v109, v115
	scratch_store_b64 off, v[108:109], off offset:48
.LBB115_455:
	s_wait_xcnt 0x0
	s_or_b32 exec_lo, exec_lo, s12
	scratch_load_b64 v[108:109], off, off offset:40
	v_cmp_lt_u32_e64 s1, 5, v0
	s_wait_loadcnt 0x0
	ds_store_b64 v1, v[108:109]
	s_wait_storecnt_dscnt 0x0
	s_barrier_signal -1
	s_barrier_wait -1
	s_wait_xcnt 0x0
	s_and_saveexec_b32 s11, s1
	s_cbranch_execz .LBB115_465
; %bb.456:
	s_and_not1_b32 vcc_lo, exec_lo, s3
	s_cbranch_vccnz .LBB115_458
; %bb.457:
	scratch_load_b64 v[108:109], v59, off
	ds_load_b64 v[110:111], v1
	s_wait_loadcnt_dscnt 0x0
	v_pk_mul_f32 v[112:113], v[110:111], v[108:109] op_sel:[1,1] op_sel_hi:[0,1]
	s_delay_alu instid0(VALU_DEP_1) | instskip(SKIP_1) | instid1(VALU_DEP_2)
	v_pk_fma_f32 v[114:115], v[110:111], v[108:109], v[112:113] op_sel_hi:[1,0,1]
	v_pk_fma_f32 v[108:109], v[110:111], v[108:109], v[112:113] neg_lo:[0,0,1] neg_hi:[0,0,1]
	v_mov_b32_e32 v109, v115
	s_cbranch_execz .LBB115_459
	s_branch .LBB115_460
.LBB115_458:
                                        ; implicit-def: $vgpr108_vgpr109
.LBB115_459:
	ds_load_b64 v[108:109], v1
.LBB115_460:
	s_and_saveexec_b32 s12, s0
	s_cbranch_execz .LBB115_464
; %bb.461:
	v_add_nc_u32_e32 v110, -6, v0
	s_movk_i32 s13, 0x1d0
	s_mov_b32 s0, 0
.LBB115_462:                            ; =>This Inner Loop Header: Depth=1
	scratch_load_b64 v[112:113], off, s10
	v_dual_mov_b32 v111, s13 :: v_dual_add_nc_u32 v110, -1, v110
	s_add_co_i32 s13, s13, 8
	s_wait_xcnt 0x0
	s_add_co_i32 s10, s10, 8
	ds_load_b64 v[114:115], v111
	v_cmp_eq_u32_e32 vcc_lo, 0, v110
	s_or_b32 s0, vcc_lo, s0
	s_wait_loadcnt_dscnt 0x0
	v_pk_mul_f32 v[116:117], v[114:115], v[112:113] op_sel:[1,1] op_sel_hi:[0,1]
	s_delay_alu instid0(VALU_DEP_1) | instskip(SKIP_1) | instid1(VALU_DEP_2)
	v_pk_fma_f32 v[118:119], v[114:115], v[112:113], v[116:117] op_sel_hi:[1,0,1]
	v_pk_fma_f32 v[112:113], v[114:115], v[112:113], v[116:117] neg_lo:[0,0,1] neg_hi:[0,0,1]
	v_mov_b32_e32 v113, v119
	s_delay_alu instid0(VALU_DEP_1)
	v_pk_add_f32 v[108:109], v[108:109], v[112:113]
	s_and_not1_b32 exec_lo, exec_lo, s0
	s_cbranch_execnz .LBB115_462
; %bb.463:
	s_or_b32 exec_lo, exec_lo, s0
.LBB115_464:
	s_delay_alu instid0(SALU_CYCLE_1) | instskip(SKIP_4) | instid1(VALU_DEP_1)
	s_or_b32 exec_lo, exec_lo, s12
	v_mov_b32_e32 v110, 0
	ds_load_b64 v[110:111], v110 offset:40
	s_wait_dscnt 0x0
	v_pk_mul_f32 v[112:113], v[108:109], v[110:111] op_sel:[1,1] op_sel_hi:[0,1]
	v_pk_fma_f32 v[114:115], v[108:109], v[110:111], v[112:113] op_sel_hi:[1,0,1]
	v_pk_fma_f32 v[108:109], v[108:109], v[110:111], v[112:113] neg_lo:[0,0,1] neg_hi:[0,0,1]
	s_delay_alu instid0(VALU_DEP_2)
	v_mov_b32_e32 v109, v115
	scratch_store_b64 off, v[108:109], off offset:40
.LBB115_465:
	s_wait_xcnt 0x0
	s_or_b32 exec_lo, exec_lo, s11
	scratch_load_b64 v[108:109], off, off offset:32
	v_cmp_lt_u32_e64 s0, 4, v0
	s_wait_loadcnt 0x0
	ds_store_b64 v1, v[108:109]
	s_wait_storecnt_dscnt 0x0
	s_barrier_signal -1
	s_barrier_wait -1
	s_wait_xcnt 0x0
	s_and_saveexec_b32 s10, s0
	s_cbranch_execz .LBB115_475
; %bb.466:
	s_and_not1_b32 vcc_lo, exec_lo, s3
	s_cbranch_vccnz .LBB115_468
; %bb.467:
	scratch_load_b64 v[108:109], v59, off
	ds_load_b64 v[110:111], v1
	s_wait_loadcnt_dscnt 0x0
	v_pk_mul_f32 v[112:113], v[110:111], v[108:109] op_sel:[1,1] op_sel_hi:[0,1]
	s_delay_alu instid0(VALU_DEP_1) | instskip(SKIP_1) | instid1(VALU_DEP_2)
	v_pk_fma_f32 v[114:115], v[110:111], v[108:109], v[112:113] op_sel_hi:[1,0,1]
	v_pk_fma_f32 v[108:109], v[110:111], v[108:109], v[112:113] neg_lo:[0,0,1] neg_hi:[0,0,1]
	v_mov_b32_e32 v109, v115
	s_cbranch_execz .LBB115_469
	s_branch .LBB115_470
.LBB115_468:
                                        ; implicit-def: $vgpr108_vgpr109
.LBB115_469:
	ds_load_b64 v[108:109], v1
.LBB115_470:
	s_and_saveexec_b32 s11, s1
	s_cbranch_execz .LBB115_474
; %bb.471:
	v_add_nc_u32_e32 v110, -5, v0
	s_movk_i32 s12, 0x1c8
	s_mov_b32 s1, 0
.LBB115_472:                            ; =>This Inner Loop Header: Depth=1
	scratch_load_b64 v[112:113], off, s9
	v_dual_mov_b32 v111, s12 :: v_dual_add_nc_u32 v110, -1, v110
	s_add_co_i32 s12, s12, 8
	s_wait_xcnt 0x0
	s_add_co_i32 s9, s9, 8
	ds_load_b64 v[114:115], v111
	v_cmp_eq_u32_e32 vcc_lo, 0, v110
	s_or_b32 s1, vcc_lo, s1
	s_wait_loadcnt_dscnt 0x0
	v_pk_mul_f32 v[116:117], v[114:115], v[112:113] op_sel:[1,1] op_sel_hi:[0,1]
	s_delay_alu instid0(VALU_DEP_1) | instskip(SKIP_1) | instid1(VALU_DEP_2)
	v_pk_fma_f32 v[118:119], v[114:115], v[112:113], v[116:117] op_sel_hi:[1,0,1]
	v_pk_fma_f32 v[112:113], v[114:115], v[112:113], v[116:117] neg_lo:[0,0,1] neg_hi:[0,0,1]
	v_mov_b32_e32 v113, v119
	s_delay_alu instid0(VALU_DEP_1)
	v_pk_add_f32 v[108:109], v[108:109], v[112:113]
	s_and_not1_b32 exec_lo, exec_lo, s1
	s_cbranch_execnz .LBB115_472
; %bb.473:
	s_or_b32 exec_lo, exec_lo, s1
.LBB115_474:
	s_delay_alu instid0(SALU_CYCLE_1) | instskip(SKIP_4) | instid1(VALU_DEP_1)
	s_or_b32 exec_lo, exec_lo, s11
	v_mov_b32_e32 v110, 0
	ds_load_b64 v[110:111], v110 offset:32
	s_wait_dscnt 0x0
	v_pk_mul_f32 v[112:113], v[108:109], v[110:111] op_sel:[1,1] op_sel_hi:[0,1]
	v_pk_fma_f32 v[114:115], v[108:109], v[110:111], v[112:113] op_sel_hi:[1,0,1]
	v_pk_fma_f32 v[108:109], v[108:109], v[110:111], v[112:113] neg_lo:[0,0,1] neg_hi:[0,0,1]
	s_delay_alu instid0(VALU_DEP_2)
	v_mov_b32_e32 v109, v115
	scratch_store_b64 off, v[108:109], off offset:32
.LBB115_475:
	s_wait_xcnt 0x0
	s_or_b32 exec_lo, exec_lo, s10
	scratch_load_b64 v[108:109], off, off offset:24
	v_cmp_lt_u32_e64 s1, 3, v0
	s_wait_loadcnt 0x0
	ds_store_b64 v1, v[108:109]
	s_wait_storecnt_dscnt 0x0
	s_barrier_signal -1
	s_barrier_wait -1
	s_wait_xcnt 0x0
	s_and_saveexec_b32 s9, s1
	s_cbranch_execz .LBB115_485
; %bb.476:
	s_and_not1_b32 vcc_lo, exec_lo, s3
	s_cbranch_vccnz .LBB115_478
; %bb.477:
	scratch_load_b64 v[108:109], v59, off
	ds_load_b64 v[110:111], v1
	s_wait_loadcnt_dscnt 0x0
	v_pk_mul_f32 v[112:113], v[110:111], v[108:109] op_sel:[1,1] op_sel_hi:[0,1]
	s_delay_alu instid0(VALU_DEP_1) | instskip(SKIP_1) | instid1(VALU_DEP_2)
	v_pk_fma_f32 v[114:115], v[110:111], v[108:109], v[112:113] op_sel_hi:[1,0,1]
	v_pk_fma_f32 v[108:109], v[110:111], v[108:109], v[112:113] neg_lo:[0,0,1] neg_hi:[0,0,1]
	v_mov_b32_e32 v109, v115
	s_cbranch_execz .LBB115_479
	s_branch .LBB115_480
.LBB115_478:
                                        ; implicit-def: $vgpr108_vgpr109
.LBB115_479:
	ds_load_b64 v[108:109], v1
.LBB115_480:
	s_and_saveexec_b32 s10, s0
	s_cbranch_execz .LBB115_484
; %bb.481:
	v_add_nc_u32_e32 v110, -4, v0
	s_movk_i32 s11, 0x1c0
	s_mov_b32 s0, 0
.LBB115_482:                            ; =>This Inner Loop Header: Depth=1
	scratch_load_b64 v[112:113], off, s2
	v_dual_mov_b32 v111, s11 :: v_dual_add_nc_u32 v110, -1, v110
	s_add_co_i32 s11, s11, 8
	s_wait_xcnt 0x0
	s_add_co_i32 s2, s2, 8
	ds_load_b64 v[114:115], v111
	v_cmp_eq_u32_e32 vcc_lo, 0, v110
	s_or_b32 s0, vcc_lo, s0
	s_wait_loadcnt_dscnt 0x0
	v_pk_mul_f32 v[116:117], v[114:115], v[112:113] op_sel:[1,1] op_sel_hi:[0,1]
	s_delay_alu instid0(VALU_DEP_1) | instskip(SKIP_1) | instid1(VALU_DEP_2)
	v_pk_fma_f32 v[118:119], v[114:115], v[112:113], v[116:117] op_sel_hi:[1,0,1]
	v_pk_fma_f32 v[112:113], v[114:115], v[112:113], v[116:117] neg_lo:[0,0,1] neg_hi:[0,0,1]
	v_mov_b32_e32 v113, v119
	s_delay_alu instid0(VALU_DEP_1)
	v_pk_add_f32 v[108:109], v[108:109], v[112:113]
	s_and_not1_b32 exec_lo, exec_lo, s0
	s_cbranch_execnz .LBB115_482
; %bb.483:
	s_or_b32 exec_lo, exec_lo, s0
.LBB115_484:
	s_delay_alu instid0(SALU_CYCLE_1) | instskip(SKIP_4) | instid1(VALU_DEP_1)
	s_or_b32 exec_lo, exec_lo, s10
	v_mov_b32_e32 v110, 0
	ds_load_b64 v[110:111], v110 offset:24
	s_wait_dscnt 0x0
	v_pk_mul_f32 v[112:113], v[108:109], v[110:111] op_sel:[1,1] op_sel_hi:[0,1]
	v_pk_fma_f32 v[114:115], v[108:109], v[110:111], v[112:113] op_sel_hi:[1,0,1]
	v_pk_fma_f32 v[108:109], v[108:109], v[110:111], v[112:113] neg_lo:[0,0,1] neg_hi:[0,0,1]
	s_delay_alu instid0(VALU_DEP_2)
	v_mov_b32_e32 v109, v115
	scratch_store_b64 off, v[108:109], off offset:24
.LBB115_485:
	s_wait_xcnt 0x0
	s_or_b32 exec_lo, exec_lo, s9
	scratch_load_b64 v[108:109], off, off offset:16
	v_cmp_lt_u32_e64 s2, 2, v0
	s_wait_loadcnt 0x0
	ds_store_b64 v1, v[108:109]
	s_wait_storecnt_dscnt 0x0
	s_barrier_signal -1
	s_barrier_wait -1
	s_wait_xcnt 0x0
	s_and_saveexec_b32 s0, s2
	s_cbranch_execz .LBB115_495
; %bb.486:
	s_and_not1_b32 vcc_lo, exec_lo, s3
	s_cbranch_vccnz .LBB115_488
; %bb.487:
	scratch_load_b64 v[108:109], v59, off
	ds_load_b64 v[110:111], v1
	s_wait_loadcnt_dscnt 0x0
	v_pk_mul_f32 v[112:113], v[110:111], v[108:109] op_sel:[1,1] op_sel_hi:[0,1]
	s_delay_alu instid0(VALU_DEP_1) | instskip(SKIP_1) | instid1(VALU_DEP_2)
	v_pk_fma_f32 v[114:115], v[110:111], v[108:109], v[112:113] op_sel_hi:[1,0,1]
	v_pk_fma_f32 v[108:109], v[110:111], v[108:109], v[112:113] neg_lo:[0,0,1] neg_hi:[0,0,1]
	v_mov_b32_e32 v109, v115
	s_cbranch_execz .LBB115_489
	s_branch .LBB115_490
.LBB115_488:
                                        ; implicit-def: $vgpr108_vgpr109
.LBB115_489:
	ds_load_b64 v[108:109], v1
.LBB115_490:
	s_and_saveexec_b32 s9, s1
	s_cbranch_execz .LBB115_494
; %bb.491:
	v_add_nc_u32_e32 v110, -3, v0
	s_movk_i32 s10, 0x1b8
	s_mov_b32 s1, 0
.LBB115_492:                            ; =>This Inner Loop Header: Depth=1
	scratch_load_b64 v[112:113], off, s8
	v_dual_mov_b32 v111, s10 :: v_dual_add_nc_u32 v110, -1, v110
	s_add_co_i32 s10, s10, 8
	s_wait_xcnt 0x0
	s_add_co_i32 s8, s8, 8
	ds_load_b64 v[114:115], v111
	v_cmp_eq_u32_e32 vcc_lo, 0, v110
	s_or_b32 s1, vcc_lo, s1
	s_wait_loadcnt_dscnt 0x0
	v_pk_mul_f32 v[116:117], v[114:115], v[112:113] op_sel:[1,1] op_sel_hi:[0,1]
	s_delay_alu instid0(VALU_DEP_1) | instskip(SKIP_1) | instid1(VALU_DEP_2)
	v_pk_fma_f32 v[118:119], v[114:115], v[112:113], v[116:117] op_sel_hi:[1,0,1]
	v_pk_fma_f32 v[112:113], v[114:115], v[112:113], v[116:117] neg_lo:[0,0,1] neg_hi:[0,0,1]
	v_mov_b32_e32 v113, v119
	s_delay_alu instid0(VALU_DEP_1)
	v_pk_add_f32 v[108:109], v[108:109], v[112:113]
	s_and_not1_b32 exec_lo, exec_lo, s1
	s_cbranch_execnz .LBB115_492
; %bb.493:
	s_or_b32 exec_lo, exec_lo, s1
.LBB115_494:
	s_delay_alu instid0(SALU_CYCLE_1) | instskip(SKIP_4) | instid1(VALU_DEP_1)
	s_or_b32 exec_lo, exec_lo, s9
	v_mov_b32_e32 v110, 0
	ds_load_b64 v[110:111], v110 offset:16
	s_wait_dscnt 0x0
	v_pk_mul_f32 v[112:113], v[108:109], v[110:111] op_sel:[1,1] op_sel_hi:[0,1]
	v_pk_fma_f32 v[114:115], v[108:109], v[110:111], v[112:113] op_sel_hi:[1,0,1]
	v_pk_fma_f32 v[108:109], v[108:109], v[110:111], v[112:113] neg_lo:[0,0,1] neg_hi:[0,0,1]
	s_delay_alu instid0(VALU_DEP_2)
	v_mov_b32_e32 v109, v115
	scratch_store_b64 off, v[108:109], off offset:16
.LBB115_495:
	s_wait_xcnt 0x0
	s_or_b32 exec_lo, exec_lo, s0
	scratch_load_b64 v[108:109], off, off offset:8
	v_cmp_lt_u32_e64 s0, 1, v0
	s_wait_loadcnt 0x0
	ds_store_b64 v1, v[108:109]
	s_wait_storecnt_dscnt 0x0
	s_barrier_signal -1
	s_barrier_wait -1
	s_wait_xcnt 0x0
	s_and_saveexec_b32 s1, s0
	s_cbranch_execz .LBB115_505
; %bb.496:
	s_and_not1_b32 vcc_lo, exec_lo, s3
	s_cbranch_vccnz .LBB115_498
; %bb.497:
	scratch_load_b64 v[108:109], v59, off
	ds_load_b64 v[110:111], v1
	s_wait_loadcnt_dscnt 0x0
	v_pk_mul_f32 v[112:113], v[110:111], v[108:109] op_sel:[1,1] op_sel_hi:[0,1]
	s_delay_alu instid0(VALU_DEP_1) | instskip(SKIP_1) | instid1(VALU_DEP_2)
	v_pk_fma_f32 v[114:115], v[110:111], v[108:109], v[112:113] op_sel_hi:[1,0,1]
	v_pk_fma_f32 v[108:109], v[110:111], v[108:109], v[112:113] neg_lo:[0,0,1] neg_hi:[0,0,1]
	v_mov_b32_e32 v109, v115
	s_cbranch_execz .LBB115_499
	s_branch .LBB115_500
.LBB115_498:
                                        ; implicit-def: $vgpr108_vgpr109
.LBB115_499:
	ds_load_b64 v[108:109], v1
.LBB115_500:
	s_and_saveexec_b32 s8, s2
	s_cbranch_execz .LBB115_504
; %bb.501:
	v_add_nc_u32_e32 v110, -2, v0
	s_movk_i32 s9, 0x1b0
	s_mov_b32 s2, 0
.LBB115_502:                            ; =>This Inner Loop Header: Depth=1
	scratch_load_b64 v[112:113], off, s5
	v_dual_mov_b32 v111, s9 :: v_dual_add_nc_u32 v110, -1, v110
	s_add_co_i32 s9, s9, 8
	s_wait_xcnt 0x0
	s_add_co_i32 s5, s5, 8
	ds_load_b64 v[114:115], v111
	v_cmp_eq_u32_e32 vcc_lo, 0, v110
	s_or_b32 s2, vcc_lo, s2
	s_wait_loadcnt_dscnt 0x0
	v_pk_mul_f32 v[116:117], v[114:115], v[112:113] op_sel:[1,1] op_sel_hi:[0,1]
	s_delay_alu instid0(VALU_DEP_1) | instskip(SKIP_1) | instid1(VALU_DEP_2)
	v_pk_fma_f32 v[118:119], v[114:115], v[112:113], v[116:117] op_sel_hi:[1,0,1]
	v_pk_fma_f32 v[112:113], v[114:115], v[112:113], v[116:117] neg_lo:[0,0,1] neg_hi:[0,0,1]
	v_mov_b32_e32 v113, v119
	s_delay_alu instid0(VALU_DEP_1)
	v_pk_add_f32 v[108:109], v[108:109], v[112:113]
	s_and_not1_b32 exec_lo, exec_lo, s2
	s_cbranch_execnz .LBB115_502
; %bb.503:
	s_or_b32 exec_lo, exec_lo, s2
.LBB115_504:
	s_delay_alu instid0(SALU_CYCLE_1) | instskip(SKIP_4) | instid1(VALU_DEP_1)
	s_or_b32 exec_lo, exec_lo, s8
	v_mov_b32_e32 v110, 0
	ds_load_b64 v[110:111], v110 offset:8
	s_wait_dscnt 0x0
	v_pk_mul_f32 v[112:113], v[108:109], v[110:111] op_sel:[1,1] op_sel_hi:[0,1]
	v_pk_fma_f32 v[114:115], v[108:109], v[110:111], v[112:113] op_sel_hi:[1,0,1]
	v_pk_fma_f32 v[108:109], v[108:109], v[110:111], v[112:113] neg_lo:[0,0,1] neg_hi:[0,0,1]
	s_delay_alu instid0(VALU_DEP_2)
	v_mov_b32_e32 v109, v115
	scratch_store_b64 off, v[108:109], off offset:8
.LBB115_505:
	s_wait_xcnt 0x0
	s_or_b32 exec_lo, exec_lo, s1
	scratch_load_b64 v[108:109], off, off
	s_mov_b32 s2, 0
	s_mov_b32 s1, 0
	s_mov_b32 s8, exec_lo
                                        ; implicit-def: $vgpr154
                                        ; implicit-def: $sgpr5
	s_wait_loadcnt 0x0
	ds_store_b64 v1, v[108:109]
	s_wait_storecnt_dscnt 0x0
	s_barrier_signal -1
	s_barrier_wait -1
	s_wait_xcnt 0x0
	v_cmpx_ne_u32_e32 0, v0
	s_cbranch_execz .LBB115_515
; %bb.506:
	s_and_not1_b32 vcc_lo, exec_lo, s3
	s_cbranch_vccnz .LBB115_508
; %bb.507:
	scratch_load_b64 v[110:111], v59, off
	ds_load_b64 v[112:113], v1
	s_wait_loadcnt_dscnt 0x0
	v_dual_mul_f32 v108, v113, v111 :: v_dual_mul_f32 v109, v112, v111
	s_delay_alu instid0(VALU_DEP_1)
	v_dual_fma_f32 v108, v112, v110, -v108 :: v_dual_fmac_f32 v109, v113, v110
	s_and_not1_b32 vcc_lo, exec_lo, s1
	s_cbranch_vccz .LBB115_509
	s_branch .LBB115_510
.LBB115_508:
                                        ; implicit-def: $vgpr108
.LBB115_509:
	ds_load_b64 v[108:109], v1
.LBB115_510:
	s_and_saveexec_b32 s1, s0
	s_cbranch_execz .LBB115_514
; %bb.511:
	v_add_nc_u32_e32 v110, -1, v0
	s_movk_i32 s5, 0x1a8
	s_mov_b32 s0, 0
.LBB115_512:                            ; =>This Inner Loop Header: Depth=1
	scratch_load_b64 v[112:113], off, s4
	v_mov_b32_e32 v111, s5
	s_add_co_i32 s5, s5, 8
	s_wait_xcnt 0x0
	s_add_co_i32 s4, s4, 8
	v_add_nc_u32_e32 v110, -1, v110
	ds_load_b64 v[114:115], v111
	v_cmp_eq_u32_e32 vcc_lo, 0, v110
	s_or_b32 s0, vcc_lo, s0
	s_wait_loadcnt_dscnt 0x0
	v_dual_mul_f32 v111, v115, v113 :: v_dual_mul_f32 v113, v114, v113
	s_delay_alu instid0(VALU_DEP_1) | instskip(NEXT) | instid1(VALU_DEP_1)
	v_dual_fma_f32 v111, v114, v112, -v111 :: v_dual_fmac_f32 v113, v115, v112
	v_dual_add_f32 v108, v108, v111 :: v_dual_add_f32 v109, v109, v113
	s_and_not1_b32 exec_lo, exec_lo, s0
	s_cbranch_execnz .LBB115_512
; %bb.513:
	s_or_b32 exec_lo, exec_lo, s0
.LBB115_514:
	s_delay_alu instid0(SALU_CYCLE_1)
	s_or_b32 exec_lo, exec_lo, s1
	v_mov_b32_e32 v110, 0
	s_mov_b32 s1, exec_lo
	s_or_b32 s5, 0, 4
	ds_load_b64 v[110:111], v110
	s_wait_dscnt 0x0
	v_dual_mul_f32 v112, v109, v111 :: v_dual_mul_f32 v154, v108, v111
	s_delay_alu instid0(VALU_DEP_1)
	v_dual_fma_f32 v108, v108, v110, -v112 :: v_dual_fmac_f32 v154, v109, v110
	scratch_store_b32 off, v108, off
.LBB115_515:
	s_wait_xcnt 0x0
	s_or_b32 exec_lo, exec_lo, s8
	s_delay_alu instid0(SALU_CYCLE_1)
	s_and_b32 vcc_lo, exec_lo, s2
	s_cbranch_vccz .LBB115_1021
.LBB115_516:
	scratch_load_b64 v[108:109], off, off offset:8
	v_cmp_eq_u32_e64 s0, 0, v0
	s_wait_loadcnt 0x0
	ds_store_b64 v1, v[108:109]
	s_wait_storecnt_dscnt 0x0
	s_barrier_signal -1
	s_barrier_wait -1
	s_wait_xcnt 0x0
	s_and_saveexec_b32 s2, s0
	s_cbranch_execz .LBB115_522
; %bb.517:
	s_and_b32 vcc_lo, exec_lo, s3
	s_cbranch_vccz .LBB115_519
; %bb.518:
	scratch_load_b64 v[108:109], v59, off
	ds_load_b64 v[110:111], v1
	s_wait_loadcnt_dscnt 0x0
	v_pk_mul_f32 v[112:113], v[110:111], v[108:109] op_sel:[1,1] op_sel_hi:[0,1]
	v_pk_mul_f32 v[114:115], v[110:111], v[108:109] op_sel_hi:[1,0]
	s_delay_alu instid0(VALU_DEP_2) | instskip(NEXT) | instid1(VALU_DEP_2)
	v_pk_fma_f32 v[108:109], v[110:111], v[108:109], v[112:113] op_sel_hi:[1,0,1]
	v_sub_f32_e32 v108, v114, v112
	s_cbranch_execz .LBB115_520
	s_branch .LBB115_521
.LBB115_519:
                                        ; implicit-def: $vgpr109
.LBB115_520:
	ds_load_b64 v[108:109], v1
.LBB115_521:
	s_wait_dscnt 0x0
	v_dual_mov_b32 v110, 0 :: v_dual_mov_b32 v112, v109
	v_mov_b32_e32 v113, v108
	ds_load_b64 v[110:111], v110 offset:8
	s_wait_dscnt 0x0
	v_pk_mul_f32 v[112:113], v[112:113], v[110:111] op_sel:[0,1]
	s_delay_alu instid0(VALU_DEP_1) | instskip(SKIP_1) | instid1(VALU_DEP_2)
	v_pk_fma_f32 v[114:115], v[108:109], v[110:111], v[112:113] op_sel_hi:[1,0,1]
	v_pk_fma_f32 v[108:109], v[108:109], v[110:111], v[112:113] neg_lo:[0,0,1] neg_hi:[0,0,1]
	v_mov_b32_e32 v109, v115
	scratch_store_b64 off, v[108:109], off offset:8
.LBB115_522:
	s_wait_xcnt 0x0
	s_or_b32 exec_lo, exec_lo, s2
	scratch_load_b64 v[108:109], off, off offset:16
	v_cndmask_b32_e64 v110, 0, 1, s3
	s_mov_b32 s2, exec_lo
	s_wait_loadcnt 0x0
	ds_store_b64 v1, v[108:109]
	s_wait_storecnt_dscnt 0x0
	s_barrier_signal -1
	s_barrier_wait -1
	s_wait_xcnt 0x0
	v_cmpx_gt_u32_e32 2, v0
	s_cbranch_execz .LBB115_530
; %bb.523:
	s_and_not1_b32 vcc_lo, exec_lo, s3
	s_cbranch_vccnz .LBB115_525
; %bb.524:
	scratch_load_b64 v[108:109], v59, off
	ds_load_b64 v[112:113], v1
	s_wait_loadcnt_dscnt 0x0
	v_pk_mul_f32 v[114:115], v[112:113], v[108:109] op_sel:[1,1] op_sel_hi:[0,1]
	s_delay_alu instid0(VALU_DEP_1) | instskip(SKIP_1) | instid1(VALU_DEP_2)
	v_pk_fma_f32 v[116:117], v[112:113], v[108:109], v[114:115] op_sel_hi:[1,0,1]
	v_pk_fma_f32 v[108:109], v[112:113], v[108:109], v[114:115] neg_lo:[0,0,1] neg_hi:[0,0,1]
	v_mov_b32_e32 v109, v117
	s_cbranch_execz .LBB115_526
	s_branch .LBB115_527
.LBB115_525:
                                        ; implicit-def: $vgpr108_vgpr109
.LBB115_526:
	ds_load_b64 v[108:109], v1
.LBB115_527:
	s_and_saveexec_b32 s3, s0
	s_cbranch_execz .LBB115_529
; %bb.528:
	scratch_load_b64 v[112:113], off, off offset:8
	v_mov_b32_e32 v111, 0
	ds_load_b64 v[114:115], v111 offset:424
	s_wait_loadcnt_dscnt 0x0
	v_pk_mul_f32 v[116:117], v[114:115], v[112:113] op_sel:[1,1] op_sel_hi:[0,1]
	s_delay_alu instid0(VALU_DEP_1) | instskip(SKIP_1) | instid1(VALU_DEP_2)
	v_pk_fma_f32 v[118:119], v[114:115], v[112:113], v[116:117] op_sel_hi:[1,0,1]
	v_pk_fma_f32 v[112:113], v[114:115], v[112:113], v[116:117] neg_lo:[0,0,1] neg_hi:[0,0,1]
	v_mov_b32_e32 v113, v119
	s_delay_alu instid0(VALU_DEP_1)
	v_pk_add_f32 v[108:109], v[108:109], v[112:113]
.LBB115_529:
	s_or_b32 exec_lo, exec_lo, s3
	v_mov_b32_e32 v111, 0
	ds_load_b64 v[112:113], v111 offset:16
	s_wait_dscnt 0x0
	v_pk_mul_f32 v[114:115], v[108:109], v[112:113] op_sel:[1,1] op_sel_hi:[0,1]
	s_delay_alu instid0(VALU_DEP_1) | instskip(SKIP_1) | instid1(VALU_DEP_2)
	v_pk_fma_f32 v[116:117], v[108:109], v[112:113], v[114:115] op_sel_hi:[1,0,1]
	v_pk_fma_f32 v[108:109], v[108:109], v[112:113], v[114:115] neg_lo:[0,0,1] neg_hi:[0,0,1]
	v_mov_b32_e32 v109, v117
	scratch_store_b64 off, v[108:109], off offset:16
.LBB115_530:
	s_wait_xcnt 0x0
	s_or_b32 exec_lo, exec_lo, s2
	scratch_load_b64 v[108:109], off, off offset:24
	s_mov_b32 s2, exec_lo
	s_wait_loadcnt 0x0
	ds_store_b64 v1, v[108:109]
	s_wait_storecnt_dscnt 0x0
	s_barrier_signal -1
	s_barrier_wait -1
	s_wait_xcnt 0x0
	v_cmpx_gt_u32_e32 3, v0
	s_cbranch_execz .LBB115_540
; %bb.531:
	v_cmp_ne_u32_e32 vcc_lo, 1, v110
	s_cbranch_vccnz .LBB115_533
; %bb.532:
	scratch_load_b64 v[108:109], v59, off
	ds_load_b64 v[112:113], v1
	s_wait_loadcnt_dscnt 0x0
	v_pk_mul_f32 v[114:115], v[112:113], v[108:109] op_sel:[1,1] op_sel_hi:[0,1]
	s_delay_alu instid0(VALU_DEP_1) | instskip(SKIP_1) | instid1(VALU_DEP_2)
	v_pk_fma_f32 v[116:117], v[112:113], v[108:109], v[114:115] op_sel_hi:[1,0,1]
	v_pk_fma_f32 v[108:109], v[112:113], v[108:109], v[114:115] neg_lo:[0,0,1] neg_hi:[0,0,1]
	v_mov_b32_e32 v109, v117
	s_cbranch_execz .LBB115_534
	s_branch .LBB115_535
.LBB115_533:
                                        ; implicit-def: $vgpr108_vgpr109
.LBB115_534:
	ds_load_b64 v[108:109], v1
.LBB115_535:
	s_mov_b32 s3, exec_lo
	v_cmpx_ne_u32_e32 2, v0
	s_cbranch_execz .LBB115_539
; %bb.536:
	scratch_load_b64 v[112:113], v59, off offset:8
	ds_load_b64 v[114:115], v1 offset:8
	s_wait_loadcnt_dscnt 0x0
	v_pk_mul_f32 v[116:117], v[114:115], v[112:113] op_sel:[1,1] op_sel_hi:[0,1]
	s_delay_alu instid0(VALU_DEP_1) | instskip(SKIP_1) | instid1(VALU_DEP_2)
	v_pk_fma_f32 v[118:119], v[114:115], v[112:113], v[116:117] op_sel_hi:[1,0,1]
	v_pk_fma_f32 v[112:113], v[114:115], v[112:113], v[116:117] neg_lo:[0,0,1] neg_hi:[0,0,1]
	v_mov_b32_e32 v113, v119
	s_delay_alu instid0(VALU_DEP_1)
	v_pk_add_f32 v[108:109], v[108:109], v[112:113]
	s_and_saveexec_b32 s4, s0
	s_cbranch_execz .LBB115_538
; %bb.537:
	scratch_load_b64 v[112:113], off, off offset:16
	v_mov_b32_e32 v111, 0
	ds_load_b64 v[114:115], v111 offset:432
	s_wait_loadcnt_dscnt 0x0
	v_pk_mul_f32 v[116:117], v[114:115], v[112:113] op_sel:[1,1] op_sel_hi:[0,1]
	s_delay_alu instid0(VALU_DEP_1) | instskip(SKIP_1) | instid1(VALU_DEP_2)
	v_pk_fma_f32 v[118:119], v[114:115], v[112:113], v[116:117] op_sel_hi:[1,0,1]
	v_pk_fma_f32 v[112:113], v[114:115], v[112:113], v[116:117] neg_lo:[0,0,1] neg_hi:[0,0,1]
	v_mov_b32_e32 v113, v119
	s_delay_alu instid0(VALU_DEP_1)
	v_pk_add_f32 v[108:109], v[108:109], v[112:113]
.LBB115_538:
	s_or_b32 exec_lo, exec_lo, s4
.LBB115_539:
	s_delay_alu instid0(SALU_CYCLE_1) | instskip(SKIP_4) | instid1(VALU_DEP_1)
	s_or_b32 exec_lo, exec_lo, s3
	v_mov_b32_e32 v111, 0
	ds_load_b64 v[112:113], v111 offset:24
	s_wait_dscnt 0x0
	v_pk_mul_f32 v[114:115], v[108:109], v[112:113] op_sel:[1,1] op_sel_hi:[0,1]
	v_pk_fma_f32 v[116:117], v[108:109], v[112:113], v[114:115] op_sel_hi:[1,0,1]
	v_pk_fma_f32 v[108:109], v[108:109], v[112:113], v[114:115] neg_lo:[0,0,1] neg_hi:[0,0,1]
	s_delay_alu instid0(VALU_DEP_2)
	v_mov_b32_e32 v109, v117
	scratch_store_b64 off, v[108:109], off offset:24
.LBB115_540:
	s_wait_xcnt 0x0
	s_or_b32 exec_lo, exec_lo, s2
	scratch_load_b64 v[108:109], off, off offset:32
	s_mov_b32 s0, exec_lo
	s_wait_loadcnt 0x0
	ds_store_b64 v1, v[108:109]
	s_wait_storecnt_dscnt 0x0
	s_barrier_signal -1
	s_barrier_wait -1
	s_wait_xcnt 0x0
	v_cmpx_gt_u32_e32 4, v0
	s_cbranch_execz .LBB115_550
; %bb.541:
	v_cmp_ne_u32_e32 vcc_lo, 1, v110
	s_cbranch_vccnz .LBB115_543
; %bb.542:
	scratch_load_b64 v[108:109], v59, off
	ds_load_b64 v[112:113], v1
	s_wait_loadcnt_dscnt 0x0
	v_pk_mul_f32 v[114:115], v[112:113], v[108:109] op_sel:[1,1] op_sel_hi:[0,1]
	s_delay_alu instid0(VALU_DEP_1) | instskip(SKIP_1) | instid1(VALU_DEP_2)
	v_pk_fma_f32 v[116:117], v[112:113], v[108:109], v[114:115] op_sel_hi:[1,0,1]
	v_pk_fma_f32 v[108:109], v[112:113], v[108:109], v[114:115] neg_lo:[0,0,1] neg_hi:[0,0,1]
	v_mov_b32_e32 v109, v117
	s_cbranch_execz .LBB115_544
	s_branch .LBB115_545
.LBB115_543:
                                        ; implicit-def: $vgpr108_vgpr109
.LBB115_544:
	ds_load_b64 v[108:109], v1
.LBB115_545:
	s_mov_b32 s2, exec_lo
	v_cmpx_ne_u32_e32 3, v0
	s_cbranch_execz .LBB115_549
; %bb.546:
	v_add_nc_u32_e32 v111, 0x1a8, v58
	v_add3_u32 v112, 0, v58, 8
	v_mov_b32_e32 v113, v0
	s_mov_b32 s3, 0
.LBB115_547:                            ; =>This Inner Loop Header: Depth=1
	scratch_load_b64 v[114:115], v112, off
	ds_load_b64 v[116:117], v111
	s_wait_xcnt 0x0
	v_dual_add_nc_u32 v111, 8, v111 :: v_dual_add_nc_u32 v112, 8, v112
	s_wait_loadcnt_dscnt 0x0
	v_pk_mul_f32 v[118:119], v[116:117], v[114:115] op_sel:[1,1] op_sel_hi:[0,1]
	s_delay_alu instid0(VALU_DEP_1) | instskip(SKIP_2) | instid1(VALU_DEP_3)
	v_pk_fma_f32 v[120:121], v[116:117], v[114:115], v[118:119] op_sel_hi:[1,0,1]
	v_add_nc_u32_e32 v113, 1, v113
	v_pk_fma_f32 v[114:115], v[116:117], v[114:115], v[118:119] neg_lo:[0,0,1] neg_hi:[0,0,1]
	v_mov_b32_e32 v115, v121
	s_delay_alu instid0(VALU_DEP_3) | instskip(NEXT) | instid1(VALU_DEP_2)
	v_cmp_lt_u32_e32 vcc_lo, 2, v113
	v_pk_add_f32 v[108:109], v[108:109], v[114:115]
	s_or_b32 s3, vcc_lo, s3
	s_delay_alu instid0(SALU_CYCLE_1)
	s_and_not1_b32 exec_lo, exec_lo, s3
	s_cbranch_execnz .LBB115_547
; %bb.548:
	s_or_b32 exec_lo, exec_lo, s3
.LBB115_549:
	s_delay_alu instid0(SALU_CYCLE_1) | instskip(SKIP_4) | instid1(VALU_DEP_1)
	s_or_b32 exec_lo, exec_lo, s2
	v_mov_b32_e32 v111, 0
	ds_load_b64 v[112:113], v111 offset:32
	s_wait_dscnt 0x0
	v_pk_mul_f32 v[114:115], v[108:109], v[112:113] op_sel:[1,1] op_sel_hi:[0,1]
	v_pk_fma_f32 v[116:117], v[108:109], v[112:113], v[114:115] op_sel_hi:[1,0,1]
	v_pk_fma_f32 v[108:109], v[108:109], v[112:113], v[114:115] neg_lo:[0,0,1] neg_hi:[0,0,1]
	s_delay_alu instid0(VALU_DEP_2)
	v_mov_b32_e32 v109, v117
	scratch_store_b64 off, v[108:109], off offset:32
.LBB115_550:
	s_wait_xcnt 0x0
	s_or_b32 exec_lo, exec_lo, s0
	scratch_load_b64 v[108:109], off, off offset:40
	s_mov_b32 s0, exec_lo
	s_wait_loadcnt 0x0
	ds_store_b64 v1, v[108:109]
	s_wait_storecnt_dscnt 0x0
	s_barrier_signal -1
	s_barrier_wait -1
	s_wait_xcnt 0x0
	v_cmpx_gt_u32_e32 5, v0
	s_cbranch_execz .LBB115_560
; %bb.551:
	v_cmp_ne_u32_e32 vcc_lo, 1, v110
	s_cbranch_vccnz .LBB115_553
; %bb.552:
	scratch_load_b64 v[108:109], v59, off
	ds_load_b64 v[112:113], v1
	s_wait_loadcnt_dscnt 0x0
	v_pk_mul_f32 v[114:115], v[112:113], v[108:109] op_sel:[1,1] op_sel_hi:[0,1]
	s_delay_alu instid0(VALU_DEP_1) | instskip(SKIP_1) | instid1(VALU_DEP_2)
	v_pk_fma_f32 v[116:117], v[112:113], v[108:109], v[114:115] op_sel_hi:[1,0,1]
	v_pk_fma_f32 v[108:109], v[112:113], v[108:109], v[114:115] neg_lo:[0,0,1] neg_hi:[0,0,1]
	v_mov_b32_e32 v109, v117
	s_cbranch_execz .LBB115_554
	s_branch .LBB115_555
.LBB115_553:
                                        ; implicit-def: $vgpr108_vgpr109
.LBB115_554:
	ds_load_b64 v[108:109], v1
.LBB115_555:
	s_mov_b32 s2, exec_lo
	v_cmpx_ne_u32_e32 4, v0
	s_cbranch_execz .LBB115_559
; %bb.556:
	v_add_nc_u32_e32 v111, 0x1a8, v58
	v_add3_u32 v112, 0, v58, 8
	v_mov_b32_e32 v113, v0
	s_mov_b32 s3, 0
.LBB115_557:                            ; =>This Inner Loop Header: Depth=1
	scratch_load_b64 v[114:115], v112, off
	ds_load_b64 v[116:117], v111
	s_wait_xcnt 0x0
	v_dual_add_nc_u32 v111, 8, v111 :: v_dual_add_nc_u32 v112, 8, v112
	s_wait_loadcnt_dscnt 0x0
	v_pk_mul_f32 v[118:119], v[116:117], v[114:115] op_sel:[1,1] op_sel_hi:[0,1]
	s_delay_alu instid0(VALU_DEP_1) | instskip(SKIP_2) | instid1(VALU_DEP_3)
	v_pk_fma_f32 v[120:121], v[116:117], v[114:115], v[118:119] op_sel_hi:[1,0,1]
	v_add_nc_u32_e32 v113, 1, v113
	v_pk_fma_f32 v[114:115], v[116:117], v[114:115], v[118:119] neg_lo:[0,0,1] neg_hi:[0,0,1]
	v_mov_b32_e32 v115, v121
	s_delay_alu instid0(VALU_DEP_3) | instskip(NEXT) | instid1(VALU_DEP_2)
	v_cmp_lt_u32_e32 vcc_lo, 3, v113
	v_pk_add_f32 v[108:109], v[108:109], v[114:115]
	s_or_b32 s3, vcc_lo, s3
	s_delay_alu instid0(SALU_CYCLE_1)
	s_and_not1_b32 exec_lo, exec_lo, s3
	s_cbranch_execnz .LBB115_557
; %bb.558:
	s_or_b32 exec_lo, exec_lo, s3
.LBB115_559:
	s_delay_alu instid0(SALU_CYCLE_1) | instskip(SKIP_4) | instid1(VALU_DEP_1)
	s_or_b32 exec_lo, exec_lo, s2
	v_mov_b32_e32 v111, 0
	ds_load_b64 v[112:113], v111 offset:40
	s_wait_dscnt 0x0
	v_pk_mul_f32 v[114:115], v[108:109], v[112:113] op_sel:[1,1] op_sel_hi:[0,1]
	v_pk_fma_f32 v[116:117], v[108:109], v[112:113], v[114:115] op_sel_hi:[1,0,1]
	v_pk_fma_f32 v[108:109], v[108:109], v[112:113], v[114:115] neg_lo:[0,0,1] neg_hi:[0,0,1]
	s_delay_alu instid0(VALU_DEP_2)
	v_mov_b32_e32 v109, v117
	scratch_store_b64 off, v[108:109], off offset:40
.LBB115_560:
	s_wait_xcnt 0x0
	s_or_b32 exec_lo, exec_lo, s0
	scratch_load_b64 v[108:109], off, off offset:48
	s_mov_b32 s0, exec_lo
	s_wait_loadcnt 0x0
	ds_store_b64 v1, v[108:109]
	s_wait_storecnt_dscnt 0x0
	s_barrier_signal -1
	s_barrier_wait -1
	s_wait_xcnt 0x0
	v_cmpx_gt_u32_e32 6, v0
	s_cbranch_execz .LBB115_570
; %bb.561:
	v_cmp_ne_u32_e32 vcc_lo, 1, v110
	s_cbranch_vccnz .LBB115_563
; %bb.562:
	scratch_load_b64 v[108:109], v59, off
	ds_load_b64 v[112:113], v1
	s_wait_loadcnt_dscnt 0x0
	v_pk_mul_f32 v[114:115], v[112:113], v[108:109] op_sel:[1,1] op_sel_hi:[0,1]
	s_delay_alu instid0(VALU_DEP_1) | instskip(SKIP_1) | instid1(VALU_DEP_2)
	v_pk_fma_f32 v[116:117], v[112:113], v[108:109], v[114:115] op_sel_hi:[1,0,1]
	v_pk_fma_f32 v[108:109], v[112:113], v[108:109], v[114:115] neg_lo:[0,0,1] neg_hi:[0,0,1]
	v_mov_b32_e32 v109, v117
	s_cbranch_execz .LBB115_564
	s_branch .LBB115_565
.LBB115_563:
                                        ; implicit-def: $vgpr108_vgpr109
.LBB115_564:
	ds_load_b64 v[108:109], v1
.LBB115_565:
	s_mov_b32 s2, exec_lo
	v_cmpx_ne_u32_e32 5, v0
	s_cbranch_execz .LBB115_569
; %bb.566:
	v_add_nc_u32_e32 v111, 0x1a8, v58
	v_add3_u32 v112, 0, v58, 8
	v_mov_b32_e32 v113, v0
	s_mov_b32 s3, 0
.LBB115_567:                            ; =>This Inner Loop Header: Depth=1
	scratch_load_b64 v[114:115], v112, off
	ds_load_b64 v[116:117], v111
	s_wait_xcnt 0x0
	v_dual_add_nc_u32 v111, 8, v111 :: v_dual_add_nc_u32 v112, 8, v112
	s_wait_loadcnt_dscnt 0x0
	v_pk_mul_f32 v[118:119], v[116:117], v[114:115] op_sel:[1,1] op_sel_hi:[0,1]
	s_delay_alu instid0(VALU_DEP_1) | instskip(SKIP_2) | instid1(VALU_DEP_3)
	v_pk_fma_f32 v[120:121], v[116:117], v[114:115], v[118:119] op_sel_hi:[1,0,1]
	v_add_nc_u32_e32 v113, 1, v113
	v_pk_fma_f32 v[114:115], v[116:117], v[114:115], v[118:119] neg_lo:[0,0,1] neg_hi:[0,0,1]
	v_mov_b32_e32 v115, v121
	s_delay_alu instid0(VALU_DEP_3) | instskip(NEXT) | instid1(VALU_DEP_2)
	v_cmp_lt_u32_e32 vcc_lo, 4, v113
	v_pk_add_f32 v[108:109], v[108:109], v[114:115]
	s_or_b32 s3, vcc_lo, s3
	s_delay_alu instid0(SALU_CYCLE_1)
	s_and_not1_b32 exec_lo, exec_lo, s3
	s_cbranch_execnz .LBB115_567
; %bb.568:
	s_or_b32 exec_lo, exec_lo, s3
.LBB115_569:
	s_delay_alu instid0(SALU_CYCLE_1) | instskip(SKIP_4) | instid1(VALU_DEP_1)
	s_or_b32 exec_lo, exec_lo, s2
	v_mov_b32_e32 v111, 0
	ds_load_b64 v[112:113], v111 offset:48
	s_wait_dscnt 0x0
	v_pk_mul_f32 v[114:115], v[108:109], v[112:113] op_sel:[1,1] op_sel_hi:[0,1]
	v_pk_fma_f32 v[116:117], v[108:109], v[112:113], v[114:115] op_sel_hi:[1,0,1]
	v_pk_fma_f32 v[108:109], v[108:109], v[112:113], v[114:115] neg_lo:[0,0,1] neg_hi:[0,0,1]
	s_delay_alu instid0(VALU_DEP_2)
	v_mov_b32_e32 v109, v117
	scratch_store_b64 off, v[108:109], off offset:48
.LBB115_570:
	s_wait_xcnt 0x0
	s_or_b32 exec_lo, exec_lo, s0
	scratch_load_b64 v[108:109], off, off offset:56
	s_mov_b32 s0, exec_lo
	s_wait_loadcnt 0x0
	ds_store_b64 v1, v[108:109]
	s_wait_storecnt_dscnt 0x0
	s_barrier_signal -1
	s_barrier_wait -1
	s_wait_xcnt 0x0
	v_cmpx_gt_u32_e32 7, v0
	s_cbranch_execz .LBB115_580
; %bb.571:
	v_cmp_ne_u32_e32 vcc_lo, 1, v110
	s_cbranch_vccnz .LBB115_573
; %bb.572:
	scratch_load_b64 v[108:109], v59, off
	ds_load_b64 v[112:113], v1
	s_wait_loadcnt_dscnt 0x0
	v_pk_mul_f32 v[114:115], v[112:113], v[108:109] op_sel:[1,1] op_sel_hi:[0,1]
	s_delay_alu instid0(VALU_DEP_1) | instskip(SKIP_1) | instid1(VALU_DEP_2)
	v_pk_fma_f32 v[116:117], v[112:113], v[108:109], v[114:115] op_sel_hi:[1,0,1]
	v_pk_fma_f32 v[108:109], v[112:113], v[108:109], v[114:115] neg_lo:[0,0,1] neg_hi:[0,0,1]
	v_mov_b32_e32 v109, v117
	s_cbranch_execz .LBB115_574
	s_branch .LBB115_575
.LBB115_573:
                                        ; implicit-def: $vgpr108_vgpr109
.LBB115_574:
	ds_load_b64 v[108:109], v1
.LBB115_575:
	s_mov_b32 s2, exec_lo
	v_cmpx_ne_u32_e32 6, v0
	s_cbranch_execz .LBB115_579
; %bb.576:
	v_add_nc_u32_e32 v111, 0x1a8, v58
	v_add3_u32 v112, 0, v58, 8
	v_mov_b32_e32 v113, v0
	s_mov_b32 s3, 0
.LBB115_577:                            ; =>This Inner Loop Header: Depth=1
	scratch_load_b64 v[114:115], v112, off
	ds_load_b64 v[116:117], v111
	s_wait_xcnt 0x0
	v_dual_add_nc_u32 v111, 8, v111 :: v_dual_add_nc_u32 v112, 8, v112
	s_wait_loadcnt_dscnt 0x0
	v_pk_mul_f32 v[118:119], v[116:117], v[114:115] op_sel:[1,1] op_sel_hi:[0,1]
	s_delay_alu instid0(VALU_DEP_1) | instskip(SKIP_2) | instid1(VALU_DEP_3)
	v_pk_fma_f32 v[120:121], v[116:117], v[114:115], v[118:119] op_sel_hi:[1,0,1]
	v_add_nc_u32_e32 v113, 1, v113
	v_pk_fma_f32 v[114:115], v[116:117], v[114:115], v[118:119] neg_lo:[0,0,1] neg_hi:[0,0,1]
	v_mov_b32_e32 v115, v121
	s_delay_alu instid0(VALU_DEP_3) | instskip(NEXT) | instid1(VALU_DEP_2)
	v_cmp_lt_u32_e32 vcc_lo, 5, v113
	v_pk_add_f32 v[108:109], v[108:109], v[114:115]
	s_or_b32 s3, vcc_lo, s3
	s_delay_alu instid0(SALU_CYCLE_1)
	s_and_not1_b32 exec_lo, exec_lo, s3
	s_cbranch_execnz .LBB115_577
; %bb.578:
	s_or_b32 exec_lo, exec_lo, s3
.LBB115_579:
	s_delay_alu instid0(SALU_CYCLE_1) | instskip(SKIP_4) | instid1(VALU_DEP_1)
	s_or_b32 exec_lo, exec_lo, s2
	v_mov_b32_e32 v111, 0
	ds_load_b64 v[112:113], v111 offset:56
	s_wait_dscnt 0x0
	v_pk_mul_f32 v[114:115], v[108:109], v[112:113] op_sel:[1,1] op_sel_hi:[0,1]
	v_pk_fma_f32 v[116:117], v[108:109], v[112:113], v[114:115] op_sel_hi:[1,0,1]
	v_pk_fma_f32 v[108:109], v[108:109], v[112:113], v[114:115] neg_lo:[0,0,1] neg_hi:[0,0,1]
	s_delay_alu instid0(VALU_DEP_2)
	v_mov_b32_e32 v109, v117
	scratch_store_b64 off, v[108:109], off offset:56
.LBB115_580:
	s_wait_xcnt 0x0
	s_or_b32 exec_lo, exec_lo, s0
	scratch_load_b64 v[108:109], off, off offset:64
	s_mov_b32 s0, exec_lo
	s_wait_loadcnt 0x0
	ds_store_b64 v1, v[108:109]
	s_wait_storecnt_dscnt 0x0
	s_barrier_signal -1
	s_barrier_wait -1
	s_wait_xcnt 0x0
	v_cmpx_gt_u32_e32 8, v0
	s_cbranch_execz .LBB115_590
; %bb.581:
	v_cmp_ne_u32_e32 vcc_lo, 1, v110
	s_cbranch_vccnz .LBB115_583
; %bb.582:
	scratch_load_b64 v[108:109], v59, off
	ds_load_b64 v[112:113], v1
	s_wait_loadcnt_dscnt 0x0
	v_pk_mul_f32 v[114:115], v[112:113], v[108:109] op_sel:[1,1] op_sel_hi:[0,1]
	s_delay_alu instid0(VALU_DEP_1) | instskip(SKIP_1) | instid1(VALU_DEP_2)
	v_pk_fma_f32 v[116:117], v[112:113], v[108:109], v[114:115] op_sel_hi:[1,0,1]
	v_pk_fma_f32 v[108:109], v[112:113], v[108:109], v[114:115] neg_lo:[0,0,1] neg_hi:[0,0,1]
	v_mov_b32_e32 v109, v117
	s_cbranch_execz .LBB115_584
	s_branch .LBB115_585
.LBB115_583:
                                        ; implicit-def: $vgpr108_vgpr109
.LBB115_584:
	ds_load_b64 v[108:109], v1
.LBB115_585:
	s_mov_b32 s2, exec_lo
	v_cmpx_ne_u32_e32 7, v0
	s_cbranch_execz .LBB115_589
; %bb.586:
	v_add_nc_u32_e32 v111, 0x1a8, v58
	v_add3_u32 v112, 0, v58, 8
	v_mov_b32_e32 v113, v0
	s_mov_b32 s3, 0
.LBB115_587:                            ; =>This Inner Loop Header: Depth=1
	scratch_load_b64 v[114:115], v112, off
	ds_load_b64 v[116:117], v111
	s_wait_xcnt 0x0
	v_dual_add_nc_u32 v111, 8, v111 :: v_dual_add_nc_u32 v112, 8, v112
	s_wait_loadcnt_dscnt 0x0
	v_pk_mul_f32 v[118:119], v[116:117], v[114:115] op_sel:[1,1] op_sel_hi:[0,1]
	s_delay_alu instid0(VALU_DEP_1) | instskip(SKIP_2) | instid1(VALU_DEP_3)
	v_pk_fma_f32 v[120:121], v[116:117], v[114:115], v[118:119] op_sel_hi:[1,0,1]
	v_add_nc_u32_e32 v113, 1, v113
	v_pk_fma_f32 v[114:115], v[116:117], v[114:115], v[118:119] neg_lo:[0,0,1] neg_hi:[0,0,1]
	v_mov_b32_e32 v115, v121
	s_delay_alu instid0(VALU_DEP_3) | instskip(NEXT) | instid1(VALU_DEP_2)
	v_cmp_lt_u32_e32 vcc_lo, 6, v113
	v_pk_add_f32 v[108:109], v[108:109], v[114:115]
	s_or_b32 s3, vcc_lo, s3
	s_delay_alu instid0(SALU_CYCLE_1)
	s_and_not1_b32 exec_lo, exec_lo, s3
	s_cbranch_execnz .LBB115_587
; %bb.588:
	s_or_b32 exec_lo, exec_lo, s3
.LBB115_589:
	s_delay_alu instid0(SALU_CYCLE_1) | instskip(SKIP_4) | instid1(VALU_DEP_1)
	s_or_b32 exec_lo, exec_lo, s2
	v_mov_b32_e32 v111, 0
	ds_load_b64 v[112:113], v111 offset:64
	s_wait_dscnt 0x0
	v_pk_mul_f32 v[114:115], v[108:109], v[112:113] op_sel:[1,1] op_sel_hi:[0,1]
	v_pk_fma_f32 v[116:117], v[108:109], v[112:113], v[114:115] op_sel_hi:[1,0,1]
	v_pk_fma_f32 v[108:109], v[108:109], v[112:113], v[114:115] neg_lo:[0,0,1] neg_hi:[0,0,1]
	s_delay_alu instid0(VALU_DEP_2)
	v_mov_b32_e32 v109, v117
	scratch_store_b64 off, v[108:109], off offset:64
.LBB115_590:
	s_wait_xcnt 0x0
	s_or_b32 exec_lo, exec_lo, s0
	scratch_load_b64 v[108:109], off, off offset:72
	s_mov_b32 s0, exec_lo
	s_wait_loadcnt 0x0
	ds_store_b64 v1, v[108:109]
	s_wait_storecnt_dscnt 0x0
	s_barrier_signal -1
	s_barrier_wait -1
	s_wait_xcnt 0x0
	v_cmpx_gt_u32_e32 9, v0
	s_cbranch_execz .LBB115_600
; %bb.591:
	v_cmp_ne_u32_e32 vcc_lo, 1, v110
	s_cbranch_vccnz .LBB115_593
; %bb.592:
	scratch_load_b64 v[108:109], v59, off
	ds_load_b64 v[112:113], v1
	s_wait_loadcnt_dscnt 0x0
	v_pk_mul_f32 v[114:115], v[112:113], v[108:109] op_sel:[1,1] op_sel_hi:[0,1]
	s_delay_alu instid0(VALU_DEP_1) | instskip(SKIP_1) | instid1(VALU_DEP_2)
	v_pk_fma_f32 v[116:117], v[112:113], v[108:109], v[114:115] op_sel_hi:[1,0,1]
	v_pk_fma_f32 v[108:109], v[112:113], v[108:109], v[114:115] neg_lo:[0,0,1] neg_hi:[0,0,1]
	v_mov_b32_e32 v109, v117
	s_cbranch_execz .LBB115_594
	s_branch .LBB115_595
.LBB115_593:
                                        ; implicit-def: $vgpr108_vgpr109
.LBB115_594:
	ds_load_b64 v[108:109], v1
.LBB115_595:
	s_mov_b32 s2, exec_lo
	v_cmpx_ne_u32_e32 8, v0
	s_cbranch_execz .LBB115_599
; %bb.596:
	v_add_nc_u32_e32 v111, 0x1a8, v58
	v_add3_u32 v112, 0, v58, 8
	v_mov_b32_e32 v113, v0
	s_mov_b32 s3, 0
.LBB115_597:                            ; =>This Inner Loop Header: Depth=1
	scratch_load_b64 v[114:115], v112, off
	ds_load_b64 v[116:117], v111
	s_wait_xcnt 0x0
	v_dual_add_nc_u32 v111, 8, v111 :: v_dual_add_nc_u32 v112, 8, v112
	s_wait_loadcnt_dscnt 0x0
	v_pk_mul_f32 v[118:119], v[116:117], v[114:115] op_sel:[1,1] op_sel_hi:[0,1]
	s_delay_alu instid0(VALU_DEP_1) | instskip(SKIP_2) | instid1(VALU_DEP_3)
	v_pk_fma_f32 v[120:121], v[116:117], v[114:115], v[118:119] op_sel_hi:[1,0,1]
	v_add_nc_u32_e32 v113, 1, v113
	v_pk_fma_f32 v[114:115], v[116:117], v[114:115], v[118:119] neg_lo:[0,0,1] neg_hi:[0,0,1]
	v_mov_b32_e32 v115, v121
	s_delay_alu instid0(VALU_DEP_3) | instskip(NEXT) | instid1(VALU_DEP_2)
	v_cmp_lt_u32_e32 vcc_lo, 7, v113
	v_pk_add_f32 v[108:109], v[108:109], v[114:115]
	s_or_b32 s3, vcc_lo, s3
	s_delay_alu instid0(SALU_CYCLE_1)
	s_and_not1_b32 exec_lo, exec_lo, s3
	s_cbranch_execnz .LBB115_597
; %bb.598:
	s_or_b32 exec_lo, exec_lo, s3
.LBB115_599:
	s_delay_alu instid0(SALU_CYCLE_1) | instskip(SKIP_4) | instid1(VALU_DEP_1)
	s_or_b32 exec_lo, exec_lo, s2
	v_mov_b32_e32 v111, 0
	ds_load_b64 v[112:113], v111 offset:72
	s_wait_dscnt 0x0
	v_pk_mul_f32 v[114:115], v[108:109], v[112:113] op_sel:[1,1] op_sel_hi:[0,1]
	v_pk_fma_f32 v[116:117], v[108:109], v[112:113], v[114:115] op_sel_hi:[1,0,1]
	v_pk_fma_f32 v[108:109], v[108:109], v[112:113], v[114:115] neg_lo:[0,0,1] neg_hi:[0,0,1]
	s_delay_alu instid0(VALU_DEP_2)
	v_mov_b32_e32 v109, v117
	scratch_store_b64 off, v[108:109], off offset:72
.LBB115_600:
	s_wait_xcnt 0x0
	s_or_b32 exec_lo, exec_lo, s0
	scratch_load_b64 v[108:109], off, off offset:80
	s_mov_b32 s0, exec_lo
	s_wait_loadcnt 0x0
	ds_store_b64 v1, v[108:109]
	s_wait_storecnt_dscnt 0x0
	s_barrier_signal -1
	s_barrier_wait -1
	s_wait_xcnt 0x0
	v_cmpx_gt_u32_e32 10, v0
	s_cbranch_execz .LBB115_610
; %bb.601:
	v_cmp_ne_u32_e32 vcc_lo, 1, v110
	s_cbranch_vccnz .LBB115_603
; %bb.602:
	scratch_load_b64 v[108:109], v59, off
	ds_load_b64 v[112:113], v1
	s_wait_loadcnt_dscnt 0x0
	v_pk_mul_f32 v[114:115], v[112:113], v[108:109] op_sel:[1,1] op_sel_hi:[0,1]
	s_delay_alu instid0(VALU_DEP_1) | instskip(SKIP_1) | instid1(VALU_DEP_2)
	v_pk_fma_f32 v[116:117], v[112:113], v[108:109], v[114:115] op_sel_hi:[1,0,1]
	v_pk_fma_f32 v[108:109], v[112:113], v[108:109], v[114:115] neg_lo:[0,0,1] neg_hi:[0,0,1]
	v_mov_b32_e32 v109, v117
	s_cbranch_execz .LBB115_604
	s_branch .LBB115_605
.LBB115_603:
                                        ; implicit-def: $vgpr108_vgpr109
.LBB115_604:
	ds_load_b64 v[108:109], v1
.LBB115_605:
	s_mov_b32 s2, exec_lo
	v_cmpx_ne_u32_e32 9, v0
	s_cbranch_execz .LBB115_609
; %bb.606:
	v_add_nc_u32_e32 v111, 0x1a8, v58
	v_add3_u32 v112, 0, v58, 8
	v_mov_b32_e32 v113, v0
	s_mov_b32 s3, 0
.LBB115_607:                            ; =>This Inner Loop Header: Depth=1
	scratch_load_b64 v[114:115], v112, off
	ds_load_b64 v[116:117], v111
	s_wait_xcnt 0x0
	v_dual_add_nc_u32 v111, 8, v111 :: v_dual_add_nc_u32 v112, 8, v112
	s_wait_loadcnt_dscnt 0x0
	v_pk_mul_f32 v[118:119], v[116:117], v[114:115] op_sel:[1,1] op_sel_hi:[0,1]
	s_delay_alu instid0(VALU_DEP_1) | instskip(SKIP_2) | instid1(VALU_DEP_3)
	v_pk_fma_f32 v[120:121], v[116:117], v[114:115], v[118:119] op_sel_hi:[1,0,1]
	v_add_nc_u32_e32 v113, 1, v113
	v_pk_fma_f32 v[114:115], v[116:117], v[114:115], v[118:119] neg_lo:[0,0,1] neg_hi:[0,0,1]
	v_mov_b32_e32 v115, v121
	s_delay_alu instid0(VALU_DEP_3) | instskip(NEXT) | instid1(VALU_DEP_2)
	v_cmp_lt_u32_e32 vcc_lo, 8, v113
	v_pk_add_f32 v[108:109], v[108:109], v[114:115]
	s_or_b32 s3, vcc_lo, s3
	s_delay_alu instid0(SALU_CYCLE_1)
	s_and_not1_b32 exec_lo, exec_lo, s3
	s_cbranch_execnz .LBB115_607
; %bb.608:
	s_or_b32 exec_lo, exec_lo, s3
.LBB115_609:
	s_delay_alu instid0(SALU_CYCLE_1) | instskip(SKIP_4) | instid1(VALU_DEP_1)
	s_or_b32 exec_lo, exec_lo, s2
	v_mov_b32_e32 v111, 0
	ds_load_b64 v[112:113], v111 offset:80
	s_wait_dscnt 0x0
	v_pk_mul_f32 v[114:115], v[108:109], v[112:113] op_sel:[1,1] op_sel_hi:[0,1]
	v_pk_fma_f32 v[116:117], v[108:109], v[112:113], v[114:115] op_sel_hi:[1,0,1]
	v_pk_fma_f32 v[108:109], v[108:109], v[112:113], v[114:115] neg_lo:[0,0,1] neg_hi:[0,0,1]
	s_delay_alu instid0(VALU_DEP_2)
	v_mov_b32_e32 v109, v117
	scratch_store_b64 off, v[108:109], off offset:80
.LBB115_610:
	s_wait_xcnt 0x0
	s_or_b32 exec_lo, exec_lo, s0
	scratch_load_b64 v[108:109], off, off offset:88
	s_mov_b32 s0, exec_lo
	s_wait_loadcnt 0x0
	ds_store_b64 v1, v[108:109]
	s_wait_storecnt_dscnt 0x0
	s_barrier_signal -1
	s_barrier_wait -1
	s_wait_xcnt 0x0
	v_cmpx_gt_u32_e32 11, v0
	s_cbranch_execz .LBB115_620
; %bb.611:
	v_cmp_ne_u32_e32 vcc_lo, 1, v110
	s_cbranch_vccnz .LBB115_613
; %bb.612:
	scratch_load_b64 v[108:109], v59, off
	ds_load_b64 v[112:113], v1
	s_wait_loadcnt_dscnt 0x0
	v_pk_mul_f32 v[114:115], v[112:113], v[108:109] op_sel:[1,1] op_sel_hi:[0,1]
	s_delay_alu instid0(VALU_DEP_1) | instskip(SKIP_1) | instid1(VALU_DEP_2)
	v_pk_fma_f32 v[116:117], v[112:113], v[108:109], v[114:115] op_sel_hi:[1,0,1]
	v_pk_fma_f32 v[108:109], v[112:113], v[108:109], v[114:115] neg_lo:[0,0,1] neg_hi:[0,0,1]
	v_mov_b32_e32 v109, v117
	s_cbranch_execz .LBB115_614
	s_branch .LBB115_615
.LBB115_613:
                                        ; implicit-def: $vgpr108_vgpr109
.LBB115_614:
	ds_load_b64 v[108:109], v1
.LBB115_615:
	s_mov_b32 s2, exec_lo
	v_cmpx_ne_u32_e32 10, v0
	s_cbranch_execz .LBB115_619
; %bb.616:
	v_add_nc_u32_e32 v111, 0x1a8, v58
	v_add3_u32 v112, 0, v58, 8
	v_mov_b32_e32 v113, v0
	s_mov_b32 s3, 0
.LBB115_617:                            ; =>This Inner Loop Header: Depth=1
	scratch_load_b64 v[114:115], v112, off
	ds_load_b64 v[116:117], v111
	s_wait_xcnt 0x0
	v_dual_add_nc_u32 v111, 8, v111 :: v_dual_add_nc_u32 v112, 8, v112
	s_wait_loadcnt_dscnt 0x0
	v_pk_mul_f32 v[118:119], v[116:117], v[114:115] op_sel:[1,1] op_sel_hi:[0,1]
	s_delay_alu instid0(VALU_DEP_1) | instskip(SKIP_2) | instid1(VALU_DEP_3)
	v_pk_fma_f32 v[120:121], v[116:117], v[114:115], v[118:119] op_sel_hi:[1,0,1]
	v_add_nc_u32_e32 v113, 1, v113
	v_pk_fma_f32 v[114:115], v[116:117], v[114:115], v[118:119] neg_lo:[0,0,1] neg_hi:[0,0,1]
	v_mov_b32_e32 v115, v121
	s_delay_alu instid0(VALU_DEP_3) | instskip(NEXT) | instid1(VALU_DEP_2)
	v_cmp_lt_u32_e32 vcc_lo, 9, v113
	v_pk_add_f32 v[108:109], v[108:109], v[114:115]
	s_or_b32 s3, vcc_lo, s3
	s_delay_alu instid0(SALU_CYCLE_1)
	s_and_not1_b32 exec_lo, exec_lo, s3
	s_cbranch_execnz .LBB115_617
; %bb.618:
	s_or_b32 exec_lo, exec_lo, s3
.LBB115_619:
	s_delay_alu instid0(SALU_CYCLE_1) | instskip(SKIP_4) | instid1(VALU_DEP_1)
	s_or_b32 exec_lo, exec_lo, s2
	v_mov_b32_e32 v111, 0
	ds_load_b64 v[112:113], v111 offset:88
	s_wait_dscnt 0x0
	v_pk_mul_f32 v[114:115], v[108:109], v[112:113] op_sel:[1,1] op_sel_hi:[0,1]
	v_pk_fma_f32 v[116:117], v[108:109], v[112:113], v[114:115] op_sel_hi:[1,0,1]
	v_pk_fma_f32 v[108:109], v[108:109], v[112:113], v[114:115] neg_lo:[0,0,1] neg_hi:[0,0,1]
	s_delay_alu instid0(VALU_DEP_2)
	v_mov_b32_e32 v109, v117
	scratch_store_b64 off, v[108:109], off offset:88
.LBB115_620:
	s_wait_xcnt 0x0
	s_or_b32 exec_lo, exec_lo, s0
	scratch_load_b64 v[108:109], off, off offset:96
	s_mov_b32 s0, exec_lo
	s_wait_loadcnt 0x0
	ds_store_b64 v1, v[108:109]
	s_wait_storecnt_dscnt 0x0
	s_barrier_signal -1
	s_barrier_wait -1
	s_wait_xcnt 0x0
	v_cmpx_gt_u32_e32 12, v0
	s_cbranch_execz .LBB115_630
; %bb.621:
	v_cmp_ne_u32_e32 vcc_lo, 1, v110
	s_cbranch_vccnz .LBB115_623
; %bb.622:
	scratch_load_b64 v[108:109], v59, off
	ds_load_b64 v[112:113], v1
	s_wait_loadcnt_dscnt 0x0
	v_pk_mul_f32 v[114:115], v[112:113], v[108:109] op_sel:[1,1] op_sel_hi:[0,1]
	s_delay_alu instid0(VALU_DEP_1) | instskip(SKIP_1) | instid1(VALU_DEP_2)
	v_pk_fma_f32 v[116:117], v[112:113], v[108:109], v[114:115] op_sel_hi:[1,0,1]
	v_pk_fma_f32 v[108:109], v[112:113], v[108:109], v[114:115] neg_lo:[0,0,1] neg_hi:[0,0,1]
	v_mov_b32_e32 v109, v117
	s_cbranch_execz .LBB115_624
	s_branch .LBB115_625
.LBB115_623:
                                        ; implicit-def: $vgpr108_vgpr109
.LBB115_624:
	ds_load_b64 v[108:109], v1
.LBB115_625:
	s_mov_b32 s2, exec_lo
	v_cmpx_ne_u32_e32 11, v0
	s_cbranch_execz .LBB115_629
; %bb.626:
	v_add_nc_u32_e32 v111, 0x1a8, v58
	v_add3_u32 v112, 0, v58, 8
	v_mov_b32_e32 v113, v0
	s_mov_b32 s3, 0
.LBB115_627:                            ; =>This Inner Loop Header: Depth=1
	scratch_load_b64 v[114:115], v112, off
	ds_load_b64 v[116:117], v111
	s_wait_xcnt 0x0
	v_dual_add_nc_u32 v111, 8, v111 :: v_dual_add_nc_u32 v112, 8, v112
	s_wait_loadcnt_dscnt 0x0
	v_pk_mul_f32 v[118:119], v[116:117], v[114:115] op_sel:[1,1] op_sel_hi:[0,1]
	s_delay_alu instid0(VALU_DEP_1) | instskip(SKIP_2) | instid1(VALU_DEP_3)
	v_pk_fma_f32 v[120:121], v[116:117], v[114:115], v[118:119] op_sel_hi:[1,0,1]
	v_add_nc_u32_e32 v113, 1, v113
	v_pk_fma_f32 v[114:115], v[116:117], v[114:115], v[118:119] neg_lo:[0,0,1] neg_hi:[0,0,1]
	v_mov_b32_e32 v115, v121
	s_delay_alu instid0(VALU_DEP_3) | instskip(NEXT) | instid1(VALU_DEP_2)
	v_cmp_lt_u32_e32 vcc_lo, 10, v113
	v_pk_add_f32 v[108:109], v[108:109], v[114:115]
	s_or_b32 s3, vcc_lo, s3
	s_delay_alu instid0(SALU_CYCLE_1)
	s_and_not1_b32 exec_lo, exec_lo, s3
	s_cbranch_execnz .LBB115_627
; %bb.628:
	s_or_b32 exec_lo, exec_lo, s3
.LBB115_629:
	s_delay_alu instid0(SALU_CYCLE_1) | instskip(SKIP_4) | instid1(VALU_DEP_1)
	s_or_b32 exec_lo, exec_lo, s2
	v_mov_b32_e32 v111, 0
	ds_load_b64 v[112:113], v111 offset:96
	s_wait_dscnt 0x0
	v_pk_mul_f32 v[114:115], v[108:109], v[112:113] op_sel:[1,1] op_sel_hi:[0,1]
	v_pk_fma_f32 v[116:117], v[108:109], v[112:113], v[114:115] op_sel_hi:[1,0,1]
	v_pk_fma_f32 v[108:109], v[108:109], v[112:113], v[114:115] neg_lo:[0,0,1] neg_hi:[0,0,1]
	s_delay_alu instid0(VALU_DEP_2)
	v_mov_b32_e32 v109, v117
	scratch_store_b64 off, v[108:109], off offset:96
.LBB115_630:
	s_wait_xcnt 0x0
	s_or_b32 exec_lo, exec_lo, s0
	scratch_load_b64 v[108:109], off, off offset:104
	s_mov_b32 s0, exec_lo
	s_wait_loadcnt 0x0
	ds_store_b64 v1, v[108:109]
	s_wait_storecnt_dscnt 0x0
	s_barrier_signal -1
	s_barrier_wait -1
	s_wait_xcnt 0x0
	v_cmpx_gt_u32_e32 13, v0
	s_cbranch_execz .LBB115_640
; %bb.631:
	v_cmp_ne_u32_e32 vcc_lo, 1, v110
	s_cbranch_vccnz .LBB115_633
; %bb.632:
	scratch_load_b64 v[108:109], v59, off
	ds_load_b64 v[112:113], v1
	s_wait_loadcnt_dscnt 0x0
	v_pk_mul_f32 v[114:115], v[112:113], v[108:109] op_sel:[1,1] op_sel_hi:[0,1]
	s_delay_alu instid0(VALU_DEP_1) | instskip(SKIP_1) | instid1(VALU_DEP_2)
	v_pk_fma_f32 v[116:117], v[112:113], v[108:109], v[114:115] op_sel_hi:[1,0,1]
	v_pk_fma_f32 v[108:109], v[112:113], v[108:109], v[114:115] neg_lo:[0,0,1] neg_hi:[0,0,1]
	v_mov_b32_e32 v109, v117
	s_cbranch_execz .LBB115_634
	s_branch .LBB115_635
.LBB115_633:
                                        ; implicit-def: $vgpr108_vgpr109
.LBB115_634:
	ds_load_b64 v[108:109], v1
.LBB115_635:
	s_mov_b32 s2, exec_lo
	v_cmpx_ne_u32_e32 12, v0
	s_cbranch_execz .LBB115_639
; %bb.636:
	v_add_nc_u32_e32 v111, 0x1a8, v58
	v_add3_u32 v112, 0, v58, 8
	v_mov_b32_e32 v113, v0
	s_mov_b32 s3, 0
.LBB115_637:                            ; =>This Inner Loop Header: Depth=1
	scratch_load_b64 v[114:115], v112, off
	ds_load_b64 v[116:117], v111
	s_wait_xcnt 0x0
	v_dual_add_nc_u32 v111, 8, v111 :: v_dual_add_nc_u32 v112, 8, v112
	s_wait_loadcnt_dscnt 0x0
	v_pk_mul_f32 v[118:119], v[116:117], v[114:115] op_sel:[1,1] op_sel_hi:[0,1]
	s_delay_alu instid0(VALU_DEP_1) | instskip(SKIP_2) | instid1(VALU_DEP_3)
	v_pk_fma_f32 v[120:121], v[116:117], v[114:115], v[118:119] op_sel_hi:[1,0,1]
	v_add_nc_u32_e32 v113, 1, v113
	v_pk_fma_f32 v[114:115], v[116:117], v[114:115], v[118:119] neg_lo:[0,0,1] neg_hi:[0,0,1]
	v_mov_b32_e32 v115, v121
	s_delay_alu instid0(VALU_DEP_3) | instskip(NEXT) | instid1(VALU_DEP_2)
	v_cmp_lt_u32_e32 vcc_lo, 11, v113
	v_pk_add_f32 v[108:109], v[108:109], v[114:115]
	s_or_b32 s3, vcc_lo, s3
	s_delay_alu instid0(SALU_CYCLE_1)
	s_and_not1_b32 exec_lo, exec_lo, s3
	s_cbranch_execnz .LBB115_637
; %bb.638:
	s_or_b32 exec_lo, exec_lo, s3
.LBB115_639:
	s_delay_alu instid0(SALU_CYCLE_1) | instskip(SKIP_4) | instid1(VALU_DEP_1)
	s_or_b32 exec_lo, exec_lo, s2
	v_mov_b32_e32 v111, 0
	ds_load_b64 v[112:113], v111 offset:104
	s_wait_dscnt 0x0
	v_pk_mul_f32 v[114:115], v[108:109], v[112:113] op_sel:[1,1] op_sel_hi:[0,1]
	v_pk_fma_f32 v[116:117], v[108:109], v[112:113], v[114:115] op_sel_hi:[1,0,1]
	v_pk_fma_f32 v[108:109], v[108:109], v[112:113], v[114:115] neg_lo:[0,0,1] neg_hi:[0,0,1]
	s_delay_alu instid0(VALU_DEP_2)
	v_mov_b32_e32 v109, v117
	scratch_store_b64 off, v[108:109], off offset:104
.LBB115_640:
	s_wait_xcnt 0x0
	s_or_b32 exec_lo, exec_lo, s0
	scratch_load_b64 v[108:109], off, off offset:112
	s_mov_b32 s0, exec_lo
	s_wait_loadcnt 0x0
	ds_store_b64 v1, v[108:109]
	s_wait_storecnt_dscnt 0x0
	s_barrier_signal -1
	s_barrier_wait -1
	s_wait_xcnt 0x0
	v_cmpx_gt_u32_e32 14, v0
	s_cbranch_execz .LBB115_650
; %bb.641:
	v_cmp_ne_u32_e32 vcc_lo, 1, v110
	s_cbranch_vccnz .LBB115_643
; %bb.642:
	scratch_load_b64 v[108:109], v59, off
	ds_load_b64 v[112:113], v1
	s_wait_loadcnt_dscnt 0x0
	v_pk_mul_f32 v[114:115], v[112:113], v[108:109] op_sel:[1,1] op_sel_hi:[0,1]
	s_delay_alu instid0(VALU_DEP_1) | instskip(SKIP_1) | instid1(VALU_DEP_2)
	v_pk_fma_f32 v[116:117], v[112:113], v[108:109], v[114:115] op_sel_hi:[1,0,1]
	v_pk_fma_f32 v[108:109], v[112:113], v[108:109], v[114:115] neg_lo:[0,0,1] neg_hi:[0,0,1]
	v_mov_b32_e32 v109, v117
	s_cbranch_execz .LBB115_644
	s_branch .LBB115_645
.LBB115_643:
                                        ; implicit-def: $vgpr108_vgpr109
.LBB115_644:
	ds_load_b64 v[108:109], v1
.LBB115_645:
	s_mov_b32 s2, exec_lo
	v_cmpx_ne_u32_e32 13, v0
	s_cbranch_execz .LBB115_649
; %bb.646:
	v_add_nc_u32_e32 v111, 0x1a8, v58
	v_add3_u32 v112, 0, v58, 8
	v_mov_b32_e32 v113, v0
	s_mov_b32 s3, 0
.LBB115_647:                            ; =>This Inner Loop Header: Depth=1
	scratch_load_b64 v[114:115], v112, off
	ds_load_b64 v[116:117], v111
	s_wait_xcnt 0x0
	v_dual_add_nc_u32 v111, 8, v111 :: v_dual_add_nc_u32 v112, 8, v112
	s_wait_loadcnt_dscnt 0x0
	v_pk_mul_f32 v[118:119], v[116:117], v[114:115] op_sel:[1,1] op_sel_hi:[0,1]
	s_delay_alu instid0(VALU_DEP_1) | instskip(SKIP_2) | instid1(VALU_DEP_3)
	v_pk_fma_f32 v[120:121], v[116:117], v[114:115], v[118:119] op_sel_hi:[1,0,1]
	v_add_nc_u32_e32 v113, 1, v113
	v_pk_fma_f32 v[114:115], v[116:117], v[114:115], v[118:119] neg_lo:[0,0,1] neg_hi:[0,0,1]
	v_mov_b32_e32 v115, v121
	s_delay_alu instid0(VALU_DEP_3) | instskip(NEXT) | instid1(VALU_DEP_2)
	v_cmp_lt_u32_e32 vcc_lo, 12, v113
	v_pk_add_f32 v[108:109], v[108:109], v[114:115]
	s_or_b32 s3, vcc_lo, s3
	s_delay_alu instid0(SALU_CYCLE_1)
	s_and_not1_b32 exec_lo, exec_lo, s3
	s_cbranch_execnz .LBB115_647
; %bb.648:
	s_or_b32 exec_lo, exec_lo, s3
.LBB115_649:
	s_delay_alu instid0(SALU_CYCLE_1) | instskip(SKIP_4) | instid1(VALU_DEP_1)
	s_or_b32 exec_lo, exec_lo, s2
	v_mov_b32_e32 v111, 0
	ds_load_b64 v[112:113], v111 offset:112
	s_wait_dscnt 0x0
	v_pk_mul_f32 v[114:115], v[108:109], v[112:113] op_sel:[1,1] op_sel_hi:[0,1]
	v_pk_fma_f32 v[116:117], v[108:109], v[112:113], v[114:115] op_sel_hi:[1,0,1]
	v_pk_fma_f32 v[108:109], v[108:109], v[112:113], v[114:115] neg_lo:[0,0,1] neg_hi:[0,0,1]
	s_delay_alu instid0(VALU_DEP_2)
	v_mov_b32_e32 v109, v117
	scratch_store_b64 off, v[108:109], off offset:112
.LBB115_650:
	s_wait_xcnt 0x0
	s_or_b32 exec_lo, exec_lo, s0
	scratch_load_b64 v[108:109], off, off offset:120
	s_mov_b32 s0, exec_lo
	s_wait_loadcnt 0x0
	ds_store_b64 v1, v[108:109]
	s_wait_storecnt_dscnt 0x0
	s_barrier_signal -1
	s_barrier_wait -1
	s_wait_xcnt 0x0
	v_cmpx_gt_u32_e32 15, v0
	s_cbranch_execz .LBB115_660
; %bb.651:
	v_cmp_ne_u32_e32 vcc_lo, 1, v110
	s_cbranch_vccnz .LBB115_653
; %bb.652:
	scratch_load_b64 v[108:109], v59, off
	ds_load_b64 v[112:113], v1
	s_wait_loadcnt_dscnt 0x0
	v_pk_mul_f32 v[114:115], v[112:113], v[108:109] op_sel:[1,1] op_sel_hi:[0,1]
	s_delay_alu instid0(VALU_DEP_1) | instskip(SKIP_1) | instid1(VALU_DEP_2)
	v_pk_fma_f32 v[116:117], v[112:113], v[108:109], v[114:115] op_sel_hi:[1,0,1]
	v_pk_fma_f32 v[108:109], v[112:113], v[108:109], v[114:115] neg_lo:[0,0,1] neg_hi:[0,0,1]
	v_mov_b32_e32 v109, v117
	s_cbranch_execz .LBB115_654
	s_branch .LBB115_655
.LBB115_653:
                                        ; implicit-def: $vgpr108_vgpr109
.LBB115_654:
	ds_load_b64 v[108:109], v1
.LBB115_655:
	s_mov_b32 s2, exec_lo
	v_cmpx_ne_u32_e32 14, v0
	s_cbranch_execz .LBB115_659
; %bb.656:
	v_add_nc_u32_e32 v111, 0x1a8, v58
	v_add3_u32 v112, 0, v58, 8
	v_mov_b32_e32 v113, v0
	s_mov_b32 s3, 0
.LBB115_657:                            ; =>This Inner Loop Header: Depth=1
	scratch_load_b64 v[114:115], v112, off
	ds_load_b64 v[116:117], v111
	s_wait_xcnt 0x0
	v_dual_add_nc_u32 v111, 8, v111 :: v_dual_add_nc_u32 v112, 8, v112
	s_wait_loadcnt_dscnt 0x0
	v_pk_mul_f32 v[118:119], v[116:117], v[114:115] op_sel:[1,1] op_sel_hi:[0,1]
	s_delay_alu instid0(VALU_DEP_1) | instskip(SKIP_2) | instid1(VALU_DEP_3)
	v_pk_fma_f32 v[120:121], v[116:117], v[114:115], v[118:119] op_sel_hi:[1,0,1]
	v_add_nc_u32_e32 v113, 1, v113
	v_pk_fma_f32 v[114:115], v[116:117], v[114:115], v[118:119] neg_lo:[0,0,1] neg_hi:[0,0,1]
	v_mov_b32_e32 v115, v121
	s_delay_alu instid0(VALU_DEP_3) | instskip(NEXT) | instid1(VALU_DEP_2)
	v_cmp_lt_u32_e32 vcc_lo, 13, v113
	v_pk_add_f32 v[108:109], v[108:109], v[114:115]
	s_or_b32 s3, vcc_lo, s3
	s_delay_alu instid0(SALU_CYCLE_1)
	s_and_not1_b32 exec_lo, exec_lo, s3
	s_cbranch_execnz .LBB115_657
; %bb.658:
	s_or_b32 exec_lo, exec_lo, s3
.LBB115_659:
	s_delay_alu instid0(SALU_CYCLE_1) | instskip(SKIP_4) | instid1(VALU_DEP_1)
	s_or_b32 exec_lo, exec_lo, s2
	v_mov_b32_e32 v111, 0
	ds_load_b64 v[112:113], v111 offset:120
	s_wait_dscnt 0x0
	v_pk_mul_f32 v[114:115], v[108:109], v[112:113] op_sel:[1,1] op_sel_hi:[0,1]
	v_pk_fma_f32 v[116:117], v[108:109], v[112:113], v[114:115] op_sel_hi:[1,0,1]
	v_pk_fma_f32 v[108:109], v[108:109], v[112:113], v[114:115] neg_lo:[0,0,1] neg_hi:[0,0,1]
	s_delay_alu instid0(VALU_DEP_2)
	v_mov_b32_e32 v109, v117
	scratch_store_b64 off, v[108:109], off offset:120
.LBB115_660:
	s_wait_xcnt 0x0
	s_or_b32 exec_lo, exec_lo, s0
	scratch_load_b64 v[108:109], off, off offset:128
	s_mov_b32 s0, exec_lo
	s_wait_loadcnt 0x0
	ds_store_b64 v1, v[108:109]
	s_wait_storecnt_dscnt 0x0
	s_barrier_signal -1
	s_barrier_wait -1
	s_wait_xcnt 0x0
	v_cmpx_gt_u32_e32 16, v0
	s_cbranch_execz .LBB115_670
; %bb.661:
	v_cmp_ne_u32_e32 vcc_lo, 1, v110
	s_cbranch_vccnz .LBB115_663
; %bb.662:
	scratch_load_b64 v[108:109], v59, off
	ds_load_b64 v[112:113], v1
	s_wait_loadcnt_dscnt 0x0
	v_pk_mul_f32 v[114:115], v[112:113], v[108:109] op_sel:[1,1] op_sel_hi:[0,1]
	s_delay_alu instid0(VALU_DEP_1) | instskip(SKIP_1) | instid1(VALU_DEP_2)
	v_pk_fma_f32 v[116:117], v[112:113], v[108:109], v[114:115] op_sel_hi:[1,0,1]
	v_pk_fma_f32 v[108:109], v[112:113], v[108:109], v[114:115] neg_lo:[0,0,1] neg_hi:[0,0,1]
	v_mov_b32_e32 v109, v117
	s_cbranch_execz .LBB115_664
	s_branch .LBB115_665
.LBB115_663:
                                        ; implicit-def: $vgpr108_vgpr109
.LBB115_664:
	ds_load_b64 v[108:109], v1
.LBB115_665:
	s_mov_b32 s2, exec_lo
	v_cmpx_ne_u32_e32 15, v0
	s_cbranch_execz .LBB115_669
; %bb.666:
	v_add_nc_u32_e32 v111, 0x1a8, v58
	v_add3_u32 v112, 0, v58, 8
	v_mov_b32_e32 v113, v0
	s_mov_b32 s3, 0
.LBB115_667:                            ; =>This Inner Loop Header: Depth=1
	scratch_load_b64 v[114:115], v112, off
	ds_load_b64 v[116:117], v111
	s_wait_xcnt 0x0
	v_dual_add_nc_u32 v111, 8, v111 :: v_dual_add_nc_u32 v112, 8, v112
	s_wait_loadcnt_dscnt 0x0
	v_pk_mul_f32 v[118:119], v[116:117], v[114:115] op_sel:[1,1] op_sel_hi:[0,1]
	s_delay_alu instid0(VALU_DEP_1) | instskip(SKIP_2) | instid1(VALU_DEP_3)
	v_pk_fma_f32 v[120:121], v[116:117], v[114:115], v[118:119] op_sel_hi:[1,0,1]
	v_add_nc_u32_e32 v113, 1, v113
	v_pk_fma_f32 v[114:115], v[116:117], v[114:115], v[118:119] neg_lo:[0,0,1] neg_hi:[0,0,1]
	v_mov_b32_e32 v115, v121
	s_delay_alu instid0(VALU_DEP_3) | instskip(NEXT) | instid1(VALU_DEP_2)
	v_cmp_lt_u32_e32 vcc_lo, 14, v113
	v_pk_add_f32 v[108:109], v[108:109], v[114:115]
	s_or_b32 s3, vcc_lo, s3
	s_delay_alu instid0(SALU_CYCLE_1)
	s_and_not1_b32 exec_lo, exec_lo, s3
	s_cbranch_execnz .LBB115_667
; %bb.668:
	s_or_b32 exec_lo, exec_lo, s3
.LBB115_669:
	s_delay_alu instid0(SALU_CYCLE_1) | instskip(SKIP_4) | instid1(VALU_DEP_1)
	s_or_b32 exec_lo, exec_lo, s2
	v_mov_b32_e32 v111, 0
	ds_load_b64 v[112:113], v111 offset:128
	s_wait_dscnt 0x0
	v_pk_mul_f32 v[114:115], v[108:109], v[112:113] op_sel:[1,1] op_sel_hi:[0,1]
	v_pk_fma_f32 v[116:117], v[108:109], v[112:113], v[114:115] op_sel_hi:[1,0,1]
	v_pk_fma_f32 v[108:109], v[108:109], v[112:113], v[114:115] neg_lo:[0,0,1] neg_hi:[0,0,1]
	s_delay_alu instid0(VALU_DEP_2)
	v_mov_b32_e32 v109, v117
	scratch_store_b64 off, v[108:109], off offset:128
.LBB115_670:
	s_wait_xcnt 0x0
	s_or_b32 exec_lo, exec_lo, s0
	scratch_load_b64 v[108:109], off, off offset:136
	s_mov_b32 s0, exec_lo
	s_wait_loadcnt 0x0
	ds_store_b64 v1, v[108:109]
	s_wait_storecnt_dscnt 0x0
	s_barrier_signal -1
	s_barrier_wait -1
	s_wait_xcnt 0x0
	v_cmpx_gt_u32_e32 17, v0
	s_cbranch_execz .LBB115_680
; %bb.671:
	v_cmp_ne_u32_e32 vcc_lo, 1, v110
	s_cbranch_vccnz .LBB115_673
; %bb.672:
	scratch_load_b64 v[108:109], v59, off
	ds_load_b64 v[112:113], v1
	s_wait_loadcnt_dscnt 0x0
	v_pk_mul_f32 v[114:115], v[112:113], v[108:109] op_sel:[1,1] op_sel_hi:[0,1]
	s_delay_alu instid0(VALU_DEP_1) | instskip(SKIP_1) | instid1(VALU_DEP_2)
	v_pk_fma_f32 v[116:117], v[112:113], v[108:109], v[114:115] op_sel_hi:[1,0,1]
	v_pk_fma_f32 v[108:109], v[112:113], v[108:109], v[114:115] neg_lo:[0,0,1] neg_hi:[0,0,1]
	v_mov_b32_e32 v109, v117
	s_cbranch_execz .LBB115_674
	s_branch .LBB115_675
.LBB115_673:
                                        ; implicit-def: $vgpr108_vgpr109
.LBB115_674:
	ds_load_b64 v[108:109], v1
.LBB115_675:
	s_mov_b32 s2, exec_lo
	v_cmpx_ne_u32_e32 16, v0
	s_cbranch_execz .LBB115_679
; %bb.676:
	v_add_nc_u32_e32 v111, 0x1a8, v58
	v_add3_u32 v112, 0, v58, 8
	v_mov_b32_e32 v113, v0
	s_mov_b32 s3, 0
.LBB115_677:                            ; =>This Inner Loop Header: Depth=1
	scratch_load_b64 v[114:115], v112, off
	ds_load_b64 v[116:117], v111
	s_wait_xcnt 0x0
	v_dual_add_nc_u32 v111, 8, v111 :: v_dual_add_nc_u32 v112, 8, v112
	s_wait_loadcnt_dscnt 0x0
	v_pk_mul_f32 v[118:119], v[116:117], v[114:115] op_sel:[1,1] op_sel_hi:[0,1]
	s_delay_alu instid0(VALU_DEP_1) | instskip(SKIP_2) | instid1(VALU_DEP_3)
	v_pk_fma_f32 v[120:121], v[116:117], v[114:115], v[118:119] op_sel_hi:[1,0,1]
	v_add_nc_u32_e32 v113, 1, v113
	v_pk_fma_f32 v[114:115], v[116:117], v[114:115], v[118:119] neg_lo:[0,0,1] neg_hi:[0,0,1]
	v_mov_b32_e32 v115, v121
	s_delay_alu instid0(VALU_DEP_3) | instskip(NEXT) | instid1(VALU_DEP_2)
	v_cmp_lt_u32_e32 vcc_lo, 15, v113
	v_pk_add_f32 v[108:109], v[108:109], v[114:115]
	s_or_b32 s3, vcc_lo, s3
	s_delay_alu instid0(SALU_CYCLE_1)
	s_and_not1_b32 exec_lo, exec_lo, s3
	s_cbranch_execnz .LBB115_677
; %bb.678:
	s_or_b32 exec_lo, exec_lo, s3
.LBB115_679:
	s_delay_alu instid0(SALU_CYCLE_1) | instskip(SKIP_4) | instid1(VALU_DEP_1)
	s_or_b32 exec_lo, exec_lo, s2
	v_mov_b32_e32 v111, 0
	ds_load_b64 v[112:113], v111 offset:136
	s_wait_dscnt 0x0
	v_pk_mul_f32 v[114:115], v[108:109], v[112:113] op_sel:[1,1] op_sel_hi:[0,1]
	v_pk_fma_f32 v[116:117], v[108:109], v[112:113], v[114:115] op_sel_hi:[1,0,1]
	v_pk_fma_f32 v[108:109], v[108:109], v[112:113], v[114:115] neg_lo:[0,0,1] neg_hi:[0,0,1]
	s_delay_alu instid0(VALU_DEP_2)
	v_mov_b32_e32 v109, v117
	scratch_store_b64 off, v[108:109], off offset:136
.LBB115_680:
	s_wait_xcnt 0x0
	s_or_b32 exec_lo, exec_lo, s0
	scratch_load_b64 v[108:109], off, off offset:144
	s_mov_b32 s0, exec_lo
	s_wait_loadcnt 0x0
	ds_store_b64 v1, v[108:109]
	s_wait_storecnt_dscnt 0x0
	s_barrier_signal -1
	s_barrier_wait -1
	s_wait_xcnt 0x0
	v_cmpx_gt_u32_e32 18, v0
	s_cbranch_execz .LBB115_690
; %bb.681:
	v_cmp_ne_u32_e32 vcc_lo, 1, v110
	s_cbranch_vccnz .LBB115_683
; %bb.682:
	scratch_load_b64 v[108:109], v59, off
	ds_load_b64 v[112:113], v1
	s_wait_loadcnt_dscnt 0x0
	v_pk_mul_f32 v[114:115], v[112:113], v[108:109] op_sel:[1,1] op_sel_hi:[0,1]
	s_delay_alu instid0(VALU_DEP_1) | instskip(SKIP_1) | instid1(VALU_DEP_2)
	v_pk_fma_f32 v[116:117], v[112:113], v[108:109], v[114:115] op_sel_hi:[1,0,1]
	v_pk_fma_f32 v[108:109], v[112:113], v[108:109], v[114:115] neg_lo:[0,0,1] neg_hi:[0,0,1]
	v_mov_b32_e32 v109, v117
	s_cbranch_execz .LBB115_684
	s_branch .LBB115_685
.LBB115_683:
                                        ; implicit-def: $vgpr108_vgpr109
.LBB115_684:
	ds_load_b64 v[108:109], v1
.LBB115_685:
	s_mov_b32 s2, exec_lo
	v_cmpx_ne_u32_e32 17, v0
	s_cbranch_execz .LBB115_689
; %bb.686:
	v_add_nc_u32_e32 v111, 0x1a8, v58
	v_add3_u32 v112, 0, v58, 8
	v_mov_b32_e32 v113, v0
	s_mov_b32 s3, 0
.LBB115_687:                            ; =>This Inner Loop Header: Depth=1
	scratch_load_b64 v[114:115], v112, off
	ds_load_b64 v[116:117], v111
	s_wait_xcnt 0x0
	v_dual_add_nc_u32 v111, 8, v111 :: v_dual_add_nc_u32 v112, 8, v112
	s_wait_loadcnt_dscnt 0x0
	v_pk_mul_f32 v[118:119], v[116:117], v[114:115] op_sel:[1,1] op_sel_hi:[0,1]
	s_delay_alu instid0(VALU_DEP_1) | instskip(SKIP_2) | instid1(VALU_DEP_3)
	v_pk_fma_f32 v[120:121], v[116:117], v[114:115], v[118:119] op_sel_hi:[1,0,1]
	v_add_nc_u32_e32 v113, 1, v113
	v_pk_fma_f32 v[114:115], v[116:117], v[114:115], v[118:119] neg_lo:[0,0,1] neg_hi:[0,0,1]
	v_mov_b32_e32 v115, v121
	s_delay_alu instid0(VALU_DEP_3) | instskip(NEXT) | instid1(VALU_DEP_2)
	v_cmp_lt_u32_e32 vcc_lo, 16, v113
	v_pk_add_f32 v[108:109], v[108:109], v[114:115]
	s_or_b32 s3, vcc_lo, s3
	s_delay_alu instid0(SALU_CYCLE_1)
	s_and_not1_b32 exec_lo, exec_lo, s3
	s_cbranch_execnz .LBB115_687
; %bb.688:
	s_or_b32 exec_lo, exec_lo, s3
.LBB115_689:
	s_delay_alu instid0(SALU_CYCLE_1) | instskip(SKIP_4) | instid1(VALU_DEP_1)
	s_or_b32 exec_lo, exec_lo, s2
	v_mov_b32_e32 v111, 0
	ds_load_b64 v[112:113], v111 offset:144
	s_wait_dscnt 0x0
	v_pk_mul_f32 v[114:115], v[108:109], v[112:113] op_sel:[1,1] op_sel_hi:[0,1]
	v_pk_fma_f32 v[116:117], v[108:109], v[112:113], v[114:115] op_sel_hi:[1,0,1]
	v_pk_fma_f32 v[108:109], v[108:109], v[112:113], v[114:115] neg_lo:[0,0,1] neg_hi:[0,0,1]
	s_delay_alu instid0(VALU_DEP_2)
	v_mov_b32_e32 v109, v117
	scratch_store_b64 off, v[108:109], off offset:144
.LBB115_690:
	s_wait_xcnt 0x0
	s_or_b32 exec_lo, exec_lo, s0
	scratch_load_b64 v[108:109], off, off offset:152
	s_mov_b32 s0, exec_lo
	s_wait_loadcnt 0x0
	ds_store_b64 v1, v[108:109]
	s_wait_storecnt_dscnt 0x0
	s_barrier_signal -1
	s_barrier_wait -1
	s_wait_xcnt 0x0
	v_cmpx_gt_u32_e32 19, v0
	s_cbranch_execz .LBB115_700
; %bb.691:
	v_cmp_ne_u32_e32 vcc_lo, 1, v110
	s_cbranch_vccnz .LBB115_693
; %bb.692:
	scratch_load_b64 v[108:109], v59, off
	ds_load_b64 v[112:113], v1
	s_wait_loadcnt_dscnt 0x0
	v_pk_mul_f32 v[114:115], v[112:113], v[108:109] op_sel:[1,1] op_sel_hi:[0,1]
	s_delay_alu instid0(VALU_DEP_1) | instskip(SKIP_1) | instid1(VALU_DEP_2)
	v_pk_fma_f32 v[116:117], v[112:113], v[108:109], v[114:115] op_sel_hi:[1,0,1]
	v_pk_fma_f32 v[108:109], v[112:113], v[108:109], v[114:115] neg_lo:[0,0,1] neg_hi:[0,0,1]
	v_mov_b32_e32 v109, v117
	s_cbranch_execz .LBB115_694
	s_branch .LBB115_695
.LBB115_693:
                                        ; implicit-def: $vgpr108_vgpr109
.LBB115_694:
	ds_load_b64 v[108:109], v1
.LBB115_695:
	s_mov_b32 s2, exec_lo
	v_cmpx_ne_u32_e32 18, v0
	s_cbranch_execz .LBB115_699
; %bb.696:
	v_add_nc_u32_e32 v111, 0x1a8, v58
	v_add3_u32 v112, 0, v58, 8
	v_mov_b32_e32 v113, v0
	s_mov_b32 s3, 0
.LBB115_697:                            ; =>This Inner Loop Header: Depth=1
	scratch_load_b64 v[114:115], v112, off
	ds_load_b64 v[116:117], v111
	s_wait_xcnt 0x0
	v_dual_add_nc_u32 v111, 8, v111 :: v_dual_add_nc_u32 v112, 8, v112
	s_wait_loadcnt_dscnt 0x0
	v_pk_mul_f32 v[118:119], v[116:117], v[114:115] op_sel:[1,1] op_sel_hi:[0,1]
	s_delay_alu instid0(VALU_DEP_1) | instskip(SKIP_2) | instid1(VALU_DEP_3)
	v_pk_fma_f32 v[120:121], v[116:117], v[114:115], v[118:119] op_sel_hi:[1,0,1]
	v_add_nc_u32_e32 v113, 1, v113
	v_pk_fma_f32 v[114:115], v[116:117], v[114:115], v[118:119] neg_lo:[0,0,1] neg_hi:[0,0,1]
	v_mov_b32_e32 v115, v121
	s_delay_alu instid0(VALU_DEP_3) | instskip(NEXT) | instid1(VALU_DEP_2)
	v_cmp_lt_u32_e32 vcc_lo, 17, v113
	v_pk_add_f32 v[108:109], v[108:109], v[114:115]
	s_or_b32 s3, vcc_lo, s3
	s_delay_alu instid0(SALU_CYCLE_1)
	s_and_not1_b32 exec_lo, exec_lo, s3
	s_cbranch_execnz .LBB115_697
; %bb.698:
	s_or_b32 exec_lo, exec_lo, s3
.LBB115_699:
	s_delay_alu instid0(SALU_CYCLE_1) | instskip(SKIP_4) | instid1(VALU_DEP_1)
	s_or_b32 exec_lo, exec_lo, s2
	v_mov_b32_e32 v111, 0
	ds_load_b64 v[112:113], v111 offset:152
	s_wait_dscnt 0x0
	v_pk_mul_f32 v[114:115], v[108:109], v[112:113] op_sel:[1,1] op_sel_hi:[0,1]
	v_pk_fma_f32 v[116:117], v[108:109], v[112:113], v[114:115] op_sel_hi:[1,0,1]
	v_pk_fma_f32 v[108:109], v[108:109], v[112:113], v[114:115] neg_lo:[0,0,1] neg_hi:[0,0,1]
	s_delay_alu instid0(VALU_DEP_2)
	v_mov_b32_e32 v109, v117
	scratch_store_b64 off, v[108:109], off offset:152
.LBB115_700:
	s_wait_xcnt 0x0
	s_or_b32 exec_lo, exec_lo, s0
	scratch_load_b64 v[108:109], off, off offset:160
	s_mov_b32 s0, exec_lo
	s_wait_loadcnt 0x0
	ds_store_b64 v1, v[108:109]
	s_wait_storecnt_dscnt 0x0
	s_barrier_signal -1
	s_barrier_wait -1
	s_wait_xcnt 0x0
	v_cmpx_gt_u32_e32 20, v0
	s_cbranch_execz .LBB115_710
; %bb.701:
	v_cmp_ne_u32_e32 vcc_lo, 1, v110
	s_cbranch_vccnz .LBB115_703
; %bb.702:
	scratch_load_b64 v[108:109], v59, off
	ds_load_b64 v[112:113], v1
	s_wait_loadcnt_dscnt 0x0
	v_pk_mul_f32 v[114:115], v[112:113], v[108:109] op_sel:[1,1] op_sel_hi:[0,1]
	s_delay_alu instid0(VALU_DEP_1) | instskip(SKIP_1) | instid1(VALU_DEP_2)
	v_pk_fma_f32 v[116:117], v[112:113], v[108:109], v[114:115] op_sel_hi:[1,0,1]
	v_pk_fma_f32 v[108:109], v[112:113], v[108:109], v[114:115] neg_lo:[0,0,1] neg_hi:[0,0,1]
	v_mov_b32_e32 v109, v117
	s_cbranch_execz .LBB115_704
	s_branch .LBB115_705
.LBB115_703:
                                        ; implicit-def: $vgpr108_vgpr109
.LBB115_704:
	ds_load_b64 v[108:109], v1
.LBB115_705:
	s_mov_b32 s2, exec_lo
	v_cmpx_ne_u32_e32 19, v0
	s_cbranch_execz .LBB115_709
; %bb.706:
	v_add_nc_u32_e32 v111, 0x1a8, v58
	v_add3_u32 v112, 0, v58, 8
	v_mov_b32_e32 v113, v0
	s_mov_b32 s3, 0
.LBB115_707:                            ; =>This Inner Loop Header: Depth=1
	scratch_load_b64 v[114:115], v112, off
	ds_load_b64 v[116:117], v111
	s_wait_xcnt 0x0
	v_dual_add_nc_u32 v111, 8, v111 :: v_dual_add_nc_u32 v112, 8, v112
	s_wait_loadcnt_dscnt 0x0
	v_pk_mul_f32 v[118:119], v[116:117], v[114:115] op_sel:[1,1] op_sel_hi:[0,1]
	s_delay_alu instid0(VALU_DEP_1) | instskip(SKIP_2) | instid1(VALU_DEP_3)
	v_pk_fma_f32 v[120:121], v[116:117], v[114:115], v[118:119] op_sel_hi:[1,0,1]
	v_add_nc_u32_e32 v113, 1, v113
	v_pk_fma_f32 v[114:115], v[116:117], v[114:115], v[118:119] neg_lo:[0,0,1] neg_hi:[0,0,1]
	v_mov_b32_e32 v115, v121
	s_delay_alu instid0(VALU_DEP_3) | instskip(NEXT) | instid1(VALU_DEP_2)
	v_cmp_lt_u32_e32 vcc_lo, 18, v113
	v_pk_add_f32 v[108:109], v[108:109], v[114:115]
	s_or_b32 s3, vcc_lo, s3
	s_delay_alu instid0(SALU_CYCLE_1)
	s_and_not1_b32 exec_lo, exec_lo, s3
	s_cbranch_execnz .LBB115_707
; %bb.708:
	s_or_b32 exec_lo, exec_lo, s3
.LBB115_709:
	s_delay_alu instid0(SALU_CYCLE_1) | instskip(SKIP_4) | instid1(VALU_DEP_1)
	s_or_b32 exec_lo, exec_lo, s2
	v_mov_b32_e32 v111, 0
	ds_load_b64 v[112:113], v111 offset:160
	s_wait_dscnt 0x0
	v_pk_mul_f32 v[114:115], v[108:109], v[112:113] op_sel:[1,1] op_sel_hi:[0,1]
	v_pk_fma_f32 v[116:117], v[108:109], v[112:113], v[114:115] op_sel_hi:[1,0,1]
	v_pk_fma_f32 v[108:109], v[108:109], v[112:113], v[114:115] neg_lo:[0,0,1] neg_hi:[0,0,1]
	s_delay_alu instid0(VALU_DEP_2)
	v_mov_b32_e32 v109, v117
	scratch_store_b64 off, v[108:109], off offset:160
.LBB115_710:
	s_wait_xcnt 0x0
	s_or_b32 exec_lo, exec_lo, s0
	scratch_load_b64 v[108:109], off, off offset:168
	s_mov_b32 s0, exec_lo
	s_wait_loadcnt 0x0
	ds_store_b64 v1, v[108:109]
	s_wait_storecnt_dscnt 0x0
	s_barrier_signal -1
	s_barrier_wait -1
	s_wait_xcnt 0x0
	v_cmpx_gt_u32_e32 21, v0
	s_cbranch_execz .LBB115_720
; %bb.711:
	v_cmp_ne_u32_e32 vcc_lo, 1, v110
	s_cbranch_vccnz .LBB115_713
; %bb.712:
	scratch_load_b64 v[108:109], v59, off
	ds_load_b64 v[112:113], v1
	s_wait_loadcnt_dscnt 0x0
	v_pk_mul_f32 v[114:115], v[112:113], v[108:109] op_sel:[1,1] op_sel_hi:[0,1]
	s_delay_alu instid0(VALU_DEP_1) | instskip(SKIP_1) | instid1(VALU_DEP_2)
	v_pk_fma_f32 v[116:117], v[112:113], v[108:109], v[114:115] op_sel_hi:[1,0,1]
	v_pk_fma_f32 v[108:109], v[112:113], v[108:109], v[114:115] neg_lo:[0,0,1] neg_hi:[0,0,1]
	v_mov_b32_e32 v109, v117
	s_cbranch_execz .LBB115_714
	s_branch .LBB115_715
.LBB115_713:
                                        ; implicit-def: $vgpr108_vgpr109
.LBB115_714:
	ds_load_b64 v[108:109], v1
.LBB115_715:
	s_mov_b32 s2, exec_lo
	v_cmpx_ne_u32_e32 20, v0
	s_cbranch_execz .LBB115_719
; %bb.716:
	v_add_nc_u32_e32 v111, 0x1a8, v58
	v_add3_u32 v112, 0, v58, 8
	v_mov_b32_e32 v113, v0
	s_mov_b32 s3, 0
.LBB115_717:                            ; =>This Inner Loop Header: Depth=1
	scratch_load_b64 v[114:115], v112, off
	ds_load_b64 v[116:117], v111
	s_wait_xcnt 0x0
	v_dual_add_nc_u32 v111, 8, v111 :: v_dual_add_nc_u32 v112, 8, v112
	s_wait_loadcnt_dscnt 0x0
	v_pk_mul_f32 v[118:119], v[116:117], v[114:115] op_sel:[1,1] op_sel_hi:[0,1]
	s_delay_alu instid0(VALU_DEP_1) | instskip(SKIP_2) | instid1(VALU_DEP_3)
	v_pk_fma_f32 v[120:121], v[116:117], v[114:115], v[118:119] op_sel_hi:[1,0,1]
	v_add_nc_u32_e32 v113, 1, v113
	v_pk_fma_f32 v[114:115], v[116:117], v[114:115], v[118:119] neg_lo:[0,0,1] neg_hi:[0,0,1]
	v_mov_b32_e32 v115, v121
	s_delay_alu instid0(VALU_DEP_3) | instskip(NEXT) | instid1(VALU_DEP_2)
	v_cmp_lt_u32_e32 vcc_lo, 19, v113
	v_pk_add_f32 v[108:109], v[108:109], v[114:115]
	s_or_b32 s3, vcc_lo, s3
	s_delay_alu instid0(SALU_CYCLE_1)
	s_and_not1_b32 exec_lo, exec_lo, s3
	s_cbranch_execnz .LBB115_717
; %bb.718:
	s_or_b32 exec_lo, exec_lo, s3
.LBB115_719:
	s_delay_alu instid0(SALU_CYCLE_1) | instskip(SKIP_4) | instid1(VALU_DEP_1)
	s_or_b32 exec_lo, exec_lo, s2
	v_mov_b32_e32 v111, 0
	ds_load_b64 v[112:113], v111 offset:168
	s_wait_dscnt 0x0
	v_pk_mul_f32 v[114:115], v[108:109], v[112:113] op_sel:[1,1] op_sel_hi:[0,1]
	v_pk_fma_f32 v[116:117], v[108:109], v[112:113], v[114:115] op_sel_hi:[1,0,1]
	v_pk_fma_f32 v[108:109], v[108:109], v[112:113], v[114:115] neg_lo:[0,0,1] neg_hi:[0,0,1]
	s_delay_alu instid0(VALU_DEP_2)
	v_mov_b32_e32 v109, v117
	scratch_store_b64 off, v[108:109], off offset:168
.LBB115_720:
	s_wait_xcnt 0x0
	s_or_b32 exec_lo, exec_lo, s0
	scratch_load_b64 v[108:109], off, off offset:176
	s_mov_b32 s0, exec_lo
	s_wait_loadcnt 0x0
	ds_store_b64 v1, v[108:109]
	s_wait_storecnt_dscnt 0x0
	s_barrier_signal -1
	s_barrier_wait -1
	s_wait_xcnt 0x0
	v_cmpx_gt_u32_e32 22, v0
	s_cbranch_execz .LBB115_730
; %bb.721:
	v_cmp_ne_u32_e32 vcc_lo, 1, v110
	s_cbranch_vccnz .LBB115_723
; %bb.722:
	scratch_load_b64 v[108:109], v59, off
	ds_load_b64 v[112:113], v1
	s_wait_loadcnt_dscnt 0x0
	v_pk_mul_f32 v[114:115], v[112:113], v[108:109] op_sel:[1,1] op_sel_hi:[0,1]
	s_delay_alu instid0(VALU_DEP_1) | instskip(SKIP_1) | instid1(VALU_DEP_2)
	v_pk_fma_f32 v[116:117], v[112:113], v[108:109], v[114:115] op_sel_hi:[1,0,1]
	v_pk_fma_f32 v[108:109], v[112:113], v[108:109], v[114:115] neg_lo:[0,0,1] neg_hi:[0,0,1]
	v_mov_b32_e32 v109, v117
	s_cbranch_execz .LBB115_724
	s_branch .LBB115_725
.LBB115_723:
                                        ; implicit-def: $vgpr108_vgpr109
.LBB115_724:
	ds_load_b64 v[108:109], v1
.LBB115_725:
	s_mov_b32 s2, exec_lo
	v_cmpx_ne_u32_e32 21, v0
	s_cbranch_execz .LBB115_729
; %bb.726:
	v_add_nc_u32_e32 v111, 0x1a8, v58
	v_add3_u32 v112, 0, v58, 8
	v_mov_b32_e32 v113, v0
	s_mov_b32 s3, 0
.LBB115_727:                            ; =>This Inner Loop Header: Depth=1
	scratch_load_b64 v[114:115], v112, off
	ds_load_b64 v[116:117], v111
	s_wait_xcnt 0x0
	v_dual_add_nc_u32 v111, 8, v111 :: v_dual_add_nc_u32 v112, 8, v112
	s_wait_loadcnt_dscnt 0x0
	v_pk_mul_f32 v[118:119], v[116:117], v[114:115] op_sel:[1,1] op_sel_hi:[0,1]
	s_delay_alu instid0(VALU_DEP_1) | instskip(SKIP_2) | instid1(VALU_DEP_3)
	v_pk_fma_f32 v[120:121], v[116:117], v[114:115], v[118:119] op_sel_hi:[1,0,1]
	v_add_nc_u32_e32 v113, 1, v113
	v_pk_fma_f32 v[114:115], v[116:117], v[114:115], v[118:119] neg_lo:[0,0,1] neg_hi:[0,0,1]
	v_mov_b32_e32 v115, v121
	s_delay_alu instid0(VALU_DEP_3) | instskip(NEXT) | instid1(VALU_DEP_2)
	v_cmp_lt_u32_e32 vcc_lo, 20, v113
	v_pk_add_f32 v[108:109], v[108:109], v[114:115]
	s_or_b32 s3, vcc_lo, s3
	s_delay_alu instid0(SALU_CYCLE_1)
	s_and_not1_b32 exec_lo, exec_lo, s3
	s_cbranch_execnz .LBB115_727
; %bb.728:
	s_or_b32 exec_lo, exec_lo, s3
.LBB115_729:
	s_delay_alu instid0(SALU_CYCLE_1) | instskip(SKIP_4) | instid1(VALU_DEP_1)
	s_or_b32 exec_lo, exec_lo, s2
	v_mov_b32_e32 v111, 0
	ds_load_b64 v[112:113], v111 offset:176
	s_wait_dscnt 0x0
	v_pk_mul_f32 v[114:115], v[108:109], v[112:113] op_sel:[1,1] op_sel_hi:[0,1]
	v_pk_fma_f32 v[116:117], v[108:109], v[112:113], v[114:115] op_sel_hi:[1,0,1]
	v_pk_fma_f32 v[108:109], v[108:109], v[112:113], v[114:115] neg_lo:[0,0,1] neg_hi:[0,0,1]
	s_delay_alu instid0(VALU_DEP_2)
	v_mov_b32_e32 v109, v117
	scratch_store_b64 off, v[108:109], off offset:176
.LBB115_730:
	s_wait_xcnt 0x0
	s_or_b32 exec_lo, exec_lo, s0
	scratch_load_b64 v[108:109], off, off offset:184
	s_mov_b32 s0, exec_lo
	s_wait_loadcnt 0x0
	ds_store_b64 v1, v[108:109]
	s_wait_storecnt_dscnt 0x0
	s_barrier_signal -1
	s_barrier_wait -1
	s_wait_xcnt 0x0
	v_cmpx_gt_u32_e32 23, v0
	s_cbranch_execz .LBB115_740
; %bb.731:
	v_cmp_ne_u32_e32 vcc_lo, 1, v110
	s_cbranch_vccnz .LBB115_733
; %bb.732:
	scratch_load_b64 v[108:109], v59, off
	ds_load_b64 v[112:113], v1
	s_wait_loadcnt_dscnt 0x0
	v_pk_mul_f32 v[114:115], v[112:113], v[108:109] op_sel:[1,1] op_sel_hi:[0,1]
	s_delay_alu instid0(VALU_DEP_1) | instskip(SKIP_1) | instid1(VALU_DEP_2)
	v_pk_fma_f32 v[116:117], v[112:113], v[108:109], v[114:115] op_sel_hi:[1,0,1]
	v_pk_fma_f32 v[108:109], v[112:113], v[108:109], v[114:115] neg_lo:[0,0,1] neg_hi:[0,0,1]
	v_mov_b32_e32 v109, v117
	s_cbranch_execz .LBB115_734
	s_branch .LBB115_735
.LBB115_733:
                                        ; implicit-def: $vgpr108_vgpr109
.LBB115_734:
	ds_load_b64 v[108:109], v1
.LBB115_735:
	s_mov_b32 s2, exec_lo
	v_cmpx_ne_u32_e32 22, v0
	s_cbranch_execz .LBB115_739
; %bb.736:
	v_add_nc_u32_e32 v111, 0x1a8, v58
	v_add3_u32 v112, 0, v58, 8
	v_mov_b32_e32 v113, v0
	s_mov_b32 s3, 0
.LBB115_737:                            ; =>This Inner Loop Header: Depth=1
	scratch_load_b64 v[114:115], v112, off
	ds_load_b64 v[116:117], v111
	s_wait_xcnt 0x0
	v_dual_add_nc_u32 v111, 8, v111 :: v_dual_add_nc_u32 v112, 8, v112
	s_wait_loadcnt_dscnt 0x0
	v_pk_mul_f32 v[118:119], v[116:117], v[114:115] op_sel:[1,1] op_sel_hi:[0,1]
	s_delay_alu instid0(VALU_DEP_1) | instskip(SKIP_2) | instid1(VALU_DEP_3)
	v_pk_fma_f32 v[120:121], v[116:117], v[114:115], v[118:119] op_sel_hi:[1,0,1]
	v_add_nc_u32_e32 v113, 1, v113
	v_pk_fma_f32 v[114:115], v[116:117], v[114:115], v[118:119] neg_lo:[0,0,1] neg_hi:[0,0,1]
	v_mov_b32_e32 v115, v121
	s_delay_alu instid0(VALU_DEP_3) | instskip(NEXT) | instid1(VALU_DEP_2)
	v_cmp_lt_u32_e32 vcc_lo, 21, v113
	v_pk_add_f32 v[108:109], v[108:109], v[114:115]
	s_or_b32 s3, vcc_lo, s3
	s_delay_alu instid0(SALU_CYCLE_1)
	s_and_not1_b32 exec_lo, exec_lo, s3
	s_cbranch_execnz .LBB115_737
; %bb.738:
	s_or_b32 exec_lo, exec_lo, s3
.LBB115_739:
	s_delay_alu instid0(SALU_CYCLE_1) | instskip(SKIP_4) | instid1(VALU_DEP_1)
	s_or_b32 exec_lo, exec_lo, s2
	v_mov_b32_e32 v111, 0
	ds_load_b64 v[112:113], v111 offset:184
	s_wait_dscnt 0x0
	v_pk_mul_f32 v[114:115], v[108:109], v[112:113] op_sel:[1,1] op_sel_hi:[0,1]
	v_pk_fma_f32 v[116:117], v[108:109], v[112:113], v[114:115] op_sel_hi:[1,0,1]
	v_pk_fma_f32 v[108:109], v[108:109], v[112:113], v[114:115] neg_lo:[0,0,1] neg_hi:[0,0,1]
	s_delay_alu instid0(VALU_DEP_2)
	v_mov_b32_e32 v109, v117
	scratch_store_b64 off, v[108:109], off offset:184
.LBB115_740:
	s_wait_xcnt 0x0
	s_or_b32 exec_lo, exec_lo, s0
	scratch_load_b64 v[108:109], off, off offset:192
	s_mov_b32 s0, exec_lo
	s_wait_loadcnt 0x0
	ds_store_b64 v1, v[108:109]
	s_wait_storecnt_dscnt 0x0
	s_barrier_signal -1
	s_barrier_wait -1
	s_wait_xcnt 0x0
	v_cmpx_gt_u32_e32 24, v0
	s_cbranch_execz .LBB115_750
; %bb.741:
	v_cmp_ne_u32_e32 vcc_lo, 1, v110
	s_cbranch_vccnz .LBB115_743
; %bb.742:
	scratch_load_b64 v[108:109], v59, off
	ds_load_b64 v[112:113], v1
	s_wait_loadcnt_dscnt 0x0
	v_pk_mul_f32 v[114:115], v[112:113], v[108:109] op_sel:[1,1] op_sel_hi:[0,1]
	s_delay_alu instid0(VALU_DEP_1) | instskip(SKIP_1) | instid1(VALU_DEP_2)
	v_pk_fma_f32 v[116:117], v[112:113], v[108:109], v[114:115] op_sel_hi:[1,0,1]
	v_pk_fma_f32 v[108:109], v[112:113], v[108:109], v[114:115] neg_lo:[0,0,1] neg_hi:[0,0,1]
	v_mov_b32_e32 v109, v117
	s_cbranch_execz .LBB115_744
	s_branch .LBB115_745
.LBB115_743:
                                        ; implicit-def: $vgpr108_vgpr109
.LBB115_744:
	ds_load_b64 v[108:109], v1
.LBB115_745:
	s_mov_b32 s2, exec_lo
	v_cmpx_ne_u32_e32 23, v0
	s_cbranch_execz .LBB115_749
; %bb.746:
	v_add_nc_u32_e32 v111, 0x1a8, v58
	v_add3_u32 v112, 0, v58, 8
	v_mov_b32_e32 v113, v0
	s_mov_b32 s3, 0
.LBB115_747:                            ; =>This Inner Loop Header: Depth=1
	scratch_load_b64 v[114:115], v112, off
	ds_load_b64 v[116:117], v111
	s_wait_xcnt 0x0
	v_dual_add_nc_u32 v111, 8, v111 :: v_dual_add_nc_u32 v112, 8, v112
	s_wait_loadcnt_dscnt 0x0
	v_pk_mul_f32 v[118:119], v[116:117], v[114:115] op_sel:[1,1] op_sel_hi:[0,1]
	s_delay_alu instid0(VALU_DEP_1) | instskip(SKIP_2) | instid1(VALU_DEP_3)
	v_pk_fma_f32 v[120:121], v[116:117], v[114:115], v[118:119] op_sel_hi:[1,0,1]
	v_add_nc_u32_e32 v113, 1, v113
	v_pk_fma_f32 v[114:115], v[116:117], v[114:115], v[118:119] neg_lo:[0,0,1] neg_hi:[0,0,1]
	v_mov_b32_e32 v115, v121
	s_delay_alu instid0(VALU_DEP_3) | instskip(NEXT) | instid1(VALU_DEP_2)
	v_cmp_lt_u32_e32 vcc_lo, 22, v113
	v_pk_add_f32 v[108:109], v[108:109], v[114:115]
	s_or_b32 s3, vcc_lo, s3
	s_delay_alu instid0(SALU_CYCLE_1)
	s_and_not1_b32 exec_lo, exec_lo, s3
	s_cbranch_execnz .LBB115_747
; %bb.748:
	s_or_b32 exec_lo, exec_lo, s3
.LBB115_749:
	s_delay_alu instid0(SALU_CYCLE_1) | instskip(SKIP_4) | instid1(VALU_DEP_1)
	s_or_b32 exec_lo, exec_lo, s2
	v_mov_b32_e32 v111, 0
	ds_load_b64 v[112:113], v111 offset:192
	s_wait_dscnt 0x0
	v_pk_mul_f32 v[114:115], v[108:109], v[112:113] op_sel:[1,1] op_sel_hi:[0,1]
	v_pk_fma_f32 v[116:117], v[108:109], v[112:113], v[114:115] op_sel_hi:[1,0,1]
	v_pk_fma_f32 v[108:109], v[108:109], v[112:113], v[114:115] neg_lo:[0,0,1] neg_hi:[0,0,1]
	s_delay_alu instid0(VALU_DEP_2)
	v_mov_b32_e32 v109, v117
	scratch_store_b64 off, v[108:109], off offset:192
.LBB115_750:
	s_wait_xcnt 0x0
	s_or_b32 exec_lo, exec_lo, s0
	scratch_load_b64 v[108:109], off, off offset:200
	s_mov_b32 s0, exec_lo
	s_wait_loadcnt 0x0
	ds_store_b64 v1, v[108:109]
	s_wait_storecnt_dscnt 0x0
	s_barrier_signal -1
	s_barrier_wait -1
	s_wait_xcnt 0x0
	v_cmpx_gt_u32_e32 25, v0
	s_cbranch_execz .LBB115_760
; %bb.751:
	v_cmp_ne_u32_e32 vcc_lo, 1, v110
	s_cbranch_vccnz .LBB115_753
; %bb.752:
	scratch_load_b64 v[108:109], v59, off
	ds_load_b64 v[112:113], v1
	s_wait_loadcnt_dscnt 0x0
	v_pk_mul_f32 v[114:115], v[112:113], v[108:109] op_sel:[1,1] op_sel_hi:[0,1]
	s_delay_alu instid0(VALU_DEP_1) | instskip(SKIP_1) | instid1(VALU_DEP_2)
	v_pk_fma_f32 v[116:117], v[112:113], v[108:109], v[114:115] op_sel_hi:[1,0,1]
	v_pk_fma_f32 v[108:109], v[112:113], v[108:109], v[114:115] neg_lo:[0,0,1] neg_hi:[0,0,1]
	v_mov_b32_e32 v109, v117
	s_cbranch_execz .LBB115_754
	s_branch .LBB115_755
.LBB115_753:
                                        ; implicit-def: $vgpr108_vgpr109
.LBB115_754:
	ds_load_b64 v[108:109], v1
.LBB115_755:
	s_mov_b32 s2, exec_lo
	v_cmpx_ne_u32_e32 24, v0
	s_cbranch_execz .LBB115_759
; %bb.756:
	v_add_nc_u32_e32 v111, 0x1a8, v58
	v_add3_u32 v112, 0, v58, 8
	v_mov_b32_e32 v113, v0
	s_mov_b32 s3, 0
.LBB115_757:                            ; =>This Inner Loop Header: Depth=1
	scratch_load_b64 v[114:115], v112, off
	ds_load_b64 v[116:117], v111
	s_wait_xcnt 0x0
	v_dual_add_nc_u32 v111, 8, v111 :: v_dual_add_nc_u32 v112, 8, v112
	s_wait_loadcnt_dscnt 0x0
	v_pk_mul_f32 v[118:119], v[116:117], v[114:115] op_sel:[1,1] op_sel_hi:[0,1]
	s_delay_alu instid0(VALU_DEP_1) | instskip(SKIP_2) | instid1(VALU_DEP_3)
	v_pk_fma_f32 v[120:121], v[116:117], v[114:115], v[118:119] op_sel_hi:[1,0,1]
	v_add_nc_u32_e32 v113, 1, v113
	v_pk_fma_f32 v[114:115], v[116:117], v[114:115], v[118:119] neg_lo:[0,0,1] neg_hi:[0,0,1]
	v_mov_b32_e32 v115, v121
	s_delay_alu instid0(VALU_DEP_3) | instskip(NEXT) | instid1(VALU_DEP_2)
	v_cmp_lt_u32_e32 vcc_lo, 23, v113
	v_pk_add_f32 v[108:109], v[108:109], v[114:115]
	s_or_b32 s3, vcc_lo, s3
	s_delay_alu instid0(SALU_CYCLE_1)
	s_and_not1_b32 exec_lo, exec_lo, s3
	s_cbranch_execnz .LBB115_757
; %bb.758:
	s_or_b32 exec_lo, exec_lo, s3
.LBB115_759:
	s_delay_alu instid0(SALU_CYCLE_1) | instskip(SKIP_4) | instid1(VALU_DEP_1)
	s_or_b32 exec_lo, exec_lo, s2
	v_mov_b32_e32 v111, 0
	ds_load_b64 v[112:113], v111 offset:200
	s_wait_dscnt 0x0
	v_pk_mul_f32 v[114:115], v[108:109], v[112:113] op_sel:[1,1] op_sel_hi:[0,1]
	v_pk_fma_f32 v[116:117], v[108:109], v[112:113], v[114:115] op_sel_hi:[1,0,1]
	v_pk_fma_f32 v[108:109], v[108:109], v[112:113], v[114:115] neg_lo:[0,0,1] neg_hi:[0,0,1]
	s_delay_alu instid0(VALU_DEP_2)
	v_mov_b32_e32 v109, v117
	scratch_store_b64 off, v[108:109], off offset:200
.LBB115_760:
	s_wait_xcnt 0x0
	s_or_b32 exec_lo, exec_lo, s0
	scratch_load_b64 v[108:109], off, off offset:208
	s_mov_b32 s0, exec_lo
	s_wait_loadcnt 0x0
	ds_store_b64 v1, v[108:109]
	s_wait_storecnt_dscnt 0x0
	s_barrier_signal -1
	s_barrier_wait -1
	s_wait_xcnt 0x0
	v_cmpx_gt_u32_e32 26, v0
	s_cbranch_execz .LBB115_770
; %bb.761:
	v_cmp_ne_u32_e32 vcc_lo, 1, v110
	s_cbranch_vccnz .LBB115_763
; %bb.762:
	scratch_load_b64 v[108:109], v59, off
	ds_load_b64 v[112:113], v1
	s_wait_loadcnt_dscnt 0x0
	v_pk_mul_f32 v[114:115], v[112:113], v[108:109] op_sel:[1,1] op_sel_hi:[0,1]
	s_delay_alu instid0(VALU_DEP_1) | instskip(SKIP_1) | instid1(VALU_DEP_2)
	v_pk_fma_f32 v[116:117], v[112:113], v[108:109], v[114:115] op_sel_hi:[1,0,1]
	v_pk_fma_f32 v[108:109], v[112:113], v[108:109], v[114:115] neg_lo:[0,0,1] neg_hi:[0,0,1]
	v_mov_b32_e32 v109, v117
	s_cbranch_execz .LBB115_764
	s_branch .LBB115_765
.LBB115_763:
                                        ; implicit-def: $vgpr108_vgpr109
.LBB115_764:
	ds_load_b64 v[108:109], v1
.LBB115_765:
	s_mov_b32 s2, exec_lo
	v_cmpx_ne_u32_e32 25, v0
	s_cbranch_execz .LBB115_769
; %bb.766:
	v_add_nc_u32_e32 v111, 0x1a8, v58
	v_add3_u32 v112, 0, v58, 8
	v_mov_b32_e32 v113, v0
	s_mov_b32 s3, 0
.LBB115_767:                            ; =>This Inner Loop Header: Depth=1
	scratch_load_b64 v[114:115], v112, off
	ds_load_b64 v[116:117], v111
	s_wait_xcnt 0x0
	v_dual_add_nc_u32 v111, 8, v111 :: v_dual_add_nc_u32 v112, 8, v112
	s_wait_loadcnt_dscnt 0x0
	v_pk_mul_f32 v[118:119], v[116:117], v[114:115] op_sel:[1,1] op_sel_hi:[0,1]
	s_delay_alu instid0(VALU_DEP_1) | instskip(SKIP_2) | instid1(VALU_DEP_3)
	v_pk_fma_f32 v[120:121], v[116:117], v[114:115], v[118:119] op_sel_hi:[1,0,1]
	v_add_nc_u32_e32 v113, 1, v113
	v_pk_fma_f32 v[114:115], v[116:117], v[114:115], v[118:119] neg_lo:[0,0,1] neg_hi:[0,0,1]
	v_mov_b32_e32 v115, v121
	s_delay_alu instid0(VALU_DEP_3) | instskip(NEXT) | instid1(VALU_DEP_2)
	v_cmp_lt_u32_e32 vcc_lo, 24, v113
	v_pk_add_f32 v[108:109], v[108:109], v[114:115]
	s_or_b32 s3, vcc_lo, s3
	s_delay_alu instid0(SALU_CYCLE_1)
	s_and_not1_b32 exec_lo, exec_lo, s3
	s_cbranch_execnz .LBB115_767
; %bb.768:
	s_or_b32 exec_lo, exec_lo, s3
.LBB115_769:
	s_delay_alu instid0(SALU_CYCLE_1) | instskip(SKIP_4) | instid1(VALU_DEP_1)
	s_or_b32 exec_lo, exec_lo, s2
	v_mov_b32_e32 v111, 0
	ds_load_b64 v[112:113], v111 offset:208
	s_wait_dscnt 0x0
	v_pk_mul_f32 v[114:115], v[108:109], v[112:113] op_sel:[1,1] op_sel_hi:[0,1]
	v_pk_fma_f32 v[116:117], v[108:109], v[112:113], v[114:115] op_sel_hi:[1,0,1]
	v_pk_fma_f32 v[108:109], v[108:109], v[112:113], v[114:115] neg_lo:[0,0,1] neg_hi:[0,0,1]
	s_delay_alu instid0(VALU_DEP_2)
	v_mov_b32_e32 v109, v117
	scratch_store_b64 off, v[108:109], off offset:208
.LBB115_770:
	s_wait_xcnt 0x0
	s_or_b32 exec_lo, exec_lo, s0
	scratch_load_b64 v[108:109], off, off offset:216
	s_mov_b32 s0, exec_lo
	s_wait_loadcnt 0x0
	ds_store_b64 v1, v[108:109]
	s_wait_storecnt_dscnt 0x0
	s_barrier_signal -1
	s_barrier_wait -1
	s_wait_xcnt 0x0
	v_cmpx_gt_u32_e32 27, v0
	s_cbranch_execz .LBB115_780
; %bb.771:
	v_cmp_ne_u32_e32 vcc_lo, 1, v110
	s_cbranch_vccnz .LBB115_773
; %bb.772:
	scratch_load_b64 v[108:109], v59, off
	ds_load_b64 v[112:113], v1
	s_wait_loadcnt_dscnt 0x0
	v_pk_mul_f32 v[114:115], v[112:113], v[108:109] op_sel:[1,1] op_sel_hi:[0,1]
	s_delay_alu instid0(VALU_DEP_1) | instskip(SKIP_1) | instid1(VALU_DEP_2)
	v_pk_fma_f32 v[116:117], v[112:113], v[108:109], v[114:115] op_sel_hi:[1,0,1]
	v_pk_fma_f32 v[108:109], v[112:113], v[108:109], v[114:115] neg_lo:[0,0,1] neg_hi:[0,0,1]
	v_mov_b32_e32 v109, v117
	s_cbranch_execz .LBB115_774
	s_branch .LBB115_775
.LBB115_773:
                                        ; implicit-def: $vgpr108_vgpr109
.LBB115_774:
	ds_load_b64 v[108:109], v1
.LBB115_775:
	s_mov_b32 s2, exec_lo
	v_cmpx_ne_u32_e32 26, v0
	s_cbranch_execz .LBB115_779
; %bb.776:
	v_add_nc_u32_e32 v111, 0x1a8, v58
	v_add3_u32 v112, 0, v58, 8
	v_mov_b32_e32 v113, v0
	s_mov_b32 s3, 0
.LBB115_777:                            ; =>This Inner Loop Header: Depth=1
	scratch_load_b64 v[114:115], v112, off
	ds_load_b64 v[116:117], v111
	s_wait_xcnt 0x0
	v_dual_add_nc_u32 v111, 8, v111 :: v_dual_add_nc_u32 v112, 8, v112
	s_wait_loadcnt_dscnt 0x0
	v_pk_mul_f32 v[118:119], v[116:117], v[114:115] op_sel:[1,1] op_sel_hi:[0,1]
	s_delay_alu instid0(VALU_DEP_1) | instskip(SKIP_2) | instid1(VALU_DEP_3)
	v_pk_fma_f32 v[120:121], v[116:117], v[114:115], v[118:119] op_sel_hi:[1,0,1]
	v_add_nc_u32_e32 v113, 1, v113
	v_pk_fma_f32 v[114:115], v[116:117], v[114:115], v[118:119] neg_lo:[0,0,1] neg_hi:[0,0,1]
	v_mov_b32_e32 v115, v121
	s_delay_alu instid0(VALU_DEP_3) | instskip(NEXT) | instid1(VALU_DEP_2)
	v_cmp_lt_u32_e32 vcc_lo, 25, v113
	v_pk_add_f32 v[108:109], v[108:109], v[114:115]
	s_or_b32 s3, vcc_lo, s3
	s_delay_alu instid0(SALU_CYCLE_1)
	s_and_not1_b32 exec_lo, exec_lo, s3
	s_cbranch_execnz .LBB115_777
; %bb.778:
	s_or_b32 exec_lo, exec_lo, s3
.LBB115_779:
	s_delay_alu instid0(SALU_CYCLE_1) | instskip(SKIP_4) | instid1(VALU_DEP_1)
	s_or_b32 exec_lo, exec_lo, s2
	v_mov_b32_e32 v111, 0
	ds_load_b64 v[112:113], v111 offset:216
	s_wait_dscnt 0x0
	v_pk_mul_f32 v[114:115], v[108:109], v[112:113] op_sel:[1,1] op_sel_hi:[0,1]
	v_pk_fma_f32 v[116:117], v[108:109], v[112:113], v[114:115] op_sel_hi:[1,0,1]
	v_pk_fma_f32 v[108:109], v[108:109], v[112:113], v[114:115] neg_lo:[0,0,1] neg_hi:[0,0,1]
	s_delay_alu instid0(VALU_DEP_2)
	v_mov_b32_e32 v109, v117
	scratch_store_b64 off, v[108:109], off offset:216
.LBB115_780:
	s_wait_xcnt 0x0
	s_or_b32 exec_lo, exec_lo, s0
	scratch_load_b64 v[108:109], off, off offset:224
	s_mov_b32 s0, exec_lo
	s_wait_loadcnt 0x0
	ds_store_b64 v1, v[108:109]
	s_wait_storecnt_dscnt 0x0
	s_barrier_signal -1
	s_barrier_wait -1
	s_wait_xcnt 0x0
	v_cmpx_gt_u32_e32 28, v0
	s_cbranch_execz .LBB115_790
; %bb.781:
	v_cmp_ne_u32_e32 vcc_lo, 1, v110
	s_cbranch_vccnz .LBB115_783
; %bb.782:
	scratch_load_b64 v[108:109], v59, off
	ds_load_b64 v[112:113], v1
	s_wait_loadcnt_dscnt 0x0
	v_pk_mul_f32 v[114:115], v[112:113], v[108:109] op_sel:[1,1] op_sel_hi:[0,1]
	s_delay_alu instid0(VALU_DEP_1) | instskip(SKIP_1) | instid1(VALU_DEP_2)
	v_pk_fma_f32 v[116:117], v[112:113], v[108:109], v[114:115] op_sel_hi:[1,0,1]
	v_pk_fma_f32 v[108:109], v[112:113], v[108:109], v[114:115] neg_lo:[0,0,1] neg_hi:[0,0,1]
	v_mov_b32_e32 v109, v117
	s_cbranch_execz .LBB115_784
	s_branch .LBB115_785
.LBB115_783:
                                        ; implicit-def: $vgpr108_vgpr109
.LBB115_784:
	ds_load_b64 v[108:109], v1
.LBB115_785:
	s_mov_b32 s2, exec_lo
	v_cmpx_ne_u32_e32 27, v0
	s_cbranch_execz .LBB115_789
; %bb.786:
	v_add_nc_u32_e32 v111, 0x1a8, v58
	v_add3_u32 v112, 0, v58, 8
	v_mov_b32_e32 v113, v0
	s_mov_b32 s3, 0
.LBB115_787:                            ; =>This Inner Loop Header: Depth=1
	scratch_load_b64 v[114:115], v112, off
	ds_load_b64 v[116:117], v111
	s_wait_xcnt 0x0
	v_dual_add_nc_u32 v111, 8, v111 :: v_dual_add_nc_u32 v112, 8, v112
	s_wait_loadcnt_dscnt 0x0
	v_pk_mul_f32 v[118:119], v[116:117], v[114:115] op_sel:[1,1] op_sel_hi:[0,1]
	s_delay_alu instid0(VALU_DEP_1) | instskip(SKIP_2) | instid1(VALU_DEP_3)
	v_pk_fma_f32 v[120:121], v[116:117], v[114:115], v[118:119] op_sel_hi:[1,0,1]
	v_add_nc_u32_e32 v113, 1, v113
	v_pk_fma_f32 v[114:115], v[116:117], v[114:115], v[118:119] neg_lo:[0,0,1] neg_hi:[0,0,1]
	v_mov_b32_e32 v115, v121
	s_delay_alu instid0(VALU_DEP_3) | instskip(NEXT) | instid1(VALU_DEP_2)
	v_cmp_lt_u32_e32 vcc_lo, 26, v113
	v_pk_add_f32 v[108:109], v[108:109], v[114:115]
	s_or_b32 s3, vcc_lo, s3
	s_delay_alu instid0(SALU_CYCLE_1)
	s_and_not1_b32 exec_lo, exec_lo, s3
	s_cbranch_execnz .LBB115_787
; %bb.788:
	s_or_b32 exec_lo, exec_lo, s3
.LBB115_789:
	s_delay_alu instid0(SALU_CYCLE_1) | instskip(SKIP_4) | instid1(VALU_DEP_1)
	s_or_b32 exec_lo, exec_lo, s2
	v_mov_b32_e32 v111, 0
	ds_load_b64 v[112:113], v111 offset:224
	s_wait_dscnt 0x0
	v_pk_mul_f32 v[114:115], v[108:109], v[112:113] op_sel:[1,1] op_sel_hi:[0,1]
	v_pk_fma_f32 v[116:117], v[108:109], v[112:113], v[114:115] op_sel_hi:[1,0,1]
	v_pk_fma_f32 v[108:109], v[108:109], v[112:113], v[114:115] neg_lo:[0,0,1] neg_hi:[0,0,1]
	s_delay_alu instid0(VALU_DEP_2)
	v_mov_b32_e32 v109, v117
	scratch_store_b64 off, v[108:109], off offset:224
.LBB115_790:
	s_wait_xcnt 0x0
	s_or_b32 exec_lo, exec_lo, s0
	scratch_load_b64 v[108:109], off, off offset:232
	s_mov_b32 s0, exec_lo
	s_wait_loadcnt 0x0
	ds_store_b64 v1, v[108:109]
	s_wait_storecnt_dscnt 0x0
	s_barrier_signal -1
	s_barrier_wait -1
	s_wait_xcnt 0x0
	v_cmpx_gt_u32_e32 29, v0
	s_cbranch_execz .LBB115_800
; %bb.791:
	v_cmp_ne_u32_e32 vcc_lo, 1, v110
	s_cbranch_vccnz .LBB115_793
; %bb.792:
	scratch_load_b64 v[108:109], v59, off
	ds_load_b64 v[112:113], v1
	s_wait_loadcnt_dscnt 0x0
	v_pk_mul_f32 v[114:115], v[112:113], v[108:109] op_sel:[1,1] op_sel_hi:[0,1]
	s_delay_alu instid0(VALU_DEP_1) | instskip(SKIP_1) | instid1(VALU_DEP_2)
	v_pk_fma_f32 v[116:117], v[112:113], v[108:109], v[114:115] op_sel_hi:[1,0,1]
	v_pk_fma_f32 v[108:109], v[112:113], v[108:109], v[114:115] neg_lo:[0,0,1] neg_hi:[0,0,1]
	v_mov_b32_e32 v109, v117
	s_cbranch_execz .LBB115_794
	s_branch .LBB115_795
.LBB115_793:
                                        ; implicit-def: $vgpr108_vgpr109
.LBB115_794:
	ds_load_b64 v[108:109], v1
.LBB115_795:
	s_mov_b32 s2, exec_lo
	v_cmpx_ne_u32_e32 28, v0
	s_cbranch_execz .LBB115_799
; %bb.796:
	v_add_nc_u32_e32 v111, 0x1a8, v58
	v_add3_u32 v112, 0, v58, 8
	v_mov_b32_e32 v113, v0
	s_mov_b32 s3, 0
.LBB115_797:                            ; =>This Inner Loop Header: Depth=1
	scratch_load_b64 v[114:115], v112, off
	ds_load_b64 v[116:117], v111
	s_wait_xcnt 0x0
	v_dual_add_nc_u32 v111, 8, v111 :: v_dual_add_nc_u32 v112, 8, v112
	s_wait_loadcnt_dscnt 0x0
	v_pk_mul_f32 v[118:119], v[116:117], v[114:115] op_sel:[1,1] op_sel_hi:[0,1]
	s_delay_alu instid0(VALU_DEP_1) | instskip(SKIP_2) | instid1(VALU_DEP_3)
	v_pk_fma_f32 v[120:121], v[116:117], v[114:115], v[118:119] op_sel_hi:[1,0,1]
	v_add_nc_u32_e32 v113, 1, v113
	v_pk_fma_f32 v[114:115], v[116:117], v[114:115], v[118:119] neg_lo:[0,0,1] neg_hi:[0,0,1]
	v_mov_b32_e32 v115, v121
	s_delay_alu instid0(VALU_DEP_3) | instskip(NEXT) | instid1(VALU_DEP_2)
	v_cmp_lt_u32_e32 vcc_lo, 27, v113
	v_pk_add_f32 v[108:109], v[108:109], v[114:115]
	s_or_b32 s3, vcc_lo, s3
	s_delay_alu instid0(SALU_CYCLE_1)
	s_and_not1_b32 exec_lo, exec_lo, s3
	s_cbranch_execnz .LBB115_797
; %bb.798:
	s_or_b32 exec_lo, exec_lo, s3
.LBB115_799:
	s_delay_alu instid0(SALU_CYCLE_1) | instskip(SKIP_4) | instid1(VALU_DEP_1)
	s_or_b32 exec_lo, exec_lo, s2
	v_mov_b32_e32 v111, 0
	ds_load_b64 v[112:113], v111 offset:232
	s_wait_dscnt 0x0
	v_pk_mul_f32 v[114:115], v[108:109], v[112:113] op_sel:[1,1] op_sel_hi:[0,1]
	v_pk_fma_f32 v[116:117], v[108:109], v[112:113], v[114:115] op_sel_hi:[1,0,1]
	v_pk_fma_f32 v[108:109], v[108:109], v[112:113], v[114:115] neg_lo:[0,0,1] neg_hi:[0,0,1]
	s_delay_alu instid0(VALU_DEP_2)
	v_mov_b32_e32 v109, v117
	scratch_store_b64 off, v[108:109], off offset:232
.LBB115_800:
	s_wait_xcnt 0x0
	s_or_b32 exec_lo, exec_lo, s0
	scratch_load_b64 v[108:109], off, off offset:240
	s_mov_b32 s0, exec_lo
	s_wait_loadcnt 0x0
	ds_store_b64 v1, v[108:109]
	s_wait_storecnt_dscnt 0x0
	s_barrier_signal -1
	s_barrier_wait -1
	s_wait_xcnt 0x0
	v_cmpx_gt_u32_e32 30, v0
	s_cbranch_execz .LBB115_810
; %bb.801:
	v_cmp_ne_u32_e32 vcc_lo, 1, v110
	s_cbranch_vccnz .LBB115_803
; %bb.802:
	scratch_load_b64 v[108:109], v59, off
	ds_load_b64 v[112:113], v1
	s_wait_loadcnt_dscnt 0x0
	v_pk_mul_f32 v[114:115], v[112:113], v[108:109] op_sel:[1,1] op_sel_hi:[0,1]
	s_delay_alu instid0(VALU_DEP_1) | instskip(SKIP_1) | instid1(VALU_DEP_2)
	v_pk_fma_f32 v[116:117], v[112:113], v[108:109], v[114:115] op_sel_hi:[1,0,1]
	v_pk_fma_f32 v[108:109], v[112:113], v[108:109], v[114:115] neg_lo:[0,0,1] neg_hi:[0,0,1]
	v_mov_b32_e32 v109, v117
	s_cbranch_execz .LBB115_804
	s_branch .LBB115_805
.LBB115_803:
                                        ; implicit-def: $vgpr108_vgpr109
.LBB115_804:
	ds_load_b64 v[108:109], v1
.LBB115_805:
	s_mov_b32 s2, exec_lo
	v_cmpx_ne_u32_e32 29, v0
	s_cbranch_execz .LBB115_809
; %bb.806:
	v_add_nc_u32_e32 v111, 0x1a8, v58
	v_add3_u32 v112, 0, v58, 8
	v_mov_b32_e32 v113, v0
	s_mov_b32 s3, 0
.LBB115_807:                            ; =>This Inner Loop Header: Depth=1
	scratch_load_b64 v[114:115], v112, off
	ds_load_b64 v[116:117], v111
	s_wait_xcnt 0x0
	v_dual_add_nc_u32 v111, 8, v111 :: v_dual_add_nc_u32 v112, 8, v112
	s_wait_loadcnt_dscnt 0x0
	v_pk_mul_f32 v[118:119], v[116:117], v[114:115] op_sel:[1,1] op_sel_hi:[0,1]
	s_delay_alu instid0(VALU_DEP_1) | instskip(SKIP_2) | instid1(VALU_DEP_3)
	v_pk_fma_f32 v[120:121], v[116:117], v[114:115], v[118:119] op_sel_hi:[1,0,1]
	v_add_nc_u32_e32 v113, 1, v113
	v_pk_fma_f32 v[114:115], v[116:117], v[114:115], v[118:119] neg_lo:[0,0,1] neg_hi:[0,0,1]
	v_mov_b32_e32 v115, v121
	s_delay_alu instid0(VALU_DEP_3) | instskip(NEXT) | instid1(VALU_DEP_2)
	v_cmp_lt_u32_e32 vcc_lo, 28, v113
	v_pk_add_f32 v[108:109], v[108:109], v[114:115]
	s_or_b32 s3, vcc_lo, s3
	s_delay_alu instid0(SALU_CYCLE_1)
	s_and_not1_b32 exec_lo, exec_lo, s3
	s_cbranch_execnz .LBB115_807
; %bb.808:
	s_or_b32 exec_lo, exec_lo, s3
.LBB115_809:
	s_delay_alu instid0(SALU_CYCLE_1) | instskip(SKIP_4) | instid1(VALU_DEP_1)
	s_or_b32 exec_lo, exec_lo, s2
	v_mov_b32_e32 v111, 0
	ds_load_b64 v[112:113], v111 offset:240
	s_wait_dscnt 0x0
	v_pk_mul_f32 v[114:115], v[108:109], v[112:113] op_sel:[1,1] op_sel_hi:[0,1]
	v_pk_fma_f32 v[116:117], v[108:109], v[112:113], v[114:115] op_sel_hi:[1,0,1]
	v_pk_fma_f32 v[108:109], v[108:109], v[112:113], v[114:115] neg_lo:[0,0,1] neg_hi:[0,0,1]
	s_delay_alu instid0(VALU_DEP_2)
	v_mov_b32_e32 v109, v117
	scratch_store_b64 off, v[108:109], off offset:240
.LBB115_810:
	s_wait_xcnt 0x0
	s_or_b32 exec_lo, exec_lo, s0
	scratch_load_b64 v[108:109], off, off offset:248
	s_mov_b32 s0, exec_lo
	s_wait_loadcnt 0x0
	ds_store_b64 v1, v[108:109]
	s_wait_storecnt_dscnt 0x0
	s_barrier_signal -1
	s_barrier_wait -1
	s_wait_xcnt 0x0
	v_cmpx_gt_u32_e32 31, v0
	s_cbranch_execz .LBB115_820
; %bb.811:
	v_cmp_ne_u32_e32 vcc_lo, 1, v110
	s_cbranch_vccnz .LBB115_813
; %bb.812:
	scratch_load_b64 v[108:109], v59, off
	ds_load_b64 v[112:113], v1
	s_wait_loadcnt_dscnt 0x0
	v_pk_mul_f32 v[114:115], v[112:113], v[108:109] op_sel:[1,1] op_sel_hi:[0,1]
	s_delay_alu instid0(VALU_DEP_1) | instskip(SKIP_1) | instid1(VALU_DEP_2)
	v_pk_fma_f32 v[116:117], v[112:113], v[108:109], v[114:115] op_sel_hi:[1,0,1]
	v_pk_fma_f32 v[108:109], v[112:113], v[108:109], v[114:115] neg_lo:[0,0,1] neg_hi:[0,0,1]
	v_mov_b32_e32 v109, v117
	s_cbranch_execz .LBB115_814
	s_branch .LBB115_815
.LBB115_813:
                                        ; implicit-def: $vgpr108_vgpr109
.LBB115_814:
	ds_load_b64 v[108:109], v1
.LBB115_815:
	s_mov_b32 s2, exec_lo
	v_cmpx_ne_u32_e32 30, v0
	s_cbranch_execz .LBB115_819
; %bb.816:
	v_add_nc_u32_e32 v111, 0x1a8, v58
	v_add3_u32 v112, 0, v58, 8
	v_mov_b32_e32 v113, v0
	s_mov_b32 s3, 0
.LBB115_817:                            ; =>This Inner Loop Header: Depth=1
	scratch_load_b64 v[114:115], v112, off
	ds_load_b64 v[116:117], v111
	s_wait_xcnt 0x0
	v_dual_add_nc_u32 v111, 8, v111 :: v_dual_add_nc_u32 v112, 8, v112
	s_wait_loadcnt_dscnt 0x0
	v_pk_mul_f32 v[118:119], v[116:117], v[114:115] op_sel:[1,1] op_sel_hi:[0,1]
	s_delay_alu instid0(VALU_DEP_1) | instskip(SKIP_2) | instid1(VALU_DEP_3)
	v_pk_fma_f32 v[120:121], v[116:117], v[114:115], v[118:119] op_sel_hi:[1,0,1]
	v_add_nc_u32_e32 v113, 1, v113
	v_pk_fma_f32 v[114:115], v[116:117], v[114:115], v[118:119] neg_lo:[0,0,1] neg_hi:[0,0,1]
	v_mov_b32_e32 v115, v121
	s_delay_alu instid0(VALU_DEP_3) | instskip(NEXT) | instid1(VALU_DEP_2)
	v_cmp_lt_u32_e32 vcc_lo, 29, v113
	v_pk_add_f32 v[108:109], v[108:109], v[114:115]
	s_or_b32 s3, vcc_lo, s3
	s_delay_alu instid0(SALU_CYCLE_1)
	s_and_not1_b32 exec_lo, exec_lo, s3
	s_cbranch_execnz .LBB115_817
; %bb.818:
	s_or_b32 exec_lo, exec_lo, s3
.LBB115_819:
	s_delay_alu instid0(SALU_CYCLE_1) | instskip(SKIP_4) | instid1(VALU_DEP_1)
	s_or_b32 exec_lo, exec_lo, s2
	v_mov_b32_e32 v111, 0
	ds_load_b64 v[112:113], v111 offset:248
	s_wait_dscnt 0x0
	v_pk_mul_f32 v[114:115], v[108:109], v[112:113] op_sel:[1,1] op_sel_hi:[0,1]
	v_pk_fma_f32 v[116:117], v[108:109], v[112:113], v[114:115] op_sel_hi:[1,0,1]
	v_pk_fma_f32 v[108:109], v[108:109], v[112:113], v[114:115] neg_lo:[0,0,1] neg_hi:[0,0,1]
	s_delay_alu instid0(VALU_DEP_2)
	v_mov_b32_e32 v109, v117
	scratch_store_b64 off, v[108:109], off offset:248
.LBB115_820:
	s_wait_xcnt 0x0
	s_or_b32 exec_lo, exec_lo, s0
	scratch_load_b64 v[108:109], off, off offset:256
	s_mov_b32 s0, exec_lo
	s_wait_loadcnt 0x0
	ds_store_b64 v1, v[108:109]
	s_wait_storecnt_dscnt 0x0
	s_barrier_signal -1
	s_barrier_wait -1
	s_wait_xcnt 0x0
	v_cmpx_gt_u32_e32 32, v0
	s_cbranch_execz .LBB115_830
; %bb.821:
	v_cmp_ne_u32_e32 vcc_lo, 1, v110
	s_cbranch_vccnz .LBB115_823
; %bb.822:
	scratch_load_b64 v[108:109], v59, off
	ds_load_b64 v[112:113], v1
	s_wait_loadcnt_dscnt 0x0
	v_pk_mul_f32 v[114:115], v[112:113], v[108:109] op_sel:[1,1] op_sel_hi:[0,1]
	s_delay_alu instid0(VALU_DEP_1) | instskip(SKIP_1) | instid1(VALU_DEP_2)
	v_pk_fma_f32 v[116:117], v[112:113], v[108:109], v[114:115] op_sel_hi:[1,0,1]
	v_pk_fma_f32 v[108:109], v[112:113], v[108:109], v[114:115] neg_lo:[0,0,1] neg_hi:[0,0,1]
	v_mov_b32_e32 v109, v117
	s_cbranch_execz .LBB115_824
	s_branch .LBB115_825
.LBB115_823:
                                        ; implicit-def: $vgpr108_vgpr109
.LBB115_824:
	ds_load_b64 v[108:109], v1
.LBB115_825:
	s_mov_b32 s2, exec_lo
	v_cmpx_ne_u32_e32 31, v0
	s_cbranch_execz .LBB115_829
; %bb.826:
	v_add_nc_u32_e32 v111, 0x1a8, v58
	v_add3_u32 v112, 0, v58, 8
	v_mov_b32_e32 v113, v0
	s_mov_b32 s3, 0
.LBB115_827:                            ; =>This Inner Loop Header: Depth=1
	scratch_load_b64 v[114:115], v112, off
	ds_load_b64 v[116:117], v111
	s_wait_xcnt 0x0
	v_dual_add_nc_u32 v111, 8, v111 :: v_dual_add_nc_u32 v112, 8, v112
	s_wait_loadcnt_dscnt 0x0
	v_pk_mul_f32 v[118:119], v[116:117], v[114:115] op_sel:[1,1] op_sel_hi:[0,1]
	s_delay_alu instid0(VALU_DEP_1) | instskip(SKIP_2) | instid1(VALU_DEP_3)
	v_pk_fma_f32 v[120:121], v[116:117], v[114:115], v[118:119] op_sel_hi:[1,0,1]
	v_add_nc_u32_e32 v113, 1, v113
	v_pk_fma_f32 v[114:115], v[116:117], v[114:115], v[118:119] neg_lo:[0,0,1] neg_hi:[0,0,1]
	v_mov_b32_e32 v115, v121
	s_delay_alu instid0(VALU_DEP_3) | instskip(NEXT) | instid1(VALU_DEP_2)
	v_cmp_lt_u32_e32 vcc_lo, 30, v113
	v_pk_add_f32 v[108:109], v[108:109], v[114:115]
	s_or_b32 s3, vcc_lo, s3
	s_delay_alu instid0(SALU_CYCLE_1)
	s_and_not1_b32 exec_lo, exec_lo, s3
	s_cbranch_execnz .LBB115_827
; %bb.828:
	s_or_b32 exec_lo, exec_lo, s3
.LBB115_829:
	s_delay_alu instid0(SALU_CYCLE_1) | instskip(SKIP_4) | instid1(VALU_DEP_1)
	s_or_b32 exec_lo, exec_lo, s2
	v_mov_b32_e32 v111, 0
	ds_load_b64 v[112:113], v111 offset:256
	s_wait_dscnt 0x0
	v_pk_mul_f32 v[114:115], v[108:109], v[112:113] op_sel:[1,1] op_sel_hi:[0,1]
	v_pk_fma_f32 v[116:117], v[108:109], v[112:113], v[114:115] op_sel_hi:[1,0,1]
	v_pk_fma_f32 v[108:109], v[108:109], v[112:113], v[114:115] neg_lo:[0,0,1] neg_hi:[0,0,1]
	s_delay_alu instid0(VALU_DEP_2)
	v_mov_b32_e32 v109, v117
	scratch_store_b64 off, v[108:109], off offset:256
.LBB115_830:
	s_wait_xcnt 0x0
	s_or_b32 exec_lo, exec_lo, s0
	scratch_load_b64 v[108:109], off, off offset:264
	s_mov_b32 s0, exec_lo
	s_wait_loadcnt 0x0
	ds_store_b64 v1, v[108:109]
	s_wait_storecnt_dscnt 0x0
	s_barrier_signal -1
	s_barrier_wait -1
	s_wait_xcnt 0x0
	v_cmpx_gt_u32_e32 33, v0
	s_cbranch_execz .LBB115_840
; %bb.831:
	v_cmp_ne_u32_e32 vcc_lo, 1, v110
	s_cbranch_vccnz .LBB115_833
; %bb.832:
	scratch_load_b64 v[108:109], v59, off
	ds_load_b64 v[112:113], v1
	s_wait_loadcnt_dscnt 0x0
	v_pk_mul_f32 v[114:115], v[112:113], v[108:109] op_sel:[1,1] op_sel_hi:[0,1]
	s_delay_alu instid0(VALU_DEP_1) | instskip(SKIP_1) | instid1(VALU_DEP_2)
	v_pk_fma_f32 v[116:117], v[112:113], v[108:109], v[114:115] op_sel_hi:[1,0,1]
	v_pk_fma_f32 v[108:109], v[112:113], v[108:109], v[114:115] neg_lo:[0,0,1] neg_hi:[0,0,1]
	v_mov_b32_e32 v109, v117
	s_cbranch_execz .LBB115_834
	s_branch .LBB115_835
.LBB115_833:
                                        ; implicit-def: $vgpr108_vgpr109
.LBB115_834:
	ds_load_b64 v[108:109], v1
.LBB115_835:
	s_mov_b32 s2, exec_lo
	v_cmpx_ne_u32_e32 32, v0
	s_cbranch_execz .LBB115_839
; %bb.836:
	v_add_nc_u32_e32 v111, 0x1a8, v58
	v_add3_u32 v112, 0, v58, 8
	v_mov_b32_e32 v113, v0
	s_mov_b32 s3, 0
.LBB115_837:                            ; =>This Inner Loop Header: Depth=1
	scratch_load_b64 v[114:115], v112, off
	ds_load_b64 v[116:117], v111
	s_wait_xcnt 0x0
	v_dual_add_nc_u32 v111, 8, v111 :: v_dual_add_nc_u32 v112, 8, v112
	s_wait_loadcnt_dscnt 0x0
	v_pk_mul_f32 v[118:119], v[116:117], v[114:115] op_sel:[1,1] op_sel_hi:[0,1]
	s_delay_alu instid0(VALU_DEP_1) | instskip(SKIP_2) | instid1(VALU_DEP_3)
	v_pk_fma_f32 v[120:121], v[116:117], v[114:115], v[118:119] op_sel_hi:[1,0,1]
	v_add_nc_u32_e32 v113, 1, v113
	v_pk_fma_f32 v[114:115], v[116:117], v[114:115], v[118:119] neg_lo:[0,0,1] neg_hi:[0,0,1]
	v_mov_b32_e32 v115, v121
	s_delay_alu instid0(VALU_DEP_3) | instskip(NEXT) | instid1(VALU_DEP_2)
	v_cmp_lt_u32_e32 vcc_lo, 31, v113
	v_pk_add_f32 v[108:109], v[108:109], v[114:115]
	s_or_b32 s3, vcc_lo, s3
	s_delay_alu instid0(SALU_CYCLE_1)
	s_and_not1_b32 exec_lo, exec_lo, s3
	s_cbranch_execnz .LBB115_837
; %bb.838:
	s_or_b32 exec_lo, exec_lo, s3
.LBB115_839:
	s_delay_alu instid0(SALU_CYCLE_1) | instskip(SKIP_4) | instid1(VALU_DEP_1)
	s_or_b32 exec_lo, exec_lo, s2
	v_mov_b32_e32 v111, 0
	ds_load_b64 v[112:113], v111 offset:264
	s_wait_dscnt 0x0
	v_pk_mul_f32 v[114:115], v[108:109], v[112:113] op_sel:[1,1] op_sel_hi:[0,1]
	v_pk_fma_f32 v[116:117], v[108:109], v[112:113], v[114:115] op_sel_hi:[1,0,1]
	v_pk_fma_f32 v[108:109], v[108:109], v[112:113], v[114:115] neg_lo:[0,0,1] neg_hi:[0,0,1]
	s_delay_alu instid0(VALU_DEP_2)
	v_mov_b32_e32 v109, v117
	scratch_store_b64 off, v[108:109], off offset:264
.LBB115_840:
	s_wait_xcnt 0x0
	s_or_b32 exec_lo, exec_lo, s0
	scratch_load_b64 v[108:109], off, off offset:272
	s_mov_b32 s0, exec_lo
	s_wait_loadcnt 0x0
	ds_store_b64 v1, v[108:109]
	s_wait_storecnt_dscnt 0x0
	s_barrier_signal -1
	s_barrier_wait -1
	s_wait_xcnt 0x0
	v_cmpx_gt_u32_e32 34, v0
	s_cbranch_execz .LBB115_850
; %bb.841:
	v_cmp_ne_u32_e32 vcc_lo, 1, v110
	s_cbranch_vccnz .LBB115_843
; %bb.842:
	scratch_load_b64 v[108:109], v59, off
	ds_load_b64 v[112:113], v1
	s_wait_loadcnt_dscnt 0x0
	v_pk_mul_f32 v[114:115], v[112:113], v[108:109] op_sel:[1,1] op_sel_hi:[0,1]
	s_delay_alu instid0(VALU_DEP_1) | instskip(SKIP_1) | instid1(VALU_DEP_2)
	v_pk_fma_f32 v[116:117], v[112:113], v[108:109], v[114:115] op_sel_hi:[1,0,1]
	v_pk_fma_f32 v[108:109], v[112:113], v[108:109], v[114:115] neg_lo:[0,0,1] neg_hi:[0,0,1]
	v_mov_b32_e32 v109, v117
	s_cbranch_execz .LBB115_844
	s_branch .LBB115_845
.LBB115_843:
                                        ; implicit-def: $vgpr108_vgpr109
.LBB115_844:
	ds_load_b64 v[108:109], v1
.LBB115_845:
	s_mov_b32 s2, exec_lo
	v_cmpx_ne_u32_e32 33, v0
	s_cbranch_execz .LBB115_849
; %bb.846:
	v_add_nc_u32_e32 v111, 0x1a8, v58
	v_add3_u32 v112, 0, v58, 8
	v_mov_b32_e32 v113, v0
	s_mov_b32 s3, 0
.LBB115_847:                            ; =>This Inner Loop Header: Depth=1
	scratch_load_b64 v[114:115], v112, off
	ds_load_b64 v[116:117], v111
	s_wait_xcnt 0x0
	v_dual_add_nc_u32 v111, 8, v111 :: v_dual_add_nc_u32 v112, 8, v112
	s_wait_loadcnt_dscnt 0x0
	v_pk_mul_f32 v[118:119], v[116:117], v[114:115] op_sel:[1,1] op_sel_hi:[0,1]
	s_delay_alu instid0(VALU_DEP_1) | instskip(SKIP_2) | instid1(VALU_DEP_3)
	v_pk_fma_f32 v[120:121], v[116:117], v[114:115], v[118:119] op_sel_hi:[1,0,1]
	v_add_nc_u32_e32 v113, 1, v113
	v_pk_fma_f32 v[114:115], v[116:117], v[114:115], v[118:119] neg_lo:[0,0,1] neg_hi:[0,0,1]
	v_mov_b32_e32 v115, v121
	s_delay_alu instid0(VALU_DEP_3) | instskip(NEXT) | instid1(VALU_DEP_2)
	v_cmp_lt_u32_e32 vcc_lo, 32, v113
	v_pk_add_f32 v[108:109], v[108:109], v[114:115]
	s_or_b32 s3, vcc_lo, s3
	s_delay_alu instid0(SALU_CYCLE_1)
	s_and_not1_b32 exec_lo, exec_lo, s3
	s_cbranch_execnz .LBB115_847
; %bb.848:
	s_or_b32 exec_lo, exec_lo, s3
.LBB115_849:
	s_delay_alu instid0(SALU_CYCLE_1) | instskip(SKIP_4) | instid1(VALU_DEP_1)
	s_or_b32 exec_lo, exec_lo, s2
	v_mov_b32_e32 v111, 0
	ds_load_b64 v[112:113], v111 offset:272
	s_wait_dscnt 0x0
	v_pk_mul_f32 v[114:115], v[108:109], v[112:113] op_sel:[1,1] op_sel_hi:[0,1]
	v_pk_fma_f32 v[116:117], v[108:109], v[112:113], v[114:115] op_sel_hi:[1,0,1]
	v_pk_fma_f32 v[108:109], v[108:109], v[112:113], v[114:115] neg_lo:[0,0,1] neg_hi:[0,0,1]
	s_delay_alu instid0(VALU_DEP_2)
	v_mov_b32_e32 v109, v117
	scratch_store_b64 off, v[108:109], off offset:272
.LBB115_850:
	s_wait_xcnt 0x0
	s_or_b32 exec_lo, exec_lo, s0
	scratch_load_b64 v[108:109], off, off offset:280
	s_mov_b32 s0, exec_lo
	s_wait_loadcnt 0x0
	ds_store_b64 v1, v[108:109]
	s_wait_storecnt_dscnt 0x0
	s_barrier_signal -1
	s_barrier_wait -1
	s_wait_xcnt 0x0
	v_cmpx_gt_u32_e32 35, v0
	s_cbranch_execz .LBB115_860
; %bb.851:
	v_cmp_ne_u32_e32 vcc_lo, 1, v110
	s_cbranch_vccnz .LBB115_853
; %bb.852:
	scratch_load_b64 v[108:109], v59, off
	ds_load_b64 v[112:113], v1
	s_wait_loadcnt_dscnt 0x0
	v_pk_mul_f32 v[114:115], v[112:113], v[108:109] op_sel:[1,1] op_sel_hi:[0,1]
	s_delay_alu instid0(VALU_DEP_1) | instskip(SKIP_1) | instid1(VALU_DEP_2)
	v_pk_fma_f32 v[116:117], v[112:113], v[108:109], v[114:115] op_sel_hi:[1,0,1]
	v_pk_fma_f32 v[108:109], v[112:113], v[108:109], v[114:115] neg_lo:[0,0,1] neg_hi:[0,0,1]
	v_mov_b32_e32 v109, v117
	s_cbranch_execz .LBB115_854
	s_branch .LBB115_855
.LBB115_853:
                                        ; implicit-def: $vgpr108_vgpr109
.LBB115_854:
	ds_load_b64 v[108:109], v1
.LBB115_855:
	s_mov_b32 s2, exec_lo
	v_cmpx_ne_u32_e32 34, v0
	s_cbranch_execz .LBB115_859
; %bb.856:
	v_add_nc_u32_e32 v111, 0x1a8, v58
	v_add3_u32 v112, 0, v58, 8
	v_mov_b32_e32 v113, v0
	s_mov_b32 s3, 0
.LBB115_857:                            ; =>This Inner Loop Header: Depth=1
	scratch_load_b64 v[114:115], v112, off
	ds_load_b64 v[116:117], v111
	s_wait_xcnt 0x0
	v_dual_add_nc_u32 v111, 8, v111 :: v_dual_add_nc_u32 v112, 8, v112
	s_wait_loadcnt_dscnt 0x0
	v_pk_mul_f32 v[118:119], v[116:117], v[114:115] op_sel:[1,1] op_sel_hi:[0,1]
	s_delay_alu instid0(VALU_DEP_1) | instskip(SKIP_2) | instid1(VALU_DEP_3)
	v_pk_fma_f32 v[120:121], v[116:117], v[114:115], v[118:119] op_sel_hi:[1,0,1]
	v_add_nc_u32_e32 v113, 1, v113
	v_pk_fma_f32 v[114:115], v[116:117], v[114:115], v[118:119] neg_lo:[0,0,1] neg_hi:[0,0,1]
	v_mov_b32_e32 v115, v121
	s_delay_alu instid0(VALU_DEP_3) | instskip(NEXT) | instid1(VALU_DEP_2)
	v_cmp_lt_u32_e32 vcc_lo, 33, v113
	v_pk_add_f32 v[108:109], v[108:109], v[114:115]
	s_or_b32 s3, vcc_lo, s3
	s_delay_alu instid0(SALU_CYCLE_1)
	s_and_not1_b32 exec_lo, exec_lo, s3
	s_cbranch_execnz .LBB115_857
; %bb.858:
	s_or_b32 exec_lo, exec_lo, s3
.LBB115_859:
	s_delay_alu instid0(SALU_CYCLE_1) | instskip(SKIP_4) | instid1(VALU_DEP_1)
	s_or_b32 exec_lo, exec_lo, s2
	v_mov_b32_e32 v111, 0
	ds_load_b64 v[112:113], v111 offset:280
	s_wait_dscnt 0x0
	v_pk_mul_f32 v[114:115], v[108:109], v[112:113] op_sel:[1,1] op_sel_hi:[0,1]
	v_pk_fma_f32 v[116:117], v[108:109], v[112:113], v[114:115] op_sel_hi:[1,0,1]
	v_pk_fma_f32 v[108:109], v[108:109], v[112:113], v[114:115] neg_lo:[0,0,1] neg_hi:[0,0,1]
	s_delay_alu instid0(VALU_DEP_2)
	v_mov_b32_e32 v109, v117
	scratch_store_b64 off, v[108:109], off offset:280
.LBB115_860:
	s_wait_xcnt 0x0
	s_or_b32 exec_lo, exec_lo, s0
	scratch_load_b64 v[108:109], off, off offset:288
	s_mov_b32 s0, exec_lo
	s_wait_loadcnt 0x0
	ds_store_b64 v1, v[108:109]
	s_wait_storecnt_dscnt 0x0
	s_barrier_signal -1
	s_barrier_wait -1
	s_wait_xcnt 0x0
	v_cmpx_gt_u32_e32 36, v0
	s_cbranch_execz .LBB115_870
; %bb.861:
	v_cmp_ne_u32_e32 vcc_lo, 1, v110
	s_cbranch_vccnz .LBB115_863
; %bb.862:
	scratch_load_b64 v[108:109], v59, off
	ds_load_b64 v[112:113], v1
	s_wait_loadcnt_dscnt 0x0
	v_pk_mul_f32 v[114:115], v[112:113], v[108:109] op_sel:[1,1] op_sel_hi:[0,1]
	s_delay_alu instid0(VALU_DEP_1) | instskip(SKIP_1) | instid1(VALU_DEP_2)
	v_pk_fma_f32 v[116:117], v[112:113], v[108:109], v[114:115] op_sel_hi:[1,0,1]
	v_pk_fma_f32 v[108:109], v[112:113], v[108:109], v[114:115] neg_lo:[0,0,1] neg_hi:[0,0,1]
	v_mov_b32_e32 v109, v117
	s_cbranch_execz .LBB115_864
	s_branch .LBB115_865
.LBB115_863:
                                        ; implicit-def: $vgpr108_vgpr109
.LBB115_864:
	ds_load_b64 v[108:109], v1
.LBB115_865:
	s_mov_b32 s2, exec_lo
	v_cmpx_ne_u32_e32 35, v0
	s_cbranch_execz .LBB115_869
; %bb.866:
	v_add_nc_u32_e32 v111, 0x1a8, v58
	v_add3_u32 v112, 0, v58, 8
	v_mov_b32_e32 v113, v0
	s_mov_b32 s3, 0
.LBB115_867:                            ; =>This Inner Loop Header: Depth=1
	scratch_load_b64 v[114:115], v112, off
	ds_load_b64 v[116:117], v111
	s_wait_xcnt 0x0
	v_dual_add_nc_u32 v111, 8, v111 :: v_dual_add_nc_u32 v112, 8, v112
	s_wait_loadcnt_dscnt 0x0
	v_pk_mul_f32 v[118:119], v[116:117], v[114:115] op_sel:[1,1] op_sel_hi:[0,1]
	s_delay_alu instid0(VALU_DEP_1) | instskip(SKIP_2) | instid1(VALU_DEP_3)
	v_pk_fma_f32 v[120:121], v[116:117], v[114:115], v[118:119] op_sel_hi:[1,0,1]
	v_add_nc_u32_e32 v113, 1, v113
	v_pk_fma_f32 v[114:115], v[116:117], v[114:115], v[118:119] neg_lo:[0,0,1] neg_hi:[0,0,1]
	v_mov_b32_e32 v115, v121
	s_delay_alu instid0(VALU_DEP_3) | instskip(NEXT) | instid1(VALU_DEP_2)
	v_cmp_lt_u32_e32 vcc_lo, 34, v113
	v_pk_add_f32 v[108:109], v[108:109], v[114:115]
	s_or_b32 s3, vcc_lo, s3
	s_delay_alu instid0(SALU_CYCLE_1)
	s_and_not1_b32 exec_lo, exec_lo, s3
	s_cbranch_execnz .LBB115_867
; %bb.868:
	s_or_b32 exec_lo, exec_lo, s3
.LBB115_869:
	s_delay_alu instid0(SALU_CYCLE_1) | instskip(SKIP_4) | instid1(VALU_DEP_1)
	s_or_b32 exec_lo, exec_lo, s2
	v_mov_b32_e32 v111, 0
	ds_load_b64 v[112:113], v111 offset:288
	s_wait_dscnt 0x0
	v_pk_mul_f32 v[114:115], v[108:109], v[112:113] op_sel:[1,1] op_sel_hi:[0,1]
	v_pk_fma_f32 v[116:117], v[108:109], v[112:113], v[114:115] op_sel_hi:[1,0,1]
	v_pk_fma_f32 v[108:109], v[108:109], v[112:113], v[114:115] neg_lo:[0,0,1] neg_hi:[0,0,1]
	s_delay_alu instid0(VALU_DEP_2)
	v_mov_b32_e32 v109, v117
	scratch_store_b64 off, v[108:109], off offset:288
.LBB115_870:
	s_wait_xcnt 0x0
	s_or_b32 exec_lo, exec_lo, s0
	scratch_load_b64 v[108:109], off, off offset:296
	s_mov_b32 s0, exec_lo
	s_wait_loadcnt 0x0
	ds_store_b64 v1, v[108:109]
	s_wait_storecnt_dscnt 0x0
	s_barrier_signal -1
	s_barrier_wait -1
	s_wait_xcnt 0x0
	v_cmpx_gt_u32_e32 37, v0
	s_cbranch_execz .LBB115_880
; %bb.871:
	v_cmp_ne_u32_e32 vcc_lo, 1, v110
	s_cbranch_vccnz .LBB115_873
; %bb.872:
	scratch_load_b64 v[108:109], v59, off
	ds_load_b64 v[112:113], v1
	s_wait_loadcnt_dscnt 0x0
	v_pk_mul_f32 v[114:115], v[112:113], v[108:109] op_sel:[1,1] op_sel_hi:[0,1]
	s_delay_alu instid0(VALU_DEP_1) | instskip(SKIP_1) | instid1(VALU_DEP_2)
	v_pk_fma_f32 v[116:117], v[112:113], v[108:109], v[114:115] op_sel_hi:[1,0,1]
	v_pk_fma_f32 v[108:109], v[112:113], v[108:109], v[114:115] neg_lo:[0,0,1] neg_hi:[0,0,1]
	v_mov_b32_e32 v109, v117
	s_cbranch_execz .LBB115_874
	s_branch .LBB115_875
.LBB115_873:
                                        ; implicit-def: $vgpr108_vgpr109
.LBB115_874:
	ds_load_b64 v[108:109], v1
.LBB115_875:
	s_mov_b32 s2, exec_lo
	v_cmpx_ne_u32_e32 36, v0
	s_cbranch_execz .LBB115_879
; %bb.876:
	v_add_nc_u32_e32 v111, 0x1a8, v58
	v_add3_u32 v112, 0, v58, 8
	v_mov_b32_e32 v113, v0
	s_mov_b32 s3, 0
.LBB115_877:                            ; =>This Inner Loop Header: Depth=1
	scratch_load_b64 v[114:115], v112, off
	ds_load_b64 v[116:117], v111
	s_wait_xcnt 0x0
	v_dual_add_nc_u32 v111, 8, v111 :: v_dual_add_nc_u32 v112, 8, v112
	s_wait_loadcnt_dscnt 0x0
	v_pk_mul_f32 v[118:119], v[116:117], v[114:115] op_sel:[1,1] op_sel_hi:[0,1]
	s_delay_alu instid0(VALU_DEP_1) | instskip(SKIP_2) | instid1(VALU_DEP_3)
	v_pk_fma_f32 v[120:121], v[116:117], v[114:115], v[118:119] op_sel_hi:[1,0,1]
	v_add_nc_u32_e32 v113, 1, v113
	v_pk_fma_f32 v[114:115], v[116:117], v[114:115], v[118:119] neg_lo:[0,0,1] neg_hi:[0,0,1]
	v_mov_b32_e32 v115, v121
	s_delay_alu instid0(VALU_DEP_3) | instskip(NEXT) | instid1(VALU_DEP_2)
	v_cmp_lt_u32_e32 vcc_lo, 35, v113
	v_pk_add_f32 v[108:109], v[108:109], v[114:115]
	s_or_b32 s3, vcc_lo, s3
	s_delay_alu instid0(SALU_CYCLE_1)
	s_and_not1_b32 exec_lo, exec_lo, s3
	s_cbranch_execnz .LBB115_877
; %bb.878:
	s_or_b32 exec_lo, exec_lo, s3
.LBB115_879:
	s_delay_alu instid0(SALU_CYCLE_1) | instskip(SKIP_4) | instid1(VALU_DEP_1)
	s_or_b32 exec_lo, exec_lo, s2
	v_mov_b32_e32 v111, 0
	ds_load_b64 v[112:113], v111 offset:296
	s_wait_dscnt 0x0
	v_pk_mul_f32 v[114:115], v[108:109], v[112:113] op_sel:[1,1] op_sel_hi:[0,1]
	v_pk_fma_f32 v[116:117], v[108:109], v[112:113], v[114:115] op_sel_hi:[1,0,1]
	v_pk_fma_f32 v[108:109], v[108:109], v[112:113], v[114:115] neg_lo:[0,0,1] neg_hi:[0,0,1]
	s_delay_alu instid0(VALU_DEP_2)
	v_mov_b32_e32 v109, v117
	scratch_store_b64 off, v[108:109], off offset:296
.LBB115_880:
	s_wait_xcnt 0x0
	s_or_b32 exec_lo, exec_lo, s0
	scratch_load_b64 v[108:109], off, off offset:304
	s_mov_b32 s0, exec_lo
	s_wait_loadcnt 0x0
	ds_store_b64 v1, v[108:109]
	s_wait_storecnt_dscnt 0x0
	s_barrier_signal -1
	s_barrier_wait -1
	s_wait_xcnt 0x0
	v_cmpx_gt_u32_e32 38, v0
	s_cbranch_execz .LBB115_890
; %bb.881:
	v_cmp_ne_u32_e32 vcc_lo, 1, v110
	s_cbranch_vccnz .LBB115_883
; %bb.882:
	scratch_load_b64 v[108:109], v59, off
	ds_load_b64 v[112:113], v1
	s_wait_loadcnt_dscnt 0x0
	v_pk_mul_f32 v[114:115], v[112:113], v[108:109] op_sel:[1,1] op_sel_hi:[0,1]
	s_delay_alu instid0(VALU_DEP_1) | instskip(SKIP_1) | instid1(VALU_DEP_2)
	v_pk_fma_f32 v[116:117], v[112:113], v[108:109], v[114:115] op_sel_hi:[1,0,1]
	v_pk_fma_f32 v[108:109], v[112:113], v[108:109], v[114:115] neg_lo:[0,0,1] neg_hi:[0,0,1]
	v_mov_b32_e32 v109, v117
	s_cbranch_execz .LBB115_884
	s_branch .LBB115_885
.LBB115_883:
                                        ; implicit-def: $vgpr108_vgpr109
.LBB115_884:
	ds_load_b64 v[108:109], v1
.LBB115_885:
	s_mov_b32 s2, exec_lo
	v_cmpx_ne_u32_e32 37, v0
	s_cbranch_execz .LBB115_889
; %bb.886:
	v_add_nc_u32_e32 v111, 0x1a8, v58
	v_add3_u32 v112, 0, v58, 8
	v_mov_b32_e32 v113, v0
	s_mov_b32 s3, 0
.LBB115_887:                            ; =>This Inner Loop Header: Depth=1
	scratch_load_b64 v[114:115], v112, off
	ds_load_b64 v[116:117], v111
	s_wait_xcnt 0x0
	v_dual_add_nc_u32 v111, 8, v111 :: v_dual_add_nc_u32 v112, 8, v112
	s_wait_loadcnt_dscnt 0x0
	v_pk_mul_f32 v[118:119], v[116:117], v[114:115] op_sel:[1,1] op_sel_hi:[0,1]
	s_delay_alu instid0(VALU_DEP_1) | instskip(SKIP_2) | instid1(VALU_DEP_3)
	v_pk_fma_f32 v[120:121], v[116:117], v[114:115], v[118:119] op_sel_hi:[1,0,1]
	v_add_nc_u32_e32 v113, 1, v113
	v_pk_fma_f32 v[114:115], v[116:117], v[114:115], v[118:119] neg_lo:[0,0,1] neg_hi:[0,0,1]
	v_mov_b32_e32 v115, v121
	s_delay_alu instid0(VALU_DEP_3) | instskip(NEXT) | instid1(VALU_DEP_2)
	v_cmp_lt_u32_e32 vcc_lo, 36, v113
	v_pk_add_f32 v[108:109], v[108:109], v[114:115]
	s_or_b32 s3, vcc_lo, s3
	s_delay_alu instid0(SALU_CYCLE_1)
	s_and_not1_b32 exec_lo, exec_lo, s3
	s_cbranch_execnz .LBB115_887
; %bb.888:
	s_or_b32 exec_lo, exec_lo, s3
.LBB115_889:
	s_delay_alu instid0(SALU_CYCLE_1) | instskip(SKIP_4) | instid1(VALU_DEP_1)
	s_or_b32 exec_lo, exec_lo, s2
	v_mov_b32_e32 v111, 0
	ds_load_b64 v[112:113], v111 offset:304
	s_wait_dscnt 0x0
	v_pk_mul_f32 v[114:115], v[108:109], v[112:113] op_sel:[1,1] op_sel_hi:[0,1]
	v_pk_fma_f32 v[116:117], v[108:109], v[112:113], v[114:115] op_sel_hi:[1,0,1]
	v_pk_fma_f32 v[108:109], v[108:109], v[112:113], v[114:115] neg_lo:[0,0,1] neg_hi:[0,0,1]
	s_delay_alu instid0(VALU_DEP_2)
	v_mov_b32_e32 v109, v117
	scratch_store_b64 off, v[108:109], off offset:304
.LBB115_890:
	s_wait_xcnt 0x0
	s_or_b32 exec_lo, exec_lo, s0
	scratch_load_b64 v[108:109], off, off offset:312
	s_mov_b32 s0, exec_lo
	s_wait_loadcnt 0x0
	ds_store_b64 v1, v[108:109]
	s_wait_storecnt_dscnt 0x0
	s_barrier_signal -1
	s_barrier_wait -1
	s_wait_xcnt 0x0
	v_cmpx_gt_u32_e32 39, v0
	s_cbranch_execz .LBB115_900
; %bb.891:
	v_cmp_ne_u32_e32 vcc_lo, 1, v110
	s_cbranch_vccnz .LBB115_893
; %bb.892:
	scratch_load_b64 v[108:109], v59, off
	ds_load_b64 v[112:113], v1
	s_wait_loadcnt_dscnt 0x0
	v_pk_mul_f32 v[114:115], v[112:113], v[108:109] op_sel:[1,1] op_sel_hi:[0,1]
	s_delay_alu instid0(VALU_DEP_1) | instskip(SKIP_1) | instid1(VALU_DEP_2)
	v_pk_fma_f32 v[116:117], v[112:113], v[108:109], v[114:115] op_sel_hi:[1,0,1]
	v_pk_fma_f32 v[108:109], v[112:113], v[108:109], v[114:115] neg_lo:[0,0,1] neg_hi:[0,0,1]
	v_mov_b32_e32 v109, v117
	s_cbranch_execz .LBB115_894
	s_branch .LBB115_895
.LBB115_893:
                                        ; implicit-def: $vgpr108_vgpr109
.LBB115_894:
	ds_load_b64 v[108:109], v1
.LBB115_895:
	s_mov_b32 s2, exec_lo
	v_cmpx_ne_u32_e32 38, v0
	s_cbranch_execz .LBB115_899
; %bb.896:
	v_add_nc_u32_e32 v111, 0x1a8, v58
	v_add3_u32 v112, 0, v58, 8
	v_mov_b32_e32 v113, v0
	s_mov_b32 s3, 0
.LBB115_897:                            ; =>This Inner Loop Header: Depth=1
	scratch_load_b64 v[114:115], v112, off
	ds_load_b64 v[116:117], v111
	s_wait_xcnt 0x0
	v_dual_add_nc_u32 v111, 8, v111 :: v_dual_add_nc_u32 v112, 8, v112
	s_wait_loadcnt_dscnt 0x0
	v_pk_mul_f32 v[118:119], v[116:117], v[114:115] op_sel:[1,1] op_sel_hi:[0,1]
	s_delay_alu instid0(VALU_DEP_1) | instskip(SKIP_2) | instid1(VALU_DEP_3)
	v_pk_fma_f32 v[120:121], v[116:117], v[114:115], v[118:119] op_sel_hi:[1,0,1]
	v_add_nc_u32_e32 v113, 1, v113
	v_pk_fma_f32 v[114:115], v[116:117], v[114:115], v[118:119] neg_lo:[0,0,1] neg_hi:[0,0,1]
	v_mov_b32_e32 v115, v121
	s_delay_alu instid0(VALU_DEP_3) | instskip(NEXT) | instid1(VALU_DEP_2)
	v_cmp_lt_u32_e32 vcc_lo, 37, v113
	v_pk_add_f32 v[108:109], v[108:109], v[114:115]
	s_or_b32 s3, vcc_lo, s3
	s_delay_alu instid0(SALU_CYCLE_1)
	s_and_not1_b32 exec_lo, exec_lo, s3
	s_cbranch_execnz .LBB115_897
; %bb.898:
	s_or_b32 exec_lo, exec_lo, s3
.LBB115_899:
	s_delay_alu instid0(SALU_CYCLE_1) | instskip(SKIP_4) | instid1(VALU_DEP_1)
	s_or_b32 exec_lo, exec_lo, s2
	v_mov_b32_e32 v111, 0
	ds_load_b64 v[112:113], v111 offset:312
	s_wait_dscnt 0x0
	v_pk_mul_f32 v[114:115], v[108:109], v[112:113] op_sel:[1,1] op_sel_hi:[0,1]
	v_pk_fma_f32 v[116:117], v[108:109], v[112:113], v[114:115] op_sel_hi:[1,0,1]
	v_pk_fma_f32 v[108:109], v[108:109], v[112:113], v[114:115] neg_lo:[0,0,1] neg_hi:[0,0,1]
	s_delay_alu instid0(VALU_DEP_2)
	v_mov_b32_e32 v109, v117
	scratch_store_b64 off, v[108:109], off offset:312
.LBB115_900:
	s_wait_xcnt 0x0
	s_or_b32 exec_lo, exec_lo, s0
	scratch_load_b64 v[108:109], off, off offset:320
	s_mov_b32 s0, exec_lo
	s_wait_loadcnt 0x0
	ds_store_b64 v1, v[108:109]
	s_wait_storecnt_dscnt 0x0
	s_barrier_signal -1
	s_barrier_wait -1
	s_wait_xcnt 0x0
	v_cmpx_gt_u32_e32 40, v0
	s_cbranch_execz .LBB115_910
; %bb.901:
	v_cmp_ne_u32_e32 vcc_lo, 1, v110
	s_cbranch_vccnz .LBB115_903
; %bb.902:
	scratch_load_b64 v[108:109], v59, off
	ds_load_b64 v[112:113], v1
	s_wait_loadcnt_dscnt 0x0
	v_pk_mul_f32 v[114:115], v[112:113], v[108:109] op_sel:[1,1] op_sel_hi:[0,1]
	s_delay_alu instid0(VALU_DEP_1) | instskip(SKIP_1) | instid1(VALU_DEP_2)
	v_pk_fma_f32 v[116:117], v[112:113], v[108:109], v[114:115] op_sel_hi:[1,0,1]
	v_pk_fma_f32 v[108:109], v[112:113], v[108:109], v[114:115] neg_lo:[0,0,1] neg_hi:[0,0,1]
	v_mov_b32_e32 v109, v117
	s_cbranch_execz .LBB115_904
	s_branch .LBB115_905
.LBB115_903:
                                        ; implicit-def: $vgpr108_vgpr109
.LBB115_904:
	ds_load_b64 v[108:109], v1
.LBB115_905:
	s_mov_b32 s2, exec_lo
	v_cmpx_ne_u32_e32 39, v0
	s_cbranch_execz .LBB115_909
; %bb.906:
	v_add_nc_u32_e32 v111, 0x1a8, v58
	v_add3_u32 v112, 0, v58, 8
	v_mov_b32_e32 v113, v0
	s_mov_b32 s3, 0
.LBB115_907:                            ; =>This Inner Loop Header: Depth=1
	scratch_load_b64 v[114:115], v112, off
	ds_load_b64 v[116:117], v111
	s_wait_xcnt 0x0
	v_dual_add_nc_u32 v111, 8, v111 :: v_dual_add_nc_u32 v112, 8, v112
	s_wait_loadcnt_dscnt 0x0
	v_pk_mul_f32 v[118:119], v[116:117], v[114:115] op_sel:[1,1] op_sel_hi:[0,1]
	s_delay_alu instid0(VALU_DEP_1) | instskip(SKIP_2) | instid1(VALU_DEP_3)
	v_pk_fma_f32 v[120:121], v[116:117], v[114:115], v[118:119] op_sel_hi:[1,0,1]
	v_add_nc_u32_e32 v113, 1, v113
	v_pk_fma_f32 v[114:115], v[116:117], v[114:115], v[118:119] neg_lo:[0,0,1] neg_hi:[0,0,1]
	v_mov_b32_e32 v115, v121
	s_delay_alu instid0(VALU_DEP_3) | instskip(NEXT) | instid1(VALU_DEP_2)
	v_cmp_lt_u32_e32 vcc_lo, 38, v113
	v_pk_add_f32 v[108:109], v[108:109], v[114:115]
	s_or_b32 s3, vcc_lo, s3
	s_delay_alu instid0(SALU_CYCLE_1)
	s_and_not1_b32 exec_lo, exec_lo, s3
	s_cbranch_execnz .LBB115_907
; %bb.908:
	s_or_b32 exec_lo, exec_lo, s3
.LBB115_909:
	s_delay_alu instid0(SALU_CYCLE_1) | instskip(SKIP_4) | instid1(VALU_DEP_1)
	s_or_b32 exec_lo, exec_lo, s2
	v_mov_b32_e32 v111, 0
	ds_load_b64 v[112:113], v111 offset:320
	s_wait_dscnt 0x0
	v_pk_mul_f32 v[114:115], v[108:109], v[112:113] op_sel:[1,1] op_sel_hi:[0,1]
	v_pk_fma_f32 v[116:117], v[108:109], v[112:113], v[114:115] op_sel_hi:[1,0,1]
	v_pk_fma_f32 v[108:109], v[108:109], v[112:113], v[114:115] neg_lo:[0,0,1] neg_hi:[0,0,1]
	s_delay_alu instid0(VALU_DEP_2)
	v_mov_b32_e32 v109, v117
	scratch_store_b64 off, v[108:109], off offset:320
.LBB115_910:
	s_wait_xcnt 0x0
	s_or_b32 exec_lo, exec_lo, s0
	scratch_load_b64 v[108:109], off, off offset:328
	s_mov_b32 s0, exec_lo
	s_wait_loadcnt 0x0
	ds_store_b64 v1, v[108:109]
	s_wait_storecnt_dscnt 0x0
	s_barrier_signal -1
	s_barrier_wait -1
	s_wait_xcnt 0x0
	v_cmpx_gt_u32_e32 41, v0
	s_cbranch_execz .LBB115_920
; %bb.911:
	v_cmp_ne_u32_e32 vcc_lo, 1, v110
	s_cbranch_vccnz .LBB115_913
; %bb.912:
	scratch_load_b64 v[108:109], v59, off
	ds_load_b64 v[112:113], v1
	s_wait_loadcnt_dscnt 0x0
	v_pk_mul_f32 v[114:115], v[112:113], v[108:109] op_sel:[1,1] op_sel_hi:[0,1]
	s_delay_alu instid0(VALU_DEP_1) | instskip(SKIP_1) | instid1(VALU_DEP_2)
	v_pk_fma_f32 v[116:117], v[112:113], v[108:109], v[114:115] op_sel_hi:[1,0,1]
	v_pk_fma_f32 v[108:109], v[112:113], v[108:109], v[114:115] neg_lo:[0,0,1] neg_hi:[0,0,1]
	v_mov_b32_e32 v109, v117
	s_cbranch_execz .LBB115_914
	s_branch .LBB115_915
.LBB115_913:
                                        ; implicit-def: $vgpr108_vgpr109
.LBB115_914:
	ds_load_b64 v[108:109], v1
.LBB115_915:
	s_mov_b32 s2, exec_lo
	v_cmpx_ne_u32_e32 40, v0
	s_cbranch_execz .LBB115_919
; %bb.916:
	v_add_nc_u32_e32 v111, 0x1a8, v58
	v_add3_u32 v112, 0, v58, 8
	v_mov_b32_e32 v113, v0
	s_mov_b32 s3, 0
.LBB115_917:                            ; =>This Inner Loop Header: Depth=1
	scratch_load_b64 v[114:115], v112, off
	ds_load_b64 v[116:117], v111
	s_wait_xcnt 0x0
	v_dual_add_nc_u32 v111, 8, v111 :: v_dual_add_nc_u32 v112, 8, v112
	s_wait_loadcnt_dscnt 0x0
	v_pk_mul_f32 v[118:119], v[116:117], v[114:115] op_sel:[1,1] op_sel_hi:[0,1]
	s_delay_alu instid0(VALU_DEP_1) | instskip(SKIP_2) | instid1(VALU_DEP_3)
	v_pk_fma_f32 v[120:121], v[116:117], v[114:115], v[118:119] op_sel_hi:[1,0,1]
	v_add_nc_u32_e32 v113, 1, v113
	v_pk_fma_f32 v[114:115], v[116:117], v[114:115], v[118:119] neg_lo:[0,0,1] neg_hi:[0,0,1]
	v_mov_b32_e32 v115, v121
	s_delay_alu instid0(VALU_DEP_3) | instskip(NEXT) | instid1(VALU_DEP_2)
	v_cmp_lt_u32_e32 vcc_lo, 39, v113
	v_pk_add_f32 v[108:109], v[108:109], v[114:115]
	s_or_b32 s3, vcc_lo, s3
	s_delay_alu instid0(SALU_CYCLE_1)
	s_and_not1_b32 exec_lo, exec_lo, s3
	s_cbranch_execnz .LBB115_917
; %bb.918:
	s_or_b32 exec_lo, exec_lo, s3
.LBB115_919:
	s_delay_alu instid0(SALU_CYCLE_1) | instskip(SKIP_4) | instid1(VALU_DEP_1)
	s_or_b32 exec_lo, exec_lo, s2
	v_mov_b32_e32 v111, 0
	ds_load_b64 v[112:113], v111 offset:328
	s_wait_dscnt 0x0
	v_pk_mul_f32 v[114:115], v[108:109], v[112:113] op_sel:[1,1] op_sel_hi:[0,1]
	v_pk_fma_f32 v[116:117], v[108:109], v[112:113], v[114:115] op_sel_hi:[1,0,1]
	v_pk_fma_f32 v[108:109], v[108:109], v[112:113], v[114:115] neg_lo:[0,0,1] neg_hi:[0,0,1]
	s_delay_alu instid0(VALU_DEP_2)
	v_mov_b32_e32 v109, v117
	scratch_store_b64 off, v[108:109], off offset:328
.LBB115_920:
	s_wait_xcnt 0x0
	s_or_b32 exec_lo, exec_lo, s0
	scratch_load_b64 v[108:109], off, off offset:336
	s_mov_b32 s0, exec_lo
	s_wait_loadcnt 0x0
	ds_store_b64 v1, v[108:109]
	s_wait_storecnt_dscnt 0x0
	s_barrier_signal -1
	s_barrier_wait -1
	s_wait_xcnt 0x0
	v_cmpx_gt_u32_e32 42, v0
	s_cbranch_execz .LBB115_930
; %bb.921:
	v_cmp_ne_u32_e32 vcc_lo, 1, v110
	s_cbranch_vccnz .LBB115_923
; %bb.922:
	scratch_load_b64 v[108:109], v59, off
	ds_load_b64 v[112:113], v1
	s_wait_loadcnt_dscnt 0x0
	v_pk_mul_f32 v[114:115], v[112:113], v[108:109] op_sel:[1,1] op_sel_hi:[0,1]
	s_delay_alu instid0(VALU_DEP_1) | instskip(SKIP_1) | instid1(VALU_DEP_2)
	v_pk_fma_f32 v[116:117], v[112:113], v[108:109], v[114:115] op_sel_hi:[1,0,1]
	v_pk_fma_f32 v[108:109], v[112:113], v[108:109], v[114:115] neg_lo:[0,0,1] neg_hi:[0,0,1]
	v_mov_b32_e32 v109, v117
	s_cbranch_execz .LBB115_924
	s_branch .LBB115_925
.LBB115_923:
                                        ; implicit-def: $vgpr108_vgpr109
.LBB115_924:
	ds_load_b64 v[108:109], v1
.LBB115_925:
	s_mov_b32 s2, exec_lo
	v_cmpx_ne_u32_e32 41, v0
	s_cbranch_execz .LBB115_929
; %bb.926:
	v_add_nc_u32_e32 v111, 0x1a8, v58
	v_add3_u32 v112, 0, v58, 8
	v_mov_b32_e32 v113, v0
	s_mov_b32 s3, 0
.LBB115_927:                            ; =>This Inner Loop Header: Depth=1
	scratch_load_b64 v[114:115], v112, off
	ds_load_b64 v[116:117], v111
	s_wait_xcnt 0x0
	v_dual_add_nc_u32 v111, 8, v111 :: v_dual_add_nc_u32 v112, 8, v112
	s_wait_loadcnt_dscnt 0x0
	v_pk_mul_f32 v[118:119], v[116:117], v[114:115] op_sel:[1,1] op_sel_hi:[0,1]
	s_delay_alu instid0(VALU_DEP_1) | instskip(SKIP_2) | instid1(VALU_DEP_3)
	v_pk_fma_f32 v[120:121], v[116:117], v[114:115], v[118:119] op_sel_hi:[1,0,1]
	v_add_nc_u32_e32 v113, 1, v113
	v_pk_fma_f32 v[114:115], v[116:117], v[114:115], v[118:119] neg_lo:[0,0,1] neg_hi:[0,0,1]
	v_mov_b32_e32 v115, v121
	s_delay_alu instid0(VALU_DEP_3) | instskip(NEXT) | instid1(VALU_DEP_2)
	v_cmp_lt_u32_e32 vcc_lo, 40, v113
	v_pk_add_f32 v[108:109], v[108:109], v[114:115]
	s_or_b32 s3, vcc_lo, s3
	s_delay_alu instid0(SALU_CYCLE_1)
	s_and_not1_b32 exec_lo, exec_lo, s3
	s_cbranch_execnz .LBB115_927
; %bb.928:
	s_or_b32 exec_lo, exec_lo, s3
.LBB115_929:
	s_delay_alu instid0(SALU_CYCLE_1) | instskip(SKIP_4) | instid1(VALU_DEP_1)
	s_or_b32 exec_lo, exec_lo, s2
	v_mov_b32_e32 v111, 0
	ds_load_b64 v[112:113], v111 offset:336
	s_wait_dscnt 0x0
	v_pk_mul_f32 v[114:115], v[108:109], v[112:113] op_sel:[1,1] op_sel_hi:[0,1]
	v_pk_fma_f32 v[116:117], v[108:109], v[112:113], v[114:115] op_sel_hi:[1,0,1]
	v_pk_fma_f32 v[108:109], v[108:109], v[112:113], v[114:115] neg_lo:[0,0,1] neg_hi:[0,0,1]
	s_delay_alu instid0(VALU_DEP_2)
	v_mov_b32_e32 v109, v117
	scratch_store_b64 off, v[108:109], off offset:336
.LBB115_930:
	s_wait_xcnt 0x0
	s_or_b32 exec_lo, exec_lo, s0
	scratch_load_b64 v[108:109], off, off offset:344
	s_mov_b32 s0, exec_lo
	s_wait_loadcnt 0x0
	ds_store_b64 v1, v[108:109]
	s_wait_storecnt_dscnt 0x0
	s_barrier_signal -1
	s_barrier_wait -1
	s_wait_xcnt 0x0
	v_cmpx_gt_u32_e32 43, v0
	s_cbranch_execz .LBB115_940
; %bb.931:
	v_cmp_ne_u32_e32 vcc_lo, 1, v110
	s_cbranch_vccnz .LBB115_933
; %bb.932:
	scratch_load_b64 v[108:109], v59, off
	ds_load_b64 v[112:113], v1
	s_wait_loadcnt_dscnt 0x0
	v_pk_mul_f32 v[114:115], v[112:113], v[108:109] op_sel:[1,1] op_sel_hi:[0,1]
	s_delay_alu instid0(VALU_DEP_1) | instskip(SKIP_1) | instid1(VALU_DEP_2)
	v_pk_fma_f32 v[116:117], v[112:113], v[108:109], v[114:115] op_sel_hi:[1,0,1]
	v_pk_fma_f32 v[108:109], v[112:113], v[108:109], v[114:115] neg_lo:[0,0,1] neg_hi:[0,0,1]
	v_mov_b32_e32 v109, v117
	s_cbranch_execz .LBB115_934
	s_branch .LBB115_935
.LBB115_933:
                                        ; implicit-def: $vgpr108_vgpr109
.LBB115_934:
	ds_load_b64 v[108:109], v1
.LBB115_935:
	s_mov_b32 s2, exec_lo
	v_cmpx_ne_u32_e32 42, v0
	s_cbranch_execz .LBB115_939
; %bb.936:
	v_add_nc_u32_e32 v111, 0x1a8, v58
	v_add3_u32 v112, 0, v58, 8
	v_mov_b32_e32 v113, v0
	s_mov_b32 s3, 0
.LBB115_937:                            ; =>This Inner Loop Header: Depth=1
	scratch_load_b64 v[114:115], v112, off
	ds_load_b64 v[116:117], v111
	s_wait_xcnt 0x0
	v_dual_add_nc_u32 v111, 8, v111 :: v_dual_add_nc_u32 v112, 8, v112
	s_wait_loadcnt_dscnt 0x0
	v_pk_mul_f32 v[118:119], v[116:117], v[114:115] op_sel:[1,1] op_sel_hi:[0,1]
	s_delay_alu instid0(VALU_DEP_1) | instskip(SKIP_2) | instid1(VALU_DEP_3)
	v_pk_fma_f32 v[120:121], v[116:117], v[114:115], v[118:119] op_sel_hi:[1,0,1]
	v_add_nc_u32_e32 v113, 1, v113
	v_pk_fma_f32 v[114:115], v[116:117], v[114:115], v[118:119] neg_lo:[0,0,1] neg_hi:[0,0,1]
	v_mov_b32_e32 v115, v121
	s_delay_alu instid0(VALU_DEP_3) | instskip(NEXT) | instid1(VALU_DEP_2)
	v_cmp_lt_u32_e32 vcc_lo, 41, v113
	v_pk_add_f32 v[108:109], v[108:109], v[114:115]
	s_or_b32 s3, vcc_lo, s3
	s_delay_alu instid0(SALU_CYCLE_1)
	s_and_not1_b32 exec_lo, exec_lo, s3
	s_cbranch_execnz .LBB115_937
; %bb.938:
	s_or_b32 exec_lo, exec_lo, s3
.LBB115_939:
	s_delay_alu instid0(SALU_CYCLE_1) | instskip(SKIP_4) | instid1(VALU_DEP_1)
	s_or_b32 exec_lo, exec_lo, s2
	v_mov_b32_e32 v111, 0
	ds_load_b64 v[112:113], v111 offset:344
	s_wait_dscnt 0x0
	v_pk_mul_f32 v[114:115], v[108:109], v[112:113] op_sel:[1,1] op_sel_hi:[0,1]
	v_pk_fma_f32 v[116:117], v[108:109], v[112:113], v[114:115] op_sel_hi:[1,0,1]
	v_pk_fma_f32 v[108:109], v[108:109], v[112:113], v[114:115] neg_lo:[0,0,1] neg_hi:[0,0,1]
	s_delay_alu instid0(VALU_DEP_2)
	v_mov_b32_e32 v109, v117
	scratch_store_b64 off, v[108:109], off offset:344
.LBB115_940:
	s_wait_xcnt 0x0
	s_or_b32 exec_lo, exec_lo, s0
	scratch_load_b64 v[108:109], off, off offset:352
	s_mov_b32 s0, exec_lo
	s_wait_loadcnt 0x0
	ds_store_b64 v1, v[108:109]
	s_wait_storecnt_dscnt 0x0
	s_barrier_signal -1
	s_barrier_wait -1
	s_wait_xcnt 0x0
	v_cmpx_gt_u32_e32 44, v0
	s_cbranch_execz .LBB115_950
; %bb.941:
	v_cmp_ne_u32_e32 vcc_lo, 1, v110
	s_cbranch_vccnz .LBB115_943
; %bb.942:
	scratch_load_b64 v[108:109], v59, off
	ds_load_b64 v[112:113], v1
	s_wait_loadcnt_dscnt 0x0
	v_pk_mul_f32 v[114:115], v[112:113], v[108:109] op_sel:[1,1] op_sel_hi:[0,1]
	s_delay_alu instid0(VALU_DEP_1) | instskip(SKIP_1) | instid1(VALU_DEP_2)
	v_pk_fma_f32 v[116:117], v[112:113], v[108:109], v[114:115] op_sel_hi:[1,0,1]
	v_pk_fma_f32 v[108:109], v[112:113], v[108:109], v[114:115] neg_lo:[0,0,1] neg_hi:[0,0,1]
	v_mov_b32_e32 v109, v117
	s_cbranch_execz .LBB115_944
	s_branch .LBB115_945
.LBB115_943:
                                        ; implicit-def: $vgpr108_vgpr109
.LBB115_944:
	ds_load_b64 v[108:109], v1
.LBB115_945:
	s_mov_b32 s2, exec_lo
	v_cmpx_ne_u32_e32 43, v0
	s_cbranch_execz .LBB115_949
; %bb.946:
	v_add_nc_u32_e32 v111, 0x1a8, v58
	v_add3_u32 v112, 0, v58, 8
	v_mov_b32_e32 v113, v0
	s_mov_b32 s3, 0
.LBB115_947:                            ; =>This Inner Loop Header: Depth=1
	scratch_load_b64 v[114:115], v112, off
	ds_load_b64 v[116:117], v111
	s_wait_xcnt 0x0
	v_dual_add_nc_u32 v111, 8, v111 :: v_dual_add_nc_u32 v112, 8, v112
	s_wait_loadcnt_dscnt 0x0
	v_pk_mul_f32 v[118:119], v[116:117], v[114:115] op_sel:[1,1] op_sel_hi:[0,1]
	s_delay_alu instid0(VALU_DEP_1) | instskip(SKIP_2) | instid1(VALU_DEP_3)
	v_pk_fma_f32 v[120:121], v[116:117], v[114:115], v[118:119] op_sel_hi:[1,0,1]
	v_add_nc_u32_e32 v113, 1, v113
	v_pk_fma_f32 v[114:115], v[116:117], v[114:115], v[118:119] neg_lo:[0,0,1] neg_hi:[0,0,1]
	v_mov_b32_e32 v115, v121
	s_delay_alu instid0(VALU_DEP_3) | instskip(NEXT) | instid1(VALU_DEP_2)
	v_cmp_lt_u32_e32 vcc_lo, 42, v113
	v_pk_add_f32 v[108:109], v[108:109], v[114:115]
	s_or_b32 s3, vcc_lo, s3
	s_delay_alu instid0(SALU_CYCLE_1)
	s_and_not1_b32 exec_lo, exec_lo, s3
	s_cbranch_execnz .LBB115_947
; %bb.948:
	s_or_b32 exec_lo, exec_lo, s3
.LBB115_949:
	s_delay_alu instid0(SALU_CYCLE_1) | instskip(SKIP_4) | instid1(VALU_DEP_1)
	s_or_b32 exec_lo, exec_lo, s2
	v_mov_b32_e32 v111, 0
	ds_load_b64 v[112:113], v111 offset:352
	s_wait_dscnt 0x0
	v_pk_mul_f32 v[114:115], v[108:109], v[112:113] op_sel:[1,1] op_sel_hi:[0,1]
	v_pk_fma_f32 v[116:117], v[108:109], v[112:113], v[114:115] op_sel_hi:[1,0,1]
	v_pk_fma_f32 v[108:109], v[108:109], v[112:113], v[114:115] neg_lo:[0,0,1] neg_hi:[0,0,1]
	s_delay_alu instid0(VALU_DEP_2)
	v_mov_b32_e32 v109, v117
	scratch_store_b64 off, v[108:109], off offset:352
.LBB115_950:
	s_wait_xcnt 0x0
	s_or_b32 exec_lo, exec_lo, s0
	scratch_load_b64 v[108:109], off, off offset:360
	s_mov_b32 s0, exec_lo
	s_wait_loadcnt 0x0
	ds_store_b64 v1, v[108:109]
	s_wait_storecnt_dscnt 0x0
	s_barrier_signal -1
	s_barrier_wait -1
	s_wait_xcnt 0x0
	v_cmpx_gt_u32_e32 45, v0
	s_cbranch_execz .LBB115_960
; %bb.951:
	v_cmp_ne_u32_e32 vcc_lo, 1, v110
	s_cbranch_vccnz .LBB115_953
; %bb.952:
	scratch_load_b64 v[108:109], v59, off
	ds_load_b64 v[112:113], v1
	s_wait_loadcnt_dscnt 0x0
	v_pk_mul_f32 v[114:115], v[112:113], v[108:109] op_sel:[1,1] op_sel_hi:[0,1]
	s_delay_alu instid0(VALU_DEP_1) | instskip(SKIP_1) | instid1(VALU_DEP_2)
	v_pk_fma_f32 v[116:117], v[112:113], v[108:109], v[114:115] op_sel_hi:[1,0,1]
	v_pk_fma_f32 v[108:109], v[112:113], v[108:109], v[114:115] neg_lo:[0,0,1] neg_hi:[0,0,1]
	v_mov_b32_e32 v109, v117
	s_cbranch_execz .LBB115_954
	s_branch .LBB115_955
.LBB115_953:
                                        ; implicit-def: $vgpr108_vgpr109
.LBB115_954:
	ds_load_b64 v[108:109], v1
.LBB115_955:
	s_mov_b32 s2, exec_lo
	v_cmpx_ne_u32_e32 44, v0
	s_cbranch_execz .LBB115_959
; %bb.956:
	v_add_nc_u32_e32 v111, 0x1a8, v58
	v_add3_u32 v112, 0, v58, 8
	v_mov_b32_e32 v113, v0
	s_mov_b32 s3, 0
.LBB115_957:                            ; =>This Inner Loop Header: Depth=1
	scratch_load_b64 v[114:115], v112, off
	ds_load_b64 v[116:117], v111
	s_wait_xcnt 0x0
	v_dual_add_nc_u32 v111, 8, v111 :: v_dual_add_nc_u32 v112, 8, v112
	s_wait_loadcnt_dscnt 0x0
	v_pk_mul_f32 v[118:119], v[116:117], v[114:115] op_sel:[1,1] op_sel_hi:[0,1]
	s_delay_alu instid0(VALU_DEP_1) | instskip(SKIP_2) | instid1(VALU_DEP_3)
	v_pk_fma_f32 v[120:121], v[116:117], v[114:115], v[118:119] op_sel_hi:[1,0,1]
	v_add_nc_u32_e32 v113, 1, v113
	v_pk_fma_f32 v[114:115], v[116:117], v[114:115], v[118:119] neg_lo:[0,0,1] neg_hi:[0,0,1]
	v_mov_b32_e32 v115, v121
	s_delay_alu instid0(VALU_DEP_3) | instskip(NEXT) | instid1(VALU_DEP_2)
	v_cmp_lt_u32_e32 vcc_lo, 43, v113
	v_pk_add_f32 v[108:109], v[108:109], v[114:115]
	s_or_b32 s3, vcc_lo, s3
	s_delay_alu instid0(SALU_CYCLE_1)
	s_and_not1_b32 exec_lo, exec_lo, s3
	s_cbranch_execnz .LBB115_957
; %bb.958:
	s_or_b32 exec_lo, exec_lo, s3
.LBB115_959:
	s_delay_alu instid0(SALU_CYCLE_1) | instskip(SKIP_4) | instid1(VALU_DEP_1)
	s_or_b32 exec_lo, exec_lo, s2
	v_mov_b32_e32 v111, 0
	ds_load_b64 v[112:113], v111 offset:360
	s_wait_dscnt 0x0
	v_pk_mul_f32 v[114:115], v[108:109], v[112:113] op_sel:[1,1] op_sel_hi:[0,1]
	v_pk_fma_f32 v[116:117], v[108:109], v[112:113], v[114:115] op_sel_hi:[1,0,1]
	v_pk_fma_f32 v[108:109], v[108:109], v[112:113], v[114:115] neg_lo:[0,0,1] neg_hi:[0,0,1]
	s_delay_alu instid0(VALU_DEP_2)
	v_mov_b32_e32 v109, v117
	scratch_store_b64 off, v[108:109], off offset:360
.LBB115_960:
	s_wait_xcnt 0x0
	s_or_b32 exec_lo, exec_lo, s0
	scratch_load_b64 v[108:109], off, off offset:368
	s_mov_b32 s0, exec_lo
	s_wait_loadcnt 0x0
	ds_store_b64 v1, v[108:109]
	s_wait_storecnt_dscnt 0x0
	s_barrier_signal -1
	s_barrier_wait -1
	s_wait_xcnt 0x0
	v_cmpx_gt_u32_e32 46, v0
	s_cbranch_execz .LBB115_970
; %bb.961:
	v_cmp_ne_u32_e32 vcc_lo, 1, v110
	s_cbranch_vccnz .LBB115_963
; %bb.962:
	scratch_load_b64 v[108:109], v59, off
	ds_load_b64 v[112:113], v1
	s_wait_loadcnt_dscnt 0x0
	v_pk_mul_f32 v[114:115], v[112:113], v[108:109] op_sel:[1,1] op_sel_hi:[0,1]
	s_delay_alu instid0(VALU_DEP_1) | instskip(SKIP_1) | instid1(VALU_DEP_2)
	v_pk_fma_f32 v[116:117], v[112:113], v[108:109], v[114:115] op_sel_hi:[1,0,1]
	v_pk_fma_f32 v[108:109], v[112:113], v[108:109], v[114:115] neg_lo:[0,0,1] neg_hi:[0,0,1]
	v_mov_b32_e32 v109, v117
	s_cbranch_execz .LBB115_964
	s_branch .LBB115_965
.LBB115_963:
                                        ; implicit-def: $vgpr108_vgpr109
.LBB115_964:
	ds_load_b64 v[108:109], v1
.LBB115_965:
	s_mov_b32 s2, exec_lo
	v_cmpx_ne_u32_e32 45, v0
	s_cbranch_execz .LBB115_969
; %bb.966:
	v_add_nc_u32_e32 v111, 0x1a8, v58
	v_add3_u32 v112, 0, v58, 8
	v_mov_b32_e32 v113, v0
	s_mov_b32 s3, 0
.LBB115_967:                            ; =>This Inner Loop Header: Depth=1
	scratch_load_b64 v[114:115], v112, off
	ds_load_b64 v[116:117], v111
	s_wait_xcnt 0x0
	v_dual_add_nc_u32 v111, 8, v111 :: v_dual_add_nc_u32 v112, 8, v112
	s_wait_loadcnt_dscnt 0x0
	v_pk_mul_f32 v[118:119], v[116:117], v[114:115] op_sel:[1,1] op_sel_hi:[0,1]
	s_delay_alu instid0(VALU_DEP_1) | instskip(SKIP_2) | instid1(VALU_DEP_3)
	v_pk_fma_f32 v[120:121], v[116:117], v[114:115], v[118:119] op_sel_hi:[1,0,1]
	v_add_nc_u32_e32 v113, 1, v113
	v_pk_fma_f32 v[114:115], v[116:117], v[114:115], v[118:119] neg_lo:[0,0,1] neg_hi:[0,0,1]
	v_mov_b32_e32 v115, v121
	s_delay_alu instid0(VALU_DEP_3) | instskip(NEXT) | instid1(VALU_DEP_2)
	v_cmp_lt_u32_e32 vcc_lo, 44, v113
	v_pk_add_f32 v[108:109], v[108:109], v[114:115]
	s_or_b32 s3, vcc_lo, s3
	s_delay_alu instid0(SALU_CYCLE_1)
	s_and_not1_b32 exec_lo, exec_lo, s3
	s_cbranch_execnz .LBB115_967
; %bb.968:
	s_or_b32 exec_lo, exec_lo, s3
.LBB115_969:
	s_delay_alu instid0(SALU_CYCLE_1) | instskip(SKIP_4) | instid1(VALU_DEP_1)
	s_or_b32 exec_lo, exec_lo, s2
	v_mov_b32_e32 v111, 0
	ds_load_b64 v[112:113], v111 offset:368
	s_wait_dscnt 0x0
	v_pk_mul_f32 v[114:115], v[108:109], v[112:113] op_sel:[1,1] op_sel_hi:[0,1]
	v_pk_fma_f32 v[116:117], v[108:109], v[112:113], v[114:115] op_sel_hi:[1,0,1]
	v_pk_fma_f32 v[108:109], v[108:109], v[112:113], v[114:115] neg_lo:[0,0,1] neg_hi:[0,0,1]
	s_delay_alu instid0(VALU_DEP_2)
	v_mov_b32_e32 v109, v117
	scratch_store_b64 off, v[108:109], off offset:368
.LBB115_970:
	s_wait_xcnt 0x0
	s_or_b32 exec_lo, exec_lo, s0
	scratch_load_b64 v[108:109], off, off offset:376
	s_mov_b32 s0, exec_lo
	s_wait_loadcnt 0x0
	ds_store_b64 v1, v[108:109]
	s_wait_storecnt_dscnt 0x0
	s_barrier_signal -1
	s_barrier_wait -1
	s_wait_xcnt 0x0
	v_cmpx_gt_u32_e32 47, v0
	s_cbranch_execz .LBB115_980
; %bb.971:
	v_cmp_ne_u32_e32 vcc_lo, 1, v110
	s_cbranch_vccnz .LBB115_973
; %bb.972:
	scratch_load_b64 v[108:109], v59, off
	ds_load_b64 v[112:113], v1
	s_wait_loadcnt_dscnt 0x0
	v_pk_mul_f32 v[114:115], v[112:113], v[108:109] op_sel:[1,1] op_sel_hi:[0,1]
	s_delay_alu instid0(VALU_DEP_1) | instskip(SKIP_1) | instid1(VALU_DEP_2)
	v_pk_fma_f32 v[116:117], v[112:113], v[108:109], v[114:115] op_sel_hi:[1,0,1]
	v_pk_fma_f32 v[108:109], v[112:113], v[108:109], v[114:115] neg_lo:[0,0,1] neg_hi:[0,0,1]
	v_mov_b32_e32 v109, v117
	s_cbranch_execz .LBB115_974
	s_branch .LBB115_975
.LBB115_973:
                                        ; implicit-def: $vgpr108_vgpr109
.LBB115_974:
	ds_load_b64 v[108:109], v1
.LBB115_975:
	s_mov_b32 s2, exec_lo
	v_cmpx_ne_u32_e32 46, v0
	s_cbranch_execz .LBB115_979
; %bb.976:
	v_add_nc_u32_e32 v111, 0x1a8, v58
	v_add3_u32 v112, 0, v58, 8
	v_mov_b32_e32 v113, v0
	s_mov_b32 s3, 0
.LBB115_977:                            ; =>This Inner Loop Header: Depth=1
	scratch_load_b64 v[114:115], v112, off
	ds_load_b64 v[116:117], v111
	s_wait_xcnt 0x0
	v_dual_add_nc_u32 v111, 8, v111 :: v_dual_add_nc_u32 v112, 8, v112
	s_wait_loadcnt_dscnt 0x0
	v_pk_mul_f32 v[118:119], v[116:117], v[114:115] op_sel:[1,1] op_sel_hi:[0,1]
	s_delay_alu instid0(VALU_DEP_1) | instskip(SKIP_2) | instid1(VALU_DEP_3)
	v_pk_fma_f32 v[120:121], v[116:117], v[114:115], v[118:119] op_sel_hi:[1,0,1]
	v_add_nc_u32_e32 v113, 1, v113
	v_pk_fma_f32 v[114:115], v[116:117], v[114:115], v[118:119] neg_lo:[0,0,1] neg_hi:[0,0,1]
	v_mov_b32_e32 v115, v121
	s_delay_alu instid0(VALU_DEP_3) | instskip(NEXT) | instid1(VALU_DEP_2)
	v_cmp_lt_u32_e32 vcc_lo, 45, v113
	v_pk_add_f32 v[108:109], v[108:109], v[114:115]
	s_or_b32 s3, vcc_lo, s3
	s_delay_alu instid0(SALU_CYCLE_1)
	s_and_not1_b32 exec_lo, exec_lo, s3
	s_cbranch_execnz .LBB115_977
; %bb.978:
	s_or_b32 exec_lo, exec_lo, s3
.LBB115_979:
	s_delay_alu instid0(SALU_CYCLE_1) | instskip(SKIP_4) | instid1(VALU_DEP_1)
	s_or_b32 exec_lo, exec_lo, s2
	v_mov_b32_e32 v111, 0
	ds_load_b64 v[112:113], v111 offset:376
	s_wait_dscnt 0x0
	v_pk_mul_f32 v[114:115], v[108:109], v[112:113] op_sel:[1,1] op_sel_hi:[0,1]
	v_pk_fma_f32 v[116:117], v[108:109], v[112:113], v[114:115] op_sel_hi:[1,0,1]
	v_pk_fma_f32 v[108:109], v[108:109], v[112:113], v[114:115] neg_lo:[0,0,1] neg_hi:[0,0,1]
	s_delay_alu instid0(VALU_DEP_2)
	v_mov_b32_e32 v109, v117
	scratch_store_b64 off, v[108:109], off offset:376
.LBB115_980:
	s_wait_xcnt 0x0
	s_or_b32 exec_lo, exec_lo, s0
	scratch_load_b64 v[108:109], off, off offset:384
	s_mov_b32 s0, exec_lo
	s_wait_loadcnt 0x0
	ds_store_b64 v1, v[108:109]
	s_wait_storecnt_dscnt 0x0
	s_barrier_signal -1
	s_barrier_wait -1
	s_wait_xcnt 0x0
	v_cmpx_gt_u32_e32 48, v0
	s_cbranch_execz .LBB115_990
; %bb.981:
	v_cmp_ne_u32_e32 vcc_lo, 1, v110
	s_cbranch_vccnz .LBB115_983
; %bb.982:
	scratch_load_b64 v[108:109], v59, off
	ds_load_b64 v[112:113], v1
	s_wait_loadcnt_dscnt 0x0
	v_pk_mul_f32 v[114:115], v[112:113], v[108:109] op_sel:[1,1] op_sel_hi:[0,1]
	s_delay_alu instid0(VALU_DEP_1) | instskip(SKIP_1) | instid1(VALU_DEP_2)
	v_pk_fma_f32 v[116:117], v[112:113], v[108:109], v[114:115] op_sel_hi:[1,0,1]
	v_pk_fma_f32 v[108:109], v[112:113], v[108:109], v[114:115] neg_lo:[0,0,1] neg_hi:[0,0,1]
	v_mov_b32_e32 v109, v117
	s_cbranch_execz .LBB115_984
	s_branch .LBB115_985
.LBB115_983:
                                        ; implicit-def: $vgpr108_vgpr109
.LBB115_984:
	ds_load_b64 v[108:109], v1
.LBB115_985:
	s_mov_b32 s2, exec_lo
	v_cmpx_ne_u32_e32 47, v0
	s_cbranch_execz .LBB115_989
; %bb.986:
	v_add_nc_u32_e32 v111, 0x1a8, v58
	v_add3_u32 v112, 0, v58, 8
	v_mov_b32_e32 v113, v0
	s_mov_b32 s3, 0
.LBB115_987:                            ; =>This Inner Loop Header: Depth=1
	scratch_load_b64 v[114:115], v112, off
	ds_load_b64 v[116:117], v111
	s_wait_xcnt 0x0
	v_dual_add_nc_u32 v111, 8, v111 :: v_dual_add_nc_u32 v112, 8, v112
	s_wait_loadcnt_dscnt 0x0
	v_pk_mul_f32 v[118:119], v[116:117], v[114:115] op_sel:[1,1] op_sel_hi:[0,1]
	s_delay_alu instid0(VALU_DEP_1) | instskip(SKIP_2) | instid1(VALU_DEP_3)
	v_pk_fma_f32 v[120:121], v[116:117], v[114:115], v[118:119] op_sel_hi:[1,0,1]
	v_add_nc_u32_e32 v113, 1, v113
	v_pk_fma_f32 v[114:115], v[116:117], v[114:115], v[118:119] neg_lo:[0,0,1] neg_hi:[0,0,1]
	v_mov_b32_e32 v115, v121
	s_delay_alu instid0(VALU_DEP_3) | instskip(NEXT) | instid1(VALU_DEP_2)
	v_cmp_lt_u32_e32 vcc_lo, 46, v113
	v_pk_add_f32 v[108:109], v[108:109], v[114:115]
	s_or_b32 s3, vcc_lo, s3
	s_delay_alu instid0(SALU_CYCLE_1)
	s_and_not1_b32 exec_lo, exec_lo, s3
	s_cbranch_execnz .LBB115_987
; %bb.988:
	s_or_b32 exec_lo, exec_lo, s3
.LBB115_989:
	s_delay_alu instid0(SALU_CYCLE_1) | instskip(SKIP_4) | instid1(VALU_DEP_1)
	s_or_b32 exec_lo, exec_lo, s2
	v_mov_b32_e32 v111, 0
	ds_load_b64 v[112:113], v111 offset:384
	s_wait_dscnt 0x0
	v_pk_mul_f32 v[114:115], v[108:109], v[112:113] op_sel:[1,1] op_sel_hi:[0,1]
	v_pk_fma_f32 v[116:117], v[108:109], v[112:113], v[114:115] op_sel_hi:[1,0,1]
	v_pk_fma_f32 v[108:109], v[108:109], v[112:113], v[114:115] neg_lo:[0,0,1] neg_hi:[0,0,1]
	s_delay_alu instid0(VALU_DEP_2)
	v_mov_b32_e32 v109, v117
	scratch_store_b64 off, v[108:109], off offset:384
.LBB115_990:
	s_wait_xcnt 0x0
	s_or_b32 exec_lo, exec_lo, s0
	scratch_load_b64 v[108:109], off, off offset:392
	s_mov_b32 s0, exec_lo
	s_wait_loadcnt 0x0
	ds_store_b64 v1, v[108:109]
	s_wait_storecnt_dscnt 0x0
	s_barrier_signal -1
	s_barrier_wait -1
	s_wait_xcnt 0x0
	v_cmpx_gt_u32_e32 49, v0
	s_cbranch_execz .LBB115_1000
; %bb.991:
	v_cmp_ne_u32_e32 vcc_lo, 1, v110
	s_cbranch_vccnz .LBB115_993
; %bb.992:
	scratch_load_b64 v[108:109], v59, off
	ds_load_b64 v[112:113], v1
	s_wait_loadcnt_dscnt 0x0
	v_pk_mul_f32 v[114:115], v[112:113], v[108:109] op_sel:[1,1] op_sel_hi:[0,1]
	s_delay_alu instid0(VALU_DEP_1) | instskip(SKIP_1) | instid1(VALU_DEP_2)
	v_pk_fma_f32 v[116:117], v[112:113], v[108:109], v[114:115] op_sel_hi:[1,0,1]
	v_pk_fma_f32 v[108:109], v[112:113], v[108:109], v[114:115] neg_lo:[0,0,1] neg_hi:[0,0,1]
	v_mov_b32_e32 v109, v117
	s_cbranch_execz .LBB115_994
	s_branch .LBB115_995
.LBB115_993:
                                        ; implicit-def: $vgpr108_vgpr109
.LBB115_994:
	ds_load_b64 v[108:109], v1
.LBB115_995:
	s_mov_b32 s2, exec_lo
	v_cmpx_ne_u32_e32 48, v0
	s_cbranch_execz .LBB115_999
; %bb.996:
	v_add_nc_u32_e32 v111, 0x1a8, v58
	v_add3_u32 v112, 0, v58, 8
	v_mov_b32_e32 v113, v0
	s_mov_b32 s3, 0
.LBB115_997:                            ; =>This Inner Loop Header: Depth=1
	scratch_load_b64 v[114:115], v112, off
	ds_load_b64 v[116:117], v111
	s_wait_xcnt 0x0
	v_dual_add_nc_u32 v111, 8, v111 :: v_dual_add_nc_u32 v112, 8, v112
	s_wait_loadcnt_dscnt 0x0
	v_pk_mul_f32 v[118:119], v[116:117], v[114:115] op_sel:[1,1] op_sel_hi:[0,1]
	s_delay_alu instid0(VALU_DEP_1) | instskip(SKIP_2) | instid1(VALU_DEP_3)
	v_pk_fma_f32 v[120:121], v[116:117], v[114:115], v[118:119] op_sel_hi:[1,0,1]
	v_add_nc_u32_e32 v113, 1, v113
	v_pk_fma_f32 v[114:115], v[116:117], v[114:115], v[118:119] neg_lo:[0,0,1] neg_hi:[0,0,1]
	v_mov_b32_e32 v115, v121
	s_delay_alu instid0(VALU_DEP_3) | instskip(NEXT) | instid1(VALU_DEP_2)
	v_cmp_lt_u32_e32 vcc_lo, 47, v113
	v_pk_add_f32 v[108:109], v[108:109], v[114:115]
	s_or_b32 s3, vcc_lo, s3
	s_delay_alu instid0(SALU_CYCLE_1)
	s_and_not1_b32 exec_lo, exec_lo, s3
	s_cbranch_execnz .LBB115_997
; %bb.998:
	s_or_b32 exec_lo, exec_lo, s3
.LBB115_999:
	s_delay_alu instid0(SALU_CYCLE_1) | instskip(SKIP_4) | instid1(VALU_DEP_1)
	s_or_b32 exec_lo, exec_lo, s2
	v_mov_b32_e32 v111, 0
	ds_load_b64 v[112:113], v111 offset:392
	s_wait_dscnt 0x0
	v_pk_mul_f32 v[114:115], v[108:109], v[112:113] op_sel:[1,1] op_sel_hi:[0,1]
	v_pk_fma_f32 v[116:117], v[108:109], v[112:113], v[114:115] op_sel_hi:[1,0,1]
	v_pk_fma_f32 v[108:109], v[108:109], v[112:113], v[114:115] neg_lo:[0,0,1] neg_hi:[0,0,1]
	s_delay_alu instid0(VALU_DEP_2)
	v_mov_b32_e32 v109, v117
	scratch_store_b64 off, v[108:109], off offset:392
.LBB115_1000:
	s_wait_xcnt 0x0
	s_or_b32 exec_lo, exec_lo, s0
	scratch_load_b64 v[108:109], off, off offset:400
	v_cmp_gt_u32_e64 s0, 50, v0
	s_wait_loadcnt 0x0
	ds_store_b64 v1, v[108:109]
	s_wait_storecnt_dscnt 0x0
	s_barrier_signal -1
	s_barrier_wait -1
	s_wait_xcnt 0x0
	s_and_saveexec_b32 s2, s0
	s_cbranch_execz .LBB115_1010
; %bb.1001:
	v_cmp_ne_u32_e32 vcc_lo, 1, v110
	s_cbranch_vccnz .LBB115_1003
; %bb.1002:
	scratch_load_b64 v[108:109], v59, off
	ds_load_b64 v[112:113], v1
	s_wait_loadcnt_dscnt 0x0
	v_pk_mul_f32 v[114:115], v[112:113], v[108:109] op_sel:[1,1] op_sel_hi:[0,1]
	s_delay_alu instid0(VALU_DEP_1) | instskip(SKIP_1) | instid1(VALU_DEP_2)
	v_pk_fma_f32 v[116:117], v[112:113], v[108:109], v[114:115] op_sel_hi:[1,0,1]
	v_pk_fma_f32 v[108:109], v[112:113], v[108:109], v[114:115] neg_lo:[0,0,1] neg_hi:[0,0,1]
	v_mov_b32_e32 v109, v117
	s_cbranch_execz .LBB115_1004
	s_branch .LBB115_1005
.LBB115_1003:
                                        ; implicit-def: $vgpr108_vgpr109
.LBB115_1004:
	ds_load_b64 v[108:109], v1
.LBB115_1005:
	s_mov_b32 s3, exec_lo
	v_cmpx_ne_u32_e32 49, v0
	s_cbranch_execz .LBB115_1009
; %bb.1006:
	v_add_nc_u32_e32 v111, 0x1a8, v58
	v_add3_u32 v112, 0, v58, 8
	v_mov_b32_e32 v113, v0
	s_mov_b32 s4, 0
.LBB115_1007:                           ; =>This Inner Loop Header: Depth=1
	scratch_load_b64 v[114:115], v112, off
	ds_load_b64 v[116:117], v111
	s_wait_xcnt 0x0
	v_dual_add_nc_u32 v111, 8, v111 :: v_dual_add_nc_u32 v112, 8, v112
	s_wait_loadcnt_dscnt 0x0
	v_pk_mul_f32 v[118:119], v[116:117], v[114:115] op_sel:[1,1] op_sel_hi:[0,1]
	s_delay_alu instid0(VALU_DEP_1) | instskip(SKIP_2) | instid1(VALU_DEP_3)
	v_pk_fma_f32 v[120:121], v[116:117], v[114:115], v[118:119] op_sel_hi:[1,0,1]
	v_add_nc_u32_e32 v113, 1, v113
	v_pk_fma_f32 v[114:115], v[116:117], v[114:115], v[118:119] neg_lo:[0,0,1] neg_hi:[0,0,1]
	v_mov_b32_e32 v115, v121
	s_delay_alu instid0(VALU_DEP_3) | instskip(NEXT) | instid1(VALU_DEP_2)
	v_cmp_lt_u32_e32 vcc_lo, 48, v113
	v_pk_add_f32 v[108:109], v[108:109], v[114:115]
	s_or_b32 s4, vcc_lo, s4
	s_delay_alu instid0(SALU_CYCLE_1)
	s_and_not1_b32 exec_lo, exec_lo, s4
	s_cbranch_execnz .LBB115_1007
; %bb.1008:
	s_or_b32 exec_lo, exec_lo, s4
.LBB115_1009:
	s_delay_alu instid0(SALU_CYCLE_1) | instskip(SKIP_4) | instid1(VALU_DEP_1)
	s_or_b32 exec_lo, exec_lo, s3
	v_mov_b32_e32 v111, 0
	ds_load_b64 v[112:113], v111 offset:400
	s_wait_dscnt 0x0
	v_pk_mul_f32 v[114:115], v[108:109], v[112:113] op_sel:[1,1] op_sel_hi:[0,1]
	v_pk_fma_f32 v[116:117], v[108:109], v[112:113], v[114:115] op_sel_hi:[1,0,1]
	v_pk_fma_f32 v[108:109], v[108:109], v[112:113], v[114:115] neg_lo:[0,0,1] neg_hi:[0,0,1]
	s_delay_alu instid0(VALU_DEP_2)
	v_mov_b32_e32 v109, v117
	scratch_store_b64 off, v[108:109], off offset:400
.LBB115_1010:
	s_wait_xcnt 0x0
	s_or_b32 exec_lo, exec_lo, s2
	scratch_load_b64 v[108:109], off, off offset:408
	s_mov_b32 s2, exec_lo
                                        ; implicit-def: $vgpr154
                                        ; implicit-def: $sgpr5
	s_wait_loadcnt 0x0
	ds_store_b64 v1, v[108:109]
	s_wait_storecnt_dscnt 0x0
	s_barrier_signal -1
	s_barrier_wait -1
	s_wait_xcnt 0x0
	v_cmpx_ne_u32_e32 51, v0
	s_cbranch_execz .LBB115_1020
; %bb.1011:
	v_cmp_ne_u32_e32 vcc_lo, 1, v110
	s_cbranch_vccnz .LBB115_1013
; %bb.1012:
	scratch_load_b64 v[110:111], v59, off
	ds_load_b64 v[112:113], v1
	s_wait_loadcnt_dscnt 0x0
	v_dual_mul_f32 v59, v113, v111 :: v_dual_mul_f32 v109, v112, v111
	s_delay_alu instid0(VALU_DEP_1)
	v_dual_fma_f32 v108, v112, v110, -v59 :: v_dual_fmac_f32 v109, v113, v110
	s_cbranch_execz .LBB115_1014
	s_branch .LBB115_1015
.LBB115_1013:
                                        ; implicit-def: $vgpr109
.LBB115_1014:
	ds_load_b64 v[108:109], v1
.LBB115_1015:
	s_and_saveexec_b32 s3, s0
	s_cbranch_execz .LBB115_1019
; %bb.1016:
	v_add_nc_u32_e32 v1, 0x1a8, v58
	v_add3_u32 v58, 0, v58, 8
	s_mov_b32 s0, 0
.LBB115_1017:                           ; =>This Inner Loop Header: Depth=1
	scratch_load_b64 v[110:111], v58, off
	ds_load_b64 v[112:113], v1
	s_wait_loadcnt_dscnt 0x0
	v_dual_add_nc_u32 v1, 8, v1 :: v_dual_mul_f32 v59, v113, v111
	v_dual_mul_f32 v111, v112, v111 :: v_dual_add_nc_u32 v0, 1, v0
	s_delay_alu instid0(VALU_DEP_2) | instskip(NEXT) | instid1(VALU_DEP_2)
	v_fma_f32 v59, v112, v110, -v59
	v_fmac_f32_e32 v111, v113, v110
	s_delay_alu instid0(VALU_DEP_3) | instskip(NEXT) | instid1(VALU_DEP_3)
	v_cmp_lt_u32_e32 vcc_lo, 49, v0
	v_dual_add_nc_u32 v58, 8, v58 :: v_dual_add_f32 v108, v108, v59
	s_delay_alu instid0(VALU_DEP_3) | instskip(SKIP_1) | instid1(SALU_CYCLE_1)
	v_add_f32_e32 v109, v109, v111
	s_or_b32 s0, vcc_lo, s0
	s_and_not1_b32 exec_lo, exec_lo, s0
	s_cbranch_execnz .LBB115_1017
; %bb.1018:
	s_or_b32 exec_lo, exec_lo, s0
.LBB115_1019:
	s_delay_alu instid0(SALU_CYCLE_1)
	s_or_b32 exec_lo, exec_lo, s3
	v_mov_b32_e32 v0, 0
	s_movk_i32 s5, 0x19c
	s_or_b32 s1, s1, exec_lo
	ds_load_b64 v[0:1], v0 offset:408
	s_wait_dscnt 0x0
	v_dual_mul_f32 v58, v109, v1 :: v_dual_mul_f32 v154, v108, v1
	s_delay_alu instid0(VALU_DEP_1) | instskip(NEXT) | instid1(VALU_DEP_2)
	v_fma_f32 v1, v108, v0, -v58
	v_fmac_f32_e32 v154, v109, v0
	scratch_store_b32 off, v1, off offset:408
.LBB115_1020:
	s_wait_xcnt 0x0
	s_or_b32 exec_lo, exec_lo, s2
.LBB115_1021:
	v_lshl_add_u64 v[152:153], v[6:7], 3, s[6:7]
	v_lshl_add_u64 v[150:151], v[8:9], 3, s[6:7]
	;; [unrolled: 1-line block ×50, first 2 shown]
	s_and_saveexec_b32 s0, s1
	s_cbranch_execz .LBB115_1023
; %bb.1022:
	scratch_store_b32 off, v154, s5
.LBB115_1023:
	s_wait_xcnt 0x0
	s_or_b32 exec_lo, exec_lo, s0
	scratch_load_b64 v[56:57], off, off
	s_wait_loadcnt 0x0
	flat_store_b64 v[2:3], v[56:57]
	scratch_load_b64 v[2:3], off, off offset:8
	s_wait_loadcnt 0x0
	flat_store_b64 v[4:5], v[2:3]
	scratch_load_b64 v[2:3], off, off offset:16
	;; [unrolled: 3-line block ×51, first 2 shown]
	s_wait_loadcnt 0x0
	flat_store_b64 v[0:1], v[2:3]
.LBB115_1024:
	s_sendmsg sendmsg(MSG_DEALLOC_VGPRS)
	s_endpgm
	.section	.rodata,"a",@progbits
	.p2align	6, 0x0
	.amdhsa_kernel _ZN9rocsolver6v33100L18trti2_kernel_smallILi52E19rocblas_complex_numIfEPKPS3_EEv13rocblas_fill_17rocblas_diagonal_T1_iil
		.amdhsa_group_segment_fixed_size 832
		.amdhsa_private_segment_fixed_size 432
		.amdhsa_kernarg_size 32
		.amdhsa_user_sgpr_count 2
		.amdhsa_user_sgpr_dispatch_ptr 0
		.amdhsa_user_sgpr_queue_ptr 0
		.amdhsa_user_sgpr_kernarg_segment_ptr 1
		.amdhsa_user_sgpr_dispatch_id 0
		.amdhsa_user_sgpr_kernarg_preload_length 0
		.amdhsa_user_sgpr_kernarg_preload_offset 0
		.amdhsa_user_sgpr_private_segment_size 0
		.amdhsa_wavefront_size32 1
		.amdhsa_uses_dynamic_stack 0
		.amdhsa_enable_private_segment 1
		.amdhsa_system_sgpr_workgroup_id_x 1
		.amdhsa_system_sgpr_workgroup_id_y 0
		.amdhsa_system_sgpr_workgroup_id_z 0
		.amdhsa_system_sgpr_workgroup_info 0
		.amdhsa_system_vgpr_workitem_id 0
		.amdhsa_next_free_vgpr 155
		.amdhsa_next_free_sgpr 58
		.amdhsa_named_barrier_count 0
		.amdhsa_reserve_vcc 1
		.amdhsa_float_round_mode_32 0
		.amdhsa_float_round_mode_16_64 0
		.amdhsa_float_denorm_mode_32 3
		.amdhsa_float_denorm_mode_16_64 3
		.amdhsa_fp16_overflow 0
		.amdhsa_memory_ordered 1
		.amdhsa_forward_progress 1
		.amdhsa_inst_pref_size 255
		.amdhsa_round_robin_scheduling 0
		.amdhsa_exception_fp_ieee_invalid_op 0
		.amdhsa_exception_fp_denorm_src 0
		.amdhsa_exception_fp_ieee_div_zero 0
		.amdhsa_exception_fp_ieee_overflow 0
		.amdhsa_exception_fp_ieee_underflow 0
		.amdhsa_exception_fp_ieee_inexact 0
		.amdhsa_exception_int_div_zero 0
	.end_amdhsa_kernel
	.section	.text._ZN9rocsolver6v33100L18trti2_kernel_smallILi52E19rocblas_complex_numIfEPKPS3_EEv13rocblas_fill_17rocblas_diagonal_T1_iil,"axG",@progbits,_ZN9rocsolver6v33100L18trti2_kernel_smallILi52E19rocblas_complex_numIfEPKPS3_EEv13rocblas_fill_17rocblas_diagonal_T1_iil,comdat
.Lfunc_end115:
	.size	_ZN9rocsolver6v33100L18trti2_kernel_smallILi52E19rocblas_complex_numIfEPKPS3_EEv13rocblas_fill_17rocblas_diagonal_T1_iil, .Lfunc_end115-_ZN9rocsolver6v33100L18trti2_kernel_smallILi52E19rocblas_complex_numIfEPKPS3_EEv13rocblas_fill_17rocblas_diagonal_T1_iil
                                        ; -- End function
	.set _ZN9rocsolver6v33100L18trti2_kernel_smallILi52E19rocblas_complex_numIfEPKPS3_EEv13rocblas_fill_17rocblas_diagonal_T1_iil.num_vgpr, 155
	.set _ZN9rocsolver6v33100L18trti2_kernel_smallILi52E19rocblas_complex_numIfEPKPS3_EEv13rocblas_fill_17rocblas_diagonal_T1_iil.num_agpr, 0
	.set _ZN9rocsolver6v33100L18trti2_kernel_smallILi52E19rocblas_complex_numIfEPKPS3_EEv13rocblas_fill_17rocblas_diagonal_T1_iil.numbered_sgpr, 58
	.set _ZN9rocsolver6v33100L18trti2_kernel_smallILi52E19rocblas_complex_numIfEPKPS3_EEv13rocblas_fill_17rocblas_diagonal_T1_iil.num_named_barrier, 0
	.set _ZN9rocsolver6v33100L18trti2_kernel_smallILi52E19rocblas_complex_numIfEPKPS3_EEv13rocblas_fill_17rocblas_diagonal_T1_iil.private_seg_size, 432
	.set _ZN9rocsolver6v33100L18trti2_kernel_smallILi52E19rocblas_complex_numIfEPKPS3_EEv13rocblas_fill_17rocblas_diagonal_T1_iil.uses_vcc, 1
	.set _ZN9rocsolver6v33100L18trti2_kernel_smallILi52E19rocblas_complex_numIfEPKPS3_EEv13rocblas_fill_17rocblas_diagonal_T1_iil.uses_flat_scratch, 0
	.set _ZN9rocsolver6v33100L18trti2_kernel_smallILi52E19rocblas_complex_numIfEPKPS3_EEv13rocblas_fill_17rocblas_diagonal_T1_iil.has_dyn_sized_stack, 0
	.set _ZN9rocsolver6v33100L18trti2_kernel_smallILi52E19rocblas_complex_numIfEPKPS3_EEv13rocblas_fill_17rocblas_diagonal_T1_iil.has_recursion, 0
	.set _ZN9rocsolver6v33100L18trti2_kernel_smallILi52E19rocblas_complex_numIfEPKPS3_EEv13rocblas_fill_17rocblas_diagonal_T1_iil.has_indirect_call, 0
	.section	.AMDGPU.csdata,"",@progbits
; Kernel info:
; codeLenInByte = 40172
; TotalNumSgprs: 60
; NumVgprs: 155
; ScratchSize: 432
; MemoryBound: 0
; FloatMode: 240
; IeeeMode: 1
; LDSByteSize: 832 bytes/workgroup (compile time only)
; SGPRBlocks: 0
; VGPRBlocks: 9
; NumSGPRsForWavesPerEU: 60
; NumVGPRsForWavesPerEU: 155
; NamedBarCnt: 0
; Occupancy: 6
; WaveLimiterHint : 1
; COMPUTE_PGM_RSRC2:SCRATCH_EN: 1
; COMPUTE_PGM_RSRC2:USER_SGPR: 2
; COMPUTE_PGM_RSRC2:TRAP_HANDLER: 0
; COMPUTE_PGM_RSRC2:TGID_X_EN: 1
; COMPUTE_PGM_RSRC2:TGID_Y_EN: 0
; COMPUTE_PGM_RSRC2:TGID_Z_EN: 0
; COMPUTE_PGM_RSRC2:TIDIG_COMP_CNT: 0
	.section	.text._ZN9rocsolver6v33100L18trti2_kernel_smallILi53E19rocblas_complex_numIfEPKPS3_EEv13rocblas_fill_17rocblas_diagonal_T1_iil,"axG",@progbits,_ZN9rocsolver6v33100L18trti2_kernel_smallILi53E19rocblas_complex_numIfEPKPS3_EEv13rocblas_fill_17rocblas_diagonal_T1_iil,comdat
	.globl	_ZN9rocsolver6v33100L18trti2_kernel_smallILi53E19rocblas_complex_numIfEPKPS3_EEv13rocblas_fill_17rocblas_diagonal_T1_iil ; -- Begin function _ZN9rocsolver6v33100L18trti2_kernel_smallILi53E19rocblas_complex_numIfEPKPS3_EEv13rocblas_fill_17rocblas_diagonal_T1_iil
	.p2align	8
	.type	_ZN9rocsolver6v33100L18trti2_kernel_smallILi53E19rocblas_complex_numIfEPKPS3_EEv13rocblas_fill_17rocblas_diagonal_T1_iil,@function
_ZN9rocsolver6v33100L18trti2_kernel_smallILi53E19rocblas_complex_numIfEPKPS3_EEv13rocblas_fill_17rocblas_diagonal_T1_iil: ; @_ZN9rocsolver6v33100L18trti2_kernel_smallILi53E19rocblas_complex_numIfEPKPS3_EEv13rocblas_fill_17rocblas_diagonal_T1_iil
; %bb.0:
	s_mov_b32 s2, exec_lo
	v_cmpx_gt_u32_e32 53, v0
	s_cbranch_execz .LBB116_1044
; %bb.1:
	s_clause 0x1
	s_load_b64 s[8:9], s[0:1], 0x10
	s_load_b128 s[4:7], s[0:1], 0x0
	s_wait_xcnt 0x0
	s_bfe_u32 s0, ttmp6, 0x4000c
	s_and_b32 s1, ttmp6, 15
	s_add_co_i32 s0, s0, 1
	s_getreg_b32 s2, hwreg(HW_REG_IB_STS2, 6, 4)
	s_mul_i32 s0, ttmp9, s0
	v_dual_mov_b32 v59, 0 :: v_dual_lshlrev_b32 v58, 3, v0
	s_add_co_i32 s0, s1, s0
	s_wait_kmcnt 0x0
	s_ashr_i32 s1, s8, 31
	s_cmp_eq_u32 s2, 0
	s_cselect_b32 s2, ttmp9, s0
	s_mov_b32 s0, s8
	s_ashr_i32 s3, s2, 31
	s_lshl_b64 s[0:1], s[0:1], 3
	s_lshl_b64 s[2:3], s[2:3], 3
	s_delay_alu instid0(SALU_CYCLE_1)
	s_add_nc_u64 s[2:3], s[6:7], s[2:3]
	s_load_b64 s[2:3], s[2:3], 0x0
	s_wait_kmcnt 0x0
	s_add_nc_u64 s[2:3], s[2:3], s[0:1]
	s_mov_b32 s0, s9
	flat_load_b64 v[6:7], v0, s[2:3] scale_offset
	v_add_nc_u64_e32 v[2:3], s[2:3], v[58:59]
	s_ashr_i32 s1, s9, 31
	s_cmp_lg_u32 s5, 0x84
	s_cselect_b32 s5, -1, 0
	s_delay_alu instid0(SALU_CYCLE_1) | instskip(NEXT) | instid1(VALU_DEP_1)
	s_and_b32 vcc_lo, exec_lo, s5
	v_lshl_add_u64 v[4:5], s[0:1], 3, v[2:3]
	s_mov_b32 s0, -1
	s_wait_loadcnt_dscnt 0x0
	scratch_store_b64 off, v[6:7], off
	flat_load_b64 v[8:9], v[4:5]
	s_wait_xcnt 0x1
	v_add3_u32 v6, s9, s9, v0
	s_wait_loadcnt_dscnt 0x0
	scratch_store_b64 off, v[8:9], off offset:8
	flat_load_b64 v[10:11], v6, s[2:3] scale_offset
	s_wait_xcnt 0x1
	v_add_nc_u32_e32 v8, s9, v6
	s_wait_loadcnt_dscnt 0x0
	scratch_store_b64 off, v[10:11], off offset:16
	flat_load_b64 v[12:13], v8, s[2:3] scale_offset
	s_wait_xcnt 0x1
	v_add_nc_u32_e32 v10, s9, v8
	;; [unrolled: 5-line block ×50, first 2 shown]
	s_wait_loadcnt_dscnt 0x0
	scratch_store_b64 off, v[110:111], off offset:408
	flat_load_b64 v[110:111], v108, s[2:3] scale_offset
	s_wait_loadcnt_dscnt 0x0
	scratch_store_b64 off, v[110:111], off offset:416
	s_cbranch_vccz .LBB116_7
; %bb.2:
	scratch_load_b64 v[110:111], v0, off scale_offset
                                        ; implicit-def: $vgpr115
                                        ; implicit-def: $vgpr112
	s_wait_loadcnt 0x0
	v_cmp_ngt_f32_e64 s0, |v110|, |v111|
	s_wait_xcnt 0x0
	s_and_saveexec_b32 s1, s0
	s_delay_alu instid0(SALU_CYCLE_1)
	s_xor_b32 s0, exec_lo, s1
	s_cbranch_execz .LBB116_4
; %bb.3:
	v_div_scale_f32 v1, null, v111, v111, v110
	v_div_scale_f32 v11, vcc_lo, v110, v111, v110
	s_delay_alu instid0(VALU_DEP_2) | instskip(SKIP_1) | instid1(TRANS32_DEP_1)
	v_rcp_f32_e32 v7, v1
	v_nop
	v_fma_f32 v9, -v1, v7, 1.0
	s_delay_alu instid0(VALU_DEP_1) | instskip(NEXT) | instid1(VALU_DEP_1)
	v_fmac_f32_e32 v7, v9, v7
	v_mul_f32_e32 v9, v11, v7
	s_delay_alu instid0(VALU_DEP_1) | instskip(NEXT) | instid1(VALU_DEP_1)
	v_fma_f32 v13, -v1, v9, v11
	v_fmac_f32_e32 v9, v13, v7
	s_delay_alu instid0(VALU_DEP_1) | instskip(NEXT) | instid1(VALU_DEP_1)
	v_fma_f32 v1, -v1, v9, v11
	v_div_fmas_f32 v1, v1, v7, v9
	s_delay_alu instid0(VALU_DEP_1) | instskip(NEXT) | instid1(VALU_DEP_1)
	v_div_fixup_f32 v1, v1, v111, v110
	v_fmac_f32_e32 v111, v110, v1
	s_delay_alu instid0(VALU_DEP_1) | instskip(NEXT) | instid1(VALU_DEP_1)
	v_div_scale_f32 v7, null, v111, v111, -1.0
	v_rcp_f32_e32 v9, v7
	v_nop
	s_delay_alu instid0(TRANS32_DEP_1) | instskip(NEXT) | instid1(VALU_DEP_1)
	v_fma_f32 v11, -v7, v9, 1.0
	v_fmac_f32_e32 v9, v11, v9
	v_div_scale_f32 v11, vcc_lo, -1.0, v111, -1.0
	s_delay_alu instid0(VALU_DEP_1) | instskip(NEXT) | instid1(VALU_DEP_1)
	v_mul_f32_e32 v13, v11, v9
	v_fma_f32 v15, -v7, v13, v11
	s_delay_alu instid0(VALU_DEP_1) | instskip(NEXT) | instid1(VALU_DEP_1)
	v_fmac_f32_e32 v13, v15, v9
	v_fma_f32 v7, -v7, v13, v11
	s_delay_alu instid0(VALU_DEP_1) | instskip(NEXT) | instid1(VALU_DEP_1)
	v_div_fmas_f32 v7, v7, v9, v13
	v_div_fixup_f32 v115, v7, v111, -1.0
                                        ; implicit-def: $vgpr110_vgpr111
	s_delay_alu instid0(VALU_DEP_1) | instskip(NEXT) | instid1(VALU_DEP_1)
	v_mul_f32_e32 v112, v1, v115
	v_xor_b32_e32 v114, 0x80000000, v112
.LBB116_4:
	s_or_saveexec_b32 s0, s0
	v_lshl_add_u32 v1, v0, 3, 0
	s_xor_b32 exec_lo, exec_lo, s0
	s_cbranch_execz .LBB116_6
; %bb.5:
	v_div_scale_f32 v7, null, v110, v110, v111
	v_div_scale_f32 v13, vcc_lo, v111, v110, v111
	s_delay_alu instid0(VALU_DEP_2) | instskip(SKIP_1) | instid1(TRANS32_DEP_1)
	v_rcp_f32_e32 v9, v7
	v_nop
	v_fma_f32 v11, -v7, v9, 1.0
	s_delay_alu instid0(VALU_DEP_1) | instskip(NEXT) | instid1(VALU_DEP_1)
	v_fmac_f32_e32 v9, v11, v9
	v_mul_f32_e32 v11, v13, v9
	s_delay_alu instid0(VALU_DEP_1) | instskip(NEXT) | instid1(VALU_DEP_1)
	v_fma_f32 v15, -v7, v11, v13
	v_fmac_f32_e32 v11, v15, v9
	s_delay_alu instid0(VALU_DEP_1) | instskip(NEXT) | instid1(VALU_DEP_1)
	v_fma_f32 v7, -v7, v11, v13
	v_div_fmas_f32 v7, v7, v9, v11
	s_delay_alu instid0(VALU_DEP_1) | instskip(NEXT) | instid1(VALU_DEP_1)
	v_div_fixup_f32 v7, v7, v110, v111
	v_fmac_f32_e32 v110, v111, v7
	s_delay_alu instid0(VALU_DEP_1) | instskip(SKIP_1) | instid1(VALU_DEP_2)
	v_div_scale_f32 v9, null, v110, v110, 1.0
	v_div_scale_f32 v15, vcc_lo, 1.0, v110, 1.0
	v_rcp_f32_e32 v11, v9
	v_nop
	s_delay_alu instid0(TRANS32_DEP_1) | instskip(NEXT) | instid1(VALU_DEP_1)
	v_fma_f32 v13, -v9, v11, 1.0
	v_fmac_f32_e32 v11, v13, v11
	s_delay_alu instid0(VALU_DEP_1) | instskip(NEXT) | instid1(VALU_DEP_1)
	v_mul_f32_e32 v13, v15, v11
	v_fma_f32 v17, -v9, v13, v15
	s_delay_alu instid0(VALU_DEP_1) | instskip(NEXT) | instid1(VALU_DEP_1)
	v_fmac_f32_e32 v13, v17, v11
	v_fma_f32 v9, -v9, v13, v15
	s_delay_alu instid0(VALU_DEP_1) | instskip(NEXT) | instid1(VALU_DEP_1)
	v_div_fmas_f32 v9, v9, v11, v13
	v_div_fixup_f32 v114, v9, v110, 1.0
	s_delay_alu instid0(VALU_DEP_1)
	v_xor_b32_e32 v112, 0x80000000, v114
	v_mul_f32_e64 v115, v7, -v114
.LBB116_6:
	s_or_b32 exec_lo, exec_lo, s0
	s_delay_alu instid0(VALU_DEP_1)
	v_xor_b32_e32 v113, 0x80000000, v115
	s_mov_b32 s0, 0
	scratch_store_b64 v1, v[114:115], off
	ds_store_b64 v58, v[112:113]
.LBB116_7:
	s_and_b32 vcc_lo, exec_lo, s0
	s_cbranch_vccz .LBB116_9
; %bb.8:
	s_mov_b64 s[0:1], 0xbf800000
	s_wait_xcnt 0x0
	v_mov_b64_e32 v[110:111], s[0:1]
	ds_store_b64 v58, v[110:111]
.LBB116_9:
	v_dual_ashrrev_i32 v7, 31, v6 :: v_dual_ashrrev_i32 v9, 31, v8
	v_dual_ashrrev_i32 v11, 31, v10 :: v_dual_ashrrev_i32 v13, 31, v12
	;; [unrolled: 1-line block ×25, first 2 shown]
	v_dual_ashrrev_i32 v109, 31, v108 :: v_dual_mov_b32 v59, v58
	s_wait_xcnt 0x0
	v_add_nc_u32_e32 v1, 0x1b0, v58
	s_cmp_eq_u32 s4, 0x79
	s_cbranch_scc1 .LBB116_13
; %bb.10:
	scratch_load_b64 v[110:111], off, off offset:408
	v_cmp_eq_u32_e64 s0, 52, v0
	s_movk_i32 s1, 0x48
	s_movk_i32 s14, 0x50
	s_movk_i32 s15, 0x58
	s_movk_i32 s16, 0x60
	s_movk_i32 s17, 0x68
	s_movk_i32 s18, 0x70
	s_movk_i32 s19, 0x78
	s_movk_i32 s20, 0x80
	s_movk_i32 s21, 0x88
	s_movk_i32 s22, 0x90
	s_movk_i32 s23, 0x98
	s_movk_i32 s24, 0xa0
	s_movk_i32 s25, 0xa8
	s_movk_i32 s26, 0xb0
	s_movk_i32 s27, 0xb8
	s_movk_i32 s28, 0xc0
	s_movk_i32 s29, 0xc8
	s_movk_i32 s30, 0xd0
	s_movk_i32 s31, 0xd8
	s_movk_i32 s33, 0xe0
	s_movk_i32 s34, 0xe8
	s_movk_i32 s35, 0xf0
	s_movk_i32 s36, 0xf8
	s_movk_i32 s37, 0x100
	s_movk_i32 s38, 0x108
	s_movk_i32 s39, 0x110
	s_movk_i32 s40, 0x118
	s_movk_i32 s41, 0x120
	s_movk_i32 s42, 0x128
	s_movk_i32 s43, 0x130
	s_movk_i32 s44, 0x138
	s_movk_i32 s45, 0x140
	s_movk_i32 s46, 0x148
	s_movk_i32 s47, 0x150
	s_movk_i32 s48, 0x158
	s_movk_i32 s49, 0x160
	s_movk_i32 s50, 0x168
	s_movk_i32 s51, 0x170
	s_movk_i32 s52, 0x178
	s_movk_i32 s53, 0x180
	s_movk_i32 s54, 0x188
	s_movk_i32 s55, 0x190
	s_wait_loadcnt 0x0
	ds_store_b64 v1, v[110:111]
	s_wait_storecnt_dscnt 0x0
	s_barrier_signal -1
	s_barrier_wait -1
	s_wait_xcnt 0x0
	s_and_saveexec_b32 s4, s0
	s_cbranch_execz .LBB116_17
; %bb.11:
	s_and_b32 vcc_lo, exec_lo, s5
	s_cbranch_vccz .LBB116_14
; %bb.12:
	scratch_load_b64 v[110:111], v59, off
	ds_load_b64 v[112:113], v1
	s_wait_loadcnt_dscnt 0x0
	v_pk_mul_f32 v[114:115], v[112:113], v[110:111] op_sel:[1,1] op_sel_hi:[0,1]
	v_pk_mul_f32 v[116:117], v[112:113], v[110:111] op_sel_hi:[1,0]
	s_delay_alu instid0(VALU_DEP_2) | instskip(NEXT) | instid1(VALU_DEP_2)
	v_pk_fma_f32 v[110:111], v[112:113], v[110:111], v[114:115] op_sel_hi:[1,0,1]
	v_sub_f32_e32 v110, v116, v114
	s_cbranch_execz .LBB116_15
	s_branch .LBB116_16
.LBB116_13:
	s_mov_b32 s1, 0
                                        ; implicit-def: $vgpr158
                                        ; implicit-def: $sgpr7
	s_cbranch_execnz .LBB116_526
	s_branch .LBB116_1041
.LBB116_14:
                                        ; implicit-def: $vgpr111
.LBB116_15:
	ds_load_b64 v[110:111], v1
.LBB116_16:
	s_wait_dscnt 0x0
	v_dual_mov_b32 v112, 0 :: v_dual_mov_b32 v114, v111
	v_mov_b32_e32 v115, v110
	ds_load_b64 v[112:113], v112 offset:408
	s_wait_dscnt 0x0
	v_pk_mul_f32 v[114:115], v[114:115], v[112:113] op_sel:[0,1]
	s_delay_alu instid0(VALU_DEP_1) | instskip(SKIP_1) | instid1(VALU_DEP_2)
	v_pk_fma_f32 v[116:117], v[110:111], v[112:113], v[114:115] op_sel_hi:[1,0,1]
	v_pk_fma_f32 v[110:111], v[110:111], v[112:113], v[114:115] neg_lo:[0,0,1] neg_hi:[0,0,1]
	v_mov_b32_e32 v111, v117
	scratch_store_b64 off, v[110:111], off offset:408
.LBB116_17:
	s_wait_xcnt 0x0
	s_or_b32 exec_lo, exec_lo, s4
	scratch_load_b64 v[110:111], off, off offset:400
	s_mov_b32 s13, s1
	v_cmp_lt_u32_e64 s1, 50, v0
	s_or_b32 s4, 0, 8
	s_mov_b32 s6, 16
	s_mov_b32 s7, 24
	;; [unrolled: 1-line block ×7, first 2 shown]
	s_wait_loadcnt 0x0
	ds_store_b64 v1, v[110:111]
	s_wait_storecnt_dscnt 0x0
	s_barrier_signal -1
	s_barrier_wait -1
	s_wait_xcnt 0x0
	s_and_saveexec_b32 s56, s1
	s_cbranch_execz .LBB116_25
; %bb.18:
	s_and_not1_b32 vcc_lo, exec_lo, s5
	s_cbranch_vccnz .LBB116_20
; %bb.19:
	scratch_load_b64 v[110:111], v59, off
	ds_load_b64 v[112:113], v1
	s_wait_loadcnt_dscnt 0x0
	v_pk_mul_f32 v[114:115], v[112:113], v[110:111] op_sel:[1,1] op_sel_hi:[0,1]
	s_delay_alu instid0(VALU_DEP_1) | instskip(SKIP_1) | instid1(VALU_DEP_2)
	v_pk_fma_f32 v[116:117], v[112:113], v[110:111], v[114:115] op_sel_hi:[1,0,1]
	v_pk_fma_f32 v[110:111], v[112:113], v[110:111], v[114:115] neg_lo:[0,0,1] neg_hi:[0,0,1]
	v_mov_b32_e32 v111, v117
	s_cbranch_execz .LBB116_21
	s_branch .LBB116_22
.LBB116_20:
                                        ; implicit-def: $vgpr110_vgpr111
.LBB116_21:
	ds_load_b64 v[110:111], v1
.LBB116_22:
	s_and_saveexec_b32 s57, s0
	s_cbranch_execz .LBB116_24
; %bb.23:
	scratch_load_b64 v[112:113], off, off offset:408
	v_mov_b32_e32 v114, 0
	ds_load_b64 v[114:115], v114 offset:840
	s_wait_loadcnt_dscnt 0x0
	v_pk_mul_f32 v[116:117], v[114:115], v[112:113] op_sel:[1,1] op_sel_hi:[0,1]
	s_delay_alu instid0(VALU_DEP_1) | instskip(SKIP_1) | instid1(VALU_DEP_2)
	v_pk_fma_f32 v[118:119], v[114:115], v[112:113], v[116:117] op_sel_hi:[1,0,1]
	v_pk_fma_f32 v[112:113], v[114:115], v[112:113], v[116:117] neg_lo:[0,0,1] neg_hi:[0,0,1]
	v_mov_b32_e32 v113, v119
	s_delay_alu instid0(VALU_DEP_1)
	v_pk_add_f32 v[110:111], v[110:111], v[112:113]
.LBB116_24:
	s_or_b32 exec_lo, exec_lo, s57
	v_mov_b32_e32 v112, 0
	ds_load_b64 v[112:113], v112 offset:400
	s_wait_dscnt 0x0
	v_pk_mul_f32 v[114:115], v[110:111], v[112:113] op_sel:[1,1] op_sel_hi:[0,1]
	s_delay_alu instid0(VALU_DEP_1) | instskip(SKIP_1) | instid1(VALU_DEP_2)
	v_pk_fma_f32 v[116:117], v[110:111], v[112:113], v[114:115] op_sel_hi:[1,0,1]
	v_pk_fma_f32 v[110:111], v[110:111], v[112:113], v[114:115] neg_lo:[0,0,1] neg_hi:[0,0,1]
	v_mov_b32_e32 v111, v117
	scratch_store_b64 off, v[110:111], off offset:400
.LBB116_25:
	s_wait_xcnt 0x0
	s_or_b32 exec_lo, exec_lo, s56
	scratch_load_b64 v[110:111], off, off offset:392
	v_cmp_lt_u32_e64 s0, 49, v0
	s_wait_loadcnt 0x0
	ds_store_b64 v1, v[110:111]
	s_wait_storecnt_dscnt 0x0
	s_barrier_signal -1
	s_barrier_wait -1
	s_wait_xcnt 0x0
	s_and_saveexec_b32 s56, s0
	s_cbranch_execz .LBB116_35
; %bb.26:
	s_and_not1_b32 vcc_lo, exec_lo, s5
	s_cbranch_vccnz .LBB116_28
; %bb.27:
	scratch_load_b64 v[110:111], v59, off
	ds_load_b64 v[112:113], v1
	s_wait_loadcnt_dscnt 0x0
	v_pk_mul_f32 v[114:115], v[112:113], v[110:111] op_sel:[1,1] op_sel_hi:[0,1]
	s_delay_alu instid0(VALU_DEP_1) | instskip(SKIP_1) | instid1(VALU_DEP_2)
	v_pk_fma_f32 v[116:117], v[112:113], v[110:111], v[114:115] op_sel_hi:[1,0,1]
	v_pk_fma_f32 v[110:111], v[112:113], v[110:111], v[114:115] neg_lo:[0,0,1] neg_hi:[0,0,1]
	v_mov_b32_e32 v111, v117
	s_cbranch_execz .LBB116_29
	s_branch .LBB116_30
.LBB116_28:
                                        ; implicit-def: $vgpr110_vgpr111
.LBB116_29:
	ds_load_b64 v[110:111], v1
.LBB116_30:
	s_and_saveexec_b32 s57, s1
	s_cbranch_execz .LBB116_34
; %bb.31:
	v_subrev_nc_u32_e32 v112, 50, v0
	s_movk_i32 s58, 0x340
	s_mov_b32 s1, 0
.LBB116_32:                             ; =>This Inner Loop Header: Depth=1
	scratch_load_b64 v[114:115], off, s55
	v_dual_mov_b32 v113, s58 :: v_dual_add_nc_u32 v112, -1, v112
	s_add_co_i32 s58, s58, 8
	s_wait_xcnt 0x0
	s_add_co_i32 s55, s55, 8
	ds_load_b64 v[116:117], v113
	v_cmp_eq_u32_e32 vcc_lo, 0, v112
	s_or_b32 s1, vcc_lo, s1
	s_wait_loadcnt_dscnt 0x0
	v_pk_mul_f32 v[118:119], v[116:117], v[114:115] op_sel:[1,1] op_sel_hi:[0,1]
	s_delay_alu instid0(VALU_DEP_1) | instskip(SKIP_1) | instid1(VALU_DEP_2)
	v_pk_fma_f32 v[120:121], v[116:117], v[114:115], v[118:119] op_sel_hi:[1,0,1]
	v_pk_fma_f32 v[114:115], v[116:117], v[114:115], v[118:119] neg_lo:[0,0,1] neg_hi:[0,0,1]
	v_mov_b32_e32 v115, v121
	s_delay_alu instid0(VALU_DEP_1)
	v_pk_add_f32 v[110:111], v[110:111], v[114:115]
	s_and_not1_b32 exec_lo, exec_lo, s1
	s_cbranch_execnz .LBB116_32
; %bb.33:
	s_or_b32 exec_lo, exec_lo, s1
.LBB116_34:
	s_delay_alu instid0(SALU_CYCLE_1) | instskip(SKIP_4) | instid1(VALU_DEP_1)
	s_or_b32 exec_lo, exec_lo, s57
	v_mov_b32_e32 v112, 0
	ds_load_b64 v[112:113], v112 offset:392
	s_wait_dscnt 0x0
	v_pk_mul_f32 v[114:115], v[110:111], v[112:113] op_sel:[1,1] op_sel_hi:[0,1]
	v_pk_fma_f32 v[116:117], v[110:111], v[112:113], v[114:115] op_sel_hi:[1,0,1]
	v_pk_fma_f32 v[110:111], v[110:111], v[112:113], v[114:115] neg_lo:[0,0,1] neg_hi:[0,0,1]
	s_delay_alu instid0(VALU_DEP_2)
	v_mov_b32_e32 v111, v117
	scratch_store_b64 off, v[110:111], off offset:392
.LBB116_35:
	s_wait_xcnt 0x0
	s_or_b32 exec_lo, exec_lo, s56
	scratch_load_b64 v[110:111], off, off offset:384
	v_cmp_lt_u32_e64 s1, 48, v0
	s_wait_loadcnt 0x0
	ds_store_b64 v1, v[110:111]
	s_wait_storecnt_dscnt 0x0
	s_barrier_signal -1
	s_barrier_wait -1
	s_wait_xcnt 0x0
	s_and_saveexec_b32 s55, s1
	s_cbranch_execz .LBB116_45
; %bb.36:
	s_and_not1_b32 vcc_lo, exec_lo, s5
	s_cbranch_vccnz .LBB116_38
; %bb.37:
	scratch_load_b64 v[110:111], v59, off
	ds_load_b64 v[112:113], v1
	s_wait_loadcnt_dscnt 0x0
	v_pk_mul_f32 v[114:115], v[112:113], v[110:111] op_sel:[1,1] op_sel_hi:[0,1]
	s_delay_alu instid0(VALU_DEP_1) | instskip(SKIP_1) | instid1(VALU_DEP_2)
	v_pk_fma_f32 v[116:117], v[112:113], v[110:111], v[114:115] op_sel_hi:[1,0,1]
	v_pk_fma_f32 v[110:111], v[112:113], v[110:111], v[114:115] neg_lo:[0,0,1] neg_hi:[0,0,1]
	v_mov_b32_e32 v111, v117
	s_cbranch_execz .LBB116_39
	s_branch .LBB116_40
.LBB116_38:
                                        ; implicit-def: $vgpr110_vgpr111
.LBB116_39:
	ds_load_b64 v[110:111], v1
.LBB116_40:
	s_and_saveexec_b32 s56, s0
	s_cbranch_execz .LBB116_44
; %bb.41:
	v_subrev_nc_u32_e32 v112, 49, v0
	s_movk_i32 s57, 0x338
	s_mov_b32 s0, 0
.LBB116_42:                             ; =>This Inner Loop Header: Depth=1
	scratch_load_b64 v[114:115], off, s54
	v_dual_mov_b32 v113, s57 :: v_dual_add_nc_u32 v112, -1, v112
	s_add_co_i32 s57, s57, 8
	s_wait_xcnt 0x0
	s_add_co_i32 s54, s54, 8
	ds_load_b64 v[116:117], v113
	v_cmp_eq_u32_e32 vcc_lo, 0, v112
	s_or_b32 s0, vcc_lo, s0
	s_wait_loadcnt_dscnt 0x0
	v_pk_mul_f32 v[118:119], v[116:117], v[114:115] op_sel:[1,1] op_sel_hi:[0,1]
	s_delay_alu instid0(VALU_DEP_1) | instskip(SKIP_1) | instid1(VALU_DEP_2)
	v_pk_fma_f32 v[120:121], v[116:117], v[114:115], v[118:119] op_sel_hi:[1,0,1]
	v_pk_fma_f32 v[114:115], v[116:117], v[114:115], v[118:119] neg_lo:[0,0,1] neg_hi:[0,0,1]
	v_mov_b32_e32 v115, v121
	s_delay_alu instid0(VALU_DEP_1)
	v_pk_add_f32 v[110:111], v[110:111], v[114:115]
	s_and_not1_b32 exec_lo, exec_lo, s0
	s_cbranch_execnz .LBB116_42
; %bb.43:
	s_or_b32 exec_lo, exec_lo, s0
.LBB116_44:
	s_delay_alu instid0(SALU_CYCLE_1) | instskip(SKIP_4) | instid1(VALU_DEP_1)
	s_or_b32 exec_lo, exec_lo, s56
	v_mov_b32_e32 v112, 0
	ds_load_b64 v[112:113], v112 offset:384
	s_wait_dscnt 0x0
	v_pk_mul_f32 v[114:115], v[110:111], v[112:113] op_sel:[1,1] op_sel_hi:[0,1]
	v_pk_fma_f32 v[116:117], v[110:111], v[112:113], v[114:115] op_sel_hi:[1,0,1]
	v_pk_fma_f32 v[110:111], v[110:111], v[112:113], v[114:115] neg_lo:[0,0,1] neg_hi:[0,0,1]
	s_delay_alu instid0(VALU_DEP_2)
	v_mov_b32_e32 v111, v117
	scratch_store_b64 off, v[110:111], off offset:384
.LBB116_45:
	s_wait_xcnt 0x0
	s_or_b32 exec_lo, exec_lo, s55
	scratch_load_b64 v[110:111], off, off offset:376
	v_cmp_lt_u32_e64 s0, 47, v0
	s_wait_loadcnt 0x0
	ds_store_b64 v1, v[110:111]
	s_wait_storecnt_dscnt 0x0
	s_barrier_signal -1
	s_barrier_wait -1
	s_wait_xcnt 0x0
	s_and_saveexec_b32 s54, s0
	s_cbranch_execz .LBB116_55
; %bb.46:
	s_and_not1_b32 vcc_lo, exec_lo, s5
	s_cbranch_vccnz .LBB116_48
; %bb.47:
	scratch_load_b64 v[110:111], v59, off
	ds_load_b64 v[112:113], v1
	s_wait_loadcnt_dscnt 0x0
	v_pk_mul_f32 v[114:115], v[112:113], v[110:111] op_sel:[1,1] op_sel_hi:[0,1]
	s_delay_alu instid0(VALU_DEP_1) | instskip(SKIP_1) | instid1(VALU_DEP_2)
	v_pk_fma_f32 v[116:117], v[112:113], v[110:111], v[114:115] op_sel_hi:[1,0,1]
	v_pk_fma_f32 v[110:111], v[112:113], v[110:111], v[114:115] neg_lo:[0,0,1] neg_hi:[0,0,1]
	v_mov_b32_e32 v111, v117
	s_cbranch_execz .LBB116_49
	s_branch .LBB116_50
.LBB116_48:
                                        ; implicit-def: $vgpr110_vgpr111
.LBB116_49:
	ds_load_b64 v[110:111], v1
.LBB116_50:
	s_and_saveexec_b32 s55, s1
	s_cbranch_execz .LBB116_54
; %bb.51:
	v_subrev_nc_u32_e32 v112, 48, v0
	s_movk_i32 s56, 0x330
	s_mov_b32 s1, 0
.LBB116_52:                             ; =>This Inner Loop Header: Depth=1
	scratch_load_b64 v[114:115], off, s53
	v_dual_mov_b32 v113, s56 :: v_dual_add_nc_u32 v112, -1, v112
	s_add_co_i32 s56, s56, 8
	s_wait_xcnt 0x0
	s_add_co_i32 s53, s53, 8
	ds_load_b64 v[116:117], v113
	v_cmp_eq_u32_e32 vcc_lo, 0, v112
	s_or_b32 s1, vcc_lo, s1
	s_wait_loadcnt_dscnt 0x0
	v_pk_mul_f32 v[118:119], v[116:117], v[114:115] op_sel:[1,1] op_sel_hi:[0,1]
	s_delay_alu instid0(VALU_DEP_1) | instskip(SKIP_1) | instid1(VALU_DEP_2)
	v_pk_fma_f32 v[120:121], v[116:117], v[114:115], v[118:119] op_sel_hi:[1,0,1]
	v_pk_fma_f32 v[114:115], v[116:117], v[114:115], v[118:119] neg_lo:[0,0,1] neg_hi:[0,0,1]
	v_mov_b32_e32 v115, v121
	s_delay_alu instid0(VALU_DEP_1)
	v_pk_add_f32 v[110:111], v[110:111], v[114:115]
	s_and_not1_b32 exec_lo, exec_lo, s1
	s_cbranch_execnz .LBB116_52
; %bb.53:
	s_or_b32 exec_lo, exec_lo, s1
.LBB116_54:
	s_delay_alu instid0(SALU_CYCLE_1) | instskip(SKIP_4) | instid1(VALU_DEP_1)
	s_or_b32 exec_lo, exec_lo, s55
	v_mov_b32_e32 v112, 0
	ds_load_b64 v[112:113], v112 offset:376
	s_wait_dscnt 0x0
	v_pk_mul_f32 v[114:115], v[110:111], v[112:113] op_sel:[1,1] op_sel_hi:[0,1]
	v_pk_fma_f32 v[116:117], v[110:111], v[112:113], v[114:115] op_sel_hi:[1,0,1]
	v_pk_fma_f32 v[110:111], v[110:111], v[112:113], v[114:115] neg_lo:[0,0,1] neg_hi:[0,0,1]
	s_delay_alu instid0(VALU_DEP_2)
	v_mov_b32_e32 v111, v117
	scratch_store_b64 off, v[110:111], off offset:376
.LBB116_55:
	s_wait_xcnt 0x0
	s_or_b32 exec_lo, exec_lo, s54
	scratch_load_b64 v[110:111], off, off offset:368
	v_cmp_lt_u32_e64 s1, 46, v0
	s_wait_loadcnt 0x0
	ds_store_b64 v1, v[110:111]
	s_wait_storecnt_dscnt 0x0
	s_barrier_signal -1
	s_barrier_wait -1
	s_wait_xcnt 0x0
	s_and_saveexec_b32 s53, s1
	s_cbranch_execz .LBB116_65
; %bb.56:
	s_and_not1_b32 vcc_lo, exec_lo, s5
	s_cbranch_vccnz .LBB116_58
; %bb.57:
	scratch_load_b64 v[110:111], v59, off
	ds_load_b64 v[112:113], v1
	s_wait_loadcnt_dscnt 0x0
	v_pk_mul_f32 v[114:115], v[112:113], v[110:111] op_sel:[1,1] op_sel_hi:[0,1]
	s_delay_alu instid0(VALU_DEP_1) | instskip(SKIP_1) | instid1(VALU_DEP_2)
	v_pk_fma_f32 v[116:117], v[112:113], v[110:111], v[114:115] op_sel_hi:[1,0,1]
	v_pk_fma_f32 v[110:111], v[112:113], v[110:111], v[114:115] neg_lo:[0,0,1] neg_hi:[0,0,1]
	v_mov_b32_e32 v111, v117
	s_cbranch_execz .LBB116_59
	s_branch .LBB116_60
.LBB116_58:
                                        ; implicit-def: $vgpr110_vgpr111
.LBB116_59:
	ds_load_b64 v[110:111], v1
.LBB116_60:
	s_and_saveexec_b32 s54, s0
	s_cbranch_execz .LBB116_64
; %bb.61:
	v_subrev_nc_u32_e32 v112, 47, v0
	s_movk_i32 s55, 0x328
	s_mov_b32 s0, 0
.LBB116_62:                             ; =>This Inner Loop Header: Depth=1
	scratch_load_b64 v[114:115], off, s52
	v_dual_mov_b32 v113, s55 :: v_dual_add_nc_u32 v112, -1, v112
	s_add_co_i32 s55, s55, 8
	s_wait_xcnt 0x0
	s_add_co_i32 s52, s52, 8
	ds_load_b64 v[116:117], v113
	v_cmp_eq_u32_e32 vcc_lo, 0, v112
	s_or_b32 s0, vcc_lo, s0
	s_wait_loadcnt_dscnt 0x0
	v_pk_mul_f32 v[118:119], v[116:117], v[114:115] op_sel:[1,1] op_sel_hi:[0,1]
	s_delay_alu instid0(VALU_DEP_1) | instskip(SKIP_1) | instid1(VALU_DEP_2)
	v_pk_fma_f32 v[120:121], v[116:117], v[114:115], v[118:119] op_sel_hi:[1,0,1]
	v_pk_fma_f32 v[114:115], v[116:117], v[114:115], v[118:119] neg_lo:[0,0,1] neg_hi:[0,0,1]
	v_mov_b32_e32 v115, v121
	s_delay_alu instid0(VALU_DEP_1)
	v_pk_add_f32 v[110:111], v[110:111], v[114:115]
	s_and_not1_b32 exec_lo, exec_lo, s0
	s_cbranch_execnz .LBB116_62
; %bb.63:
	s_or_b32 exec_lo, exec_lo, s0
.LBB116_64:
	s_delay_alu instid0(SALU_CYCLE_1) | instskip(SKIP_4) | instid1(VALU_DEP_1)
	s_or_b32 exec_lo, exec_lo, s54
	v_mov_b32_e32 v112, 0
	ds_load_b64 v[112:113], v112 offset:368
	s_wait_dscnt 0x0
	v_pk_mul_f32 v[114:115], v[110:111], v[112:113] op_sel:[1,1] op_sel_hi:[0,1]
	v_pk_fma_f32 v[116:117], v[110:111], v[112:113], v[114:115] op_sel_hi:[1,0,1]
	v_pk_fma_f32 v[110:111], v[110:111], v[112:113], v[114:115] neg_lo:[0,0,1] neg_hi:[0,0,1]
	s_delay_alu instid0(VALU_DEP_2)
	v_mov_b32_e32 v111, v117
	scratch_store_b64 off, v[110:111], off offset:368
.LBB116_65:
	s_wait_xcnt 0x0
	s_or_b32 exec_lo, exec_lo, s53
	scratch_load_b64 v[110:111], off, off offset:360
	v_cmp_lt_u32_e64 s0, 45, v0
	s_wait_loadcnt 0x0
	ds_store_b64 v1, v[110:111]
	s_wait_storecnt_dscnt 0x0
	s_barrier_signal -1
	s_barrier_wait -1
	s_wait_xcnt 0x0
	s_and_saveexec_b32 s52, s0
	s_cbranch_execz .LBB116_75
; %bb.66:
	s_and_not1_b32 vcc_lo, exec_lo, s5
	s_cbranch_vccnz .LBB116_68
; %bb.67:
	scratch_load_b64 v[110:111], v59, off
	ds_load_b64 v[112:113], v1
	s_wait_loadcnt_dscnt 0x0
	v_pk_mul_f32 v[114:115], v[112:113], v[110:111] op_sel:[1,1] op_sel_hi:[0,1]
	s_delay_alu instid0(VALU_DEP_1) | instskip(SKIP_1) | instid1(VALU_DEP_2)
	v_pk_fma_f32 v[116:117], v[112:113], v[110:111], v[114:115] op_sel_hi:[1,0,1]
	v_pk_fma_f32 v[110:111], v[112:113], v[110:111], v[114:115] neg_lo:[0,0,1] neg_hi:[0,0,1]
	v_mov_b32_e32 v111, v117
	s_cbranch_execz .LBB116_69
	s_branch .LBB116_70
.LBB116_68:
                                        ; implicit-def: $vgpr110_vgpr111
.LBB116_69:
	ds_load_b64 v[110:111], v1
.LBB116_70:
	s_and_saveexec_b32 s53, s1
	s_cbranch_execz .LBB116_74
; %bb.71:
	v_subrev_nc_u32_e32 v112, 46, v0
	s_movk_i32 s54, 0x320
	s_mov_b32 s1, 0
.LBB116_72:                             ; =>This Inner Loop Header: Depth=1
	scratch_load_b64 v[114:115], off, s51
	v_dual_mov_b32 v113, s54 :: v_dual_add_nc_u32 v112, -1, v112
	s_add_co_i32 s54, s54, 8
	s_wait_xcnt 0x0
	s_add_co_i32 s51, s51, 8
	ds_load_b64 v[116:117], v113
	v_cmp_eq_u32_e32 vcc_lo, 0, v112
	s_or_b32 s1, vcc_lo, s1
	s_wait_loadcnt_dscnt 0x0
	v_pk_mul_f32 v[118:119], v[116:117], v[114:115] op_sel:[1,1] op_sel_hi:[0,1]
	s_delay_alu instid0(VALU_DEP_1) | instskip(SKIP_1) | instid1(VALU_DEP_2)
	v_pk_fma_f32 v[120:121], v[116:117], v[114:115], v[118:119] op_sel_hi:[1,0,1]
	v_pk_fma_f32 v[114:115], v[116:117], v[114:115], v[118:119] neg_lo:[0,0,1] neg_hi:[0,0,1]
	v_mov_b32_e32 v115, v121
	s_delay_alu instid0(VALU_DEP_1)
	v_pk_add_f32 v[110:111], v[110:111], v[114:115]
	s_and_not1_b32 exec_lo, exec_lo, s1
	s_cbranch_execnz .LBB116_72
; %bb.73:
	s_or_b32 exec_lo, exec_lo, s1
.LBB116_74:
	s_delay_alu instid0(SALU_CYCLE_1) | instskip(SKIP_4) | instid1(VALU_DEP_1)
	s_or_b32 exec_lo, exec_lo, s53
	v_mov_b32_e32 v112, 0
	ds_load_b64 v[112:113], v112 offset:360
	s_wait_dscnt 0x0
	v_pk_mul_f32 v[114:115], v[110:111], v[112:113] op_sel:[1,1] op_sel_hi:[0,1]
	v_pk_fma_f32 v[116:117], v[110:111], v[112:113], v[114:115] op_sel_hi:[1,0,1]
	v_pk_fma_f32 v[110:111], v[110:111], v[112:113], v[114:115] neg_lo:[0,0,1] neg_hi:[0,0,1]
	s_delay_alu instid0(VALU_DEP_2)
	v_mov_b32_e32 v111, v117
	scratch_store_b64 off, v[110:111], off offset:360
.LBB116_75:
	s_wait_xcnt 0x0
	s_or_b32 exec_lo, exec_lo, s52
	scratch_load_b64 v[110:111], off, off offset:352
	v_cmp_lt_u32_e64 s1, 44, v0
	s_wait_loadcnt 0x0
	ds_store_b64 v1, v[110:111]
	s_wait_storecnt_dscnt 0x0
	s_barrier_signal -1
	s_barrier_wait -1
	s_wait_xcnt 0x0
	s_and_saveexec_b32 s51, s1
	s_cbranch_execz .LBB116_85
; %bb.76:
	s_and_not1_b32 vcc_lo, exec_lo, s5
	s_cbranch_vccnz .LBB116_78
; %bb.77:
	scratch_load_b64 v[110:111], v59, off
	ds_load_b64 v[112:113], v1
	s_wait_loadcnt_dscnt 0x0
	v_pk_mul_f32 v[114:115], v[112:113], v[110:111] op_sel:[1,1] op_sel_hi:[0,1]
	s_delay_alu instid0(VALU_DEP_1) | instskip(SKIP_1) | instid1(VALU_DEP_2)
	v_pk_fma_f32 v[116:117], v[112:113], v[110:111], v[114:115] op_sel_hi:[1,0,1]
	v_pk_fma_f32 v[110:111], v[112:113], v[110:111], v[114:115] neg_lo:[0,0,1] neg_hi:[0,0,1]
	v_mov_b32_e32 v111, v117
	s_cbranch_execz .LBB116_79
	s_branch .LBB116_80
.LBB116_78:
                                        ; implicit-def: $vgpr110_vgpr111
.LBB116_79:
	ds_load_b64 v[110:111], v1
.LBB116_80:
	s_and_saveexec_b32 s52, s0
	s_cbranch_execz .LBB116_84
; %bb.81:
	v_subrev_nc_u32_e32 v112, 45, v0
	s_movk_i32 s53, 0x318
	s_mov_b32 s0, 0
.LBB116_82:                             ; =>This Inner Loop Header: Depth=1
	scratch_load_b64 v[114:115], off, s50
	v_dual_mov_b32 v113, s53 :: v_dual_add_nc_u32 v112, -1, v112
	s_add_co_i32 s53, s53, 8
	s_wait_xcnt 0x0
	s_add_co_i32 s50, s50, 8
	ds_load_b64 v[116:117], v113
	v_cmp_eq_u32_e32 vcc_lo, 0, v112
	s_or_b32 s0, vcc_lo, s0
	s_wait_loadcnt_dscnt 0x0
	v_pk_mul_f32 v[118:119], v[116:117], v[114:115] op_sel:[1,1] op_sel_hi:[0,1]
	s_delay_alu instid0(VALU_DEP_1) | instskip(SKIP_1) | instid1(VALU_DEP_2)
	v_pk_fma_f32 v[120:121], v[116:117], v[114:115], v[118:119] op_sel_hi:[1,0,1]
	v_pk_fma_f32 v[114:115], v[116:117], v[114:115], v[118:119] neg_lo:[0,0,1] neg_hi:[0,0,1]
	v_mov_b32_e32 v115, v121
	s_delay_alu instid0(VALU_DEP_1)
	v_pk_add_f32 v[110:111], v[110:111], v[114:115]
	s_and_not1_b32 exec_lo, exec_lo, s0
	s_cbranch_execnz .LBB116_82
; %bb.83:
	s_or_b32 exec_lo, exec_lo, s0
.LBB116_84:
	s_delay_alu instid0(SALU_CYCLE_1) | instskip(SKIP_4) | instid1(VALU_DEP_1)
	s_or_b32 exec_lo, exec_lo, s52
	v_mov_b32_e32 v112, 0
	ds_load_b64 v[112:113], v112 offset:352
	s_wait_dscnt 0x0
	v_pk_mul_f32 v[114:115], v[110:111], v[112:113] op_sel:[1,1] op_sel_hi:[0,1]
	v_pk_fma_f32 v[116:117], v[110:111], v[112:113], v[114:115] op_sel_hi:[1,0,1]
	v_pk_fma_f32 v[110:111], v[110:111], v[112:113], v[114:115] neg_lo:[0,0,1] neg_hi:[0,0,1]
	s_delay_alu instid0(VALU_DEP_2)
	v_mov_b32_e32 v111, v117
	scratch_store_b64 off, v[110:111], off offset:352
.LBB116_85:
	s_wait_xcnt 0x0
	s_or_b32 exec_lo, exec_lo, s51
	scratch_load_b64 v[110:111], off, off offset:344
	v_cmp_lt_u32_e64 s0, 43, v0
	s_wait_loadcnt 0x0
	ds_store_b64 v1, v[110:111]
	s_wait_storecnt_dscnt 0x0
	s_barrier_signal -1
	s_barrier_wait -1
	s_wait_xcnt 0x0
	s_and_saveexec_b32 s50, s0
	s_cbranch_execz .LBB116_95
; %bb.86:
	s_and_not1_b32 vcc_lo, exec_lo, s5
	s_cbranch_vccnz .LBB116_88
; %bb.87:
	scratch_load_b64 v[110:111], v59, off
	ds_load_b64 v[112:113], v1
	s_wait_loadcnt_dscnt 0x0
	v_pk_mul_f32 v[114:115], v[112:113], v[110:111] op_sel:[1,1] op_sel_hi:[0,1]
	s_delay_alu instid0(VALU_DEP_1) | instskip(SKIP_1) | instid1(VALU_DEP_2)
	v_pk_fma_f32 v[116:117], v[112:113], v[110:111], v[114:115] op_sel_hi:[1,0,1]
	v_pk_fma_f32 v[110:111], v[112:113], v[110:111], v[114:115] neg_lo:[0,0,1] neg_hi:[0,0,1]
	v_mov_b32_e32 v111, v117
	s_cbranch_execz .LBB116_89
	s_branch .LBB116_90
.LBB116_88:
                                        ; implicit-def: $vgpr110_vgpr111
.LBB116_89:
	ds_load_b64 v[110:111], v1
.LBB116_90:
	s_and_saveexec_b32 s51, s1
	s_cbranch_execz .LBB116_94
; %bb.91:
	v_subrev_nc_u32_e32 v112, 44, v0
	s_movk_i32 s52, 0x310
	s_mov_b32 s1, 0
.LBB116_92:                             ; =>This Inner Loop Header: Depth=1
	scratch_load_b64 v[114:115], off, s49
	v_dual_mov_b32 v113, s52 :: v_dual_add_nc_u32 v112, -1, v112
	s_add_co_i32 s52, s52, 8
	s_wait_xcnt 0x0
	s_add_co_i32 s49, s49, 8
	ds_load_b64 v[116:117], v113
	v_cmp_eq_u32_e32 vcc_lo, 0, v112
	s_or_b32 s1, vcc_lo, s1
	s_wait_loadcnt_dscnt 0x0
	v_pk_mul_f32 v[118:119], v[116:117], v[114:115] op_sel:[1,1] op_sel_hi:[0,1]
	s_delay_alu instid0(VALU_DEP_1) | instskip(SKIP_1) | instid1(VALU_DEP_2)
	v_pk_fma_f32 v[120:121], v[116:117], v[114:115], v[118:119] op_sel_hi:[1,0,1]
	v_pk_fma_f32 v[114:115], v[116:117], v[114:115], v[118:119] neg_lo:[0,0,1] neg_hi:[0,0,1]
	v_mov_b32_e32 v115, v121
	s_delay_alu instid0(VALU_DEP_1)
	v_pk_add_f32 v[110:111], v[110:111], v[114:115]
	s_and_not1_b32 exec_lo, exec_lo, s1
	s_cbranch_execnz .LBB116_92
; %bb.93:
	s_or_b32 exec_lo, exec_lo, s1
.LBB116_94:
	s_delay_alu instid0(SALU_CYCLE_1) | instskip(SKIP_4) | instid1(VALU_DEP_1)
	s_or_b32 exec_lo, exec_lo, s51
	v_mov_b32_e32 v112, 0
	ds_load_b64 v[112:113], v112 offset:344
	s_wait_dscnt 0x0
	v_pk_mul_f32 v[114:115], v[110:111], v[112:113] op_sel:[1,1] op_sel_hi:[0,1]
	v_pk_fma_f32 v[116:117], v[110:111], v[112:113], v[114:115] op_sel_hi:[1,0,1]
	v_pk_fma_f32 v[110:111], v[110:111], v[112:113], v[114:115] neg_lo:[0,0,1] neg_hi:[0,0,1]
	s_delay_alu instid0(VALU_DEP_2)
	v_mov_b32_e32 v111, v117
	scratch_store_b64 off, v[110:111], off offset:344
.LBB116_95:
	s_wait_xcnt 0x0
	s_or_b32 exec_lo, exec_lo, s50
	scratch_load_b64 v[110:111], off, off offset:336
	v_cmp_lt_u32_e64 s1, 42, v0
	s_wait_loadcnt 0x0
	ds_store_b64 v1, v[110:111]
	s_wait_storecnt_dscnt 0x0
	s_barrier_signal -1
	s_barrier_wait -1
	s_wait_xcnt 0x0
	s_and_saveexec_b32 s49, s1
	s_cbranch_execz .LBB116_105
; %bb.96:
	s_and_not1_b32 vcc_lo, exec_lo, s5
	s_cbranch_vccnz .LBB116_98
; %bb.97:
	scratch_load_b64 v[110:111], v59, off
	ds_load_b64 v[112:113], v1
	s_wait_loadcnt_dscnt 0x0
	v_pk_mul_f32 v[114:115], v[112:113], v[110:111] op_sel:[1,1] op_sel_hi:[0,1]
	s_delay_alu instid0(VALU_DEP_1) | instskip(SKIP_1) | instid1(VALU_DEP_2)
	v_pk_fma_f32 v[116:117], v[112:113], v[110:111], v[114:115] op_sel_hi:[1,0,1]
	v_pk_fma_f32 v[110:111], v[112:113], v[110:111], v[114:115] neg_lo:[0,0,1] neg_hi:[0,0,1]
	v_mov_b32_e32 v111, v117
	s_cbranch_execz .LBB116_99
	s_branch .LBB116_100
.LBB116_98:
                                        ; implicit-def: $vgpr110_vgpr111
.LBB116_99:
	ds_load_b64 v[110:111], v1
.LBB116_100:
	s_and_saveexec_b32 s50, s0
	s_cbranch_execz .LBB116_104
; %bb.101:
	v_subrev_nc_u32_e32 v112, 43, v0
	s_movk_i32 s51, 0x308
	s_mov_b32 s0, 0
.LBB116_102:                            ; =>This Inner Loop Header: Depth=1
	scratch_load_b64 v[114:115], off, s48
	v_dual_mov_b32 v113, s51 :: v_dual_add_nc_u32 v112, -1, v112
	s_add_co_i32 s51, s51, 8
	s_wait_xcnt 0x0
	s_add_co_i32 s48, s48, 8
	ds_load_b64 v[116:117], v113
	v_cmp_eq_u32_e32 vcc_lo, 0, v112
	s_or_b32 s0, vcc_lo, s0
	s_wait_loadcnt_dscnt 0x0
	v_pk_mul_f32 v[118:119], v[116:117], v[114:115] op_sel:[1,1] op_sel_hi:[0,1]
	s_delay_alu instid0(VALU_DEP_1) | instskip(SKIP_1) | instid1(VALU_DEP_2)
	v_pk_fma_f32 v[120:121], v[116:117], v[114:115], v[118:119] op_sel_hi:[1,0,1]
	v_pk_fma_f32 v[114:115], v[116:117], v[114:115], v[118:119] neg_lo:[0,0,1] neg_hi:[0,0,1]
	v_mov_b32_e32 v115, v121
	s_delay_alu instid0(VALU_DEP_1)
	v_pk_add_f32 v[110:111], v[110:111], v[114:115]
	s_and_not1_b32 exec_lo, exec_lo, s0
	s_cbranch_execnz .LBB116_102
; %bb.103:
	s_or_b32 exec_lo, exec_lo, s0
.LBB116_104:
	s_delay_alu instid0(SALU_CYCLE_1) | instskip(SKIP_4) | instid1(VALU_DEP_1)
	s_or_b32 exec_lo, exec_lo, s50
	v_mov_b32_e32 v112, 0
	ds_load_b64 v[112:113], v112 offset:336
	s_wait_dscnt 0x0
	v_pk_mul_f32 v[114:115], v[110:111], v[112:113] op_sel:[1,1] op_sel_hi:[0,1]
	v_pk_fma_f32 v[116:117], v[110:111], v[112:113], v[114:115] op_sel_hi:[1,0,1]
	v_pk_fma_f32 v[110:111], v[110:111], v[112:113], v[114:115] neg_lo:[0,0,1] neg_hi:[0,0,1]
	s_delay_alu instid0(VALU_DEP_2)
	v_mov_b32_e32 v111, v117
	scratch_store_b64 off, v[110:111], off offset:336
.LBB116_105:
	s_wait_xcnt 0x0
	s_or_b32 exec_lo, exec_lo, s49
	scratch_load_b64 v[110:111], off, off offset:328
	v_cmp_lt_u32_e64 s0, 41, v0
	s_wait_loadcnt 0x0
	ds_store_b64 v1, v[110:111]
	s_wait_storecnt_dscnt 0x0
	s_barrier_signal -1
	s_barrier_wait -1
	s_wait_xcnt 0x0
	s_and_saveexec_b32 s48, s0
	s_cbranch_execz .LBB116_115
; %bb.106:
	s_and_not1_b32 vcc_lo, exec_lo, s5
	s_cbranch_vccnz .LBB116_108
; %bb.107:
	scratch_load_b64 v[110:111], v59, off
	ds_load_b64 v[112:113], v1
	s_wait_loadcnt_dscnt 0x0
	v_pk_mul_f32 v[114:115], v[112:113], v[110:111] op_sel:[1,1] op_sel_hi:[0,1]
	s_delay_alu instid0(VALU_DEP_1) | instskip(SKIP_1) | instid1(VALU_DEP_2)
	v_pk_fma_f32 v[116:117], v[112:113], v[110:111], v[114:115] op_sel_hi:[1,0,1]
	v_pk_fma_f32 v[110:111], v[112:113], v[110:111], v[114:115] neg_lo:[0,0,1] neg_hi:[0,0,1]
	v_mov_b32_e32 v111, v117
	s_cbranch_execz .LBB116_109
	s_branch .LBB116_110
.LBB116_108:
                                        ; implicit-def: $vgpr110_vgpr111
.LBB116_109:
	ds_load_b64 v[110:111], v1
.LBB116_110:
	s_and_saveexec_b32 s49, s1
	s_cbranch_execz .LBB116_114
; %bb.111:
	v_subrev_nc_u32_e32 v112, 42, v0
	s_movk_i32 s50, 0x300
	s_mov_b32 s1, 0
.LBB116_112:                            ; =>This Inner Loop Header: Depth=1
	scratch_load_b64 v[114:115], off, s47
	v_dual_mov_b32 v113, s50 :: v_dual_add_nc_u32 v112, -1, v112
	s_add_co_i32 s50, s50, 8
	s_wait_xcnt 0x0
	s_add_co_i32 s47, s47, 8
	ds_load_b64 v[116:117], v113
	v_cmp_eq_u32_e32 vcc_lo, 0, v112
	s_or_b32 s1, vcc_lo, s1
	s_wait_loadcnt_dscnt 0x0
	v_pk_mul_f32 v[118:119], v[116:117], v[114:115] op_sel:[1,1] op_sel_hi:[0,1]
	s_delay_alu instid0(VALU_DEP_1) | instskip(SKIP_1) | instid1(VALU_DEP_2)
	v_pk_fma_f32 v[120:121], v[116:117], v[114:115], v[118:119] op_sel_hi:[1,0,1]
	v_pk_fma_f32 v[114:115], v[116:117], v[114:115], v[118:119] neg_lo:[0,0,1] neg_hi:[0,0,1]
	v_mov_b32_e32 v115, v121
	s_delay_alu instid0(VALU_DEP_1)
	v_pk_add_f32 v[110:111], v[110:111], v[114:115]
	s_and_not1_b32 exec_lo, exec_lo, s1
	s_cbranch_execnz .LBB116_112
; %bb.113:
	s_or_b32 exec_lo, exec_lo, s1
.LBB116_114:
	s_delay_alu instid0(SALU_CYCLE_1) | instskip(SKIP_4) | instid1(VALU_DEP_1)
	s_or_b32 exec_lo, exec_lo, s49
	v_mov_b32_e32 v112, 0
	ds_load_b64 v[112:113], v112 offset:328
	s_wait_dscnt 0x0
	v_pk_mul_f32 v[114:115], v[110:111], v[112:113] op_sel:[1,1] op_sel_hi:[0,1]
	v_pk_fma_f32 v[116:117], v[110:111], v[112:113], v[114:115] op_sel_hi:[1,0,1]
	v_pk_fma_f32 v[110:111], v[110:111], v[112:113], v[114:115] neg_lo:[0,0,1] neg_hi:[0,0,1]
	s_delay_alu instid0(VALU_DEP_2)
	v_mov_b32_e32 v111, v117
	scratch_store_b64 off, v[110:111], off offset:328
.LBB116_115:
	s_wait_xcnt 0x0
	s_or_b32 exec_lo, exec_lo, s48
	scratch_load_b64 v[110:111], off, off offset:320
	v_cmp_lt_u32_e64 s1, 40, v0
	s_wait_loadcnt 0x0
	ds_store_b64 v1, v[110:111]
	s_wait_storecnt_dscnt 0x0
	s_barrier_signal -1
	s_barrier_wait -1
	s_wait_xcnt 0x0
	s_and_saveexec_b32 s47, s1
	s_cbranch_execz .LBB116_125
; %bb.116:
	s_and_not1_b32 vcc_lo, exec_lo, s5
	s_cbranch_vccnz .LBB116_118
; %bb.117:
	scratch_load_b64 v[110:111], v59, off
	ds_load_b64 v[112:113], v1
	s_wait_loadcnt_dscnt 0x0
	v_pk_mul_f32 v[114:115], v[112:113], v[110:111] op_sel:[1,1] op_sel_hi:[0,1]
	s_delay_alu instid0(VALU_DEP_1) | instskip(SKIP_1) | instid1(VALU_DEP_2)
	v_pk_fma_f32 v[116:117], v[112:113], v[110:111], v[114:115] op_sel_hi:[1,0,1]
	v_pk_fma_f32 v[110:111], v[112:113], v[110:111], v[114:115] neg_lo:[0,0,1] neg_hi:[0,0,1]
	v_mov_b32_e32 v111, v117
	s_cbranch_execz .LBB116_119
	s_branch .LBB116_120
.LBB116_118:
                                        ; implicit-def: $vgpr110_vgpr111
.LBB116_119:
	ds_load_b64 v[110:111], v1
.LBB116_120:
	s_and_saveexec_b32 s48, s0
	s_cbranch_execz .LBB116_124
; %bb.121:
	v_subrev_nc_u32_e32 v112, 41, v0
	s_movk_i32 s49, 0x2f8
	s_mov_b32 s0, 0
.LBB116_122:                            ; =>This Inner Loop Header: Depth=1
	scratch_load_b64 v[114:115], off, s46
	v_dual_mov_b32 v113, s49 :: v_dual_add_nc_u32 v112, -1, v112
	s_add_co_i32 s49, s49, 8
	s_wait_xcnt 0x0
	s_add_co_i32 s46, s46, 8
	ds_load_b64 v[116:117], v113
	v_cmp_eq_u32_e32 vcc_lo, 0, v112
	s_or_b32 s0, vcc_lo, s0
	s_wait_loadcnt_dscnt 0x0
	v_pk_mul_f32 v[118:119], v[116:117], v[114:115] op_sel:[1,1] op_sel_hi:[0,1]
	s_delay_alu instid0(VALU_DEP_1) | instskip(SKIP_1) | instid1(VALU_DEP_2)
	v_pk_fma_f32 v[120:121], v[116:117], v[114:115], v[118:119] op_sel_hi:[1,0,1]
	v_pk_fma_f32 v[114:115], v[116:117], v[114:115], v[118:119] neg_lo:[0,0,1] neg_hi:[0,0,1]
	v_mov_b32_e32 v115, v121
	s_delay_alu instid0(VALU_DEP_1)
	v_pk_add_f32 v[110:111], v[110:111], v[114:115]
	s_and_not1_b32 exec_lo, exec_lo, s0
	s_cbranch_execnz .LBB116_122
; %bb.123:
	s_or_b32 exec_lo, exec_lo, s0
.LBB116_124:
	s_delay_alu instid0(SALU_CYCLE_1) | instskip(SKIP_4) | instid1(VALU_DEP_1)
	s_or_b32 exec_lo, exec_lo, s48
	v_mov_b32_e32 v112, 0
	ds_load_b64 v[112:113], v112 offset:320
	s_wait_dscnt 0x0
	v_pk_mul_f32 v[114:115], v[110:111], v[112:113] op_sel:[1,1] op_sel_hi:[0,1]
	v_pk_fma_f32 v[116:117], v[110:111], v[112:113], v[114:115] op_sel_hi:[1,0,1]
	v_pk_fma_f32 v[110:111], v[110:111], v[112:113], v[114:115] neg_lo:[0,0,1] neg_hi:[0,0,1]
	s_delay_alu instid0(VALU_DEP_2)
	v_mov_b32_e32 v111, v117
	scratch_store_b64 off, v[110:111], off offset:320
.LBB116_125:
	s_wait_xcnt 0x0
	s_or_b32 exec_lo, exec_lo, s47
	scratch_load_b64 v[110:111], off, off offset:312
	v_cmp_lt_u32_e64 s0, 39, v0
	s_wait_loadcnt 0x0
	ds_store_b64 v1, v[110:111]
	s_wait_storecnt_dscnt 0x0
	s_barrier_signal -1
	s_barrier_wait -1
	s_wait_xcnt 0x0
	s_and_saveexec_b32 s46, s0
	s_cbranch_execz .LBB116_135
; %bb.126:
	s_and_not1_b32 vcc_lo, exec_lo, s5
	s_cbranch_vccnz .LBB116_128
; %bb.127:
	scratch_load_b64 v[110:111], v59, off
	ds_load_b64 v[112:113], v1
	s_wait_loadcnt_dscnt 0x0
	v_pk_mul_f32 v[114:115], v[112:113], v[110:111] op_sel:[1,1] op_sel_hi:[0,1]
	s_delay_alu instid0(VALU_DEP_1) | instskip(SKIP_1) | instid1(VALU_DEP_2)
	v_pk_fma_f32 v[116:117], v[112:113], v[110:111], v[114:115] op_sel_hi:[1,0,1]
	v_pk_fma_f32 v[110:111], v[112:113], v[110:111], v[114:115] neg_lo:[0,0,1] neg_hi:[0,0,1]
	v_mov_b32_e32 v111, v117
	s_cbranch_execz .LBB116_129
	s_branch .LBB116_130
.LBB116_128:
                                        ; implicit-def: $vgpr110_vgpr111
.LBB116_129:
	ds_load_b64 v[110:111], v1
.LBB116_130:
	s_and_saveexec_b32 s47, s1
	s_cbranch_execz .LBB116_134
; %bb.131:
	v_subrev_nc_u32_e32 v112, 40, v0
	s_movk_i32 s48, 0x2f0
	s_mov_b32 s1, 0
.LBB116_132:                            ; =>This Inner Loop Header: Depth=1
	scratch_load_b64 v[114:115], off, s45
	v_dual_mov_b32 v113, s48 :: v_dual_add_nc_u32 v112, -1, v112
	s_add_co_i32 s48, s48, 8
	s_wait_xcnt 0x0
	s_add_co_i32 s45, s45, 8
	ds_load_b64 v[116:117], v113
	v_cmp_eq_u32_e32 vcc_lo, 0, v112
	s_or_b32 s1, vcc_lo, s1
	s_wait_loadcnt_dscnt 0x0
	v_pk_mul_f32 v[118:119], v[116:117], v[114:115] op_sel:[1,1] op_sel_hi:[0,1]
	s_delay_alu instid0(VALU_DEP_1) | instskip(SKIP_1) | instid1(VALU_DEP_2)
	v_pk_fma_f32 v[120:121], v[116:117], v[114:115], v[118:119] op_sel_hi:[1,0,1]
	v_pk_fma_f32 v[114:115], v[116:117], v[114:115], v[118:119] neg_lo:[0,0,1] neg_hi:[0,0,1]
	v_mov_b32_e32 v115, v121
	s_delay_alu instid0(VALU_DEP_1)
	v_pk_add_f32 v[110:111], v[110:111], v[114:115]
	s_and_not1_b32 exec_lo, exec_lo, s1
	s_cbranch_execnz .LBB116_132
; %bb.133:
	s_or_b32 exec_lo, exec_lo, s1
.LBB116_134:
	s_delay_alu instid0(SALU_CYCLE_1) | instskip(SKIP_4) | instid1(VALU_DEP_1)
	s_or_b32 exec_lo, exec_lo, s47
	v_mov_b32_e32 v112, 0
	ds_load_b64 v[112:113], v112 offset:312
	s_wait_dscnt 0x0
	v_pk_mul_f32 v[114:115], v[110:111], v[112:113] op_sel:[1,1] op_sel_hi:[0,1]
	v_pk_fma_f32 v[116:117], v[110:111], v[112:113], v[114:115] op_sel_hi:[1,0,1]
	v_pk_fma_f32 v[110:111], v[110:111], v[112:113], v[114:115] neg_lo:[0,0,1] neg_hi:[0,0,1]
	s_delay_alu instid0(VALU_DEP_2)
	v_mov_b32_e32 v111, v117
	scratch_store_b64 off, v[110:111], off offset:312
.LBB116_135:
	s_wait_xcnt 0x0
	s_or_b32 exec_lo, exec_lo, s46
	scratch_load_b64 v[110:111], off, off offset:304
	v_cmp_lt_u32_e64 s1, 38, v0
	s_wait_loadcnt 0x0
	ds_store_b64 v1, v[110:111]
	s_wait_storecnt_dscnt 0x0
	s_barrier_signal -1
	s_barrier_wait -1
	s_wait_xcnt 0x0
	s_and_saveexec_b32 s45, s1
	s_cbranch_execz .LBB116_145
; %bb.136:
	s_and_not1_b32 vcc_lo, exec_lo, s5
	s_cbranch_vccnz .LBB116_138
; %bb.137:
	scratch_load_b64 v[110:111], v59, off
	ds_load_b64 v[112:113], v1
	s_wait_loadcnt_dscnt 0x0
	v_pk_mul_f32 v[114:115], v[112:113], v[110:111] op_sel:[1,1] op_sel_hi:[0,1]
	s_delay_alu instid0(VALU_DEP_1) | instskip(SKIP_1) | instid1(VALU_DEP_2)
	v_pk_fma_f32 v[116:117], v[112:113], v[110:111], v[114:115] op_sel_hi:[1,0,1]
	v_pk_fma_f32 v[110:111], v[112:113], v[110:111], v[114:115] neg_lo:[0,0,1] neg_hi:[0,0,1]
	v_mov_b32_e32 v111, v117
	s_cbranch_execz .LBB116_139
	s_branch .LBB116_140
.LBB116_138:
                                        ; implicit-def: $vgpr110_vgpr111
.LBB116_139:
	ds_load_b64 v[110:111], v1
.LBB116_140:
	s_and_saveexec_b32 s46, s0
	s_cbranch_execz .LBB116_144
; %bb.141:
	v_subrev_nc_u32_e32 v112, 39, v0
	s_movk_i32 s47, 0x2e8
	s_mov_b32 s0, 0
.LBB116_142:                            ; =>This Inner Loop Header: Depth=1
	scratch_load_b64 v[114:115], off, s44
	v_dual_mov_b32 v113, s47 :: v_dual_add_nc_u32 v112, -1, v112
	s_add_co_i32 s47, s47, 8
	s_wait_xcnt 0x0
	s_add_co_i32 s44, s44, 8
	ds_load_b64 v[116:117], v113
	v_cmp_eq_u32_e32 vcc_lo, 0, v112
	s_or_b32 s0, vcc_lo, s0
	s_wait_loadcnt_dscnt 0x0
	v_pk_mul_f32 v[118:119], v[116:117], v[114:115] op_sel:[1,1] op_sel_hi:[0,1]
	s_delay_alu instid0(VALU_DEP_1) | instskip(SKIP_1) | instid1(VALU_DEP_2)
	v_pk_fma_f32 v[120:121], v[116:117], v[114:115], v[118:119] op_sel_hi:[1,0,1]
	v_pk_fma_f32 v[114:115], v[116:117], v[114:115], v[118:119] neg_lo:[0,0,1] neg_hi:[0,0,1]
	v_mov_b32_e32 v115, v121
	s_delay_alu instid0(VALU_DEP_1)
	v_pk_add_f32 v[110:111], v[110:111], v[114:115]
	s_and_not1_b32 exec_lo, exec_lo, s0
	s_cbranch_execnz .LBB116_142
; %bb.143:
	s_or_b32 exec_lo, exec_lo, s0
.LBB116_144:
	s_delay_alu instid0(SALU_CYCLE_1) | instskip(SKIP_4) | instid1(VALU_DEP_1)
	s_or_b32 exec_lo, exec_lo, s46
	v_mov_b32_e32 v112, 0
	ds_load_b64 v[112:113], v112 offset:304
	s_wait_dscnt 0x0
	v_pk_mul_f32 v[114:115], v[110:111], v[112:113] op_sel:[1,1] op_sel_hi:[0,1]
	v_pk_fma_f32 v[116:117], v[110:111], v[112:113], v[114:115] op_sel_hi:[1,0,1]
	v_pk_fma_f32 v[110:111], v[110:111], v[112:113], v[114:115] neg_lo:[0,0,1] neg_hi:[0,0,1]
	s_delay_alu instid0(VALU_DEP_2)
	v_mov_b32_e32 v111, v117
	scratch_store_b64 off, v[110:111], off offset:304
.LBB116_145:
	s_wait_xcnt 0x0
	s_or_b32 exec_lo, exec_lo, s45
	scratch_load_b64 v[110:111], off, off offset:296
	v_cmp_lt_u32_e64 s0, 37, v0
	s_wait_loadcnt 0x0
	ds_store_b64 v1, v[110:111]
	s_wait_storecnt_dscnt 0x0
	s_barrier_signal -1
	s_barrier_wait -1
	s_wait_xcnt 0x0
	s_and_saveexec_b32 s44, s0
	s_cbranch_execz .LBB116_155
; %bb.146:
	s_and_not1_b32 vcc_lo, exec_lo, s5
	s_cbranch_vccnz .LBB116_148
; %bb.147:
	scratch_load_b64 v[110:111], v59, off
	ds_load_b64 v[112:113], v1
	s_wait_loadcnt_dscnt 0x0
	v_pk_mul_f32 v[114:115], v[112:113], v[110:111] op_sel:[1,1] op_sel_hi:[0,1]
	s_delay_alu instid0(VALU_DEP_1) | instskip(SKIP_1) | instid1(VALU_DEP_2)
	v_pk_fma_f32 v[116:117], v[112:113], v[110:111], v[114:115] op_sel_hi:[1,0,1]
	v_pk_fma_f32 v[110:111], v[112:113], v[110:111], v[114:115] neg_lo:[0,0,1] neg_hi:[0,0,1]
	v_mov_b32_e32 v111, v117
	s_cbranch_execz .LBB116_149
	s_branch .LBB116_150
.LBB116_148:
                                        ; implicit-def: $vgpr110_vgpr111
.LBB116_149:
	ds_load_b64 v[110:111], v1
.LBB116_150:
	s_and_saveexec_b32 s45, s1
	s_cbranch_execz .LBB116_154
; %bb.151:
	v_subrev_nc_u32_e32 v112, 38, v0
	s_movk_i32 s46, 0x2e0
	s_mov_b32 s1, 0
.LBB116_152:                            ; =>This Inner Loop Header: Depth=1
	scratch_load_b64 v[114:115], off, s43
	v_dual_mov_b32 v113, s46 :: v_dual_add_nc_u32 v112, -1, v112
	s_add_co_i32 s46, s46, 8
	s_wait_xcnt 0x0
	s_add_co_i32 s43, s43, 8
	ds_load_b64 v[116:117], v113
	v_cmp_eq_u32_e32 vcc_lo, 0, v112
	s_or_b32 s1, vcc_lo, s1
	s_wait_loadcnt_dscnt 0x0
	v_pk_mul_f32 v[118:119], v[116:117], v[114:115] op_sel:[1,1] op_sel_hi:[0,1]
	s_delay_alu instid0(VALU_DEP_1) | instskip(SKIP_1) | instid1(VALU_DEP_2)
	v_pk_fma_f32 v[120:121], v[116:117], v[114:115], v[118:119] op_sel_hi:[1,0,1]
	v_pk_fma_f32 v[114:115], v[116:117], v[114:115], v[118:119] neg_lo:[0,0,1] neg_hi:[0,0,1]
	v_mov_b32_e32 v115, v121
	s_delay_alu instid0(VALU_DEP_1)
	v_pk_add_f32 v[110:111], v[110:111], v[114:115]
	s_and_not1_b32 exec_lo, exec_lo, s1
	s_cbranch_execnz .LBB116_152
; %bb.153:
	s_or_b32 exec_lo, exec_lo, s1
.LBB116_154:
	s_delay_alu instid0(SALU_CYCLE_1) | instskip(SKIP_4) | instid1(VALU_DEP_1)
	s_or_b32 exec_lo, exec_lo, s45
	v_mov_b32_e32 v112, 0
	ds_load_b64 v[112:113], v112 offset:296
	s_wait_dscnt 0x0
	v_pk_mul_f32 v[114:115], v[110:111], v[112:113] op_sel:[1,1] op_sel_hi:[0,1]
	v_pk_fma_f32 v[116:117], v[110:111], v[112:113], v[114:115] op_sel_hi:[1,0,1]
	v_pk_fma_f32 v[110:111], v[110:111], v[112:113], v[114:115] neg_lo:[0,0,1] neg_hi:[0,0,1]
	s_delay_alu instid0(VALU_DEP_2)
	v_mov_b32_e32 v111, v117
	scratch_store_b64 off, v[110:111], off offset:296
.LBB116_155:
	s_wait_xcnt 0x0
	s_or_b32 exec_lo, exec_lo, s44
	scratch_load_b64 v[110:111], off, off offset:288
	v_cmp_lt_u32_e64 s1, 36, v0
	s_wait_loadcnt 0x0
	ds_store_b64 v1, v[110:111]
	s_wait_storecnt_dscnt 0x0
	s_barrier_signal -1
	s_barrier_wait -1
	s_wait_xcnt 0x0
	s_and_saveexec_b32 s43, s1
	s_cbranch_execz .LBB116_165
; %bb.156:
	s_and_not1_b32 vcc_lo, exec_lo, s5
	s_cbranch_vccnz .LBB116_158
; %bb.157:
	scratch_load_b64 v[110:111], v59, off
	ds_load_b64 v[112:113], v1
	s_wait_loadcnt_dscnt 0x0
	v_pk_mul_f32 v[114:115], v[112:113], v[110:111] op_sel:[1,1] op_sel_hi:[0,1]
	s_delay_alu instid0(VALU_DEP_1) | instskip(SKIP_1) | instid1(VALU_DEP_2)
	v_pk_fma_f32 v[116:117], v[112:113], v[110:111], v[114:115] op_sel_hi:[1,0,1]
	v_pk_fma_f32 v[110:111], v[112:113], v[110:111], v[114:115] neg_lo:[0,0,1] neg_hi:[0,0,1]
	v_mov_b32_e32 v111, v117
	s_cbranch_execz .LBB116_159
	s_branch .LBB116_160
.LBB116_158:
                                        ; implicit-def: $vgpr110_vgpr111
.LBB116_159:
	ds_load_b64 v[110:111], v1
.LBB116_160:
	s_and_saveexec_b32 s44, s0
	s_cbranch_execz .LBB116_164
; %bb.161:
	v_subrev_nc_u32_e32 v112, 37, v0
	s_movk_i32 s45, 0x2d8
	s_mov_b32 s0, 0
.LBB116_162:                            ; =>This Inner Loop Header: Depth=1
	scratch_load_b64 v[114:115], off, s42
	v_dual_mov_b32 v113, s45 :: v_dual_add_nc_u32 v112, -1, v112
	s_add_co_i32 s45, s45, 8
	s_wait_xcnt 0x0
	s_add_co_i32 s42, s42, 8
	ds_load_b64 v[116:117], v113
	v_cmp_eq_u32_e32 vcc_lo, 0, v112
	s_or_b32 s0, vcc_lo, s0
	s_wait_loadcnt_dscnt 0x0
	v_pk_mul_f32 v[118:119], v[116:117], v[114:115] op_sel:[1,1] op_sel_hi:[0,1]
	s_delay_alu instid0(VALU_DEP_1) | instskip(SKIP_1) | instid1(VALU_DEP_2)
	v_pk_fma_f32 v[120:121], v[116:117], v[114:115], v[118:119] op_sel_hi:[1,0,1]
	v_pk_fma_f32 v[114:115], v[116:117], v[114:115], v[118:119] neg_lo:[0,0,1] neg_hi:[0,0,1]
	v_mov_b32_e32 v115, v121
	s_delay_alu instid0(VALU_DEP_1)
	v_pk_add_f32 v[110:111], v[110:111], v[114:115]
	s_and_not1_b32 exec_lo, exec_lo, s0
	s_cbranch_execnz .LBB116_162
; %bb.163:
	s_or_b32 exec_lo, exec_lo, s0
.LBB116_164:
	s_delay_alu instid0(SALU_CYCLE_1) | instskip(SKIP_4) | instid1(VALU_DEP_1)
	s_or_b32 exec_lo, exec_lo, s44
	v_mov_b32_e32 v112, 0
	ds_load_b64 v[112:113], v112 offset:288
	s_wait_dscnt 0x0
	v_pk_mul_f32 v[114:115], v[110:111], v[112:113] op_sel:[1,1] op_sel_hi:[0,1]
	v_pk_fma_f32 v[116:117], v[110:111], v[112:113], v[114:115] op_sel_hi:[1,0,1]
	v_pk_fma_f32 v[110:111], v[110:111], v[112:113], v[114:115] neg_lo:[0,0,1] neg_hi:[0,0,1]
	s_delay_alu instid0(VALU_DEP_2)
	v_mov_b32_e32 v111, v117
	scratch_store_b64 off, v[110:111], off offset:288
.LBB116_165:
	s_wait_xcnt 0x0
	s_or_b32 exec_lo, exec_lo, s43
	scratch_load_b64 v[110:111], off, off offset:280
	v_cmp_lt_u32_e64 s0, 35, v0
	s_wait_loadcnt 0x0
	ds_store_b64 v1, v[110:111]
	s_wait_storecnt_dscnt 0x0
	s_barrier_signal -1
	s_barrier_wait -1
	s_wait_xcnt 0x0
	s_and_saveexec_b32 s42, s0
	s_cbranch_execz .LBB116_175
; %bb.166:
	s_and_not1_b32 vcc_lo, exec_lo, s5
	s_cbranch_vccnz .LBB116_168
; %bb.167:
	scratch_load_b64 v[110:111], v59, off
	ds_load_b64 v[112:113], v1
	s_wait_loadcnt_dscnt 0x0
	v_pk_mul_f32 v[114:115], v[112:113], v[110:111] op_sel:[1,1] op_sel_hi:[0,1]
	s_delay_alu instid0(VALU_DEP_1) | instskip(SKIP_1) | instid1(VALU_DEP_2)
	v_pk_fma_f32 v[116:117], v[112:113], v[110:111], v[114:115] op_sel_hi:[1,0,1]
	v_pk_fma_f32 v[110:111], v[112:113], v[110:111], v[114:115] neg_lo:[0,0,1] neg_hi:[0,0,1]
	v_mov_b32_e32 v111, v117
	s_cbranch_execz .LBB116_169
	s_branch .LBB116_170
.LBB116_168:
                                        ; implicit-def: $vgpr110_vgpr111
.LBB116_169:
	ds_load_b64 v[110:111], v1
.LBB116_170:
	s_and_saveexec_b32 s43, s1
	s_cbranch_execz .LBB116_174
; %bb.171:
	v_subrev_nc_u32_e32 v112, 36, v0
	s_movk_i32 s44, 0x2d0
	s_mov_b32 s1, 0
.LBB116_172:                            ; =>This Inner Loop Header: Depth=1
	scratch_load_b64 v[114:115], off, s41
	v_dual_mov_b32 v113, s44 :: v_dual_add_nc_u32 v112, -1, v112
	s_add_co_i32 s44, s44, 8
	s_wait_xcnt 0x0
	s_add_co_i32 s41, s41, 8
	ds_load_b64 v[116:117], v113
	v_cmp_eq_u32_e32 vcc_lo, 0, v112
	s_or_b32 s1, vcc_lo, s1
	s_wait_loadcnt_dscnt 0x0
	v_pk_mul_f32 v[118:119], v[116:117], v[114:115] op_sel:[1,1] op_sel_hi:[0,1]
	s_delay_alu instid0(VALU_DEP_1) | instskip(SKIP_1) | instid1(VALU_DEP_2)
	v_pk_fma_f32 v[120:121], v[116:117], v[114:115], v[118:119] op_sel_hi:[1,0,1]
	v_pk_fma_f32 v[114:115], v[116:117], v[114:115], v[118:119] neg_lo:[0,0,1] neg_hi:[0,0,1]
	v_mov_b32_e32 v115, v121
	s_delay_alu instid0(VALU_DEP_1)
	v_pk_add_f32 v[110:111], v[110:111], v[114:115]
	s_and_not1_b32 exec_lo, exec_lo, s1
	s_cbranch_execnz .LBB116_172
; %bb.173:
	s_or_b32 exec_lo, exec_lo, s1
.LBB116_174:
	s_delay_alu instid0(SALU_CYCLE_1) | instskip(SKIP_4) | instid1(VALU_DEP_1)
	s_or_b32 exec_lo, exec_lo, s43
	v_mov_b32_e32 v112, 0
	ds_load_b64 v[112:113], v112 offset:280
	s_wait_dscnt 0x0
	v_pk_mul_f32 v[114:115], v[110:111], v[112:113] op_sel:[1,1] op_sel_hi:[0,1]
	v_pk_fma_f32 v[116:117], v[110:111], v[112:113], v[114:115] op_sel_hi:[1,0,1]
	v_pk_fma_f32 v[110:111], v[110:111], v[112:113], v[114:115] neg_lo:[0,0,1] neg_hi:[0,0,1]
	s_delay_alu instid0(VALU_DEP_2)
	v_mov_b32_e32 v111, v117
	scratch_store_b64 off, v[110:111], off offset:280
.LBB116_175:
	s_wait_xcnt 0x0
	s_or_b32 exec_lo, exec_lo, s42
	scratch_load_b64 v[110:111], off, off offset:272
	v_cmp_lt_u32_e64 s1, 34, v0
	s_wait_loadcnt 0x0
	ds_store_b64 v1, v[110:111]
	s_wait_storecnt_dscnt 0x0
	s_barrier_signal -1
	s_barrier_wait -1
	s_wait_xcnt 0x0
	s_and_saveexec_b32 s41, s1
	s_cbranch_execz .LBB116_185
; %bb.176:
	s_and_not1_b32 vcc_lo, exec_lo, s5
	s_cbranch_vccnz .LBB116_178
; %bb.177:
	scratch_load_b64 v[110:111], v59, off
	ds_load_b64 v[112:113], v1
	s_wait_loadcnt_dscnt 0x0
	v_pk_mul_f32 v[114:115], v[112:113], v[110:111] op_sel:[1,1] op_sel_hi:[0,1]
	s_delay_alu instid0(VALU_DEP_1) | instskip(SKIP_1) | instid1(VALU_DEP_2)
	v_pk_fma_f32 v[116:117], v[112:113], v[110:111], v[114:115] op_sel_hi:[1,0,1]
	v_pk_fma_f32 v[110:111], v[112:113], v[110:111], v[114:115] neg_lo:[0,0,1] neg_hi:[0,0,1]
	v_mov_b32_e32 v111, v117
	s_cbranch_execz .LBB116_179
	s_branch .LBB116_180
.LBB116_178:
                                        ; implicit-def: $vgpr110_vgpr111
.LBB116_179:
	ds_load_b64 v[110:111], v1
.LBB116_180:
	s_and_saveexec_b32 s42, s0
	s_cbranch_execz .LBB116_184
; %bb.181:
	v_subrev_nc_u32_e32 v112, 35, v0
	s_movk_i32 s43, 0x2c8
	s_mov_b32 s0, 0
.LBB116_182:                            ; =>This Inner Loop Header: Depth=1
	scratch_load_b64 v[114:115], off, s40
	v_dual_mov_b32 v113, s43 :: v_dual_add_nc_u32 v112, -1, v112
	s_add_co_i32 s43, s43, 8
	s_wait_xcnt 0x0
	s_add_co_i32 s40, s40, 8
	ds_load_b64 v[116:117], v113
	v_cmp_eq_u32_e32 vcc_lo, 0, v112
	s_or_b32 s0, vcc_lo, s0
	s_wait_loadcnt_dscnt 0x0
	v_pk_mul_f32 v[118:119], v[116:117], v[114:115] op_sel:[1,1] op_sel_hi:[0,1]
	s_delay_alu instid0(VALU_DEP_1) | instskip(SKIP_1) | instid1(VALU_DEP_2)
	v_pk_fma_f32 v[120:121], v[116:117], v[114:115], v[118:119] op_sel_hi:[1,0,1]
	v_pk_fma_f32 v[114:115], v[116:117], v[114:115], v[118:119] neg_lo:[0,0,1] neg_hi:[0,0,1]
	v_mov_b32_e32 v115, v121
	s_delay_alu instid0(VALU_DEP_1)
	v_pk_add_f32 v[110:111], v[110:111], v[114:115]
	s_and_not1_b32 exec_lo, exec_lo, s0
	s_cbranch_execnz .LBB116_182
; %bb.183:
	s_or_b32 exec_lo, exec_lo, s0
.LBB116_184:
	s_delay_alu instid0(SALU_CYCLE_1) | instskip(SKIP_4) | instid1(VALU_DEP_1)
	s_or_b32 exec_lo, exec_lo, s42
	v_mov_b32_e32 v112, 0
	ds_load_b64 v[112:113], v112 offset:272
	s_wait_dscnt 0x0
	v_pk_mul_f32 v[114:115], v[110:111], v[112:113] op_sel:[1,1] op_sel_hi:[0,1]
	v_pk_fma_f32 v[116:117], v[110:111], v[112:113], v[114:115] op_sel_hi:[1,0,1]
	v_pk_fma_f32 v[110:111], v[110:111], v[112:113], v[114:115] neg_lo:[0,0,1] neg_hi:[0,0,1]
	s_delay_alu instid0(VALU_DEP_2)
	v_mov_b32_e32 v111, v117
	scratch_store_b64 off, v[110:111], off offset:272
.LBB116_185:
	s_wait_xcnt 0x0
	s_or_b32 exec_lo, exec_lo, s41
	scratch_load_b64 v[110:111], off, off offset:264
	v_cmp_lt_u32_e64 s0, 33, v0
	s_wait_loadcnt 0x0
	ds_store_b64 v1, v[110:111]
	s_wait_storecnt_dscnt 0x0
	s_barrier_signal -1
	s_barrier_wait -1
	s_wait_xcnt 0x0
	s_and_saveexec_b32 s40, s0
	s_cbranch_execz .LBB116_195
; %bb.186:
	s_and_not1_b32 vcc_lo, exec_lo, s5
	s_cbranch_vccnz .LBB116_188
; %bb.187:
	scratch_load_b64 v[110:111], v59, off
	ds_load_b64 v[112:113], v1
	s_wait_loadcnt_dscnt 0x0
	v_pk_mul_f32 v[114:115], v[112:113], v[110:111] op_sel:[1,1] op_sel_hi:[0,1]
	s_delay_alu instid0(VALU_DEP_1) | instskip(SKIP_1) | instid1(VALU_DEP_2)
	v_pk_fma_f32 v[116:117], v[112:113], v[110:111], v[114:115] op_sel_hi:[1,0,1]
	v_pk_fma_f32 v[110:111], v[112:113], v[110:111], v[114:115] neg_lo:[0,0,1] neg_hi:[0,0,1]
	v_mov_b32_e32 v111, v117
	s_cbranch_execz .LBB116_189
	s_branch .LBB116_190
.LBB116_188:
                                        ; implicit-def: $vgpr110_vgpr111
.LBB116_189:
	ds_load_b64 v[110:111], v1
.LBB116_190:
	s_and_saveexec_b32 s41, s1
	s_cbranch_execz .LBB116_194
; %bb.191:
	v_subrev_nc_u32_e32 v112, 34, v0
	s_movk_i32 s42, 0x2c0
	s_mov_b32 s1, 0
.LBB116_192:                            ; =>This Inner Loop Header: Depth=1
	scratch_load_b64 v[114:115], off, s39
	v_dual_mov_b32 v113, s42 :: v_dual_add_nc_u32 v112, -1, v112
	s_add_co_i32 s42, s42, 8
	s_wait_xcnt 0x0
	s_add_co_i32 s39, s39, 8
	ds_load_b64 v[116:117], v113
	v_cmp_eq_u32_e32 vcc_lo, 0, v112
	s_or_b32 s1, vcc_lo, s1
	s_wait_loadcnt_dscnt 0x0
	v_pk_mul_f32 v[118:119], v[116:117], v[114:115] op_sel:[1,1] op_sel_hi:[0,1]
	s_delay_alu instid0(VALU_DEP_1) | instskip(SKIP_1) | instid1(VALU_DEP_2)
	v_pk_fma_f32 v[120:121], v[116:117], v[114:115], v[118:119] op_sel_hi:[1,0,1]
	v_pk_fma_f32 v[114:115], v[116:117], v[114:115], v[118:119] neg_lo:[0,0,1] neg_hi:[0,0,1]
	v_mov_b32_e32 v115, v121
	s_delay_alu instid0(VALU_DEP_1)
	v_pk_add_f32 v[110:111], v[110:111], v[114:115]
	s_and_not1_b32 exec_lo, exec_lo, s1
	s_cbranch_execnz .LBB116_192
; %bb.193:
	s_or_b32 exec_lo, exec_lo, s1
.LBB116_194:
	s_delay_alu instid0(SALU_CYCLE_1) | instskip(SKIP_4) | instid1(VALU_DEP_1)
	s_or_b32 exec_lo, exec_lo, s41
	v_mov_b32_e32 v112, 0
	ds_load_b64 v[112:113], v112 offset:264
	s_wait_dscnt 0x0
	v_pk_mul_f32 v[114:115], v[110:111], v[112:113] op_sel:[1,1] op_sel_hi:[0,1]
	v_pk_fma_f32 v[116:117], v[110:111], v[112:113], v[114:115] op_sel_hi:[1,0,1]
	v_pk_fma_f32 v[110:111], v[110:111], v[112:113], v[114:115] neg_lo:[0,0,1] neg_hi:[0,0,1]
	s_delay_alu instid0(VALU_DEP_2)
	v_mov_b32_e32 v111, v117
	scratch_store_b64 off, v[110:111], off offset:264
.LBB116_195:
	s_wait_xcnt 0x0
	s_or_b32 exec_lo, exec_lo, s40
	scratch_load_b64 v[110:111], off, off offset:256
	v_cmp_lt_u32_e64 s1, 32, v0
	s_wait_loadcnt 0x0
	ds_store_b64 v1, v[110:111]
	s_wait_storecnt_dscnt 0x0
	s_barrier_signal -1
	s_barrier_wait -1
	s_wait_xcnt 0x0
	s_and_saveexec_b32 s39, s1
	s_cbranch_execz .LBB116_205
; %bb.196:
	s_and_not1_b32 vcc_lo, exec_lo, s5
	s_cbranch_vccnz .LBB116_198
; %bb.197:
	scratch_load_b64 v[110:111], v59, off
	ds_load_b64 v[112:113], v1
	s_wait_loadcnt_dscnt 0x0
	v_pk_mul_f32 v[114:115], v[112:113], v[110:111] op_sel:[1,1] op_sel_hi:[0,1]
	s_delay_alu instid0(VALU_DEP_1) | instskip(SKIP_1) | instid1(VALU_DEP_2)
	v_pk_fma_f32 v[116:117], v[112:113], v[110:111], v[114:115] op_sel_hi:[1,0,1]
	v_pk_fma_f32 v[110:111], v[112:113], v[110:111], v[114:115] neg_lo:[0,0,1] neg_hi:[0,0,1]
	v_mov_b32_e32 v111, v117
	s_cbranch_execz .LBB116_199
	s_branch .LBB116_200
.LBB116_198:
                                        ; implicit-def: $vgpr110_vgpr111
.LBB116_199:
	ds_load_b64 v[110:111], v1
.LBB116_200:
	s_and_saveexec_b32 s40, s0
	s_cbranch_execz .LBB116_204
; %bb.201:
	v_subrev_nc_u32_e32 v112, 33, v0
	s_movk_i32 s41, 0x2b8
	s_mov_b32 s0, 0
.LBB116_202:                            ; =>This Inner Loop Header: Depth=1
	scratch_load_b64 v[114:115], off, s38
	v_dual_mov_b32 v113, s41 :: v_dual_add_nc_u32 v112, -1, v112
	s_add_co_i32 s41, s41, 8
	s_wait_xcnt 0x0
	s_add_co_i32 s38, s38, 8
	ds_load_b64 v[116:117], v113
	v_cmp_eq_u32_e32 vcc_lo, 0, v112
	s_or_b32 s0, vcc_lo, s0
	s_wait_loadcnt_dscnt 0x0
	v_pk_mul_f32 v[118:119], v[116:117], v[114:115] op_sel:[1,1] op_sel_hi:[0,1]
	s_delay_alu instid0(VALU_DEP_1) | instskip(SKIP_1) | instid1(VALU_DEP_2)
	v_pk_fma_f32 v[120:121], v[116:117], v[114:115], v[118:119] op_sel_hi:[1,0,1]
	v_pk_fma_f32 v[114:115], v[116:117], v[114:115], v[118:119] neg_lo:[0,0,1] neg_hi:[0,0,1]
	v_mov_b32_e32 v115, v121
	s_delay_alu instid0(VALU_DEP_1)
	v_pk_add_f32 v[110:111], v[110:111], v[114:115]
	s_and_not1_b32 exec_lo, exec_lo, s0
	s_cbranch_execnz .LBB116_202
; %bb.203:
	s_or_b32 exec_lo, exec_lo, s0
.LBB116_204:
	s_delay_alu instid0(SALU_CYCLE_1) | instskip(SKIP_4) | instid1(VALU_DEP_1)
	s_or_b32 exec_lo, exec_lo, s40
	v_mov_b32_e32 v112, 0
	ds_load_b64 v[112:113], v112 offset:256
	s_wait_dscnt 0x0
	v_pk_mul_f32 v[114:115], v[110:111], v[112:113] op_sel:[1,1] op_sel_hi:[0,1]
	v_pk_fma_f32 v[116:117], v[110:111], v[112:113], v[114:115] op_sel_hi:[1,0,1]
	v_pk_fma_f32 v[110:111], v[110:111], v[112:113], v[114:115] neg_lo:[0,0,1] neg_hi:[0,0,1]
	s_delay_alu instid0(VALU_DEP_2)
	v_mov_b32_e32 v111, v117
	scratch_store_b64 off, v[110:111], off offset:256
.LBB116_205:
	s_wait_xcnt 0x0
	s_or_b32 exec_lo, exec_lo, s39
	scratch_load_b64 v[110:111], off, off offset:248
	v_cmp_lt_u32_e64 s0, 31, v0
	s_wait_loadcnt 0x0
	ds_store_b64 v1, v[110:111]
	s_wait_storecnt_dscnt 0x0
	s_barrier_signal -1
	s_barrier_wait -1
	s_wait_xcnt 0x0
	s_and_saveexec_b32 s38, s0
	s_cbranch_execz .LBB116_215
; %bb.206:
	s_and_not1_b32 vcc_lo, exec_lo, s5
	s_cbranch_vccnz .LBB116_208
; %bb.207:
	scratch_load_b64 v[110:111], v59, off
	ds_load_b64 v[112:113], v1
	s_wait_loadcnt_dscnt 0x0
	v_pk_mul_f32 v[114:115], v[112:113], v[110:111] op_sel:[1,1] op_sel_hi:[0,1]
	s_delay_alu instid0(VALU_DEP_1) | instskip(SKIP_1) | instid1(VALU_DEP_2)
	v_pk_fma_f32 v[116:117], v[112:113], v[110:111], v[114:115] op_sel_hi:[1,0,1]
	v_pk_fma_f32 v[110:111], v[112:113], v[110:111], v[114:115] neg_lo:[0,0,1] neg_hi:[0,0,1]
	v_mov_b32_e32 v111, v117
	s_cbranch_execz .LBB116_209
	s_branch .LBB116_210
.LBB116_208:
                                        ; implicit-def: $vgpr110_vgpr111
.LBB116_209:
	ds_load_b64 v[110:111], v1
.LBB116_210:
	s_and_saveexec_b32 s39, s1
	s_cbranch_execz .LBB116_214
; %bb.211:
	v_subrev_nc_u32_e32 v112, 32, v0
	s_movk_i32 s40, 0x2b0
	s_mov_b32 s1, 0
.LBB116_212:                            ; =>This Inner Loop Header: Depth=1
	scratch_load_b64 v[114:115], off, s37
	v_dual_mov_b32 v113, s40 :: v_dual_add_nc_u32 v112, -1, v112
	s_add_co_i32 s40, s40, 8
	s_wait_xcnt 0x0
	s_add_co_i32 s37, s37, 8
	ds_load_b64 v[116:117], v113
	v_cmp_eq_u32_e32 vcc_lo, 0, v112
	s_or_b32 s1, vcc_lo, s1
	s_wait_loadcnt_dscnt 0x0
	v_pk_mul_f32 v[118:119], v[116:117], v[114:115] op_sel:[1,1] op_sel_hi:[0,1]
	s_delay_alu instid0(VALU_DEP_1) | instskip(SKIP_1) | instid1(VALU_DEP_2)
	v_pk_fma_f32 v[120:121], v[116:117], v[114:115], v[118:119] op_sel_hi:[1,0,1]
	v_pk_fma_f32 v[114:115], v[116:117], v[114:115], v[118:119] neg_lo:[0,0,1] neg_hi:[0,0,1]
	v_mov_b32_e32 v115, v121
	s_delay_alu instid0(VALU_DEP_1)
	v_pk_add_f32 v[110:111], v[110:111], v[114:115]
	s_and_not1_b32 exec_lo, exec_lo, s1
	s_cbranch_execnz .LBB116_212
; %bb.213:
	s_or_b32 exec_lo, exec_lo, s1
.LBB116_214:
	s_delay_alu instid0(SALU_CYCLE_1) | instskip(SKIP_4) | instid1(VALU_DEP_1)
	s_or_b32 exec_lo, exec_lo, s39
	v_mov_b32_e32 v112, 0
	ds_load_b64 v[112:113], v112 offset:248
	s_wait_dscnt 0x0
	v_pk_mul_f32 v[114:115], v[110:111], v[112:113] op_sel:[1,1] op_sel_hi:[0,1]
	v_pk_fma_f32 v[116:117], v[110:111], v[112:113], v[114:115] op_sel_hi:[1,0,1]
	v_pk_fma_f32 v[110:111], v[110:111], v[112:113], v[114:115] neg_lo:[0,0,1] neg_hi:[0,0,1]
	s_delay_alu instid0(VALU_DEP_2)
	v_mov_b32_e32 v111, v117
	scratch_store_b64 off, v[110:111], off offset:248
.LBB116_215:
	s_wait_xcnt 0x0
	s_or_b32 exec_lo, exec_lo, s38
	scratch_load_b64 v[110:111], off, off offset:240
	v_cmp_lt_u32_e64 s1, 30, v0
	s_wait_loadcnt 0x0
	ds_store_b64 v1, v[110:111]
	s_wait_storecnt_dscnt 0x0
	s_barrier_signal -1
	s_barrier_wait -1
	s_wait_xcnt 0x0
	s_and_saveexec_b32 s37, s1
	s_cbranch_execz .LBB116_225
; %bb.216:
	s_and_not1_b32 vcc_lo, exec_lo, s5
	s_cbranch_vccnz .LBB116_218
; %bb.217:
	scratch_load_b64 v[110:111], v59, off
	ds_load_b64 v[112:113], v1
	s_wait_loadcnt_dscnt 0x0
	v_pk_mul_f32 v[114:115], v[112:113], v[110:111] op_sel:[1,1] op_sel_hi:[0,1]
	s_delay_alu instid0(VALU_DEP_1) | instskip(SKIP_1) | instid1(VALU_DEP_2)
	v_pk_fma_f32 v[116:117], v[112:113], v[110:111], v[114:115] op_sel_hi:[1,0,1]
	v_pk_fma_f32 v[110:111], v[112:113], v[110:111], v[114:115] neg_lo:[0,0,1] neg_hi:[0,0,1]
	v_mov_b32_e32 v111, v117
	s_cbranch_execz .LBB116_219
	s_branch .LBB116_220
.LBB116_218:
                                        ; implicit-def: $vgpr110_vgpr111
.LBB116_219:
	ds_load_b64 v[110:111], v1
.LBB116_220:
	s_and_saveexec_b32 s38, s0
	s_cbranch_execz .LBB116_224
; %bb.221:
	v_subrev_nc_u32_e32 v112, 31, v0
	s_movk_i32 s39, 0x2a8
	s_mov_b32 s0, 0
.LBB116_222:                            ; =>This Inner Loop Header: Depth=1
	scratch_load_b64 v[114:115], off, s36
	v_dual_mov_b32 v113, s39 :: v_dual_add_nc_u32 v112, -1, v112
	s_add_co_i32 s39, s39, 8
	s_wait_xcnt 0x0
	s_add_co_i32 s36, s36, 8
	ds_load_b64 v[116:117], v113
	v_cmp_eq_u32_e32 vcc_lo, 0, v112
	s_or_b32 s0, vcc_lo, s0
	s_wait_loadcnt_dscnt 0x0
	v_pk_mul_f32 v[118:119], v[116:117], v[114:115] op_sel:[1,1] op_sel_hi:[0,1]
	s_delay_alu instid0(VALU_DEP_1) | instskip(SKIP_1) | instid1(VALU_DEP_2)
	v_pk_fma_f32 v[120:121], v[116:117], v[114:115], v[118:119] op_sel_hi:[1,0,1]
	v_pk_fma_f32 v[114:115], v[116:117], v[114:115], v[118:119] neg_lo:[0,0,1] neg_hi:[0,0,1]
	v_mov_b32_e32 v115, v121
	s_delay_alu instid0(VALU_DEP_1)
	v_pk_add_f32 v[110:111], v[110:111], v[114:115]
	s_and_not1_b32 exec_lo, exec_lo, s0
	s_cbranch_execnz .LBB116_222
; %bb.223:
	s_or_b32 exec_lo, exec_lo, s0
.LBB116_224:
	s_delay_alu instid0(SALU_CYCLE_1) | instskip(SKIP_4) | instid1(VALU_DEP_1)
	s_or_b32 exec_lo, exec_lo, s38
	v_mov_b32_e32 v112, 0
	ds_load_b64 v[112:113], v112 offset:240
	s_wait_dscnt 0x0
	v_pk_mul_f32 v[114:115], v[110:111], v[112:113] op_sel:[1,1] op_sel_hi:[0,1]
	v_pk_fma_f32 v[116:117], v[110:111], v[112:113], v[114:115] op_sel_hi:[1,0,1]
	v_pk_fma_f32 v[110:111], v[110:111], v[112:113], v[114:115] neg_lo:[0,0,1] neg_hi:[0,0,1]
	s_delay_alu instid0(VALU_DEP_2)
	v_mov_b32_e32 v111, v117
	scratch_store_b64 off, v[110:111], off offset:240
.LBB116_225:
	s_wait_xcnt 0x0
	s_or_b32 exec_lo, exec_lo, s37
	scratch_load_b64 v[110:111], off, off offset:232
	v_cmp_lt_u32_e64 s0, 29, v0
	s_wait_loadcnt 0x0
	ds_store_b64 v1, v[110:111]
	s_wait_storecnt_dscnt 0x0
	s_barrier_signal -1
	s_barrier_wait -1
	s_wait_xcnt 0x0
	s_and_saveexec_b32 s36, s0
	s_cbranch_execz .LBB116_235
; %bb.226:
	s_and_not1_b32 vcc_lo, exec_lo, s5
	s_cbranch_vccnz .LBB116_228
; %bb.227:
	scratch_load_b64 v[110:111], v59, off
	ds_load_b64 v[112:113], v1
	s_wait_loadcnt_dscnt 0x0
	v_pk_mul_f32 v[114:115], v[112:113], v[110:111] op_sel:[1,1] op_sel_hi:[0,1]
	s_delay_alu instid0(VALU_DEP_1) | instskip(SKIP_1) | instid1(VALU_DEP_2)
	v_pk_fma_f32 v[116:117], v[112:113], v[110:111], v[114:115] op_sel_hi:[1,0,1]
	v_pk_fma_f32 v[110:111], v[112:113], v[110:111], v[114:115] neg_lo:[0,0,1] neg_hi:[0,0,1]
	v_mov_b32_e32 v111, v117
	s_cbranch_execz .LBB116_229
	s_branch .LBB116_230
.LBB116_228:
                                        ; implicit-def: $vgpr110_vgpr111
.LBB116_229:
	ds_load_b64 v[110:111], v1
.LBB116_230:
	s_and_saveexec_b32 s37, s1
	s_cbranch_execz .LBB116_234
; %bb.231:
	v_subrev_nc_u32_e32 v112, 30, v0
	s_movk_i32 s38, 0x2a0
	s_mov_b32 s1, 0
.LBB116_232:                            ; =>This Inner Loop Header: Depth=1
	scratch_load_b64 v[114:115], off, s35
	v_dual_mov_b32 v113, s38 :: v_dual_add_nc_u32 v112, -1, v112
	s_add_co_i32 s38, s38, 8
	s_wait_xcnt 0x0
	s_add_co_i32 s35, s35, 8
	ds_load_b64 v[116:117], v113
	v_cmp_eq_u32_e32 vcc_lo, 0, v112
	s_or_b32 s1, vcc_lo, s1
	s_wait_loadcnt_dscnt 0x0
	v_pk_mul_f32 v[118:119], v[116:117], v[114:115] op_sel:[1,1] op_sel_hi:[0,1]
	s_delay_alu instid0(VALU_DEP_1) | instskip(SKIP_1) | instid1(VALU_DEP_2)
	v_pk_fma_f32 v[120:121], v[116:117], v[114:115], v[118:119] op_sel_hi:[1,0,1]
	v_pk_fma_f32 v[114:115], v[116:117], v[114:115], v[118:119] neg_lo:[0,0,1] neg_hi:[0,0,1]
	v_mov_b32_e32 v115, v121
	s_delay_alu instid0(VALU_DEP_1)
	v_pk_add_f32 v[110:111], v[110:111], v[114:115]
	s_and_not1_b32 exec_lo, exec_lo, s1
	s_cbranch_execnz .LBB116_232
; %bb.233:
	s_or_b32 exec_lo, exec_lo, s1
.LBB116_234:
	s_delay_alu instid0(SALU_CYCLE_1) | instskip(SKIP_4) | instid1(VALU_DEP_1)
	s_or_b32 exec_lo, exec_lo, s37
	v_mov_b32_e32 v112, 0
	ds_load_b64 v[112:113], v112 offset:232
	s_wait_dscnt 0x0
	v_pk_mul_f32 v[114:115], v[110:111], v[112:113] op_sel:[1,1] op_sel_hi:[0,1]
	v_pk_fma_f32 v[116:117], v[110:111], v[112:113], v[114:115] op_sel_hi:[1,0,1]
	v_pk_fma_f32 v[110:111], v[110:111], v[112:113], v[114:115] neg_lo:[0,0,1] neg_hi:[0,0,1]
	s_delay_alu instid0(VALU_DEP_2)
	v_mov_b32_e32 v111, v117
	scratch_store_b64 off, v[110:111], off offset:232
.LBB116_235:
	s_wait_xcnt 0x0
	s_or_b32 exec_lo, exec_lo, s36
	scratch_load_b64 v[110:111], off, off offset:224
	v_cmp_lt_u32_e64 s1, 28, v0
	s_wait_loadcnt 0x0
	ds_store_b64 v1, v[110:111]
	s_wait_storecnt_dscnt 0x0
	s_barrier_signal -1
	s_barrier_wait -1
	s_wait_xcnt 0x0
	s_and_saveexec_b32 s35, s1
	s_cbranch_execz .LBB116_245
; %bb.236:
	s_and_not1_b32 vcc_lo, exec_lo, s5
	s_cbranch_vccnz .LBB116_238
; %bb.237:
	scratch_load_b64 v[110:111], v59, off
	ds_load_b64 v[112:113], v1
	s_wait_loadcnt_dscnt 0x0
	v_pk_mul_f32 v[114:115], v[112:113], v[110:111] op_sel:[1,1] op_sel_hi:[0,1]
	s_delay_alu instid0(VALU_DEP_1) | instskip(SKIP_1) | instid1(VALU_DEP_2)
	v_pk_fma_f32 v[116:117], v[112:113], v[110:111], v[114:115] op_sel_hi:[1,0,1]
	v_pk_fma_f32 v[110:111], v[112:113], v[110:111], v[114:115] neg_lo:[0,0,1] neg_hi:[0,0,1]
	v_mov_b32_e32 v111, v117
	s_cbranch_execz .LBB116_239
	s_branch .LBB116_240
.LBB116_238:
                                        ; implicit-def: $vgpr110_vgpr111
.LBB116_239:
	ds_load_b64 v[110:111], v1
.LBB116_240:
	s_and_saveexec_b32 s36, s0
	s_cbranch_execz .LBB116_244
; %bb.241:
	v_subrev_nc_u32_e32 v112, 29, v0
	s_movk_i32 s37, 0x298
	s_mov_b32 s0, 0
.LBB116_242:                            ; =>This Inner Loop Header: Depth=1
	scratch_load_b64 v[114:115], off, s34
	v_dual_mov_b32 v113, s37 :: v_dual_add_nc_u32 v112, -1, v112
	s_add_co_i32 s37, s37, 8
	s_wait_xcnt 0x0
	s_add_co_i32 s34, s34, 8
	ds_load_b64 v[116:117], v113
	v_cmp_eq_u32_e32 vcc_lo, 0, v112
	s_or_b32 s0, vcc_lo, s0
	s_wait_loadcnt_dscnt 0x0
	v_pk_mul_f32 v[118:119], v[116:117], v[114:115] op_sel:[1,1] op_sel_hi:[0,1]
	s_delay_alu instid0(VALU_DEP_1) | instskip(SKIP_1) | instid1(VALU_DEP_2)
	v_pk_fma_f32 v[120:121], v[116:117], v[114:115], v[118:119] op_sel_hi:[1,0,1]
	v_pk_fma_f32 v[114:115], v[116:117], v[114:115], v[118:119] neg_lo:[0,0,1] neg_hi:[0,0,1]
	v_mov_b32_e32 v115, v121
	s_delay_alu instid0(VALU_DEP_1)
	v_pk_add_f32 v[110:111], v[110:111], v[114:115]
	s_and_not1_b32 exec_lo, exec_lo, s0
	s_cbranch_execnz .LBB116_242
; %bb.243:
	s_or_b32 exec_lo, exec_lo, s0
.LBB116_244:
	s_delay_alu instid0(SALU_CYCLE_1) | instskip(SKIP_4) | instid1(VALU_DEP_1)
	s_or_b32 exec_lo, exec_lo, s36
	v_mov_b32_e32 v112, 0
	ds_load_b64 v[112:113], v112 offset:224
	s_wait_dscnt 0x0
	v_pk_mul_f32 v[114:115], v[110:111], v[112:113] op_sel:[1,1] op_sel_hi:[0,1]
	v_pk_fma_f32 v[116:117], v[110:111], v[112:113], v[114:115] op_sel_hi:[1,0,1]
	v_pk_fma_f32 v[110:111], v[110:111], v[112:113], v[114:115] neg_lo:[0,0,1] neg_hi:[0,0,1]
	s_delay_alu instid0(VALU_DEP_2)
	v_mov_b32_e32 v111, v117
	scratch_store_b64 off, v[110:111], off offset:224
.LBB116_245:
	s_wait_xcnt 0x0
	s_or_b32 exec_lo, exec_lo, s35
	scratch_load_b64 v[110:111], off, off offset:216
	v_cmp_lt_u32_e64 s0, 27, v0
	s_wait_loadcnt 0x0
	ds_store_b64 v1, v[110:111]
	s_wait_storecnt_dscnt 0x0
	s_barrier_signal -1
	s_barrier_wait -1
	s_wait_xcnt 0x0
	s_and_saveexec_b32 s34, s0
	s_cbranch_execz .LBB116_255
; %bb.246:
	s_and_not1_b32 vcc_lo, exec_lo, s5
	s_cbranch_vccnz .LBB116_248
; %bb.247:
	scratch_load_b64 v[110:111], v59, off
	ds_load_b64 v[112:113], v1
	s_wait_loadcnt_dscnt 0x0
	v_pk_mul_f32 v[114:115], v[112:113], v[110:111] op_sel:[1,1] op_sel_hi:[0,1]
	s_delay_alu instid0(VALU_DEP_1) | instskip(SKIP_1) | instid1(VALU_DEP_2)
	v_pk_fma_f32 v[116:117], v[112:113], v[110:111], v[114:115] op_sel_hi:[1,0,1]
	v_pk_fma_f32 v[110:111], v[112:113], v[110:111], v[114:115] neg_lo:[0,0,1] neg_hi:[0,0,1]
	v_mov_b32_e32 v111, v117
	s_cbranch_execz .LBB116_249
	s_branch .LBB116_250
.LBB116_248:
                                        ; implicit-def: $vgpr110_vgpr111
.LBB116_249:
	ds_load_b64 v[110:111], v1
.LBB116_250:
	s_and_saveexec_b32 s35, s1
	s_cbranch_execz .LBB116_254
; %bb.251:
	v_subrev_nc_u32_e32 v112, 28, v0
	s_movk_i32 s36, 0x290
	s_mov_b32 s1, 0
.LBB116_252:                            ; =>This Inner Loop Header: Depth=1
	scratch_load_b64 v[114:115], off, s33
	v_dual_mov_b32 v113, s36 :: v_dual_add_nc_u32 v112, -1, v112
	s_add_co_i32 s36, s36, 8
	s_wait_xcnt 0x0
	s_add_co_i32 s33, s33, 8
	ds_load_b64 v[116:117], v113
	v_cmp_eq_u32_e32 vcc_lo, 0, v112
	s_or_b32 s1, vcc_lo, s1
	s_wait_loadcnt_dscnt 0x0
	v_pk_mul_f32 v[118:119], v[116:117], v[114:115] op_sel:[1,1] op_sel_hi:[0,1]
	s_delay_alu instid0(VALU_DEP_1) | instskip(SKIP_1) | instid1(VALU_DEP_2)
	v_pk_fma_f32 v[120:121], v[116:117], v[114:115], v[118:119] op_sel_hi:[1,0,1]
	v_pk_fma_f32 v[114:115], v[116:117], v[114:115], v[118:119] neg_lo:[0,0,1] neg_hi:[0,0,1]
	v_mov_b32_e32 v115, v121
	s_delay_alu instid0(VALU_DEP_1)
	v_pk_add_f32 v[110:111], v[110:111], v[114:115]
	s_and_not1_b32 exec_lo, exec_lo, s1
	s_cbranch_execnz .LBB116_252
; %bb.253:
	s_or_b32 exec_lo, exec_lo, s1
.LBB116_254:
	s_delay_alu instid0(SALU_CYCLE_1) | instskip(SKIP_4) | instid1(VALU_DEP_1)
	s_or_b32 exec_lo, exec_lo, s35
	v_mov_b32_e32 v112, 0
	ds_load_b64 v[112:113], v112 offset:216
	s_wait_dscnt 0x0
	v_pk_mul_f32 v[114:115], v[110:111], v[112:113] op_sel:[1,1] op_sel_hi:[0,1]
	v_pk_fma_f32 v[116:117], v[110:111], v[112:113], v[114:115] op_sel_hi:[1,0,1]
	v_pk_fma_f32 v[110:111], v[110:111], v[112:113], v[114:115] neg_lo:[0,0,1] neg_hi:[0,0,1]
	s_delay_alu instid0(VALU_DEP_2)
	v_mov_b32_e32 v111, v117
	scratch_store_b64 off, v[110:111], off offset:216
.LBB116_255:
	s_wait_xcnt 0x0
	s_or_b32 exec_lo, exec_lo, s34
	scratch_load_b64 v[110:111], off, off offset:208
	v_cmp_lt_u32_e64 s1, 26, v0
	s_wait_loadcnt 0x0
	ds_store_b64 v1, v[110:111]
	s_wait_storecnt_dscnt 0x0
	s_barrier_signal -1
	s_barrier_wait -1
	s_wait_xcnt 0x0
	s_and_saveexec_b32 s33, s1
	s_cbranch_execz .LBB116_265
; %bb.256:
	s_and_not1_b32 vcc_lo, exec_lo, s5
	s_cbranch_vccnz .LBB116_258
; %bb.257:
	scratch_load_b64 v[110:111], v59, off
	ds_load_b64 v[112:113], v1
	s_wait_loadcnt_dscnt 0x0
	v_pk_mul_f32 v[114:115], v[112:113], v[110:111] op_sel:[1,1] op_sel_hi:[0,1]
	s_delay_alu instid0(VALU_DEP_1) | instskip(SKIP_1) | instid1(VALU_DEP_2)
	v_pk_fma_f32 v[116:117], v[112:113], v[110:111], v[114:115] op_sel_hi:[1,0,1]
	v_pk_fma_f32 v[110:111], v[112:113], v[110:111], v[114:115] neg_lo:[0,0,1] neg_hi:[0,0,1]
	v_mov_b32_e32 v111, v117
	s_cbranch_execz .LBB116_259
	s_branch .LBB116_260
.LBB116_258:
                                        ; implicit-def: $vgpr110_vgpr111
.LBB116_259:
	ds_load_b64 v[110:111], v1
.LBB116_260:
	s_and_saveexec_b32 s34, s0
	s_cbranch_execz .LBB116_264
; %bb.261:
	v_subrev_nc_u32_e32 v112, 27, v0
	s_movk_i32 s35, 0x288
	s_mov_b32 s0, 0
.LBB116_262:                            ; =>This Inner Loop Header: Depth=1
	scratch_load_b64 v[114:115], off, s31
	v_dual_mov_b32 v113, s35 :: v_dual_add_nc_u32 v112, -1, v112
	s_add_co_i32 s35, s35, 8
	s_wait_xcnt 0x0
	s_add_co_i32 s31, s31, 8
	ds_load_b64 v[116:117], v113
	v_cmp_eq_u32_e32 vcc_lo, 0, v112
	s_or_b32 s0, vcc_lo, s0
	s_wait_loadcnt_dscnt 0x0
	v_pk_mul_f32 v[118:119], v[116:117], v[114:115] op_sel:[1,1] op_sel_hi:[0,1]
	s_delay_alu instid0(VALU_DEP_1) | instskip(SKIP_1) | instid1(VALU_DEP_2)
	v_pk_fma_f32 v[120:121], v[116:117], v[114:115], v[118:119] op_sel_hi:[1,0,1]
	v_pk_fma_f32 v[114:115], v[116:117], v[114:115], v[118:119] neg_lo:[0,0,1] neg_hi:[0,0,1]
	v_mov_b32_e32 v115, v121
	s_delay_alu instid0(VALU_DEP_1)
	v_pk_add_f32 v[110:111], v[110:111], v[114:115]
	s_and_not1_b32 exec_lo, exec_lo, s0
	s_cbranch_execnz .LBB116_262
; %bb.263:
	s_or_b32 exec_lo, exec_lo, s0
.LBB116_264:
	s_delay_alu instid0(SALU_CYCLE_1) | instskip(SKIP_4) | instid1(VALU_DEP_1)
	s_or_b32 exec_lo, exec_lo, s34
	v_mov_b32_e32 v112, 0
	ds_load_b64 v[112:113], v112 offset:208
	s_wait_dscnt 0x0
	v_pk_mul_f32 v[114:115], v[110:111], v[112:113] op_sel:[1,1] op_sel_hi:[0,1]
	v_pk_fma_f32 v[116:117], v[110:111], v[112:113], v[114:115] op_sel_hi:[1,0,1]
	v_pk_fma_f32 v[110:111], v[110:111], v[112:113], v[114:115] neg_lo:[0,0,1] neg_hi:[0,0,1]
	s_delay_alu instid0(VALU_DEP_2)
	v_mov_b32_e32 v111, v117
	scratch_store_b64 off, v[110:111], off offset:208
.LBB116_265:
	s_wait_xcnt 0x0
	s_or_b32 exec_lo, exec_lo, s33
	scratch_load_b64 v[110:111], off, off offset:200
	v_cmp_lt_u32_e64 s0, 25, v0
	s_wait_loadcnt 0x0
	ds_store_b64 v1, v[110:111]
	s_wait_storecnt_dscnt 0x0
	s_barrier_signal -1
	s_barrier_wait -1
	s_wait_xcnt 0x0
	s_and_saveexec_b32 s31, s0
	s_cbranch_execz .LBB116_275
; %bb.266:
	s_and_not1_b32 vcc_lo, exec_lo, s5
	s_cbranch_vccnz .LBB116_268
; %bb.267:
	scratch_load_b64 v[110:111], v59, off
	ds_load_b64 v[112:113], v1
	s_wait_loadcnt_dscnt 0x0
	v_pk_mul_f32 v[114:115], v[112:113], v[110:111] op_sel:[1,1] op_sel_hi:[0,1]
	s_delay_alu instid0(VALU_DEP_1) | instskip(SKIP_1) | instid1(VALU_DEP_2)
	v_pk_fma_f32 v[116:117], v[112:113], v[110:111], v[114:115] op_sel_hi:[1,0,1]
	v_pk_fma_f32 v[110:111], v[112:113], v[110:111], v[114:115] neg_lo:[0,0,1] neg_hi:[0,0,1]
	v_mov_b32_e32 v111, v117
	s_cbranch_execz .LBB116_269
	s_branch .LBB116_270
.LBB116_268:
                                        ; implicit-def: $vgpr110_vgpr111
.LBB116_269:
	ds_load_b64 v[110:111], v1
.LBB116_270:
	s_and_saveexec_b32 s33, s1
	s_cbranch_execz .LBB116_274
; %bb.271:
	v_subrev_nc_u32_e32 v112, 26, v0
	s_movk_i32 s34, 0x280
	s_mov_b32 s1, 0
.LBB116_272:                            ; =>This Inner Loop Header: Depth=1
	scratch_load_b64 v[114:115], off, s30
	v_dual_mov_b32 v113, s34 :: v_dual_add_nc_u32 v112, -1, v112
	s_add_co_i32 s34, s34, 8
	s_wait_xcnt 0x0
	s_add_co_i32 s30, s30, 8
	ds_load_b64 v[116:117], v113
	v_cmp_eq_u32_e32 vcc_lo, 0, v112
	s_or_b32 s1, vcc_lo, s1
	s_wait_loadcnt_dscnt 0x0
	v_pk_mul_f32 v[118:119], v[116:117], v[114:115] op_sel:[1,1] op_sel_hi:[0,1]
	s_delay_alu instid0(VALU_DEP_1) | instskip(SKIP_1) | instid1(VALU_DEP_2)
	v_pk_fma_f32 v[120:121], v[116:117], v[114:115], v[118:119] op_sel_hi:[1,0,1]
	v_pk_fma_f32 v[114:115], v[116:117], v[114:115], v[118:119] neg_lo:[0,0,1] neg_hi:[0,0,1]
	v_mov_b32_e32 v115, v121
	s_delay_alu instid0(VALU_DEP_1)
	v_pk_add_f32 v[110:111], v[110:111], v[114:115]
	s_and_not1_b32 exec_lo, exec_lo, s1
	s_cbranch_execnz .LBB116_272
; %bb.273:
	s_or_b32 exec_lo, exec_lo, s1
.LBB116_274:
	s_delay_alu instid0(SALU_CYCLE_1) | instskip(SKIP_4) | instid1(VALU_DEP_1)
	s_or_b32 exec_lo, exec_lo, s33
	v_mov_b32_e32 v112, 0
	ds_load_b64 v[112:113], v112 offset:200
	s_wait_dscnt 0x0
	v_pk_mul_f32 v[114:115], v[110:111], v[112:113] op_sel:[1,1] op_sel_hi:[0,1]
	v_pk_fma_f32 v[116:117], v[110:111], v[112:113], v[114:115] op_sel_hi:[1,0,1]
	v_pk_fma_f32 v[110:111], v[110:111], v[112:113], v[114:115] neg_lo:[0,0,1] neg_hi:[0,0,1]
	s_delay_alu instid0(VALU_DEP_2)
	v_mov_b32_e32 v111, v117
	scratch_store_b64 off, v[110:111], off offset:200
.LBB116_275:
	s_wait_xcnt 0x0
	s_or_b32 exec_lo, exec_lo, s31
	scratch_load_b64 v[110:111], off, off offset:192
	v_cmp_lt_u32_e64 s1, 24, v0
	s_wait_loadcnt 0x0
	ds_store_b64 v1, v[110:111]
	s_wait_storecnt_dscnt 0x0
	s_barrier_signal -1
	s_barrier_wait -1
	s_wait_xcnt 0x0
	s_and_saveexec_b32 s30, s1
	s_cbranch_execz .LBB116_285
; %bb.276:
	s_and_not1_b32 vcc_lo, exec_lo, s5
	s_cbranch_vccnz .LBB116_278
; %bb.277:
	scratch_load_b64 v[110:111], v59, off
	ds_load_b64 v[112:113], v1
	s_wait_loadcnt_dscnt 0x0
	v_pk_mul_f32 v[114:115], v[112:113], v[110:111] op_sel:[1,1] op_sel_hi:[0,1]
	s_delay_alu instid0(VALU_DEP_1) | instskip(SKIP_1) | instid1(VALU_DEP_2)
	v_pk_fma_f32 v[116:117], v[112:113], v[110:111], v[114:115] op_sel_hi:[1,0,1]
	v_pk_fma_f32 v[110:111], v[112:113], v[110:111], v[114:115] neg_lo:[0,0,1] neg_hi:[0,0,1]
	v_mov_b32_e32 v111, v117
	s_cbranch_execz .LBB116_279
	s_branch .LBB116_280
.LBB116_278:
                                        ; implicit-def: $vgpr110_vgpr111
.LBB116_279:
	ds_load_b64 v[110:111], v1
.LBB116_280:
	s_and_saveexec_b32 s31, s0
	s_cbranch_execz .LBB116_284
; %bb.281:
	v_subrev_nc_u32_e32 v112, 25, v0
	s_movk_i32 s33, 0x278
	s_mov_b32 s0, 0
.LBB116_282:                            ; =>This Inner Loop Header: Depth=1
	scratch_load_b64 v[114:115], off, s29
	v_dual_mov_b32 v113, s33 :: v_dual_add_nc_u32 v112, -1, v112
	s_add_co_i32 s33, s33, 8
	s_wait_xcnt 0x0
	s_add_co_i32 s29, s29, 8
	ds_load_b64 v[116:117], v113
	v_cmp_eq_u32_e32 vcc_lo, 0, v112
	s_or_b32 s0, vcc_lo, s0
	s_wait_loadcnt_dscnt 0x0
	v_pk_mul_f32 v[118:119], v[116:117], v[114:115] op_sel:[1,1] op_sel_hi:[0,1]
	s_delay_alu instid0(VALU_DEP_1) | instskip(SKIP_1) | instid1(VALU_DEP_2)
	v_pk_fma_f32 v[120:121], v[116:117], v[114:115], v[118:119] op_sel_hi:[1,0,1]
	v_pk_fma_f32 v[114:115], v[116:117], v[114:115], v[118:119] neg_lo:[0,0,1] neg_hi:[0,0,1]
	v_mov_b32_e32 v115, v121
	s_delay_alu instid0(VALU_DEP_1)
	v_pk_add_f32 v[110:111], v[110:111], v[114:115]
	s_and_not1_b32 exec_lo, exec_lo, s0
	s_cbranch_execnz .LBB116_282
; %bb.283:
	s_or_b32 exec_lo, exec_lo, s0
.LBB116_284:
	s_delay_alu instid0(SALU_CYCLE_1) | instskip(SKIP_4) | instid1(VALU_DEP_1)
	s_or_b32 exec_lo, exec_lo, s31
	v_mov_b32_e32 v112, 0
	ds_load_b64 v[112:113], v112 offset:192
	s_wait_dscnt 0x0
	v_pk_mul_f32 v[114:115], v[110:111], v[112:113] op_sel:[1,1] op_sel_hi:[0,1]
	v_pk_fma_f32 v[116:117], v[110:111], v[112:113], v[114:115] op_sel_hi:[1,0,1]
	v_pk_fma_f32 v[110:111], v[110:111], v[112:113], v[114:115] neg_lo:[0,0,1] neg_hi:[0,0,1]
	s_delay_alu instid0(VALU_DEP_2)
	v_mov_b32_e32 v111, v117
	scratch_store_b64 off, v[110:111], off offset:192
.LBB116_285:
	s_wait_xcnt 0x0
	s_or_b32 exec_lo, exec_lo, s30
	scratch_load_b64 v[110:111], off, off offset:184
	v_cmp_lt_u32_e64 s0, 23, v0
	s_wait_loadcnt 0x0
	ds_store_b64 v1, v[110:111]
	s_wait_storecnt_dscnt 0x0
	s_barrier_signal -1
	s_barrier_wait -1
	s_wait_xcnt 0x0
	s_and_saveexec_b32 s29, s0
	s_cbranch_execz .LBB116_295
; %bb.286:
	s_and_not1_b32 vcc_lo, exec_lo, s5
	s_cbranch_vccnz .LBB116_288
; %bb.287:
	scratch_load_b64 v[110:111], v59, off
	ds_load_b64 v[112:113], v1
	s_wait_loadcnt_dscnt 0x0
	v_pk_mul_f32 v[114:115], v[112:113], v[110:111] op_sel:[1,1] op_sel_hi:[0,1]
	s_delay_alu instid0(VALU_DEP_1) | instskip(SKIP_1) | instid1(VALU_DEP_2)
	v_pk_fma_f32 v[116:117], v[112:113], v[110:111], v[114:115] op_sel_hi:[1,0,1]
	v_pk_fma_f32 v[110:111], v[112:113], v[110:111], v[114:115] neg_lo:[0,0,1] neg_hi:[0,0,1]
	v_mov_b32_e32 v111, v117
	s_cbranch_execz .LBB116_289
	s_branch .LBB116_290
.LBB116_288:
                                        ; implicit-def: $vgpr110_vgpr111
.LBB116_289:
	ds_load_b64 v[110:111], v1
.LBB116_290:
	s_and_saveexec_b32 s30, s1
	s_cbranch_execz .LBB116_294
; %bb.291:
	v_subrev_nc_u32_e32 v112, 24, v0
	s_movk_i32 s31, 0x270
	s_mov_b32 s1, 0
.LBB116_292:                            ; =>This Inner Loop Header: Depth=1
	scratch_load_b64 v[114:115], off, s28
	v_dual_mov_b32 v113, s31 :: v_dual_add_nc_u32 v112, -1, v112
	s_add_co_i32 s31, s31, 8
	s_wait_xcnt 0x0
	s_add_co_i32 s28, s28, 8
	ds_load_b64 v[116:117], v113
	v_cmp_eq_u32_e32 vcc_lo, 0, v112
	s_or_b32 s1, vcc_lo, s1
	s_wait_loadcnt_dscnt 0x0
	v_pk_mul_f32 v[118:119], v[116:117], v[114:115] op_sel:[1,1] op_sel_hi:[0,1]
	s_delay_alu instid0(VALU_DEP_1) | instskip(SKIP_1) | instid1(VALU_DEP_2)
	v_pk_fma_f32 v[120:121], v[116:117], v[114:115], v[118:119] op_sel_hi:[1,0,1]
	v_pk_fma_f32 v[114:115], v[116:117], v[114:115], v[118:119] neg_lo:[0,0,1] neg_hi:[0,0,1]
	v_mov_b32_e32 v115, v121
	s_delay_alu instid0(VALU_DEP_1)
	v_pk_add_f32 v[110:111], v[110:111], v[114:115]
	s_and_not1_b32 exec_lo, exec_lo, s1
	s_cbranch_execnz .LBB116_292
; %bb.293:
	s_or_b32 exec_lo, exec_lo, s1
.LBB116_294:
	s_delay_alu instid0(SALU_CYCLE_1) | instskip(SKIP_4) | instid1(VALU_DEP_1)
	s_or_b32 exec_lo, exec_lo, s30
	v_mov_b32_e32 v112, 0
	ds_load_b64 v[112:113], v112 offset:184
	s_wait_dscnt 0x0
	v_pk_mul_f32 v[114:115], v[110:111], v[112:113] op_sel:[1,1] op_sel_hi:[0,1]
	v_pk_fma_f32 v[116:117], v[110:111], v[112:113], v[114:115] op_sel_hi:[1,0,1]
	v_pk_fma_f32 v[110:111], v[110:111], v[112:113], v[114:115] neg_lo:[0,0,1] neg_hi:[0,0,1]
	s_delay_alu instid0(VALU_DEP_2)
	v_mov_b32_e32 v111, v117
	scratch_store_b64 off, v[110:111], off offset:184
.LBB116_295:
	s_wait_xcnt 0x0
	s_or_b32 exec_lo, exec_lo, s29
	scratch_load_b64 v[110:111], off, off offset:176
	v_cmp_lt_u32_e64 s1, 22, v0
	s_wait_loadcnt 0x0
	ds_store_b64 v1, v[110:111]
	s_wait_storecnt_dscnt 0x0
	s_barrier_signal -1
	s_barrier_wait -1
	s_wait_xcnt 0x0
	s_and_saveexec_b32 s28, s1
	s_cbranch_execz .LBB116_305
; %bb.296:
	s_and_not1_b32 vcc_lo, exec_lo, s5
	s_cbranch_vccnz .LBB116_298
; %bb.297:
	scratch_load_b64 v[110:111], v59, off
	ds_load_b64 v[112:113], v1
	s_wait_loadcnt_dscnt 0x0
	v_pk_mul_f32 v[114:115], v[112:113], v[110:111] op_sel:[1,1] op_sel_hi:[0,1]
	s_delay_alu instid0(VALU_DEP_1) | instskip(SKIP_1) | instid1(VALU_DEP_2)
	v_pk_fma_f32 v[116:117], v[112:113], v[110:111], v[114:115] op_sel_hi:[1,0,1]
	v_pk_fma_f32 v[110:111], v[112:113], v[110:111], v[114:115] neg_lo:[0,0,1] neg_hi:[0,0,1]
	v_mov_b32_e32 v111, v117
	s_cbranch_execz .LBB116_299
	s_branch .LBB116_300
.LBB116_298:
                                        ; implicit-def: $vgpr110_vgpr111
.LBB116_299:
	ds_load_b64 v[110:111], v1
.LBB116_300:
	s_and_saveexec_b32 s29, s0
	s_cbranch_execz .LBB116_304
; %bb.301:
	v_subrev_nc_u32_e32 v112, 23, v0
	s_movk_i32 s30, 0x268
	s_mov_b32 s0, 0
.LBB116_302:                            ; =>This Inner Loop Header: Depth=1
	scratch_load_b64 v[114:115], off, s27
	v_dual_mov_b32 v113, s30 :: v_dual_add_nc_u32 v112, -1, v112
	s_add_co_i32 s30, s30, 8
	s_wait_xcnt 0x0
	s_add_co_i32 s27, s27, 8
	ds_load_b64 v[116:117], v113
	v_cmp_eq_u32_e32 vcc_lo, 0, v112
	s_or_b32 s0, vcc_lo, s0
	s_wait_loadcnt_dscnt 0x0
	v_pk_mul_f32 v[118:119], v[116:117], v[114:115] op_sel:[1,1] op_sel_hi:[0,1]
	s_delay_alu instid0(VALU_DEP_1) | instskip(SKIP_1) | instid1(VALU_DEP_2)
	v_pk_fma_f32 v[120:121], v[116:117], v[114:115], v[118:119] op_sel_hi:[1,0,1]
	v_pk_fma_f32 v[114:115], v[116:117], v[114:115], v[118:119] neg_lo:[0,0,1] neg_hi:[0,0,1]
	v_mov_b32_e32 v115, v121
	s_delay_alu instid0(VALU_DEP_1)
	v_pk_add_f32 v[110:111], v[110:111], v[114:115]
	s_and_not1_b32 exec_lo, exec_lo, s0
	s_cbranch_execnz .LBB116_302
; %bb.303:
	s_or_b32 exec_lo, exec_lo, s0
.LBB116_304:
	s_delay_alu instid0(SALU_CYCLE_1) | instskip(SKIP_4) | instid1(VALU_DEP_1)
	s_or_b32 exec_lo, exec_lo, s29
	v_mov_b32_e32 v112, 0
	ds_load_b64 v[112:113], v112 offset:176
	s_wait_dscnt 0x0
	v_pk_mul_f32 v[114:115], v[110:111], v[112:113] op_sel:[1,1] op_sel_hi:[0,1]
	v_pk_fma_f32 v[116:117], v[110:111], v[112:113], v[114:115] op_sel_hi:[1,0,1]
	v_pk_fma_f32 v[110:111], v[110:111], v[112:113], v[114:115] neg_lo:[0,0,1] neg_hi:[0,0,1]
	s_delay_alu instid0(VALU_DEP_2)
	v_mov_b32_e32 v111, v117
	scratch_store_b64 off, v[110:111], off offset:176
.LBB116_305:
	s_wait_xcnt 0x0
	s_or_b32 exec_lo, exec_lo, s28
	scratch_load_b64 v[110:111], off, off offset:168
	v_cmp_lt_u32_e64 s0, 21, v0
	s_wait_loadcnt 0x0
	ds_store_b64 v1, v[110:111]
	s_wait_storecnt_dscnt 0x0
	s_barrier_signal -1
	s_barrier_wait -1
	s_wait_xcnt 0x0
	s_and_saveexec_b32 s27, s0
	s_cbranch_execz .LBB116_315
; %bb.306:
	s_and_not1_b32 vcc_lo, exec_lo, s5
	s_cbranch_vccnz .LBB116_308
; %bb.307:
	scratch_load_b64 v[110:111], v59, off
	ds_load_b64 v[112:113], v1
	s_wait_loadcnt_dscnt 0x0
	v_pk_mul_f32 v[114:115], v[112:113], v[110:111] op_sel:[1,1] op_sel_hi:[0,1]
	s_delay_alu instid0(VALU_DEP_1) | instskip(SKIP_1) | instid1(VALU_DEP_2)
	v_pk_fma_f32 v[116:117], v[112:113], v[110:111], v[114:115] op_sel_hi:[1,0,1]
	v_pk_fma_f32 v[110:111], v[112:113], v[110:111], v[114:115] neg_lo:[0,0,1] neg_hi:[0,0,1]
	v_mov_b32_e32 v111, v117
	s_cbranch_execz .LBB116_309
	s_branch .LBB116_310
.LBB116_308:
                                        ; implicit-def: $vgpr110_vgpr111
.LBB116_309:
	ds_load_b64 v[110:111], v1
.LBB116_310:
	s_and_saveexec_b32 s28, s1
	s_cbranch_execz .LBB116_314
; %bb.311:
	v_subrev_nc_u32_e32 v112, 22, v0
	s_movk_i32 s29, 0x260
	s_mov_b32 s1, 0
.LBB116_312:                            ; =>This Inner Loop Header: Depth=1
	scratch_load_b64 v[114:115], off, s26
	v_dual_mov_b32 v113, s29 :: v_dual_add_nc_u32 v112, -1, v112
	s_add_co_i32 s29, s29, 8
	s_wait_xcnt 0x0
	s_add_co_i32 s26, s26, 8
	ds_load_b64 v[116:117], v113
	v_cmp_eq_u32_e32 vcc_lo, 0, v112
	s_or_b32 s1, vcc_lo, s1
	s_wait_loadcnt_dscnt 0x0
	v_pk_mul_f32 v[118:119], v[116:117], v[114:115] op_sel:[1,1] op_sel_hi:[0,1]
	s_delay_alu instid0(VALU_DEP_1) | instskip(SKIP_1) | instid1(VALU_DEP_2)
	v_pk_fma_f32 v[120:121], v[116:117], v[114:115], v[118:119] op_sel_hi:[1,0,1]
	v_pk_fma_f32 v[114:115], v[116:117], v[114:115], v[118:119] neg_lo:[0,0,1] neg_hi:[0,0,1]
	v_mov_b32_e32 v115, v121
	s_delay_alu instid0(VALU_DEP_1)
	v_pk_add_f32 v[110:111], v[110:111], v[114:115]
	s_and_not1_b32 exec_lo, exec_lo, s1
	s_cbranch_execnz .LBB116_312
; %bb.313:
	s_or_b32 exec_lo, exec_lo, s1
.LBB116_314:
	s_delay_alu instid0(SALU_CYCLE_1) | instskip(SKIP_4) | instid1(VALU_DEP_1)
	s_or_b32 exec_lo, exec_lo, s28
	v_mov_b32_e32 v112, 0
	ds_load_b64 v[112:113], v112 offset:168
	s_wait_dscnt 0x0
	v_pk_mul_f32 v[114:115], v[110:111], v[112:113] op_sel:[1,1] op_sel_hi:[0,1]
	v_pk_fma_f32 v[116:117], v[110:111], v[112:113], v[114:115] op_sel_hi:[1,0,1]
	v_pk_fma_f32 v[110:111], v[110:111], v[112:113], v[114:115] neg_lo:[0,0,1] neg_hi:[0,0,1]
	s_delay_alu instid0(VALU_DEP_2)
	v_mov_b32_e32 v111, v117
	scratch_store_b64 off, v[110:111], off offset:168
.LBB116_315:
	s_wait_xcnt 0x0
	s_or_b32 exec_lo, exec_lo, s27
	scratch_load_b64 v[110:111], off, off offset:160
	v_cmp_lt_u32_e64 s1, 20, v0
	s_wait_loadcnt 0x0
	ds_store_b64 v1, v[110:111]
	s_wait_storecnt_dscnt 0x0
	s_barrier_signal -1
	s_barrier_wait -1
	s_wait_xcnt 0x0
	s_and_saveexec_b32 s26, s1
	s_cbranch_execz .LBB116_325
; %bb.316:
	s_and_not1_b32 vcc_lo, exec_lo, s5
	s_cbranch_vccnz .LBB116_318
; %bb.317:
	scratch_load_b64 v[110:111], v59, off
	ds_load_b64 v[112:113], v1
	s_wait_loadcnt_dscnt 0x0
	v_pk_mul_f32 v[114:115], v[112:113], v[110:111] op_sel:[1,1] op_sel_hi:[0,1]
	s_delay_alu instid0(VALU_DEP_1) | instskip(SKIP_1) | instid1(VALU_DEP_2)
	v_pk_fma_f32 v[116:117], v[112:113], v[110:111], v[114:115] op_sel_hi:[1,0,1]
	v_pk_fma_f32 v[110:111], v[112:113], v[110:111], v[114:115] neg_lo:[0,0,1] neg_hi:[0,0,1]
	v_mov_b32_e32 v111, v117
	s_cbranch_execz .LBB116_319
	s_branch .LBB116_320
.LBB116_318:
                                        ; implicit-def: $vgpr110_vgpr111
.LBB116_319:
	ds_load_b64 v[110:111], v1
.LBB116_320:
	s_and_saveexec_b32 s27, s0
	s_cbranch_execz .LBB116_324
; %bb.321:
	v_subrev_nc_u32_e32 v112, 21, v0
	s_movk_i32 s28, 0x258
	s_mov_b32 s0, 0
.LBB116_322:                            ; =>This Inner Loop Header: Depth=1
	scratch_load_b64 v[114:115], off, s25
	v_dual_mov_b32 v113, s28 :: v_dual_add_nc_u32 v112, -1, v112
	s_add_co_i32 s28, s28, 8
	s_wait_xcnt 0x0
	s_add_co_i32 s25, s25, 8
	ds_load_b64 v[116:117], v113
	v_cmp_eq_u32_e32 vcc_lo, 0, v112
	s_or_b32 s0, vcc_lo, s0
	s_wait_loadcnt_dscnt 0x0
	v_pk_mul_f32 v[118:119], v[116:117], v[114:115] op_sel:[1,1] op_sel_hi:[0,1]
	s_delay_alu instid0(VALU_DEP_1) | instskip(SKIP_1) | instid1(VALU_DEP_2)
	v_pk_fma_f32 v[120:121], v[116:117], v[114:115], v[118:119] op_sel_hi:[1,0,1]
	v_pk_fma_f32 v[114:115], v[116:117], v[114:115], v[118:119] neg_lo:[0,0,1] neg_hi:[0,0,1]
	v_mov_b32_e32 v115, v121
	s_delay_alu instid0(VALU_DEP_1)
	v_pk_add_f32 v[110:111], v[110:111], v[114:115]
	s_and_not1_b32 exec_lo, exec_lo, s0
	s_cbranch_execnz .LBB116_322
; %bb.323:
	s_or_b32 exec_lo, exec_lo, s0
.LBB116_324:
	s_delay_alu instid0(SALU_CYCLE_1) | instskip(SKIP_4) | instid1(VALU_DEP_1)
	s_or_b32 exec_lo, exec_lo, s27
	v_mov_b32_e32 v112, 0
	ds_load_b64 v[112:113], v112 offset:160
	s_wait_dscnt 0x0
	v_pk_mul_f32 v[114:115], v[110:111], v[112:113] op_sel:[1,1] op_sel_hi:[0,1]
	v_pk_fma_f32 v[116:117], v[110:111], v[112:113], v[114:115] op_sel_hi:[1,0,1]
	v_pk_fma_f32 v[110:111], v[110:111], v[112:113], v[114:115] neg_lo:[0,0,1] neg_hi:[0,0,1]
	s_delay_alu instid0(VALU_DEP_2)
	v_mov_b32_e32 v111, v117
	scratch_store_b64 off, v[110:111], off offset:160
.LBB116_325:
	s_wait_xcnt 0x0
	s_or_b32 exec_lo, exec_lo, s26
	scratch_load_b64 v[110:111], off, off offset:152
	v_cmp_lt_u32_e64 s0, 19, v0
	s_wait_loadcnt 0x0
	ds_store_b64 v1, v[110:111]
	s_wait_storecnt_dscnt 0x0
	s_barrier_signal -1
	s_barrier_wait -1
	s_wait_xcnt 0x0
	s_and_saveexec_b32 s25, s0
	s_cbranch_execz .LBB116_335
; %bb.326:
	s_and_not1_b32 vcc_lo, exec_lo, s5
	s_cbranch_vccnz .LBB116_328
; %bb.327:
	scratch_load_b64 v[110:111], v59, off
	ds_load_b64 v[112:113], v1
	s_wait_loadcnt_dscnt 0x0
	v_pk_mul_f32 v[114:115], v[112:113], v[110:111] op_sel:[1,1] op_sel_hi:[0,1]
	s_delay_alu instid0(VALU_DEP_1) | instskip(SKIP_1) | instid1(VALU_DEP_2)
	v_pk_fma_f32 v[116:117], v[112:113], v[110:111], v[114:115] op_sel_hi:[1,0,1]
	v_pk_fma_f32 v[110:111], v[112:113], v[110:111], v[114:115] neg_lo:[0,0,1] neg_hi:[0,0,1]
	v_mov_b32_e32 v111, v117
	s_cbranch_execz .LBB116_329
	s_branch .LBB116_330
.LBB116_328:
                                        ; implicit-def: $vgpr110_vgpr111
.LBB116_329:
	ds_load_b64 v[110:111], v1
.LBB116_330:
	s_and_saveexec_b32 s26, s1
	s_cbranch_execz .LBB116_334
; %bb.331:
	v_subrev_nc_u32_e32 v112, 20, v0
	s_movk_i32 s27, 0x250
	s_mov_b32 s1, 0
.LBB116_332:                            ; =>This Inner Loop Header: Depth=1
	scratch_load_b64 v[114:115], off, s24
	v_dual_mov_b32 v113, s27 :: v_dual_add_nc_u32 v112, -1, v112
	s_add_co_i32 s27, s27, 8
	s_wait_xcnt 0x0
	s_add_co_i32 s24, s24, 8
	ds_load_b64 v[116:117], v113
	v_cmp_eq_u32_e32 vcc_lo, 0, v112
	s_or_b32 s1, vcc_lo, s1
	s_wait_loadcnt_dscnt 0x0
	v_pk_mul_f32 v[118:119], v[116:117], v[114:115] op_sel:[1,1] op_sel_hi:[0,1]
	s_delay_alu instid0(VALU_DEP_1) | instskip(SKIP_1) | instid1(VALU_DEP_2)
	v_pk_fma_f32 v[120:121], v[116:117], v[114:115], v[118:119] op_sel_hi:[1,0,1]
	v_pk_fma_f32 v[114:115], v[116:117], v[114:115], v[118:119] neg_lo:[0,0,1] neg_hi:[0,0,1]
	v_mov_b32_e32 v115, v121
	s_delay_alu instid0(VALU_DEP_1)
	v_pk_add_f32 v[110:111], v[110:111], v[114:115]
	s_and_not1_b32 exec_lo, exec_lo, s1
	s_cbranch_execnz .LBB116_332
; %bb.333:
	s_or_b32 exec_lo, exec_lo, s1
.LBB116_334:
	s_delay_alu instid0(SALU_CYCLE_1) | instskip(SKIP_4) | instid1(VALU_DEP_1)
	s_or_b32 exec_lo, exec_lo, s26
	v_mov_b32_e32 v112, 0
	ds_load_b64 v[112:113], v112 offset:152
	s_wait_dscnt 0x0
	v_pk_mul_f32 v[114:115], v[110:111], v[112:113] op_sel:[1,1] op_sel_hi:[0,1]
	v_pk_fma_f32 v[116:117], v[110:111], v[112:113], v[114:115] op_sel_hi:[1,0,1]
	v_pk_fma_f32 v[110:111], v[110:111], v[112:113], v[114:115] neg_lo:[0,0,1] neg_hi:[0,0,1]
	s_delay_alu instid0(VALU_DEP_2)
	v_mov_b32_e32 v111, v117
	scratch_store_b64 off, v[110:111], off offset:152
.LBB116_335:
	s_wait_xcnt 0x0
	s_or_b32 exec_lo, exec_lo, s25
	scratch_load_b64 v[110:111], off, off offset:144
	v_cmp_lt_u32_e64 s1, 18, v0
	s_wait_loadcnt 0x0
	ds_store_b64 v1, v[110:111]
	s_wait_storecnt_dscnt 0x0
	s_barrier_signal -1
	s_barrier_wait -1
	s_wait_xcnt 0x0
	s_and_saveexec_b32 s24, s1
	s_cbranch_execz .LBB116_345
; %bb.336:
	s_and_not1_b32 vcc_lo, exec_lo, s5
	s_cbranch_vccnz .LBB116_338
; %bb.337:
	scratch_load_b64 v[110:111], v59, off
	ds_load_b64 v[112:113], v1
	s_wait_loadcnt_dscnt 0x0
	v_pk_mul_f32 v[114:115], v[112:113], v[110:111] op_sel:[1,1] op_sel_hi:[0,1]
	s_delay_alu instid0(VALU_DEP_1) | instskip(SKIP_1) | instid1(VALU_DEP_2)
	v_pk_fma_f32 v[116:117], v[112:113], v[110:111], v[114:115] op_sel_hi:[1,0,1]
	v_pk_fma_f32 v[110:111], v[112:113], v[110:111], v[114:115] neg_lo:[0,0,1] neg_hi:[0,0,1]
	v_mov_b32_e32 v111, v117
	s_cbranch_execz .LBB116_339
	s_branch .LBB116_340
.LBB116_338:
                                        ; implicit-def: $vgpr110_vgpr111
.LBB116_339:
	ds_load_b64 v[110:111], v1
.LBB116_340:
	s_and_saveexec_b32 s25, s0
	s_cbranch_execz .LBB116_344
; %bb.341:
	v_subrev_nc_u32_e32 v112, 19, v0
	s_movk_i32 s26, 0x248
	s_mov_b32 s0, 0
.LBB116_342:                            ; =>This Inner Loop Header: Depth=1
	scratch_load_b64 v[114:115], off, s23
	v_dual_mov_b32 v113, s26 :: v_dual_add_nc_u32 v112, -1, v112
	s_add_co_i32 s26, s26, 8
	s_wait_xcnt 0x0
	s_add_co_i32 s23, s23, 8
	ds_load_b64 v[116:117], v113
	v_cmp_eq_u32_e32 vcc_lo, 0, v112
	s_or_b32 s0, vcc_lo, s0
	s_wait_loadcnt_dscnt 0x0
	v_pk_mul_f32 v[118:119], v[116:117], v[114:115] op_sel:[1,1] op_sel_hi:[0,1]
	s_delay_alu instid0(VALU_DEP_1) | instskip(SKIP_1) | instid1(VALU_DEP_2)
	v_pk_fma_f32 v[120:121], v[116:117], v[114:115], v[118:119] op_sel_hi:[1,0,1]
	v_pk_fma_f32 v[114:115], v[116:117], v[114:115], v[118:119] neg_lo:[0,0,1] neg_hi:[0,0,1]
	v_mov_b32_e32 v115, v121
	s_delay_alu instid0(VALU_DEP_1)
	v_pk_add_f32 v[110:111], v[110:111], v[114:115]
	s_and_not1_b32 exec_lo, exec_lo, s0
	s_cbranch_execnz .LBB116_342
; %bb.343:
	s_or_b32 exec_lo, exec_lo, s0
.LBB116_344:
	s_delay_alu instid0(SALU_CYCLE_1) | instskip(SKIP_4) | instid1(VALU_DEP_1)
	s_or_b32 exec_lo, exec_lo, s25
	v_mov_b32_e32 v112, 0
	ds_load_b64 v[112:113], v112 offset:144
	s_wait_dscnt 0x0
	v_pk_mul_f32 v[114:115], v[110:111], v[112:113] op_sel:[1,1] op_sel_hi:[0,1]
	v_pk_fma_f32 v[116:117], v[110:111], v[112:113], v[114:115] op_sel_hi:[1,0,1]
	v_pk_fma_f32 v[110:111], v[110:111], v[112:113], v[114:115] neg_lo:[0,0,1] neg_hi:[0,0,1]
	s_delay_alu instid0(VALU_DEP_2)
	v_mov_b32_e32 v111, v117
	scratch_store_b64 off, v[110:111], off offset:144
.LBB116_345:
	s_wait_xcnt 0x0
	s_or_b32 exec_lo, exec_lo, s24
	scratch_load_b64 v[110:111], off, off offset:136
	v_cmp_lt_u32_e64 s0, 17, v0
	s_wait_loadcnt 0x0
	ds_store_b64 v1, v[110:111]
	s_wait_storecnt_dscnt 0x0
	s_barrier_signal -1
	s_barrier_wait -1
	s_wait_xcnt 0x0
	s_and_saveexec_b32 s23, s0
	s_cbranch_execz .LBB116_355
; %bb.346:
	s_and_not1_b32 vcc_lo, exec_lo, s5
	s_cbranch_vccnz .LBB116_348
; %bb.347:
	scratch_load_b64 v[110:111], v59, off
	ds_load_b64 v[112:113], v1
	s_wait_loadcnt_dscnt 0x0
	v_pk_mul_f32 v[114:115], v[112:113], v[110:111] op_sel:[1,1] op_sel_hi:[0,1]
	s_delay_alu instid0(VALU_DEP_1) | instskip(SKIP_1) | instid1(VALU_DEP_2)
	v_pk_fma_f32 v[116:117], v[112:113], v[110:111], v[114:115] op_sel_hi:[1,0,1]
	v_pk_fma_f32 v[110:111], v[112:113], v[110:111], v[114:115] neg_lo:[0,0,1] neg_hi:[0,0,1]
	v_mov_b32_e32 v111, v117
	s_cbranch_execz .LBB116_349
	s_branch .LBB116_350
.LBB116_348:
                                        ; implicit-def: $vgpr110_vgpr111
.LBB116_349:
	ds_load_b64 v[110:111], v1
.LBB116_350:
	s_and_saveexec_b32 s24, s1
	s_cbranch_execz .LBB116_354
; %bb.351:
	v_subrev_nc_u32_e32 v112, 18, v0
	s_movk_i32 s25, 0x240
	s_mov_b32 s1, 0
.LBB116_352:                            ; =>This Inner Loop Header: Depth=1
	scratch_load_b64 v[114:115], off, s22
	v_dual_mov_b32 v113, s25 :: v_dual_add_nc_u32 v112, -1, v112
	s_add_co_i32 s25, s25, 8
	s_wait_xcnt 0x0
	s_add_co_i32 s22, s22, 8
	ds_load_b64 v[116:117], v113
	v_cmp_eq_u32_e32 vcc_lo, 0, v112
	s_or_b32 s1, vcc_lo, s1
	s_wait_loadcnt_dscnt 0x0
	v_pk_mul_f32 v[118:119], v[116:117], v[114:115] op_sel:[1,1] op_sel_hi:[0,1]
	s_delay_alu instid0(VALU_DEP_1) | instskip(SKIP_1) | instid1(VALU_DEP_2)
	v_pk_fma_f32 v[120:121], v[116:117], v[114:115], v[118:119] op_sel_hi:[1,0,1]
	v_pk_fma_f32 v[114:115], v[116:117], v[114:115], v[118:119] neg_lo:[0,0,1] neg_hi:[0,0,1]
	v_mov_b32_e32 v115, v121
	s_delay_alu instid0(VALU_DEP_1)
	v_pk_add_f32 v[110:111], v[110:111], v[114:115]
	s_and_not1_b32 exec_lo, exec_lo, s1
	s_cbranch_execnz .LBB116_352
; %bb.353:
	s_or_b32 exec_lo, exec_lo, s1
.LBB116_354:
	s_delay_alu instid0(SALU_CYCLE_1) | instskip(SKIP_4) | instid1(VALU_DEP_1)
	s_or_b32 exec_lo, exec_lo, s24
	v_mov_b32_e32 v112, 0
	ds_load_b64 v[112:113], v112 offset:136
	s_wait_dscnt 0x0
	v_pk_mul_f32 v[114:115], v[110:111], v[112:113] op_sel:[1,1] op_sel_hi:[0,1]
	v_pk_fma_f32 v[116:117], v[110:111], v[112:113], v[114:115] op_sel_hi:[1,0,1]
	v_pk_fma_f32 v[110:111], v[110:111], v[112:113], v[114:115] neg_lo:[0,0,1] neg_hi:[0,0,1]
	s_delay_alu instid0(VALU_DEP_2)
	v_mov_b32_e32 v111, v117
	scratch_store_b64 off, v[110:111], off offset:136
.LBB116_355:
	s_wait_xcnt 0x0
	s_or_b32 exec_lo, exec_lo, s23
	scratch_load_b64 v[110:111], off, off offset:128
	v_cmp_lt_u32_e64 s1, 16, v0
	s_wait_loadcnt 0x0
	ds_store_b64 v1, v[110:111]
	s_wait_storecnt_dscnt 0x0
	s_barrier_signal -1
	s_barrier_wait -1
	s_wait_xcnt 0x0
	s_and_saveexec_b32 s22, s1
	s_cbranch_execz .LBB116_365
; %bb.356:
	s_and_not1_b32 vcc_lo, exec_lo, s5
	s_cbranch_vccnz .LBB116_358
; %bb.357:
	scratch_load_b64 v[110:111], v59, off
	ds_load_b64 v[112:113], v1
	s_wait_loadcnt_dscnt 0x0
	v_pk_mul_f32 v[114:115], v[112:113], v[110:111] op_sel:[1,1] op_sel_hi:[0,1]
	s_delay_alu instid0(VALU_DEP_1) | instskip(SKIP_1) | instid1(VALU_DEP_2)
	v_pk_fma_f32 v[116:117], v[112:113], v[110:111], v[114:115] op_sel_hi:[1,0,1]
	v_pk_fma_f32 v[110:111], v[112:113], v[110:111], v[114:115] neg_lo:[0,0,1] neg_hi:[0,0,1]
	v_mov_b32_e32 v111, v117
	s_cbranch_execz .LBB116_359
	s_branch .LBB116_360
.LBB116_358:
                                        ; implicit-def: $vgpr110_vgpr111
.LBB116_359:
	ds_load_b64 v[110:111], v1
.LBB116_360:
	s_and_saveexec_b32 s23, s0
	s_cbranch_execz .LBB116_364
; %bb.361:
	v_subrev_nc_u32_e32 v112, 17, v0
	s_movk_i32 s24, 0x238
	s_mov_b32 s0, 0
.LBB116_362:                            ; =>This Inner Loop Header: Depth=1
	scratch_load_b64 v[114:115], off, s21
	v_dual_mov_b32 v113, s24 :: v_dual_add_nc_u32 v112, -1, v112
	s_add_co_i32 s24, s24, 8
	s_wait_xcnt 0x0
	s_add_co_i32 s21, s21, 8
	ds_load_b64 v[116:117], v113
	v_cmp_eq_u32_e32 vcc_lo, 0, v112
	s_or_b32 s0, vcc_lo, s0
	s_wait_loadcnt_dscnt 0x0
	v_pk_mul_f32 v[118:119], v[116:117], v[114:115] op_sel:[1,1] op_sel_hi:[0,1]
	s_delay_alu instid0(VALU_DEP_1) | instskip(SKIP_1) | instid1(VALU_DEP_2)
	v_pk_fma_f32 v[120:121], v[116:117], v[114:115], v[118:119] op_sel_hi:[1,0,1]
	v_pk_fma_f32 v[114:115], v[116:117], v[114:115], v[118:119] neg_lo:[0,0,1] neg_hi:[0,0,1]
	v_mov_b32_e32 v115, v121
	s_delay_alu instid0(VALU_DEP_1)
	v_pk_add_f32 v[110:111], v[110:111], v[114:115]
	s_and_not1_b32 exec_lo, exec_lo, s0
	s_cbranch_execnz .LBB116_362
; %bb.363:
	s_or_b32 exec_lo, exec_lo, s0
.LBB116_364:
	s_delay_alu instid0(SALU_CYCLE_1) | instskip(SKIP_4) | instid1(VALU_DEP_1)
	s_or_b32 exec_lo, exec_lo, s23
	v_mov_b32_e32 v112, 0
	ds_load_b64 v[112:113], v112 offset:128
	s_wait_dscnt 0x0
	v_pk_mul_f32 v[114:115], v[110:111], v[112:113] op_sel:[1,1] op_sel_hi:[0,1]
	v_pk_fma_f32 v[116:117], v[110:111], v[112:113], v[114:115] op_sel_hi:[1,0,1]
	v_pk_fma_f32 v[110:111], v[110:111], v[112:113], v[114:115] neg_lo:[0,0,1] neg_hi:[0,0,1]
	s_delay_alu instid0(VALU_DEP_2)
	v_mov_b32_e32 v111, v117
	scratch_store_b64 off, v[110:111], off offset:128
.LBB116_365:
	s_wait_xcnt 0x0
	s_or_b32 exec_lo, exec_lo, s22
	scratch_load_b64 v[110:111], off, off offset:120
	v_cmp_lt_u32_e64 s0, 15, v0
	s_wait_loadcnt 0x0
	ds_store_b64 v1, v[110:111]
	s_wait_storecnt_dscnt 0x0
	s_barrier_signal -1
	s_barrier_wait -1
	s_wait_xcnt 0x0
	s_and_saveexec_b32 s21, s0
	s_cbranch_execz .LBB116_375
; %bb.366:
	s_and_not1_b32 vcc_lo, exec_lo, s5
	s_cbranch_vccnz .LBB116_368
; %bb.367:
	scratch_load_b64 v[110:111], v59, off
	ds_load_b64 v[112:113], v1
	s_wait_loadcnt_dscnt 0x0
	v_pk_mul_f32 v[114:115], v[112:113], v[110:111] op_sel:[1,1] op_sel_hi:[0,1]
	s_delay_alu instid0(VALU_DEP_1) | instskip(SKIP_1) | instid1(VALU_DEP_2)
	v_pk_fma_f32 v[116:117], v[112:113], v[110:111], v[114:115] op_sel_hi:[1,0,1]
	v_pk_fma_f32 v[110:111], v[112:113], v[110:111], v[114:115] neg_lo:[0,0,1] neg_hi:[0,0,1]
	v_mov_b32_e32 v111, v117
	s_cbranch_execz .LBB116_369
	s_branch .LBB116_370
.LBB116_368:
                                        ; implicit-def: $vgpr110_vgpr111
.LBB116_369:
	ds_load_b64 v[110:111], v1
.LBB116_370:
	s_and_saveexec_b32 s22, s1
	s_cbranch_execz .LBB116_374
; %bb.371:
	v_add_nc_u32_e32 v112, -16, v0
	s_movk_i32 s23, 0x230
	s_mov_b32 s1, 0
.LBB116_372:                            ; =>This Inner Loop Header: Depth=1
	scratch_load_b64 v[114:115], off, s20
	v_dual_mov_b32 v113, s23 :: v_dual_add_nc_u32 v112, -1, v112
	s_add_co_i32 s23, s23, 8
	s_wait_xcnt 0x0
	s_add_co_i32 s20, s20, 8
	ds_load_b64 v[116:117], v113
	v_cmp_eq_u32_e32 vcc_lo, 0, v112
	s_or_b32 s1, vcc_lo, s1
	s_wait_loadcnt_dscnt 0x0
	v_pk_mul_f32 v[118:119], v[116:117], v[114:115] op_sel:[1,1] op_sel_hi:[0,1]
	s_delay_alu instid0(VALU_DEP_1) | instskip(SKIP_1) | instid1(VALU_DEP_2)
	v_pk_fma_f32 v[120:121], v[116:117], v[114:115], v[118:119] op_sel_hi:[1,0,1]
	v_pk_fma_f32 v[114:115], v[116:117], v[114:115], v[118:119] neg_lo:[0,0,1] neg_hi:[0,0,1]
	v_mov_b32_e32 v115, v121
	s_delay_alu instid0(VALU_DEP_1)
	v_pk_add_f32 v[110:111], v[110:111], v[114:115]
	s_and_not1_b32 exec_lo, exec_lo, s1
	s_cbranch_execnz .LBB116_372
; %bb.373:
	s_or_b32 exec_lo, exec_lo, s1
.LBB116_374:
	s_delay_alu instid0(SALU_CYCLE_1) | instskip(SKIP_4) | instid1(VALU_DEP_1)
	s_or_b32 exec_lo, exec_lo, s22
	v_mov_b32_e32 v112, 0
	ds_load_b64 v[112:113], v112 offset:120
	s_wait_dscnt 0x0
	v_pk_mul_f32 v[114:115], v[110:111], v[112:113] op_sel:[1,1] op_sel_hi:[0,1]
	v_pk_fma_f32 v[116:117], v[110:111], v[112:113], v[114:115] op_sel_hi:[1,0,1]
	v_pk_fma_f32 v[110:111], v[110:111], v[112:113], v[114:115] neg_lo:[0,0,1] neg_hi:[0,0,1]
	s_delay_alu instid0(VALU_DEP_2)
	v_mov_b32_e32 v111, v117
	scratch_store_b64 off, v[110:111], off offset:120
.LBB116_375:
	s_wait_xcnt 0x0
	s_or_b32 exec_lo, exec_lo, s21
	scratch_load_b64 v[110:111], off, off offset:112
	v_cmp_lt_u32_e64 s1, 14, v0
	s_wait_loadcnt 0x0
	ds_store_b64 v1, v[110:111]
	s_wait_storecnt_dscnt 0x0
	s_barrier_signal -1
	s_barrier_wait -1
	s_wait_xcnt 0x0
	s_and_saveexec_b32 s20, s1
	s_cbranch_execz .LBB116_385
; %bb.376:
	s_and_not1_b32 vcc_lo, exec_lo, s5
	s_cbranch_vccnz .LBB116_378
; %bb.377:
	scratch_load_b64 v[110:111], v59, off
	ds_load_b64 v[112:113], v1
	s_wait_loadcnt_dscnt 0x0
	v_pk_mul_f32 v[114:115], v[112:113], v[110:111] op_sel:[1,1] op_sel_hi:[0,1]
	s_delay_alu instid0(VALU_DEP_1) | instskip(SKIP_1) | instid1(VALU_DEP_2)
	v_pk_fma_f32 v[116:117], v[112:113], v[110:111], v[114:115] op_sel_hi:[1,0,1]
	v_pk_fma_f32 v[110:111], v[112:113], v[110:111], v[114:115] neg_lo:[0,0,1] neg_hi:[0,0,1]
	v_mov_b32_e32 v111, v117
	s_cbranch_execz .LBB116_379
	s_branch .LBB116_380
.LBB116_378:
                                        ; implicit-def: $vgpr110_vgpr111
.LBB116_379:
	ds_load_b64 v[110:111], v1
.LBB116_380:
	s_and_saveexec_b32 s21, s0
	s_cbranch_execz .LBB116_384
; %bb.381:
	v_add_nc_u32_e32 v112, -15, v0
	s_movk_i32 s22, 0x228
	s_mov_b32 s0, 0
.LBB116_382:                            ; =>This Inner Loop Header: Depth=1
	scratch_load_b64 v[114:115], off, s19
	v_dual_mov_b32 v113, s22 :: v_dual_add_nc_u32 v112, -1, v112
	s_add_co_i32 s22, s22, 8
	s_wait_xcnt 0x0
	s_add_co_i32 s19, s19, 8
	ds_load_b64 v[116:117], v113
	v_cmp_eq_u32_e32 vcc_lo, 0, v112
	s_or_b32 s0, vcc_lo, s0
	s_wait_loadcnt_dscnt 0x0
	v_pk_mul_f32 v[118:119], v[116:117], v[114:115] op_sel:[1,1] op_sel_hi:[0,1]
	s_delay_alu instid0(VALU_DEP_1) | instskip(SKIP_1) | instid1(VALU_DEP_2)
	v_pk_fma_f32 v[120:121], v[116:117], v[114:115], v[118:119] op_sel_hi:[1,0,1]
	v_pk_fma_f32 v[114:115], v[116:117], v[114:115], v[118:119] neg_lo:[0,0,1] neg_hi:[0,0,1]
	v_mov_b32_e32 v115, v121
	s_delay_alu instid0(VALU_DEP_1)
	v_pk_add_f32 v[110:111], v[110:111], v[114:115]
	s_and_not1_b32 exec_lo, exec_lo, s0
	s_cbranch_execnz .LBB116_382
; %bb.383:
	s_or_b32 exec_lo, exec_lo, s0
.LBB116_384:
	s_delay_alu instid0(SALU_CYCLE_1) | instskip(SKIP_4) | instid1(VALU_DEP_1)
	s_or_b32 exec_lo, exec_lo, s21
	v_mov_b32_e32 v112, 0
	ds_load_b64 v[112:113], v112 offset:112
	s_wait_dscnt 0x0
	v_pk_mul_f32 v[114:115], v[110:111], v[112:113] op_sel:[1,1] op_sel_hi:[0,1]
	v_pk_fma_f32 v[116:117], v[110:111], v[112:113], v[114:115] op_sel_hi:[1,0,1]
	v_pk_fma_f32 v[110:111], v[110:111], v[112:113], v[114:115] neg_lo:[0,0,1] neg_hi:[0,0,1]
	s_delay_alu instid0(VALU_DEP_2)
	v_mov_b32_e32 v111, v117
	scratch_store_b64 off, v[110:111], off offset:112
.LBB116_385:
	s_wait_xcnt 0x0
	s_or_b32 exec_lo, exec_lo, s20
	scratch_load_b64 v[110:111], off, off offset:104
	v_cmp_lt_u32_e64 s0, 13, v0
	s_wait_loadcnt 0x0
	ds_store_b64 v1, v[110:111]
	s_wait_storecnt_dscnt 0x0
	s_barrier_signal -1
	s_barrier_wait -1
	s_wait_xcnt 0x0
	s_and_saveexec_b32 s19, s0
	s_cbranch_execz .LBB116_395
; %bb.386:
	s_and_not1_b32 vcc_lo, exec_lo, s5
	s_cbranch_vccnz .LBB116_388
; %bb.387:
	scratch_load_b64 v[110:111], v59, off
	ds_load_b64 v[112:113], v1
	s_wait_loadcnt_dscnt 0x0
	v_pk_mul_f32 v[114:115], v[112:113], v[110:111] op_sel:[1,1] op_sel_hi:[0,1]
	s_delay_alu instid0(VALU_DEP_1) | instskip(SKIP_1) | instid1(VALU_DEP_2)
	v_pk_fma_f32 v[116:117], v[112:113], v[110:111], v[114:115] op_sel_hi:[1,0,1]
	v_pk_fma_f32 v[110:111], v[112:113], v[110:111], v[114:115] neg_lo:[0,0,1] neg_hi:[0,0,1]
	v_mov_b32_e32 v111, v117
	s_cbranch_execz .LBB116_389
	s_branch .LBB116_390
.LBB116_388:
                                        ; implicit-def: $vgpr110_vgpr111
.LBB116_389:
	ds_load_b64 v[110:111], v1
.LBB116_390:
	s_and_saveexec_b32 s20, s1
	s_cbranch_execz .LBB116_394
; %bb.391:
	v_add_nc_u32_e32 v112, -14, v0
	s_movk_i32 s21, 0x220
	s_mov_b32 s1, 0
.LBB116_392:                            ; =>This Inner Loop Header: Depth=1
	scratch_load_b64 v[114:115], off, s18
	v_dual_mov_b32 v113, s21 :: v_dual_add_nc_u32 v112, -1, v112
	s_add_co_i32 s21, s21, 8
	s_wait_xcnt 0x0
	s_add_co_i32 s18, s18, 8
	ds_load_b64 v[116:117], v113
	v_cmp_eq_u32_e32 vcc_lo, 0, v112
	s_or_b32 s1, vcc_lo, s1
	s_wait_loadcnt_dscnt 0x0
	v_pk_mul_f32 v[118:119], v[116:117], v[114:115] op_sel:[1,1] op_sel_hi:[0,1]
	s_delay_alu instid0(VALU_DEP_1) | instskip(SKIP_1) | instid1(VALU_DEP_2)
	v_pk_fma_f32 v[120:121], v[116:117], v[114:115], v[118:119] op_sel_hi:[1,0,1]
	v_pk_fma_f32 v[114:115], v[116:117], v[114:115], v[118:119] neg_lo:[0,0,1] neg_hi:[0,0,1]
	v_mov_b32_e32 v115, v121
	s_delay_alu instid0(VALU_DEP_1)
	v_pk_add_f32 v[110:111], v[110:111], v[114:115]
	s_and_not1_b32 exec_lo, exec_lo, s1
	s_cbranch_execnz .LBB116_392
; %bb.393:
	s_or_b32 exec_lo, exec_lo, s1
.LBB116_394:
	s_delay_alu instid0(SALU_CYCLE_1) | instskip(SKIP_4) | instid1(VALU_DEP_1)
	s_or_b32 exec_lo, exec_lo, s20
	v_mov_b32_e32 v112, 0
	ds_load_b64 v[112:113], v112 offset:104
	s_wait_dscnt 0x0
	v_pk_mul_f32 v[114:115], v[110:111], v[112:113] op_sel:[1,1] op_sel_hi:[0,1]
	v_pk_fma_f32 v[116:117], v[110:111], v[112:113], v[114:115] op_sel_hi:[1,0,1]
	v_pk_fma_f32 v[110:111], v[110:111], v[112:113], v[114:115] neg_lo:[0,0,1] neg_hi:[0,0,1]
	s_delay_alu instid0(VALU_DEP_2)
	v_mov_b32_e32 v111, v117
	scratch_store_b64 off, v[110:111], off offset:104
.LBB116_395:
	s_wait_xcnt 0x0
	s_or_b32 exec_lo, exec_lo, s19
	scratch_load_b64 v[110:111], off, off offset:96
	v_cmp_lt_u32_e64 s1, 12, v0
	s_wait_loadcnt 0x0
	ds_store_b64 v1, v[110:111]
	s_wait_storecnt_dscnt 0x0
	s_barrier_signal -1
	s_barrier_wait -1
	s_wait_xcnt 0x0
	s_and_saveexec_b32 s18, s1
	s_cbranch_execz .LBB116_405
; %bb.396:
	s_and_not1_b32 vcc_lo, exec_lo, s5
	s_cbranch_vccnz .LBB116_398
; %bb.397:
	scratch_load_b64 v[110:111], v59, off
	ds_load_b64 v[112:113], v1
	s_wait_loadcnt_dscnt 0x0
	v_pk_mul_f32 v[114:115], v[112:113], v[110:111] op_sel:[1,1] op_sel_hi:[0,1]
	s_delay_alu instid0(VALU_DEP_1) | instskip(SKIP_1) | instid1(VALU_DEP_2)
	v_pk_fma_f32 v[116:117], v[112:113], v[110:111], v[114:115] op_sel_hi:[1,0,1]
	v_pk_fma_f32 v[110:111], v[112:113], v[110:111], v[114:115] neg_lo:[0,0,1] neg_hi:[0,0,1]
	v_mov_b32_e32 v111, v117
	s_cbranch_execz .LBB116_399
	s_branch .LBB116_400
.LBB116_398:
                                        ; implicit-def: $vgpr110_vgpr111
.LBB116_399:
	ds_load_b64 v[110:111], v1
.LBB116_400:
	s_and_saveexec_b32 s19, s0
	s_cbranch_execz .LBB116_404
; %bb.401:
	v_add_nc_u32_e32 v112, -13, v0
	s_movk_i32 s20, 0x218
	s_mov_b32 s0, 0
.LBB116_402:                            ; =>This Inner Loop Header: Depth=1
	scratch_load_b64 v[114:115], off, s17
	v_dual_mov_b32 v113, s20 :: v_dual_add_nc_u32 v112, -1, v112
	s_add_co_i32 s20, s20, 8
	s_wait_xcnt 0x0
	s_add_co_i32 s17, s17, 8
	ds_load_b64 v[116:117], v113
	v_cmp_eq_u32_e32 vcc_lo, 0, v112
	s_or_b32 s0, vcc_lo, s0
	s_wait_loadcnt_dscnt 0x0
	v_pk_mul_f32 v[118:119], v[116:117], v[114:115] op_sel:[1,1] op_sel_hi:[0,1]
	s_delay_alu instid0(VALU_DEP_1) | instskip(SKIP_1) | instid1(VALU_DEP_2)
	v_pk_fma_f32 v[120:121], v[116:117], v[114:115], v[118:119] op_sel_hi:[1,0,1]
	v_pk_fma_f32 v[114:115], v[116:117], v[114:115], v[118:119] neg_lo:[0,0,1] neg_hi:[0,0,1]
	v_mov_b32_e32 v115, v121
	s_delay_alu instid0(VALU_DEP_1)
	v_pk_add_f32 v[110:111], v[110:111], v[114:115]
	s_and_not1_b32 exec_lo, exec_lo, s0
	s_cbranch_execnz .LBB116_402
; %bb.403:
	s_or_b32 exec_lo, exec_lo, s0
.LBB116_404:
	s_delay_alu instid0(SALU_CYCLE_1) | instskip(SKIP_4) | instid1(VALU_DEP_1)
	s_or_b32 exec_lo, exec_lo, s19
	v_mov_b32_e32 v112, 0
	ds_load_b64 v[112:113], v112 offset:96
	s_wait_dscnt 0x0
	v_pk_mul_f32 v[114:115], v[110:111], v[112:113] op_sel:[1,1] op_sel_hi:[0,1]
	v_pk_fma_f32 v[116:117], v[110:111], v[112:113], v[114:115] op_sel_hi:[1,0,1]
	v_pk_fma_f32 v[110:111], v[110:111], v[112:113], v[114:115] neg_lo:[0,0,1] neg_hi:[0,0,1]
	s_delay_alu instid0(VALU_DEP_2)
	v_mov_b32_e32 v111, v117
	scratch_store_b64 off, v[110:111], off offset:96
.LBB116_405:
	s_wait_xcnt 0x0
	s_or_b32 exec_lo, exec_lo, s18
	scratch_load_b64 v[110:111], off, off offset:88
	v_cmp_lt_u32_e64 s0, 11, v0
	s_wait_loadcnt 0x0
	ds_store_b64 v1, v[110:111]
	s_wait_storecnt_dscnt 0x0
	s_barrier_signal -1
	s_barrier_wait -1
	s_wait_xcnt 0x0
	s_and_saveexec_b32 s17, s0
	s_cbranch_execz .LBB116_415
; %bb.406:
	s_and_not1_b32 vcc_lo, exec_lo, s5
	s_cbranch_vccnz .LBB116_408
; %bb.407:
	scratch_load_b64 v[110:111], v59, off
	ds_load_b64 v[112:113], v1
	s_wait_loadcnt_dscnt 0x0
	v_pk_mul_f32 v[114:115], v[112:113], v[110:111] op_sel:[1,1] op_sel_hi:[0,1]
	s_delay_alu instid0(VALU_DEP_1) | instskip(SKIP_1) | instid1(VALU_DEP_2)
	v_pk_fma_f32 v[116:117], v[112:113], v[110:111], v[114:115] op_sel_hi:[1,0,1]
	v_pk_fma_f32 v[110:111], v[112:113], v[110:111], v[114:115] neg_lo:[0,0,1] neg_hi:[0,0,1]
	v_mov_b32_e32 v111, v117
	s_cbranch_execz .LBB116_409
	s_branch .LBB116_410
.LBB116_408:
                                        ; implicit-def: $vgpr110_vgpr111
.LBB116_409:
	ds_load_b64 v[110:111], v1
.LBB116_410:
	s_and_saveexec_b32 s18, s1
	s_cbranch_execz .LBB116_414
; %bb.411:
	v_add_nc_u32_e32 v112, -12, v0
	s_movk_i32 s19, 0x210
	s_mov_b32 s1, 0
.LBB116_412:                            ; =>This Inner Loop Header: Depth=1
	scratch_load_b64 v[114:115], off, s16
	v_dual_mov_b32 v113, s19 :: v_dual_add_nc_u32 v112, -1, v112
	s_add_co_i32 s19, s19, 8
	s_wait_xcnt 0x0
	s_add_co_i32 s16, s16, 8
	ds_load_b64 v[116:117], v113
	v_cmp_eq_u32_e32 vcc_lo, 0, v112
	s_or_b32 s1, vcc_lo, s1
	s_wait_loadcnt_dscnt 0x0
	v_pk_mul_f32 v[118:119], v[116:117], v[114:115] op_sel:[1,1] op_sel_hi:[0,1]
	s_delay_alu instid0(VALU_DEP_1) | instskip(SKIP_1) | instid1(VALU_DEP_2)
	v_pk_fma_f32 v[120:121], v[116:117], v[114:115], v[118:119] op_sel_hi:[1,0,1]
	v_pk_fma_f32 v[114:115], v[116:117], v[114:115], v[118:119] neg_lo:[0,0,1] neg_hi:[0,0,1]
	v_mov_b32_e32 v115, v121
	s_delay_alu instid0(VALU_DEP_1)
	v_pk_add_f32 v[110:111], v[110:111], v[114:115]
	s_and_not1_b32 exec_lo, exec_lo, s1
	s_cbranch_execnz .LBB116_412
; %bb.413:
	s_or_b32 exec_lo, exec_lo, s1
.LBB116_414:
	s_delay_alu instid0(SALU_CYCLE_1) | instskip(SKIP_4) | instid1(VALU_DEP_1)
	s_or_b32 exec_lo, exec_lo, s18
	v_mov_b32_e32 v112, 0
	ds_load_b64 v[112:113], v112 offset:88
	s_wait_dscnt 0x0
	v_pk_mul_f32 v[114:115], v[110:111], v[112:113] op_sel:[1,1] op_sel_hi:[0,1]
	v_pk_fma_f32 v[116:117], v[110:111], v[112:113], v[114:115] op_sel_hi:[1,0,1]
	v_pk_fma_f32 v[110:111], v[110:111], v[112:113], v[114:115] neg_lo:[0,0,1] neg_hi:[0,0,1]
	s_delay_alu instid0(VALU_DEP_2)
	v_mov_b32_e32 v111, v117
	scratch_store_b64 off, v[110:111], off offset:88
.LBB116_415:
	s_wait_xcnt 0x0
	s_or_b32 exec_lo, exec_lo, s17
	scratch_load_b64 v[110:111], off, off offset:80
	v_cmp_lt_u32_e64 s1, 10, v0
	s_wait_loadcnt 0x0
	ds_store_b64 v1, v[110:111]
	s_wait_storecnt_dscnt 0x0
	s_barrier_signal -1
	s_barrier_wait -1
	s_wait_xcnt 0x0
	s_and_saveexec_b32 s16, s1
	s_cbranch_execz .LBB116_425
; %bb.416:
	s_and_not1_b32 vcc_lo, exec_lo, s5
	s_cbranch_vccnz .LBB116_418
; %bb.417:
	scratch_load_b64 v[110:111], v59, off
	ds_load_b64 v[112:113], v1
	s_wait_loadcnt_dscnt 0x0
	v_pk_mul_f32 v[114:115], v[112:113], v[110:111] op_sel:[1,1] op_sel_hi:[0,1]
	s_delay_alu instid0(VALU_DEP_1) | instskip(SKIP_1) | instid1(VALU_DEP_2)
	v_pk_fma_f32 v[116:117], v[112:113], v[110:111], v[114:115] op_sel_hi:[1,0,1]
	v_pk_fma_f32 v[110:111], v[112:113], v[110:111], v[114:115] neg_lo:[0,0,1] neg_hi:[0,0,1]
	v_mov_b32_e32 v111, v117
	s_cbranch_execz .LBB116_419
	s_branch .LBB116_420
.LBB116_418:
                                        ; implicit-def: $vgpr110_vgpr111
.LBB116_419:
	ds_load_b64 v[110:111], v1
.LBB116_420:
	s_and_saveexec_b32 s17, s0
	s_cbranch_execz .LBB116_424
; %bb.421:
	v_add_nc_u32_e32 v112, -11, v0
	s_movk_i32 s18, 0x208
	s_mov_b32 s0, 0
.LBB116_422:                            ; =>This Inner Loop Header: Depth=1
	scratch_load_b64 v[114:115], off, s15
	v_dual_mov_b32 v113, s18 :: v_dual_add_nc_u32 v112, -1, v112
	s_add_co_i32 s18, s18, 8
	s_wait_xcnt 0x0
	s_add_co_i32 s15, s15, 8
	ds_load_b64 v[116:117], v113
	v_cmp_eq_u32_e32 vcc_lo, 0, v112
	s_or_b32 s0, vcc_lo, s0
	s_wait_loadcnt_dscnt 0x0
	v_pk_mul_f32 v[118:119], v[116:117], v[114:115] op_sel:[1,1] op_sel_hi:[0,1]
	s_delay_alu instid0(VALU_DEP_1) | instskip(SKIP_1) | instid1(VALU_DEP_2)
	v_pk_fma_f32 v[120:121], v[116:117], v[114:115], v[118:119] op_sel_hi:[1,0,1]
	v_pk_fma_f32 v[114:115], v[116:117], v[114:115], v[118:119] neg_lo:[0,0,1] neg_hi:[0,0,1]
	v_mov_b32_e32 v115, v121
	s_delay_alu instid0(VALU_DEP_1)
	v_pk_add_f32 v[110:111], v[110:111], v[114:115]
	s_and_not1_b32 exec_lo, exec_lo, s0
	s_cbranch_execnz .LBB116_422
; %bb.423:
	s_or_b32 exec_lo, exec_lo, s0
.LBB116_424:
	s_delay_alu instid0(SALU_CYCLE_1) | instskip(SKIP_4) | instid1(VALU_DEP_1)
	s_or_b32 exec_lo, exec_lo, s17
	v_mov_b32_e32 v112, 0
	ds_load_b64 v[112:113], v112 offset:80
	s_wait_dscnt 0x0
	v_pk_mul_f32 v[114:115], v[110:111], v[112:113] op_sel:[1,1] op_sel_hi:[0,1]
	v_pk_fma_f32 v[116:117], v[110:111], v[112:113], v[114:115] op_sel_hi:[1,0,1]
	v_pk_fma_f32 v[110:111], v[110:111], v[112:113], v[114:115] neg_lo:[0,0,1] neg_hi:[0,0,1]
	s_delay_alu instid0(VALU_DEP_2)
	v_mov_b32_e32 v111, v117
	scratch_store_b64 off, v[110:111], off offset:80
.LBB116_425:
	s_wait_xcnt 0x0
	s_or_b32 exec_lo, exec_lo, s16
	scratch_load_b64 v[110:111], off, off offset:72
	v_cmp_lt_u32_e64 s0, 9, v0
	s_wait_loadcnt 0x0
	ds_store_b64 v1, v[110:111]
	s_wait_storecnt_dscnt 0x0
	s_barrier_signal -1
	s_barrier_wait -1
	s_wait_xcnt 0x0
	s_and_saveexec_b32 s15, s0
	s_cbranch_execz .LBB116_435
; %bb.426:
	s_and_not1_b32 vcc_lo, exec_lo, s5
	s_cbranch_vccnz .LBB116_428
; %bb.427:
	scratch_load_b64 v[110:111], v59, off
	ds_load_b64 v[112:113], v1
	s_wait_loadcnt_dscnt 0x0
	v_pk_mul_f32 v[114:115], v[112:113], v[110:111] op_sel:[1,1] op_sel_hi:[0,1]
	s_delay_alu instid0(VALU_DEP_1) | instskip(SKIP_1) | instid1(VALU_DEP_2)
	v_pk_fma_f32 v[116:117], v[112:113], v[110:111], v[114:115] op_sel_hi:[1,0,1]
	v_pk_fma_f32 v[110:111], v[112:113], v[110:111], v[114:115] neg_lo:[0,0,1] neg_hi:[0,0,1]
	v_mov_b32_e32 v111, v117
	s_cbranch_execz .LBB116_429
	s_branch .LBB116_430
.LBB116_428:
                                        ; implicit-def: $vgpr110_vgpr111
.LBB116_429:
	ds_load_b64 v[110:111], v1
.LBB116_430:
	s_and_saveexec_b32 s16, s1
	s_cbranch_execz .LBB116_434
; %bb.431:
	v_add_nc_u32_e32 v112, -10, v0
	s_movk_i32 s17, 0x200
	s_mov_b32 s1, 0
.LBB116_432:                            ; =>This Inner Loop Header: Depth=1
	scratch_load_b64 v[114:115], off, s14
	v_dual_mov_b32 v113, s17 :: v_dual_add_nc_u32 v112, -1, v112
	s_add_co_i32 s17, s17, 8
	s_wait_xcnt 0x0
	s_add_co_i32 s14, s14, 8
	ds_load_b64 v[116:117], v113
	v_cmp_eq_u32_e32 vcc_lo, 0, v112
	s_or_b32 s1, vcc_lo, s1
	s_wait_loadcnt_dscnt 0x0
	v_pk_mul_f32 v[118:119], v[116:117], v[114:115] op_sel:[1,1] op_sel_hi:[0,1]
	s_delay_alu instid0(VALU_DEP_1) | instskip(SKIP_1) | instid1(VALU_DEP_2)
	v_pk_fma_f32 v[120:121], v[116:117], v[114:115], v[118:119] op_sel_hi:[1,0,1]
	v_pk_fma_f32 v[114:115], v[116:117], v[114:115], v[118:119] neg_lo:[0,0,1] neg_hi:[0,0,1]
	v_mov_b32_e32 v115, v121
	s_delay_alu instid0(VALU_DEP_1)
	v_pk_add_f32 v[110:111], v[110:111], v[114:115]
	s_and_not1_b32 exec_lo, exec_lo, s1
	s_cbranch_execnz .LBB116_432
; %bb.433:
	s_or_b32 exec_lo, exec_lo, s1
.LBB116_434:
	s_delay_alu instid0(SALU_CYCLE_1) | instskip(SKIP_4) | instid1(VALU_DEP_1)
	s_or_b32 exec_lo, exec_lo, s16
	v_mov_b32_e32 v112, 0
	ds_load_b64 v[112:113], v112 offset:72
	s_wait_dscnt 0x0
	v_pk_mul_f32 v[114:115], v[110:111], v[112:113] op_sel:[1,1] op_sel_hi:[0,1]
	v_pk_fma_f32 v[116:117], v[110:111], v[112:113], v[114:115] op_sel_hi:[1,0,1]
	v_pk_fma_f32 v[110:111], v[110:111], v[112:113], v[114:115] neg_lo:[0,0,1] neg_hi:[0,0,1]
	s_delay_alu instid0(VALU_DEP_2)
	v_mov_b32_e32 v111, v117
	scratch_store_b64 off, v[110:111], off offset:72
.LBB116_435:
	s_wait_xcnt 0x0
	s_or_b32 exec_lo, exec_lo, s15
	scratch_load_b64 v[110:111], off, off offset:64
	v_cmp_lt_u32_e64 s1, 8, v0
	s_wait_loadcnt 0x0
	ds_store_b64 v1, v[110:111]
	s_wait_storecnt_dscnt 0x0
	s_barrier_signal -1
	s_barrier_wait -1
	s_wait_xcnt 0x0
	s_and_saveexec_b32 s14, s1
	s_cbranch_execz .LBB116_445
; %bb.436:
	s_and_not1_b32 vcc_lo, exec_lo, s5
	s_cbranch_vccnz .LBB116_438
; %bb.437:
	scratch_load_b64 v[110:111], v59, off
	ds_load_b64 v[112:113], v1
	s_wait_loadcnt_dscnt 0x0
	v_pk_mul_f32 v[114:115], v[112:113], v[110:111] op_sel:[1,1] op_sel_hi:[0,1]
	s_delay_alu instid0(VALU_DEP_1) | instskip(SKIP_1) | instid1(VALU_DEP_2)
	v_pk_fma_f32 v[116:117], v[112:113], v[110:111], v[114:115] op_sel_hi:[1,0,1]
	v_pk_fma_f32 v[110:111], v[112:113], v[110:111], v[114:115] neg_lo:[0,0,1] neg_hi:[0,0,1]
	v_mov_b32_e32 v111, v117
	s_cbranch_execz .LBB116_439
	s_branch .LBB116_440
.LBB116_438:
                                        ; implicit-def: $vgpr110_vgpr111
.LBB116_439:
	ds_load_b64 v[110:111], v1
.LBB116_440:
	s_and_saveexec_b32 s15, s0
	s_cbranch_execz .LBB116_444
; %bb.441:
	v_add_nc_u32_e32 v112, -9, v0
	s_movk_i32 s16, 0x1f8
	s_mov_b32 s0, 0
.LBB116_442:                            ; =>This Inner Loop Header: Depth=1
	scratch_load_b64 v[114:115], off, s13
	v_dual_mov_b32 v113, s16 :: v_dual_add_nc_u32 v112, -1, v112
	s_add_co_i32 s16, s16, 8
	s_wait_xcnt 0x0
	s_add_co_i32 s13, s13, 8
	ds_load_b64 v[116:117], v113
	v_cmp_eq_u32_e32 vcc_lo, 0, v112
	s_or_b32 s0, vcc_lo, s0
	s_wait_loadcnt_dscnt 0x0
	v_pk_mul_f32 v[118:119], v[116:117], v[114:115] op_sel:[1,1] op_sel_hi:[0,1]
	s_delay_alu instid0(VALU_DEP_1) | instskip(SKIP_1) | instid1(VALU_DEP_2)
	v_pk_fma_f32 v[120:121], v[116:117], v[114:115], v[118:119] op_sel_hi:[1,0,1]
	v_pk_fma_f32 v[114:115], v[116:117], v[114:115], v[118:119] neg_lo:[0,0,1] neg_hi:[0,0,1]
	v_mov_b32_e32 v115, v121
	s_delay_alu instid0(VALU_DEP_1)
	v_pk_add_f32 v[110:111], v[110:111], v[114:115]
	s_and_not1_b32 exec_lo, exec_lo, s0
	s_cbranch_execnz .LBB116_442
; %bb.443:
	s_or_b32 exec_lo, exec_lo, s0
.LBB116_444:
	s_delay_alu instid0(SALU_CYCLE_1) | instskip(SKIP_4) | instid1(VALU_DEP_1)
	s_or_b32 exec_lo, exec_lo, s15
	v_mov_b32_e32 v112, 0
	ds_load_b64 v[112:113], v112 offset:64
	s_wait_dscnt 0x0
	v_pk_mul_f32 v[114:115], v[110:111], v[112:113] op_sel:[1,1] op_sel_hi:[0,1]
	v_pk_fma_f32 v[116:117], v[110:111], v[112:113], v[114:115] op_sel_hi:[1,0,1]
	v_pk_fma_f32 v[110:111], v[110:111], v[112:113], v[114:115] neg_lo:[0,0,1] neg_hi:[0,0,1]
	s_delay_alu instid0(VALU_DEP_2)
	v_mov_b32_e32 v111, v117
	scratch_store_b64 off, v[110:111], off offset:64
.LBB116_445:
	s_wait_xcnt 0x0
	s_or_b32 exec_lo, exec_lo, s14
	scratch_load_b64 v[110:111], off, off offset:56
	v_cmp_lt_u32_e64 s0, 7, v0
	s_wait_loadcnt 0x0
	ds_store_b64 v1, v[110:111]
	s_wait_storecnt_dscnt 0x0
	s_barrier_signal -1
	s_barrier_wait -1
	s_wait_xcnt 0x0
	s_and_saveexec_b32 s13, s0
	s_cbranch_execz .LBB116_455
; %bb.446:
	s_and_not1_b32 vcc_lo, exec_lo, s5
	s_cbranch_vccnz .LBB116_448
; %bb.447:
	scratch_load_b64 v[110:111], v59, off
	ds_load_b64 v[112:113], v1
	s_wait_loadcnt_dscnt 0x0
	v_pk_mul_f32 v[114:115], v[112:113], v[110:111] op_sel:[1,1] op_sel_hi:[0,1]
	s_delay_alu instid0(VALU_DEP_1) | instskip(SKIP_1) | instid1(VALU_DEP_2)
	v_pk_fma_f32 v[116:117], v[112:113], v[110:111], v[114:115] op_sel_hi:[1,0,1]
	v_pk_fma_f32 v[110:111], v[112:113], v[110:111], v[114:115] neg_lo:[0,0,1] neg_hi:[0,0,1]
	v_mov_b32_e32 v111, v117
	s_cbranch_execz .LBB116_449
	s_branch .LBB116_450
.LBB116_448:
                                        ; implicit-def: $vgpr110_vgpr111
.LBB116_449:
	ds_load_b64 v[110:111], v1
.LBB116_450:
	s_and_saveexec_b32 s14, s1
	s_cbranch_execz .LBB116_454
; %bb.451:
	v_add_nc_u32_e32 v112, -8, v0
	s_movk_i32 s15, 0x1f0
	s_mov_b32 s1, 0
.LBB116_452:                            ; =>This Inner Loop Header: Depth=1
	scratch_load_b64 v[114:115], off, s12
	v_dual_mov_b32 v113, s15 :: v_dual_add_nc_u32 v112, -1, v112
	s_add_co_i32 s15, s15, 8
	s_wait_xcnt 0x0
	s_add_co_i32 s12, s12, 8
	ds_load_b64 v[116:117], v113
	v_cmp_eq_u32_e32 vcc_lo, 0, v112
	s_or_b32 s1, vcc_lo, s1
	s_wait_loadcnt_dscnt 0x0
	v_pk_mul_f32 v[118:119], v[116:117], v[114:115] op_sel:[1,1] op_sel_hi:[0,1]
	s_delay_alu instid0(VALU_DEP_1) | instskip(SKIP_1) | instid1(VALU_DEP_2)
	v_pk_fma_f32 v[120:121], v[116:117], v[114:115], v[118:119] op_sel_hi:[1,0,1]
	v_pk_fma_f32 v[114:115], v[116:117], v[114:115], v[118:119] neg_lo:[0,0,1] neg_hi:[0,0,1]
	v_mov_b32_e32 v115, v121
	s_delay_alu instid0(VALU_DEP_1)
	v_pk_add_f32 v[110:111], v[110:111], v[114:115]
	s_and_not1_b32 exec_lo, exec_lo, s1
	s_cbranch_execnz .LBB116_452
; %bb.453:
	s_or_b32 exec_lo, exec_lo, s1
.LBB116_454:
	s_delay_alu instid0(SALU_CYCLE_1) | instskip(SKIP_4) | instid1(VALU_DEP_1)
	s_or_b32 exec_lo, exec_lo, s14
	v_mov_b32_e32 v112, 0
	ds_load_b64 v[112:113], v112 offset:56
	s_wait_dscnt 0x0
	v_pk_mul_f32 v[114:115], v[110:111], v[112:113] op_sel:[1,1] op_sel_hi:[0,1]
	v_pk_fma_f32 v[116:117], v[110:111], v[112:113], v[114:115] op_sel_hi:[1,0,1]
	v_pk_fma_f32 v[110:111], v[110:111], v[112:113], v[114:115] neg_lo:[0,0,1] neg_hi:[0,0,1]
	s_delay_alu instid0(VALU_DEP_2)
	v_mov_b32_e32 v111, v117
	scratch_store_b64 off, v[110:111], off offset:56
.LBB116_455:
	s_wait_xcnt 0x0
	s_or_b32 exec_lo, exec_lo, s13
	scratch_load_b64 v[110:111], off, off offset:48
	v_cmp_lt_u32_e64 s1, 6, v0
	s_wait_loadcnt 0x0
	ds_store_b64 v1, v[110:111]
	s_wait_storecnt_dscnt 0x0
	s_barrier_signal -1
	s_barrier_wait -1
	s_wait_xcnt 0x0
	s_and_saveexec_b32 s12, s1
	s_cbranch_execz .LBB116_465
; %bb.456:
	s_and_not1_b32 vcc_lo, exec_lo, s5
	s_cbranch_vccnz .LBB116_458
; %bb.457:
	scratch_load_b64 v[110:111], v59, off
	ds_load_b64 v[112:113], v1
	s_wait_loadcnt_dscnt 0x0
	v_pk_mul_f32 v[114:115], v[112:113], v[110:111] op_sel:[1,1] op_sel_hi:[0,1]
	s_delay_alu instid0(VALU_DEP_1) | instskip(SKIP_1) | instid1(VALU_DEP_2)
	v_pk_fma_f32 v[116:117], v[112:113], v[110:111], v[114:115] op_sel_hi:[1,0,1]
	v_pk_fma_f32 v[110:111], v[112:113], v[110:111], v[114:115] neg_lo:[0,0,1] neg_hi:[0,0,1]
	v_mov_b32_e32 v111, v117
	s_cbranch_execz .LBB116_459
	s_branch .LBB116_460
.LBB116_458:
                                        ; implicit-def: $vgpr110_vgpr111
.LBB116_459:
	ds_load_b64 v[110:111], v1
.LBB116_460:
	s_and_saveexec_b32 s13, s0
	s_cbranch_execz .LBB116_464
; %bb.461:
	v_add_nc_u32_e32 v112, -7, v0
	s_movk_i32 s14, 0x1e8
	s_mov_b32 s0, 0
.LBB116_462:                            ; =>This Inner Loop Header: Depth=1
	scratch_load_b64 v[114:115], off, s11
	v_dual_mov_b32 v113, s14 :: v_dual_add_nc_u32 v112, -1, v112
	s_add_co_i32 s14, s14, 8
	s_wait_xcnt 0x0
	s_add_co_i32 s11, s11, 8
	ds_load_b64 v[116:117], v113
	v_cmp_eq_u32_e32 vcc_lo, 0, v112
	s_or_b32 s0, vcc_lo, s0
	s_wait_loadcnt_dscnt 0x0
	v_pk_mul_f32 v[118:119], v[116:117], v[114:115] op_sel:[1,1] op_sel_hi:[0,1]
	s_delay_alu instid0(VALU_DEP_1) | instskip(SKIP_1) | instid1(VALU_DEP_2)
	v_pk_fma_f32 v[120:121], v[116:117], v[114:115], v[118:119] op_sel_hi:[1,0,1]
	v_pk_fma_f32 v[114:115], v[116:117], v[114:115], v[118:119] neg_lo:[0,0,1] neg_hi:[0,0,1]
	v_mov_b32_e32 v115, v121
	s_delay_alu instid0(VALU_DEP_1)
	v_pk_add_f32 v[110:111], v[110:111], v[114:115]
	s_and_not1_b32 exec_lo, exec_lo, s0
	s_cbranch_execnz .LBB116_462
; %bb.463:
	s_or_b32 exec_lo, exec_lo, s0
.LBB116_464:
	s_delay_alu instid0(SALU_CYCLE_1) | instskip(SKIP_4) | instid1(VALU_DEP_1)
	s_or_b32 exec_lo, exec_lo, s13
	v_mov_b32_e32 v112, 0
	ds_load_b64 v[112:113], v112 offset:48
	s_wait_dscnt 0x0
	v_pk_mul_f32 v[114:115], v[110:111], v[112:113] op_sel:[1,1] op_sel_hi:[0,1]
	v_pk_fma_f32 v[116:117], v[110:111], v[112:113], v[114:115] op_sel_hi:[1,0,1]
	v_pk_fma_f32 v[110:111], v[110:111], v[112:113], v[114:115] neg_lo:[0,0,1] neg_hi:[0,0,1]
	s_delay_alu instid0(VALU_DEP_2)
	v_mov_b32_e32 v111, v117
	scratch_store_b64 off, v[110:111], off offset:48
.LBB116_465:
	s_wait_xcnt 0x0
	s_or_b32 exec_lo, exec_lo, s12
	scratch_load_b64 v[110:111], off, off offset:40
	v_cmp_lt_u32_e64 s0, 5, v0
	s_wait_loadcnt 0x0
	ds_store_b64 v1, v[110:111]
	s_wait_storecnt_dscnt 0x0
	s_barrier_signal -1
	s_barrier_wait -1
	s_wait_xcnt 0x0
	s_and_saveexec_b32 s11, s0
	s_cbranch_execz .LBB116_475
; %bb.466:
	s_and_not1_b32 vcc_lo, exec_lo, s5
	s_cbranch_vccnz .LBB116_468
; %bb.467:
	scratch_load_b64 v[110:111], v59, off
	ds_load_b64 v[112:113], v1
	s_wait_loadcnt_dscnt 0x0
	v_pk_mul_f32 v[114:115], v[112:113], v[110:111] op_sel:[1,1] op_sel_hi:[0,1]
	s_delay_alu instid0(VALU_DEP_1) | instskip(SKIP_1) | instid1(VALU_DEP_2)
	v_pk_fma_f32 v[116:117], v[112:113], v[110:111], v[114:115] op_sel_hi:[1,0,1]
	v_pk_fma_f32 v[110:111], v[112:113], v[110:111], v[114:115] neg_lo:[0,0,1] neg_hi:[0,0,1]
	v_mov_b32_e32 v111, v117
	s_cbranch_execz .LBB116_469
	s_branch .LBB116_470
.LBB116_468:
                                        ; implicit-def: $vgpr110_vgpr111
.LBB116_469:
	ds_load_b64 v[110:111], v1
.LBB116_470:
	s_and_saveexec_b32 s12, s1
	s_cbranch_execz .LBB116_474
; %bb.471:
	v_add_nc_u32_e32 v112, -6, v0
	s_movk_i32 s13, 0x1e0
	s_mov_b32 s1, 0
.LBB116_472:                            ; =>This Inner Loop Header: Depth=1
	scratch_load_b64 v[114:115], off, s10
	v_dual_mov_b32 v113, s13 :: v_dual_add_nc_u32 v112, -1, v112
	s_add_co_i32 s13, s13, 8
	s_wait_xcnt 0x0
	s_add_co_i32 s10, s10, 8
	ds_load_b64 v[116:117], v113
	v_cmp_eq_u32_e32 vcc_lo, 0, v112
	s_or_b32 s1, vcc_lo, s1
	s_wait_loadcnt_dscnt 0x0
	v_pk_mul_f32 v[118:119], v[116:117], v[114:115] op_sel:[1,1] op_sel_hi:[0,1]
	s_delay_alu instid0(VALU_DEP_1) | instskip(SKIP_1) | instid1(VALU_DEP_2)
	v_pk_fma_f32 v[120:121], v[116:117], v[114:115], v[118:119] op_sel_hi:[1,0,1]
	v_pk_fma_f32 v[114:115], v[116:117], v[114:115], v[118:119] neg_lo:[0,0,1] neg_hi:[0,0,1]
	v_mov_b32_e32 v115, v121
	s_delay_alu instid0(VALU_DEP_1)
	v_pk_add_f32 v[110:111], v[110:111], v[114:115]
	s_and_not1_b32 exec_lo, exec_lo, s1
	s_cbranch_execnz .LBB116_472
; %bb.473:
	s_or_b32 exec_lo, exec_lo, s1
.LBB116_474:
	s_delay_alu instid0(SALU_CYCLE_1) | instskip(SKIP_4) | instid1(VALU_DEP_1)
	s_or_b32 exec_lo, exec_lo, s12
	v_mov_b32_e32 v112, 0
	ds_load_b64 v[112:113], v112 offset:40
	s_wait_dscnt 0x0
	v_pk_mul_f32 v[114:115], v[110:111], v[112:113] op_sel:[1,1] op_sel_hi:[0,1]
	v_pk_fma_f32 v[116:117], v[110:111], v[112:113], v[114:115] op_sel_hi:[1,0,1]
	v_pk_fma_f32 v[110:111], v[110:111], v[112:113], v[114:115] neg_lo:[0,0,1] neg_hi:[0,0,1]
	s_delay_alu instid0(VALU_DEP_2)
	v_mov_b32_e32 v111, v117
	scratch_store_b64 off, v[110:111], off offset:40
.LBB116_475:
	s_wait_xcnt 0x0
	s_or_b32 exec_lo, exec_lo, s11
	scratch_load_b64 v[110:111], off, off offset:32
	v_cmp_lt_u32_e64 s1, 4, v0
	s_wait_loadcnt 0x0
	ds_store_b64 v1, v[110:111]
	s_wait_storecnt_dscnt 0x0
	s_barrier_signal -1
	s_barrier_wait -1
	s_wait_xcnt 0x0
	s_and_saveexec_b32 s10, s1
	s_cbranch_execz .LBB116_485
; %bb.476:
	s_and_not1_b32 vcc_lo, exec_lo, s5
	s_cbranch_vccnz .LBB116_478
; %bb.477:
	scratch_load_b64 v[110:111], v59, off
	ds_load_b64 v[112:113], v1
	s_wait_loadcnt_dscnt 0x0
	v_pk_mul_f32 v[114:115], v[112:113], v[110:111] op_sel:[1,1] op_sel_hi:[0,1]
	s_delay_alu instid0(VALU_DEP_1) | instskip(SKIP_1) | instid1(VALU_DEP_2)
	v_pk_fma_f32 v[116:117], v[112:113], v[110:111], v[114:115] op_sel_hi:[1,0,1]
	v_pk_fma_f32 v[110:111], v[112:113], v[110:111], v[114:115] neg_lo:[0,0,1] neg_hi:[0,0,1]
	v_mov_b32_e32 v111, v117
	s_cbranch_execz .LBB116_479
	s_branch .LBB116_480
.LBB116_478:
                                        ; implicit-def: $vgpr110_vgpr111
.LBB116_479:
	ds_load_b64 v[110:111], v1
.LBB116_480:
	s_and_saveexec_b32 s11, s0
	s_cbranch_execz .LBB116_484
; %bb.481:
	v_add_nc_u32_e32 v112, -5, v0
	s_movk_i32 s12, 0x1d8
	s_mov_b32 s0, 0
.LBB116_482:                            ; =>This Inner Loop Header: Depth=1
	scratch_load_b64 v[114:115], off, s9
	v_dual_mov_b32 v113, s12 :: v_dual_add_nc_u32 v112, -1, v112
	s_add_co_i32 s12, s12, 8
	s_wait_xcnt 0x0
	s_add_co_i32 s9, s9, 8
	ds_load_b64 v[116:117], v113
	v_cmp_eq_u32_e32 vcc_lo, 0, v112
	s_or_b32 s0, vcc_lo, s0
	s_wait_loadcnt_dscnt 0x0
	v_pk_mul_f32 v[118:119], v[116:117], v[114:115] op_sel:[1,1] op_sel_hi:[0,1]
	s_delay_alu instid0(VALU_DEP_1) | instskip(SKIP_1) | instid1(VALU_DEP_2)
	v_pk_fma_f32 v[120:121], v[116:117], v[114:115], v[118:119] op_sel_hi:[1,0,1]
	v_pk_fma_f32 v[114:115], v[116:117], v[114:115], v[118:119] neg_lo:[0,0,1] neg_hi:[0,0,1]
	v_mov_b32_e32 v115, v121
	s_delay_alu instid0(VALU_DEP_1)
	v_pk_add_f32 v[110:111], v[110:111], v[114:115]
	s_and_not1_b32 exec_lo, exec_lo, s0
	s_cbranch_execnz .LBB116_482
; %bb.483:
	s_or_b32 exec_lo, exec_lo, s0
.LBB116_484:
	s_delay_alu instid0(SALU_CYCLE_1) | instskip(SKIP_4) | instid1(VALU_DEP_1)
	s_or_b32 exec_lo, exec_lo, s11
	v_mov_b32_e32 v112, 0
	ds_load_b64 v[112:113], v112 offset:32
	s_wait_dscnt 0x0
	v_pk_mul_f32 v[114:115], v[110:111], v[112:113] op_sel:[1,1] op_sel_hi:[0,1]
	v_pk_fma_f32 v[116:117], v[110:111], v[112:113], v[114:115] op_sel_hi:[1,0,1]
	v_pk_fma_f32 v[110:111], v[110:111], v[112:113], v[114:115] neg_lo:[0,0,1] neg_hi:[0,0,1]
	s_delay_alu instid0(VALU_DEP_2)
	v_mov_b32_e32 v111, v117
	scratch_store_b64 off, v[110:111], off offset:32
.LBB116_485:
	s_wait_xcnt 0x0
	s_or_b32 exec_lo, exec_lo, s10
	scratch_load_b64 v[110:111], off, off offset:24
	v_cmp_lt_u32_e64 s0, 3, v0
	s_wait_loadcnt 0x0
	ds_store_b64 v1, v[110:111]
	s_wait_storecnt_dscnt 0x0
	s_barrier_signal -1
	s_barrier_wait -1
	s_wait_xcnt 0x0
	s_and_saveexec_b32 s9, s0
	s_cbranch_execz .LBB116_495
; %bb.486:
	s_and_not1_b32 vcc_lo, exec_lo, s5
	s_cbranch_vccnz .LBB116_488
; %bb.487:
	scratch_load_b64 v[110:111], v59, off
	ds_load_b64 v[112:113], v1
	s_wait_loadcnt_dscnt 0x0
	v_pk_mul_f32 v[114:115], v[112:113], v[110:111] op_sel:[1,1] op_sel_hi:[0,1]
	s_delay_alu instid0(VALU_DEP_1) | instskip(SKIP_1) | instid1(VALU_DEP_2)
	v_pk_fma_f32 v[116:117], v[112:113], v[110:111], v[114:115] op_sel_hi:[1,0,1]
	v_pk_fma_f32 v[110:111], v[112:113], v[110:111], v[114:115] neg_lo:[0,0,1] neg_hi:[0,0,1]
	v_mov_b32_e32 v111, v117
	s_cbranch_execz .LBB116_489
	s_branch .LBB116_490
.LBB116_488:
                                        ; implicit-def: $vgpr110_vgpr111
.LBB116_489:
	ds_load_b64 v[110:111], v1
.LBB116_490:
	s_and_saveexec_b32 s10, s1
	s_cbranch_execz .LBB116_494
; %bb.491:
	v_add_nc_u32_e32 v112, -4, v0
	s_movk_i32 s11, 0x1d0
	s_mov_b32 s1, 0
.LBB116_492:                            ; =>This Inner Loop Header: Depth=1
	scratch_load_b64 v[114:115], off, s8
	v_dual_mov_b32 v113, s11 :: v_dual_add_nc_u32 v112, -1, v112
	s_add_co_i32 s11, s11, 8
	s_wait_xcnt 0x0
	s_add_co_i32 s8, s8, 8
	ds_load_b64 v[116:117], v113
	v_cmp_eq_u32_e32 vcc_lo, 0, v112
	s_or_b32 s1, vcc_lo, s1
	s_wait_loadcnt_dscnt 0x0
	v_pk_mul_f32 v[118:119], v[116:117], v[114:115] op_sel:[1,1] op_sel_hi:[0,1]
	s_delay_alu instid0(VALU_DEP_1) | instskip(SKIP_1) | instid1(VALU_DEP_2)
	v_pk_fma_f32 v[120:121], v[116:117], v[114:115], v[118:119] op_sel_hi:[1,0,1]
	v_pk_fma_f32 v[114:115], v[116:117], v[114:115], v[118:119] neg_lo:[0,0,1] neg_hi:[0,0,1]
	v_mov_b32_e32 v115, v121
	s_delay_alu instid0(VALU_DEP_1)
	v_pk_add_f32 v[110:111], v[110:111], v[114:115]
	s_and_not1_b32 exec_lo, exec_lo, s1
	s_cbranch_execnz .LBB116_492
; %bb.493:
	s_or_b32 exec_lo, exec_lo, s1
.LBB116_494:
	s_delay_alu instid0(SALU_CYCLE_1) | instskip(SKIP_4) | instid1(VALU_DEP_1)
	s_or_b32 exec_lo, exec_lo, s10
	v_mov_b32_e32 v112, 0
	ds_load_b64 v[112:113], v112 offset:24
	s_wait_dscnt 0x0
	v_pk_mul_f32 v[114:115], v[110:111], v[112:113] op_sel:[1,1] op_sel_hi:[0,1]
	v_pk_fma_f32 v[116:117], v[110:111], v[112:113], v[114:115] op_sel_hi:[1,0,1]
	v_pk_fma_f32 v[110:111], v[110:111], v[112:113], v[114:115] neg_lo:[0,0,1] neg_hi:[0,0,1]
	s_delay_alu instid0(VALU_DEP_2)
	v_mov_b32_e32 v111, v117
	scratch_store_b64 off, v[110:111], off offset:24
.LBB116_495:
	s_wait_xcnt 0x0
	s_or_b32 exec_lo, exec_lo, s9
	scratch_load_b64 v[110:111], off, off offset:16
	v_cmp_lt_u32_e64 s1, 2, v0
	s_wait_loadcnt 0x0
	ds_store_b64 v1, v[110:111]
	s_wait_storecnt_dscnt 0x0
	s_barrier_signal -1
	s_barrier_wait -1
	s_wait_xcnt 0x0
	s_and_saveexec_b32 s8, s1
	s_cbranch_execz .LBB116_505
; %bb.496:
	s_and_not1_b32 vcc_lo, exec_lo, s5
	s_cbranch_vccnz .LBB116_498
; %bb.497:
	scratch_load_b64 v[110:111], v59, off
	ds_load_b64 v[112:113], v1
	s_wait_loadcnt_dscnt 0x0
	v_pk_mul_f32 v[114:115], v[112:113], v[110:111] op_sel:[1,1] op_sel_hi:[0,1]
	s_delay_alu instid0(VALU_DEP_1) | instskip(SKIP_1) | instid1(VALU_DEP_2)
	v_pk_fma_f32 v[116:117], v[112:113], v[110:111], v[114:115] op_sel_hi:[1,0,1]
	v_pk_fma_f32 v[110:111], v[112:113], v[110:111], v[114:115] neg_lo:[0,0,1] neg_hi:[0,0,1]
	v_mov_b32_e32 v111, v117
	s_cbranch_execz .LBB116_499
	s_branch .LBB116_500
.LBB116_498:
                                        ; implicit-def: $vgpr110_vgpr111
.LBB116_499:
	ds_load_b64 v[110:111], v1
.LBB116_500:
	s_and_saveexec_b32 s9, s0
	s_cbranch_execz .LBB116_504
; %bb.501:
	v_add_nc_u32_e32 v112, -3, v0
	s_movk_i32 s10, 0x1c8
	s_mov_b32 s0, 0
.LBB116_502:                            ; =>This Inner Loop Header: Depth=1
	scratch_load_b64 v[114:115], off, s7
	v_dual_mov_b32 v113, s10 :: v_dual_add_nc_u32 v112, -1, v112
	s_add_co_i32 s10, s10, 8
	s_wait_xcnt 0x0
	s_add_co_i32 s7, s7, 8
	ds_load_b64 v[116:117], v113
	v_cmp_eq_u32_e32 vcc_lo, 0, v112
	s_or_b32 s0, vcc_lo, s0
	s_wait_loadcnt_dscnt 0x0
	v_pk_mul_f32 v[118:119], v[116:117], v[114:115] op_sel:[1,1] op_sel_hi:[0,1]
	s_delay_alu instid0(VALU_DEP_1) | instskip(SKIP_1) | instid1(VALU_DEP_2)
	v_pk_fma_f32 v[120:121], v[116:117], v[114:115], v[118:119] op_sel_hi:[1,0,1]
	v_pk_fma_f32 v[114:115], v[116:117], v[114:115], v[118:119] neg_lo:[0,0,1] neg_hi:[0,0,1]
	v_mov_b32_e32 v115, v121
	s_delay_alu instid0(VALU_DEP_1)
	v_pk_add_f32 v[110:111], v[110:111], v[114:115]
	s_and_not1_b32 exec_lo, exec_lo, s0
	s_cbranch_execnz .LBB116_502
; %bb.503:
	s_or_b32 exec_lo, exec_lo, s0
.LBB116_504:
	s_delay_alu instid0(SALU_CYCLE_1) | instskip(SKIP_4) | instid1(VALU_DEP_1)
	s_or_b32 exec_lo, exec_lo, s9
	v_mov_b32_e32 v112, 0
	ds_load_b64 v[112:113], v112 offset:16
	s_wait_dscnt 0x0
	v_pk_mul_f32 v[114:115], v[110:111], v[112:113] op_sel:[1,1] op_sel_hi:[0,1]
	v_pk_fma_f32 v[116:117], v[110:111], v[112:113], v[114:115] op_sel_hi:[1,0,1]
	v_pk_fma_f32 v[110:111], v[110:111], v[112:113], v[114:115] neg_lo:[0,0,1] neg_hi:[0,0,1]
	s_delay_alu instid0(VALU_DEP_2)
	v_mov_b32_e32 v111, v117
	scratch_store_b64 off, v[110:111], off offset:16
.LBB116_505:
	s_wait_xcnt 0x0
	s_or_b32 exec_lo, exec_lo, s8
	scratch_load_b64 v[110:111], off, off offset:8
	v_cmp_lt_u32_e64 s0, 1, v0
	s_wait_loadcnt 0x0
	ds_store_b64 v1, v[110:111]
	s_wait_storecnt_dscnt 0x0
	s_barrier_signal -1
	s_barrier_wait -1
	s_wait_xcnt 0x0
	s_and_saveexec_b32 s7, s0
	s_cbranch_execz .LBB116_515
; %bb.506:
	s_and_not1_b32 vcc_lo, exec_lo, s5
	s_cbranch_vccnz .LBB116_508
; %bb.507:
	scratch_load_b64 v[110:111], v59, off
	ds_load_b64 v[112:113], v1
	s_wait_loadcnt_dscnt 0x0
	v_pk_mul_f32 v[114:115], v[112:113], v[110:111] op_sel:[1,1] op_sel_hi:[0,1]
	s_delay_alu instid0(VALU_DEP_1) | instskip(SKIP_1) | instid1(VALU_DEP_2)
	v_pk_fma_f32 v[116:117], v[112:113], v[110:111], v[114:115] op_sel_hi:[1,0,1]
	v_pk_fma_f32 v[110:111], v[112:113], v[110:111], v[114:115] neg_lo:[0,0,1] neg_hi:[0,0,1]
	v_mov_b32_e32 v111, v117
	s_cbranch_execz .LBB116_509
	s_branch .LBB116_510
.LBB116_508:
                                        ; implicit-def: $vgpr110_vgpr111
.LBB116_509:
	ds_load_b64 v[110:111], v1
.LBB116_510:
	s_and_saveexec_b32 s8, s1
	s_cbranch_execz .LBB116_514
; %bb.511:
	v_add_nc_u32_e32 v112, -2, v0
	s_movk_i32 s9, 0x1c0
	s_mov_b32 s1, 0
.LBB116_512:                            ; =>This Inner Loop Header: Depth=1
	scratch_load_b64 v[114:115], off, s6
	v_dual_mov_b32 v113, s9 :: v_dual_add_nc_u32 v112, -1, v112
	s_add_co_i32 s9, s9, 8
	s_wait_xcnt 0x0
	s_add_co_i32 s6, s6, 8
	ds_load_b64 v[116:117], v113
	v_cmp_eq_u32_e32 vcc_lo, 0, v112
	s_or_b32 s1, vcc_lo, s1
	s_wait_loadcnt_dscnt 0x0
	v_pk_mul_f32 v[118:119], v[116:117], v[114:115] op_sel:[1,1] op_sel_hi:[0,1]
	s_delay_alu instid0(VALU_DEP_1) | instskip(SKIP_1) | instid1(VALU_DEP_2)
	v_pk_fma_f32 v[120:121], v[116:117], v[114:115], v[118:119] op_sel_hi:[1,0,1]
	v_pk_fma_f32 v[114:115], v[116:117], v[114:115], v[118:119] neg_lo:[0,0,1] neg_hi:[0,0,1]
	v_mov_b32_e32 v115, v121
	s_delay_alu instid0(VALU_DEP_1)
	v_pk_add_f32 v[110:111], v[110:111], v[114:115]
	s_and_not1_b32 exec_lo, exec_lo, s1
	s_cbranch_execnz .LBB116_512
; %bb.513:
	s_or_b32 exec_lo, exec_lo, s1
.LBB116_514:
	s_delay_alu instid0(SALU_CYCLE_1) | instskip(SKIP_4) | instid1(VALU_DEP_1)
	s_or_b32 exec_lo, exec_lo, s8
	v_mov_b32_e32 v112, 0
	ds_load_b64 v[112:113], v112 offset:8
	s_wait_dscnt 0x0
	v_pk_mul_f32 v[114:115], v[110:111], v[112:113] op_sel:[1,1] op_sel_hi:[0,1]
	v_pk_fma_f32 v[116:117], v[110:111], v[112:113], v[114:115] op_sel_hi:[1,0,1]
	v_pk_fma_f32 v[110:111], v[110:111], v[112:113], v[114:115] neg_lo:[0,0,1] neg_hi:[0,0,1]
	s_delay_alu instid0(VALU_DEP_2)
	v_mov_b32_e32 v111, v117
	scratch_store_b64 off, v[110:111], off offset:8
.LBB116_515:
	s_wait_xcnt 0x0
	s_or_b32 exec_lo, exec_lo, s7
	scratch_load_b64 v[110:111], off, off
	s_mov_b32 s6, 0
	s_mov_b32 s1, 0
	s_mov_b32 s8, exec_lo
                                        ; implicit-def: $vgpr158
                                        ; implicit-def: $sgpr7
	s_wait_loadcnt 0x0
	ds_store_b64 v1, v[110:111]
	s_wait_storecnt_dscnt 0x0
	s_barrier_signal -1
	s_barrier_wait -1
	s_wait_xcnt 0x0
	v_cmpx_ne_u32_e32 0, v0
	s_cbranch_execz .LBB116_525
; %bb.516:
	s_and_not1_b32 vcc_lo, exec_lo, s5
	s_cbranch_vccnz .LBB116_518
; %bb.517:
	scratch_load_b64 v[112:113], v59, off
	ds_load_b64 v[114:115], v1
	s_wait_loadcnt_dscnt 0x0
	v_dual_mul_f32 v110, v115, v113 :: v_dual_mul_f32 v111, v114, v113
	s_delay_alu instid0(VALU_DEP_1)
	v_dual_fma_f32 v110, v114, v112, -v110 :: v_dual_fmac_f32 v111, v115, v112
	s_and_not1_b32 vcc_lo, exec_lo, s1
	s_cbranch_vccz .LBB116_519
	s_branch .LBB116_520
.LBB116_518:
                                        ; implicit-def: $vgpr110
.LBB116_519:
	ds_load_b64 v[110:111], v1
.LBB116_520:
	s_and_saveexec_b32 s1, s0
	s_cbranch_execz .LBB116_524
; %bb.521:
	v_add_nc_u32_e32 v112, -1, v0
	s_movk_i32 s7, 0x1b8
	s_mov_b32 s0, 0
.LBB116_522:                            ; =>This Inner Loop Header: Depth=1
	scratch_load_b64 v[114:115], off, s4
	v_mov_b32_e32 v113, s7
	s_add_co_i32 s7, s7, 8
	s_wait_xcnt 0x0
	s_add_co_i32 s4, s4, 8
	v_add_nc_u32_e32 v112, -1, v112
	ds_load_b64 v[116:117], v113
	v_cmp_eq_u32_e32 vcc_lo, 0, v112
	s_or_b32 s0, vcc_lo, s0
	s_wait_loadcnt_dscnt 0x0
	v_dual_mul_f32 v113, v117, v115 :: v_dual_mul_f32 v115, v116, v115
	s_delay_alu instid0(VALU_DEP_1) | instskip(NEXT) | instid1(VALU_DEP_1)
	v_dual_fma_f32 v113, v116, v114, -v113 :: v_dual_fmac_f32 v115, v117, v114
	v_dual_add_f32 v110, v110, v113 :: v_dual_add_f32 v111, v111, v115
	s_and_not1_b32 exec_lo, exec_lo, s0
	s_cbranch_execnz .LBB116_522
; %bb.523:
	s_or_b32 exec_lo, exec_lo, s0
.LBB116_524:
	s_delay_alu instid0(SALU_CYCLE_1)
	s_or_b32 exec_lo, exec_lo, s1
	v_mov_b32_e32 v112, 0
	s_mov_b32 s1, exec_lo
	s_or_b32 s7, 0, 4
	ds_load_b64 v[112:113], v112
	s_wait_dscnt 0x0
	v_dual_mul_f32 v114, v111, v113 :: v_dual_mul_f32 v158, v110, v113
	s_delay_alu instid0(VALU_DEP_1) | instskip(NEXT) | instid1(VALU_DEP_2)
	v_fma_f32 v110, v110, v112, -v114
	v_fmac_f32_e32 v158, v111, v112
	scratch_store_b32 off, v110, off
.LBB116_525:
	s_wait_xcnt 0x0
	s_or_b32 exec_lo, exec_lo, s8
	s_delay_alu instid0(SALU_CYCLE_1)
	s_and_b32 vcc_lo, exec_lo, s6
	s_cbranch_vccz .LBB116_1041
.LBB116_526:
	scratch_load_b64 v[110:111], off, off offset:8
	v_cmp_eq_u32_e64 s0, 0, v0
	s_wait_loadcnt 0x0
	ds_store_b64 v1, v[110:111]
	s_wait_storecnt_dscnt 0x0
	s_barrier_signal -1
	s_barrier_wait -1
	s_wait_xcnt 0x0
	s_and_saveexec_b32 s4, s0
	s_cbranch_execz .LBB116_532
; %bb.527:
	s_and_b32 vcc_lo, exec_lo, s5
	s_cbranch_vccz .LBB116_529
; %bb.528:
	scratch_load_b64 v[110:111], v59, off
	ds_load_b64 v[112:113], v1
	s_wait_loadcnt_dscnt 0x0
	v_pk_mul_f32 v[114:115], v[112:113], v[110:111] op_sel:[1,1] op_sel_hi:[0,1]
	v_pk_mul_f32 v[116:117], v[112:113], v[110:111] op_sel_hi:[1,0]
	s_delay_alu instid0(VALU_DEP_2) | instskip(NEXT) | instid1(VALU_DEP_2)
	v_pk_fma_f32 v[110:111], v[112:113], v[110:111], v[114:115] op_sel_hi:[1,0,1]
	v_sub_f32_e32 v110, v116, v114
	s_cbranch_execz .LBB116_530
	s_branch .LBB116_531
.LBB116_529:
                                        ; implicit-def: $vgpr111
.LBB116_530:
	ds_load_b64 v[110:111], v1
.LBB116_531:
	s_wait_dscnt 0x0
	v_dual_mov_b32 v112, 0 :: v_dual_mov_b32 v114, v111
	v_mov_b32_e32 v115, v110
	ds_load_b64 v[112:113], v112 offset:8
	s_wait_dscnt 0x0
	v_pk_mul_f32 v[114:115], v[114:115], v[112:113] op_sel:[0,1]
	s_delay_alu instid0(VALU_DEP_1) | instskip(SKIP_1) | instid1(VALU_DEP_2)
	v_pk_fma_f32 v[116:117], v[110:111], v[112:113], v[114:115] op_sel_hi:[1,0,1]
	v_pk_fma_f32 v[110:111], v[110:111], v[112:113], v[114:115] neg_lo:[0,0,1] neg_hi:[0,0,1]
	v_mov_b32_e32 v111, v117
	scratch_store_b64 off, v[110:111], off offset:8
.LBB116_532:
	s_wait_xcnt 0x0
	s_or_b32 exec_lo, exec_lo, s4
	scratch_load_b64 v[110:111], off, off offset:16
	v_cndmask_b32_e64 v112, 0, 1, s5
	s_mov_b32 s4, exec_lo
	s_wait_loadcnt 0x0
	ds_store_b64 v1, v[110:111]
	s_wait_storecnt_dscnt 0x0
	s_barrier_signal -1
	s_barrier_wait -1
	s_wait_xcnt 0x0
	v_cmpx_gt_u32_e32 2, v0
	s_cbranch_execz .LBB116_540
; %bb.533:
	s_and_not1_b32 vcc_lo, exec_lo, s5
	s_cbranch_vccnz .LBB116_535
; %bb.534:
	scratch_load_b64 v[110:111], v59, off
	ds_load_b64 v[114:115], v1
	s_wait_loadcnt_dscnt 0x0
	v_pk_mul_f32 v[116:117], v[114:115], v[110:111] op_sel:[1,1] op_sel_hi:[0,1]
	s_delay_alu instid0(VALU_DEP_1) | instskip(SKIP_1) | instid1(VALU_DEP_2)
	v_pk_fma_f32 v[118:119], v[114:115], v[110:111], v[116:117] op_sel_hi:[1,0,1]
	v_pk_fma_f32 v[110:111], v[114:115], v[110:111], v[116:117] neg_lo:[0,0,1] neg_hi:[0,0,1]
	v_mov_b32_e32 v111, v119
	s_cbranch_execz .LBB116_536
	s_branch .LBB116_537
.LBB116_535:
                                        ; implicit-def: $vgpr110_vgpr111
.LBB116_536:
	ds_load_b64 v[110:111], v1
.LBB116_537:
	s_and_saveexec_b32 s5, s0
	s_cbranch_execz .LBB116_539
; %bb.538:
	scratch_load_b64 v[114:115], off, off offset:8
	v_mov_b32_e32 v113, 0
	ds_load_b64 v[116:117], v113 offset:440
	s_wait_loadcnt_dscnt 0x0
	v_pk_mul_f32 v[118:119], v[116:117], v[114:115] op_sel:[1,1] op_sel_hi:[0,1]
	s_delay_alu instid0(VALU_DEP_1) | instskip(SKIP_1) | instid1(VALU_DEP_2)
	v_pk_fma_f32 v[120:121], v[116:117], v[114:115], v[118:119] op_sel_hi:[1,0,1]
	v_pk_fma_f32 v[114:115], v[116:117], v[114:115], v[118:119] neg_lo:[0,0,1] neg_hi:[0,0,1]
	v_mov_b32_e32 v115, v121
	s_delay_alu instid0(VALU_DEP_1)
	v_pk_add_f32 v[110:111], v[110:111], v[114:115]
.LBB116_539:
	s_or_b32 exec_lo, exec_lo, s5
	v_mov_b32_e32 v113, 0
	ds_load_b64 v[114:115], v113 offset:16
	s_wait_dscnt 0x0
	v_pk_mul_f32 v[116:117], v[110:111], v[114:115] op_sel:[1,1] op_sel_hi:[0,1]
	s_delay_alu instid0(VALU_DEP_1) | instskip(SKIP_1) | instid1(VALU_DEP_2)
	v_pk_fma_f32 v[118:119], v[110:111], v[114:115], v[116:117] op_sel_hi:[1,0,1]
	v_pk_fma_f32 v[110:111], v[110:111], v[114:115], v[116:117] neg_lo:[0,0,1] neg_hi:[0,0,1]
	v_mov_b32_e32 v111, v119
	scratch_store_b64 off, v[110:111], off offset:16
.LBB116_540:
	s_wait_xcnt 0x0
	s_or_b32 exec_lo, exec_lo, s4
	scratch_load_b64 v[110:111], off, off offset:24
	s_mov_b32 s4, exec_lo
	s_wait_loadcnt 0x0
	ds_store_b64 v1, v[110:111]
	s_wait_storecnt_dscnt 0x0
	s_barrier_signal -1
	s_barrier_wait -1
	s_wait_xcnt 0x0
	v_cmpx_gt_u32_e32 3, v0
	s_cbranch_execz .LBB116_550
; %bb.541:
	v_cmp_ne_u32_e32 vcc_lo, 1, v112
	s_cbranch_vccnz .LBB116_543
; %bb.542:
	scratch_load_b64 v[110:111], v59, off
	ds_load_b64 v[114:115], v1
	s_wait_loadcnt_dscnt 0x0
	v_pk_mul_f32 v[116:117], v[114:115], v[110:111] op_sel:[1,1] op_sel_hi:[0,1]
	s_delay_alu instid0(VALU_DEP_1) | instskip(SKIP_1) | instid1(VALU_DEP_2)
	v_pk_fma_f32 v[118:119], v[114:115], v[110:111], v[116:117] op_sel_hi:[1,0,1]
	v_pk_fma_f32 v[110:111], v[114:115], v[110:111], v[116:117] neg_lo:[0,0,1] neg_hi:[0,0,1]
	v_mov_b32_e32 v111, v119
	s_cbranch_execz .LBB116_544
	s_branch .LBB116_545
.LBB116_543:
                                        ; implicit-def: $vgpr110_vgpr111
.LBB116_544:
	ds_load_b64 v[110:111], v1
.LBB116_545:
	s_mov_b32 s5, exec_lo
	v_cmpx_ne_u32_e32 2, v0
	s_cbranch_execz .LBB116_549
; %bb.546:
	scratch_load_b64 v[114:115], v59, off offset:8
	ds_load_b64 v[116:117], v1 offset:8
	s_wait_loadcnt_dscnt 0x0
	v_pk_mul_f32 v[118:119], v[116:117], v[114:115] op_sel:[1,1] op_sel_hi:[0,1]
	s_delay_alu instid0(VALU_DEP_1) | instskip(SKIP_1) | instid1(VALU_DEP_2)
	v_pk_fma_f32 v[120:121], v[116:117], v[114:115], v[118:119] op_sel_hi:[1,0,1]
	v_pk_fma_f32 v[114:115], v[116:117], v[114:115], v[118:119] neg_lo:[0,0,1] neg_hi:[0,0,1]
	v_mov_b32_e32 v115, v121
	s_delay_alu instid0(VALU_DEP_1)
	v_pk_add_f32 v[110:111], v[110:111], v[114:115]
	s_and_saveexec_b32 s6, s0
	s_cbranch_execz .LBB116_548
; %bb.547:
	scratch_load_b64 v[114:115], off, off offset:16
	v_mov_b32_e32 v113, 0
	ds_load_b64 v[116:117], v113 offset:448
	s_wait_loadcnt_dscnt 0x0
	v_pk_mul_f32 v[118:119], v[116:117], v[114:115] op_sel:[1,1] op_sel_hi:[0,1]
	s_delay_alu instid0(VALU_DEP_1) | instskip(SKIP_1) | instid1(VALU_DEP_2)
	v_pk_fma_f32 v[120:121], v[116:117], v[114:115], v[118:119] op_sel_hi:[1,0,1]
	v_pk_fma_f32 v[114:115], v[116:117], v[114:115], v[118:119] neg_lo:[0,0,1] neg_hi:[0,0,1]
	v_mov_b32_e32 v115, v121
	s_delay_alu instid0(VALU_DEP_1)
	v_pk_add_f32 v[110:111], v[110:111], v[114:115]
.LBB116_548:
	s_or_b32 exec_lo, exec_lo, s6
.LBB116_549:
	s_delay_alu instid0(SALU_CYCLE_1) | instskip(SKIP_4) | instid1(VALU_DEP_1)
	s_or_b32 exec_lo, exec_lo, s5
	v_mov_b32_e32 v113, 0
	ds_load_b64 v[114:115], v113 offset:24
	s_wait_dscnt 0x0
	v_pk_mul_f32 v[116:117], v[110:111], v[114:115] op_sel:[1,1] op_sel_hi:[0,1]
	v_pk_fma_f32 v[118:119], v[110:111], v[114:115], v[116:117] op_sel_hi:[1,0,1]
	v_pk_fma_f32 v[110:111], v[110:111], v[114:115], v[116:117] neg_lo:[0,0,1] neg_hi:[0,0,1]
	s_delay_alu instid0(VALU_DEP_2)
	v_mov_b32_e32 v111, v119
	scratch_store_b64 off, v[110:111], off offset:24
.LBB116_550:
	s_wait_xcnt 0x0
	s_or_b32 exec_lo, exec_lo, s4
	scratch_load_b64 v[110:111], off, off offset:32
	s_mov_b32 s0, exec_lo
	s_wait_loadcnt 0x0
	ds_store_b64 v1, v[110:111]
	s_wait_storecnt_dscnt 0x0
	s_barrier_signal -1
	s_barrier_wait -1
	s_wait_xcnt 0x0
	v_cmpx_gt_u32_e32 4, v0
	s_cbranch_execz .LBB116_560
; %bb.551:
	v_cmp_ne_u32_e32 vcc_lo, 1, v112
	s_cbranch_vccnz .LBB116_553
; %bb.552:
	scratch_load_b64 v[110:111], v59, off
	ds_load_b64 v[114:115], v1
	s_wait_loadcnt_dscnt 0x0
	v_pk_mul_f32 v[116:117], v[114:115], v[110:111] op_sel:[1,1] op_sel_hi:[0,1]
	s_delay_alu instid0(VALU_DEP_1) | instskip(SKIP_1) | instid1(VALU_DEP_2)
	v_pk_fma_f32 v[118:119], v[114:115], v[110:111], v[116:117] op_sel_hi:[1,0,1]
	v_pk_fma_f32 v[110:111], v[114:115], v[110:111], v[116:117] neg_lo:[0,0,1] neg_hi:[0,0,1]
	v_mov_b32_e32 v111, v119
	s_cbranch_execz .LBB116_554
	s_branch .LBB116_555
.LBB116_553:
                                        ; implicit-def: $vgpr110_vgpr111
.LBB116_554:
	ds_load_b64 v[110:111], v1
.LBB116_555:
	s_mov_b32 s4, exec_lo
	v_cmpx_ne_u32_e32 3, v0
	s_cbranch_execz .LBB116_559
; %bb.556:
	v_add_nc_u32_e32 v113, 0x1b8, v58
	v_add3_u32 v114, 0, v58, 8
	v_mov_b32_e32 v115, v0
	s_mov_b32 s5, 0
.LBB116_557:                            ; =>This Inner Loop Header: Depth=1
	scratch_load_b64 v[116:117], v114, off
	ds_load_b64 v[118:119], v113
	s_wait_xcnt 0x0
	v_dual_add_nc_u32 v113, 8, v113 :: v_dual_add_nc_u32 v114, 8, v114
	s_wait_loadcnt_dscnt 0x0
	v_pk_mul_f32 v[120:121], v[118:119], v[116:117] op_sel:[1,1] op_sel_hi:[0,1]
	s_delay_alu instid0(VALU_DEP_1) | instskip(SKIP_2) | instid1(VALU_DEP_3)
	v_pk_fma_f32 v[122:123], v[118:119], v[116:117], v[120:121] op_sel_hi:[1,0,1]
	v_add_nc_u32_e32 v115, 1, v115
	v_pk_fma_f32 v[116:117], v[118:119], v[116:117], v[120:121] neg_lo:[0,0,1] neg_hi:[0,0,1]
	v_mov_b32_e32 v117, v123
	s_delay_alu instid0(VALU_DEP_3) | instskip(NEXT) | instid1(VALU_DEP_2)
	v_cmp_lt_u32_e32 vcc_lo, 2, v115
	v_pk_add_f32 v[110:111], v[110:111], v[116:117]
	s_or_b32 s5, vcc_lo, s5
	s_delay_alu instid0(SALU_CYCLE_1)
	s_and_not1_b32 exec_lo, exec_lo, s5
	s_cbranch_execnz .LBB116_557
; %bb.558:
	s_or_b32 exec_lo, exec_lo, s5
.LBB116_559:
	s_delay_alu instid0(SALU_CYCLE_1) | instskip(SKIP_4) | instid1(VALU_DEP_1)
	s_or_b32 exec_lo, exec_lo, s4
	v_mov_b32_e32 v113, 0
	ds_load_b64 v[114:115], v113 offset:32
	s_wait_dscnt 0x0
	v_pk_mul_f32 v[116:117], v[110:111], v[114:115] op_sel:[1,1] op_sel_hi:[0,1]
	v_pk_fma_f32 v[118:119], v[110:111], v[114:115], v[116:117] op_sel_hi:[1,0,1]
	v_pk_fma_f32 v[110:111], v[110:111], v[114:115], v[116:117] neg_lo:[0,0,1] neg_hi:[0,0,1]
	s_delay_alu instid0(VALU_DEP_2)
	v_mov_b32_e32 v111, v119
	scratch_store_b64 off, v[110:111], off offset:32
.LBB116_560:
	s_wait_xcnt 0x0
	s_or_b32 exec_lo, exec_lo, s0
	scratch_load_b64 v[110:111], off, off offset:40
	s_mov_b32 s0, exec_lo
	s_wait_loadcnt 0x0
	ds_store_b64 v1, v[110:111]
	s_wait_storecnt_dscnt 0x0
	s_barrier_signal -1
	s_barrier_wait -1
	s_wait_xcnt 0x0
	v_cmpx_gt_u32_e32 5, v0
	s_cbranch_execz .LBB116_570
; %bb.561:
	v_cmp_ne_u32_e32 vcc_lo, 1, v112
	s_cbranch_vccnz .LBB116_563
; %bb.562:
	scratch_load_b64 v[110:111], v59, off
	ds_load_b64 v[114:115], v1
	s_wait_loadcnt_dscnt 0x0
	v_pk_mul_f32 v[116:117], v[114:115], v[110:111] op_sel:[1,1] op_sel_hi:[0,1]
	s_delay_alu instid0(VALU_DEP_1) | instskip(SKIP_1) | instid1(VALU_DEP_2)
	v_pk_fma_f32 v[118:119], v[114:115], v[110:111], v[116:117] op_sel_hi:[1,0,1]
	v_pk_fma_f32 v[110:111], v[114:115], v[110:111], v[116:117] neg_lo:[0,0,1] neg_hi:[0,0,1]
	v_mov_b32_e32 v111, v119
	s_cbranch_execz .LBB116_564
	s_branch .LBB116_565
.LBB116_563:
                                        ; implicit-def: $vgpr110_vgpr111
.LBB116_564:
	ds_load_b64 v[110:111], v1
.LBB116_565:
	s_mov_b32 s4, exec_lo
	v_cmpx_ne_u32_e32 4, v0
	s_cbranch_execz .LBB116_569
; %bb.566:
	v_add_nc_u32_e32 v113, 0x1b8, v58
	v_add3_u32 v114, 0, v58, 8
	v_mov_b32_e32 v115, v0
	s_mov_b32 s5, 0
.LBB116_567:                            ; =>This Inner Loop Header: Depth=1
	scratch_load_b64 v[116:117], v114, off
	ds_load_b64 v[118:119], v113
	s_wait_xcnt 0x0
	v_dual_add_nc_u32 v113, 8, v113 :: v_dual_add_nc_u32 v114, 8, v114
	s_wait_loadcnt_dscnt 0x0
	v_pk_mul_f32 v[120:121], v[118:119], v[116:117] op_sel:[1,1] op_sel_hi:[0,1]
	s_delay_alu instid0(VALU_DEP_1) | instskip(SKIP_2) | instid1(VALU_DEP_3)
	v_pk_fma_f32 v[122:123], v[118:119], v[116:117], v[120:121] op_sel_hi:[1,0,1]
	v_add_nc_u32_e32 v115, 1, v115
	v_pk_fma_f32 v[116:117], v[118:119], v[116:117], v[120:121] neg_lo:[0,0,1] neg_hi:[0,0,1]
	v_mov_b32_e32 v117, v123
	s_delay_alu instid0(VALU_DEP_3) | instskip(NEXT) | instid1(VALU_DEP_2)
	v_cmp_lt_u32_e32 vcc_lo, 3, v115
	v_pk_add_f32 v[110:111], v[110:111], v[116:117]
	s_or_b32 s5, vcc_lo, s5
	s_delay_alu instid0(SALU_CYCLE_1)
	s_and_not1_b32 exec_lo, exec_lo, s5
	s_cbranch_execnz .LBB116_567
; %bb.568:
	s_or_b32 exec_lo, exec_lo, s5
.LBB116_569:
	s_delay_alu instid0(SALU_CYCLE_1) | instskip(SKIP_4) | instid1(VALU_DEP_1)
	s_or_b32 exec_lo, exec_lo, s4
	v_mov_b32_e32 v113, 0
	ds_load_b64 v[114:115], v113 offset:40
	s_wait_dscnt 0x0
	v_pk_mul_f32 v[116:117], v[110:111], v[114:115] op_sel:[1,1] op_sel_hi:[0,1]
	v_pk_fma_f32 v[118:119], v[110:111], v[114:115], v[116:117] op_sel_hi:[1,0,1]
	v_pk_fma_f32 v[110:111], v[110:111], v[114:115], v[116:117] neg_lo:[0,0,1] neg_hi:[0,0,1]
	s_delay_alu instid0(VALU_DEP_2)
	v_mov_b32_e32 v111, v119
	scratch_store_b64 off, v[110:111], off offset:40
.LBB116_570:
	s_wait_xcnt 0x0
	s_or_b32 exec_lo, exec_lo, s0
	scratch_load_b64 v[110:111], off, off offset:48
	s_mov_b32 s0, exec_lo
	s_wait_loadcnt 0x0
	ds_store_b64 v1, v[110:111]
	s_wait_storecnt_dscnt 0x0
	s_barrier_signal -1
	s_barrier_wait -1
	s_wait_xcnt 0x0
	v_cmpx_gt_u32_e32 6, v0
	s_cbranch_execz .LBB116_580
; %bb.571:
	v_cmp_ne_u32_e32 vcc_lo, 1, v112
	s_cbranch_vccnz .LBB116_573
; %bb.572:
	scratch_load_b64 v[110:111], v59, off
	ds_load_b64 v[114:115], v1
	s_wait_loadcnt_dscnt 0x0
	v_pk_mul_f32 v[116:117], v[114:115], v[110:111] op_sel:[1,1] op_sel_hi:[0,1]
	s_delay_alu instid0(VALU_DEP_1) | instskip(SKIP_1) | instid1(VALU_DEP_2)
	v_pk_fma_f32 v[118:119], v[114:115], v[110:111], v[116:117] op_sel_hi:[1,0,1]
	v_pk_fma_f32 v[110:111], v[114:115], v[110:111], v[116:117] neg_lo:[0,0,1] neg_hi:[0,0,1]
	v_mov_b32_e32 v111, v119
	s_cbranch_execz .LBB116_574
	s_branch .LBB116_575
.LBB116_573:
                                        ; implicit-def: $vgpr110_vgpr111
.LBB116_574:
	ds_load_b64 v[110:111], v1
.LBB116_575:
	s_mov_b32 s4, exec_lo
	v_cmpx_ne_u32_e32 5, v0
	s_cbranch_execz .LBB116_579
; %bb.576:
	v_add_nc_u32_e32 v113, 0x1b8, v58
	v_add3_u32 v114, 0, v58, 8
	v_mov_b32_e32 v115, v0
	s_mov_b32 s5, 0
.LBB116_577:                            ; =>This Inner Loop Header: Depth=1
	scratch_load_b64 v[116:117], v114, off
	ds_load_b64 v[118:119], v113
	s_wait_xcnt 0x0
	v_dual_add_nc_u32 v113, 8, v113 :: v_dual_add_nc_u32 v114, 8, v114
	s_wait_loadcnt_dscnt 0x0
	v_pk_mul_f32 v[120:121], v[118:119], v[116:117] op_sel:[1,1] op_sel_hi:[0,1]
	s_delay_alu instid0(VALU_DEP_1) | instskip(SKIP_2) | instid1(VALU_DEP_3)
	v_pk_fma_f32 v[122:123], v[118:119], v[116:117], v[120:121] op_sel_hi:[1,0,1]
	v_add_nc_u32_e32 v115, 1, v115
	v_pk_fma_f32 v[116:117], v[118:119], v[116:117], v[120:121] neg_lo:[0,0,1] neg_hi:[0,0,1]
	v_mov_b32_e32 v117, v123
	s_delay_alu instid0(VALU_DEP_3) | instskip(NEXT) | instid1(VALU_DEP_2)
	v_cmp_lt_u32_e32 vcc_lo, 4, v115
	v_pk_add_f32 v[110:111], v[110:111], v[116:117]
	s_or_b32 s5, vcc_lo, s5
	s_delay_alu instid0(SALU_CYCLE_1)
	s_and_not1_b32 exec_lo, exec_lo, s5
	s_cbranch_execnz .LBB116_577
; %bb.578:
	s_or_b32 exec_lo, exec_lo, s5
.LBB116_579:
	s_delay_alu instid0(SALU_CYCLE_1) | instskip(SKIP_4) | instid1(VALU_DEP_1)
	s_or_b32 exec_lo, exec_lo, s4
	v_mov_b32_e32 v113, 0
	ds_load_b64 v[114:115], v113 offset:48
	s_wait_dscnt 0x0
	v_pk_mul_f32 v[116:117], v[110:111], v[114:115] op_sel:[1,1] op_sel_hi:[0,1]
	v_pk_fma_f32 v[118:119], v[110:111], v[114:115], v[116:117] op_sel_hi:[1,0,1]
	v_pk_fma_f32 v[110:111], v[110:111], v[114:115], v[116:117] neg_lo:[0,0,1] neg_hi:[0,0,1]
	s_delay_alu instid0(VALU_DEP_2)
	v_mov_b32_e32 v111, v119
	scratch_store_b64 off, v[110:111], off offset:48
.LBB116_580:
	s_wait_xcnt 0x0
	s_or_b32 exec_lo, exec_lo, s0
	scratch_load_b64 v[110:111], off, off offset:56
	s_mov_b32 s0, exec_lo
	s_wait_loadcnt 0x0
	ds_store_b64 v1, v[110:111]
	s_wait_storecnt_dscnt 0x0
	s_barrier_signal -1
	s_barrier_wait -1
	s_wait_xcnt 0x0
	v_cmpx_gt_u32_e32 7, v0
	s_cbranch_execz .LBB116_590
; %bb.581:
	v_cmp_ne_u32_e32 vcc_lo, 1, v112
	s_cbranch_vccnz .LBB116_583
; %bb.582:
	scratch_load_b64 v[110:111], v59, off
	ds_load_b64 v[114:115], v1
	s_wait_loadcnt_dscnt 0x0
	v_pk_mul_f32 v[116:117], v[114:115], v[110:111] op_sel:[1,1] op_sel_hi:[0,1]
	s_delay_alu instid0(VALU_DEP_1) | instskip(SKIP_1) | instid1(VALU_DEP_2)
	v_pk_fma_f32 v[118:119], v[114:115], v[110:111], v[116:117] op_sel_hi:[1,0,1]
	v_pk_fma_f32 v[110:111], v[114:115], v[110:111], v[116:117] neg_lo:[0,0,1] neg_hi:[0,0,1]
	v_mov_b32_e32 v111, v119
	s_cbranch_execz .LBB116_584
	s_branch .LBB116_585
.LBB116_583:
                                        ; implicit-def: $vgpr110_vgpr111
.LBB116_584:
	ds_load_b64 v[110:111], v1
.LBB116_585:
	s_mov_b32 s4, exec_lo
	v_cmpx_ne_u32_e32 6, v0
	s_cbranch_execz .LBB116_589
; %bb.586:
	v_add_nc_u32_e32 v113, 0x1b8, v58
	v_add3_u32 v114, 0, v58, 8
	v_mov_b32_e32 v115, v0
	s_mov_b32 s5, 0
.LBB116_587:                            ; =>This Inner Loop Header: Depth=1
	scratch_load_b64 v[116:117], v114, off
	ds_load_b64 v[118:119], v113
	s_wait_xcnt 0x0
	v_dual_add_nc_u32 v113, 8, v113 :: v_dual_add_nc_u32 v114, 8, v114
	s_wait_loadcnt_dscnt 0x0
	v_pk_mul_f32 v[120:121], v[118:119], v[116:117] op_sel:[1,1] op_sel_hi:[0,1]
	s_delay_alu instid0(VALU_DEP_1) | instskip(SKIP_2) | instid1(VALU_DEP_3)
	v_pk_fma_f32 v[122:123], v[118:119], v[116:117], v[120:121] op_sel_hi:[1,0,1]
	v_add_nc_u32_e32 v115, 1, v115
	v_pk_fma_f32 v[116:117], v[118:119], v[116:117], v[120:121] neg_lo:[0,0,1] neg_hi:[0,0,1]
	v_mov_b32_e32 v117, v123
	s_delay_alu instid0(VALU_DEP_3) | instskip(NEXT) | instid1(VALU_DEP_2)
	v_cmp_lt_u32_e32 vcc_lo, 5, v115
	v_pk_add_f32 v[110:111], v[110:111], v[116:117]
	s_or_b32 s5, vcc_lo, s5
	s_delay_alu instid0(SALU_CYCLE_1)
	s_and_not1_b32 exec_lo, exec_lo, s5
	s_cbranch_execnz .LBB116_587
; %bb.588:
	s_or_b32 exec_lo, exec_lo, s5
.LBB116_589:
	s_delay_alu instid0(SALU_CYCLE_1) | instskip(SKIP_4) | instid1(VALU_DEP_1)
	s_or_b32 exec_lo, exec_lo, s4
	v_mov_b32_e32 v113, 0
	ds_load_b64 v[114:115], v113 offset:56
	s_wait_dscnt 0x0
	v_pk_mul_f32 v[116:117], v[110:111], v[114:115] op_sel:[1,1] op_sel_hi:[0,1]
	v_pk_fma_f32 v[118:119], v[110:111], v[114:115], v[116:117] op_sel_hi:[1,0,1]
	v_pk_fma_f32 v[110:111], v[110:111], v[114:115], v[116:117] neg_lo:[0,0,1] neg_hi:[0,0,1]
	s_delay_alu instid0(VALU_DEP_2)
	v_mov_b32_e32 v111, v119
	scratch_store_b64 off, v[110:111], off offset:56
.LBB116_590:
	s_wait_xcnt 0x0
	s_or_b32 exec_lo, exec_lo, s0
	scratch_load_b64 v[110:111], off, off offset:64
	s_mov_b32 s0, exec_lo
	s_wait_loadcnt 0x0
	ds_store_b64 v1, v[110:111]
	s_wait_storecnt_dscnt 0x0
	s_barrier_signal -1
	s_barrier_wait -1
	s_wait_xcnt 0x0
	v_cmpx_gt_u32_e32 8, v0
	s_cbranch_execz .LBB116_600
; %bb.591:
	v_cmp_ne_u32_e32 vcc_lo, 1, v112
	s_cbranch_vccnz .LBB116_593
; %bb.592:
	scratch_load_b64 v[110:111], v59, off
	ds_load_b64 v[114:115], v1
	s_wait_loadcnt_dscnt 0x0
	v_pk_mul_f32 v[116:117], v[114:115], v[110:111] op_sel:[1,1] op_sel_hi:[0,1]
	s_delay_alu instid0(VALU_DEP_1) | instskip(SKIP_1) | instid1(VALU_DEP_2)
	v_pk_fma_f32 v[118:119], v[114:115], v[110:111], v[116:117] op_sel_hi:[1,0,1]
	v_pk_fma_f32 v[110:111], v[114:115], v[110:111], v[116:117] neg_lo:[0,0,1] neg_hi:[0,0,1]
	v_mov_b32_e32 v111, v119
	s_cbranch_execz .LBB116_594
	s_branch .LBB116_595
.LBB116_593:
                                        ; implicit-def: $vgpr110_vgpr111
.LBB116_594:
	ds_load_b64 v[110:111], v1
.LBB116_595:
	s_mov_b32 s4, exec_lo
	v_cmpx_ne_u32_e32 7, v0
	s_cbranch_execz .LBB116_599
; %bb.596:
	v_add_nc_u32_e32 v113, 0x1b8, v58
	v_add3_u32 v114, 0, v58, 8
	v_mov_b32_e32 v115, v0
	s_mov_b32 s5, 0
.LBB116_597:                            ; =>This Inner Loop Header: Depth=1
	scratch_load_b64 v[116:117], v114, off
	ds_load_b64 v[118:119], v113
	s_wait_xcnt 0x0
	v_dual_add_nc_u32 v113, 8, v113 :: v_dual_add_nc_u32 v114, 8, v114
	s_wait_loadcnt_dscnt 0x0
	v_pk_mul_f32 v[120:121], v[118:119], v[116:117] op_sel:[1,1] op_sel_hi:[0,1]
	s_delay_alu instid0(VALU_DEP_1) | instskip(SKIP_2) | instid1(VALU_DEP_3)
	v_pk_fma_f32 v[122:123], v[118:119], v[116:117], v[120:121] op_sel_hi:[1,0,1]
	v_add_nc_u32_e32 v115, 1, v115
	v_pk_fma_f32 v[116:117], v[118:119], v[116:117], v[120:121] neg_lo:[0,0,1] neg_hi:[0,0,1]
	v_mov_b32_e32 v117, v123
	s_delay_alu instid0(VALU_DEP_3) | instskip(NEXT) | instid1(VALU_DEP_2)
	v_cmp_lt_u32_e32 vcc_lo, 6, v115
	v_pk_add_f32 v[110:111], v[110:111], v[116:117]
	s_or_b32 s5, vcc_lo, s5
	s_delay_alu instid0(SALU_CYCLE_1)
	s_and_not1_b32 exec_lo, exec_lo, s5
	s_cbranch_execnz .LBB116_597
; %bb.598:
	s_or_b32 exec_lo, exec_lo, s5
.LBB116_599:
	s_delay_alu instid0(SALU_CYCLE_1) | instskip(SKIP_4) | instid1(VALU_DEP_1)
	s_or_b32 exec_lo, exec_lo, s4
	v_mov_b32_e32 v113, 0
	ds_load_b64 v[114:115], v113 offset:64
	s_wait_dscnt 0x0
	v_pk_mul_f32 v[116:117], v[110:111], v[114:115] op_sel:[1,1] op_sel_hi:[0,1]
	v_pk_fma_f32 v[118:119], v[110:111], v[114:115], v[116:117] op_sel_hi:[1,0,1]
	v_pk_fma_f32 v[110:111], v[110:111], v[114:115], v[116:117] neg_lo:[0,0,1] neg_hi:[0,0,1]
	s_delay_alu instid0(VALU_DEP_2)
	v_mov_b32_e32 v111, v119
	scratch_store_b64 off, v[110:111], off offset:64
.LBB116_600:
	s_wait_xcnt 0x0
	s_or_b32 exec_lo, exec_lo, s0
	scratch_load_b64 v[110:111], off, off offset:72
	s_mov_b32 s0, exec_lo
	s_wait_loadcnt 0x0
	ds_store_b64 v1, v[110:111]
	s_wait_storecnt_dscnt 0x0
	s_barrier_signal -1
	s_barrier_wait -1
	s_wait_xcnt 0x0
	v_cmpx_gt_u32_e32 9, v0
	s_cbranch_execz .LBB116_610
; %bb.601:
	v_cmp_ne_u32_e32 vcc_lo, 1, v112
	s_cbranch_vccnz .LBB116_603
; %bb.602:
	scratch_load_b64 v[110:111], v59, off
	ds_load_b64 v[114:115], v1
	s_wait_loadcnt_dscnt 0x0
	v_pk_mul_f32 v[116:117], v[114:115], v[110:111] op_sel:[1,1] op_sel_hi:[0,1]
	s_delay_alu instid0(VALU_DEP_1) | instskip(SKIP_1) | instid1(VALU_DEP_2)
	v_pk_fma_f32 v[118:119], v[114:115], v[110:111], v[116:117] op_sel_hi:[1,0,1]
	v_pk_fma_f32 v[110:111], v[114:115], v[110:111], v[116:117] neg_lo:[0,0,1] neg_hi:[0,0,1]
	v_mov_b32_e32 v111, v119
	s_cbranch_execz .LBB116_604
	s_branch .LBB116_605
.LBB116_603:
                                        ; implicit-def: $vgpr110_vgpr111
.LBB116_604:
	ds_load_b64 v[110:111], v1
.LBB116_605:
	s_mov_b32 s4, exec_lo
	v_cmpx_ne_u32_e32 8, v0
	s_cbranch_execz .LBB116_609
; %bb.606:
	v_add_nc_u32_e32 v113, 0x1b8, v58
	v_add3_u32 v114, 0, v58, 8
	v_mov_b32_e32 v115, v0
	s_mov_b32 s5, 0
.LBB116_607:                            ; =>This Inner Loop Header: Depth=1
	scratch_load_b64 v[116:117], v114, off
	ds_load_b64 v[118:119], v113
	s_wait_xcnt 0x0
	v_dual_add_nc_u32 v113, 8, v113 :: v_dual_add_nc_u32 v114, 8, v114
	s_wait_loadcnt_dscnt 0x0
	v_pk_mul_f32 v[120:121], v[118:119], v[116:117] op_sel:[1,1] op_sel_hi:[0,1]
	s_delay_alu instid0(VALU_DEP_1) | instskip(SKIP_2) | instid1(VALU_DEP_3)
	v_pk_fma_f32 v[122:123], v[118:119], v[116:117], v[120:121] op_sel_hi:[1,0,1]
	v_add_nc_u32_e32 v115, 1, v115
	v_pk_fma_f32 v[116:117], v[118:119], v[116:117], v[120:121] neg_lo:[0,0,1] neg_hi:[0,0,1]
	v_mov_b32_e32 v117, v123
	s_delay_alu instid0(VALU_DEP_3) | instskip(NEXT) | instid1(VALU_DEP_2)
	v_cmp_lt_u32_e32 vcc_lo, 7, v115
	v_pk_add_f32 v[110:111], v[110:111], v[116:117]
	s_or_b32 s5, vcc_lo, s5
	s_delay_alu instid0(SALU_CYCLE_1)
	s_and_not1_b32 exec_lo, exec_lo, s5
	s_cbranch_execnz .LBB116_607
; %bb.608:
	s_or_b32 exec_lo, exec_lo, s5
.LBB116_609:
	s_delay_alu instid0(SALU_CYCLE_1) | instskip(SKIP_4) | instid1(VALU_DEP_1)
	s_or_b32 exec_lo, exec_lo, s4
	v_mov_b32_e32 v113, 0
	ds_load_b64 v[114:115], v113 offset:72
	s_wait_dscnt 0x0
	v_pk_mul_f32 v[116:117], v[110:111], v[114:115] op_sel:[1,1] op_sel_hi:[0,1]
	v_pk_fma_f32 v[118:119], v[110:111], v[114:115], v[116:117] op_sel_hi:[1,0,1]
	v_pk_fma_f32 v[110:111], v[110:111], v[114:115], v[116:117] neg_lo:[0,0,1] neg_hi:[0,0,1]
	s_delay_alu instid0(VALU_DEP_2)
	v_mov_b32_e32 v111, v119
	scratch_store_b64 off, v[110:111], off offset:72
.LBB116_610:
	s_wait_xcnt 0x0
	s_or_b32 exec_lo, exec_lo, s0
	scratch_load_b64 v[110:111], off, off offset:80
	s_mov_b32 s0, exec_lo
	s_wait_loadcnt 0x0
	ds_store_b64 v1, v[110:111]
	s_wait_storecnt_dscnt 0x0
	s_barrier_signal -1
	s_barrier_wait -1
	s_wait_xcnt 0x0
	v_cmpx_gt_u32_e32 10, v0
	s_cbranch_execz .LBB116_620
; %bb.611:
	v_cmp_ne_u32_e32 vcc_lo, 1, v112
	s_cbranch_vccnz .LBB116_613
; %bb.612:
	scratch_load_b64 v[110:111], v59, off
	ds_load_b64 v[114:115], v1
	s_wait_loadcnt_dscnt 0x0
	v_pk_mul_f32 v[116:117], v[114:115], v[110:111] op_sel:[1,1] op_sel_hi:[0,1]
	s_delay_alu instid0(VALU_DEP_1) | instskip(SKIP_1) | instid1(VALU_DEP_2)
	v_pk_fma_f32 v[118:119], v[114:115], v[110:111], v[116:117] op_sel_hi:[1,0,1]
	v_pk_fma_f32 v[110:111], v[114:115], v[110:111], v[116:117] neg_lo:[0,0,1] neg_hi:[0,0,1]
	v_mov_b32_e32 v111, v119
	s_cbranch_execz .LBB116_614
	s_branch .LBB116_615
.LBB116_613:
                                        ; implicit-def: $vgpr110_vgpr111
.LBB116_614:
	ds_load_b64 v[110:111], v1
.LBB116_615:
	s_mov_b32 s4, exec_lo
	v_cmpx_ne_u32_e32 9, v0
	s_cbranch_execz .LBB116_619
; %bb.616:
	v_add_nc_u32_e32 v113, 0x1b8, v58
	v_add3_u32 v114, 0, v58, 8
	v_mov_b32_e32 v115, v0
	s_mov_b32 s5, 0
.LBB116_617:                            ; =>This Inner Loop Header: Depth=1
	scratch_load_b64 v[116:117], v114, off
	ds_load_b64 v[118:119], v113
	s_wait_xcnt 0x0
	v_dual_add_nc_u32 v113, 8, v113 :: v_dual_add_nc_u32 v114, 8, v114
	s_wait_loadcnt_dscnt 0x0
	v_pk_mul_f32 v[120:121], v[118:119], v[116:117] op_sel:[1,1] op_sel_hi:[0,1]
	s_delay_alu instid0(VALU_DEP_1) | instskip(SKIP_2) | instid1(VALU_DEP_3)
	v_pk_fma_f32 v[122:123], v[118:119], v[116:117], v[120:121] op_sel_hi:[1,0,1]
	v_add_nc_u32_e32 v115, 1, v115
	v_pk_fma_f32 v[116:117], v[118:119], v[116:117], v[120:121] neg_lo:[0,0,1] neg_hi:[0,0,1]
	v_mov_b32_e32 v117, v123
	s_delay_alu instid0(VALU_DEP_3) | instskip(NEXT) | instid1(VALU_DEP_2)
	v_cmp_lt_u32_e32 vcc_lo, 8, v115
	v_pk_add_f32 v[110:111], v[110:111], v[116:117]
	s_or_b32 s5, vcc_lo, s5
	s_delay_alu instid0(SALU_CYCLE_1)
	s_and_not1_b32 exec_lo, exec_lo, s5
	s_cbranch_execnz .LBB116_617
; %bb.618:
	s_or_b32 exec_lo, exec_lo, s5
.LBB116_619:
	s_delay_alu instid0(SALU_CYCLE_1) | instskip(SKIP_4) | instid1(VALU_DEP_1)
	s_or_b32 exec_lo, exec_lo, s4
	v_mov_b32_e32 v113, 0
	ds_load_b64 v[114:115], v113 offset:80
	s_wait_dscnt 0x0
	v_pk_mul_f32 v[116:117], v[110:111], v[114:115] op_sel:[1,1] op_sel_hi:[0,1]
	v_pk_fma_f32 v[118:119], v[110:111], v[114:115], v[116:117] op_sel_hi:[1,0,1]
	v_pk_fma_f32 v[110:111], v[110:111], v[114:115], v[116:117] neg_lo:[0,0,1] neg_hi:[0,0,1]
	s_delay_alu instid0(VALU_DEP_2)
	v_mov_b32_e32 v111, v119
	scratch_store_b64 off, v[110:111], off offset:80
.LBB116_620:
	s_wait_xcnt 0x0
	s_or_b32 exec_lo, exec_lo, s0
	scratch_load_b64 v[110:111], off, off offset:88
	s_mov_b32 s0, exec_lo
	s_wait_loadcnt 0x0
	ds_store_b64 v1, v[110:111]
	s_wait_storecnt_dscnt 0x0
	s_barrier_signal -1
	s_barrier_wait -1
	s_wait_xcnt 0x0
	v_cmpx_gt_u32_e32 11, v0
	s_cbranch_execz .LBB116_630
; %bb.621:
	v_cmp_ne_u32_e32 vcc_lo, 1, v112
	s_cbranch_vccnz .LBB116_623
; %bb.622:
	scratch_load_b64 v[110:111], v59, off
	ds_load_b64 v[114:115], v1
	s_wait_loadcnt_dscnt 0x0
	v_pk_mul_f32 v[116:117], v[114:115], v[110:111] op_sel:[1,1] op_sel_hi:[0,1]
	s_delay_alu instid0(VALU_DEP_1) | instskip(SKIP_1) | instid1(VALU_DEP_2)
	v_pk_fma_f32 v[118:119], v[114:115], v[110:111], v[116:117] op_sel_hi:[1,0,1]
	v_pk_fma_f32 v[110:111], v[114:115], v[110:111], v[116:117] neg_lo:[0,0,1] neg_hi:[0,0,1]
	v_mov_b32_e32 v111, v119
	s_cbranch_execz .LBB116_624
	s_branch .LBB116_625
.LBB116_623:
                                        ; implicit-def: $vgpr110_vgpr111
.LBB116_624:
	ds_load_b64 v[110:111], v1
.LBB116_625:
	s_mov_b32 s4, exec_lo
	v_cmpx_ne_u32_e32 10, v0
	s_cbranch_execz .LBB116_629
; %bb.626:
	v_add_nc_u32_e32 v113, 0x1b8, v58
	v_add3_u32 v114, 0, v58, 8
	v_mov_b32_e32 v115, v0
	s_mov_b32 s5, 0
.LBB116_627:                            ; =>This Inner Loop Header: Depth=1
	scratch_load_b64 v[116:117], v114, off
	ds_load_b64 v[118:119], v113
	s_wait_xcnt 0x0
	v_dual_add_nc_u32 v113, 8, v113 :: v_dual_add_nc_u32 v114, 8, v114
	s_wait_loadcnt_dscnt 0x0
	v_pk_mul_f32 v[120:121], v[118:119], v[116:117] op_sel:[1,1] op_sel_hi:[0,1]
	s_delay_alu instid0(VALU_DEP_1) | instskip(SKIP_2) | instid1(VALU_DEP_3)
	v_pk_fma_f32 v[122:123], v[118:119], v[116:117], v[120:121] op_sel_hi:[1,0,1]
	v_add_nc_u32_e32 v115, 1, v115
	v_pk_fma_f32 v[116:117], v[118:119], v[116:117], v[120:121] neg_lo:[0,0,1] neg_hi:[0,0,1]
	v_mov_b32_e32 v117, v123
	s_delay_alu instid0(VALU_DEP_3) | instskip(NEXT) | instid1(VALU_DEP_2)
	v_cmp_lt_u32_e32 vcc_lo, 9, v115
	v_pk_add_f32 v[110:111], v[110:111], v[116:117]
	s_or_b32 s5, vcc_lo, s5
	s_delay_alu instid0(SALU_CYCLE_1)
	s_and_not1_b32 exec_lo, exec_lo, s5
	s_cbranch_execnz .LBB116_627
; %bb.628:
	s_or_b32 exec_lo, exec_lo, s5
.LBB116_629:
	s_delay_alu instid0(SALU_CYCLE_1) | instskip(SKIP_4) | instid1(VALU_DEP_1)
	s_or_b32 exec_lo, exec_lo, s4
	v_mov_b32_e32 v113, 0
	ds_load_b64 v[114:115], v113 offset:88
	s_wait_dscnt 0x0
	v_pk_mul_f32 v[116:117], v[110:111], v[114:115] op_sel:[1,1] op_sel_hi:[0,1]
	v_pk_fma_f32 v[118:119], v[110:111], v[114:115], v[116:117] op_sel_hi:[1,0,1]
	v_pk_fma_f32 v[110:111], v[110:111], v[114:115], v[116:117] neg_lo:[0,0,1] neg_hi:[0,0,1]
	s_delay_alu instid0(VALU_DEP_2)
	v_mov_b32_e32 v111, v119
	scratch_store_b64 off, v[110:111], off offset:88
.LBB116_630:
	s_wait_xcnt 0x0
	s_or_b32 exec_lo, exec_lo, s0
	scratch_load_b64 v[110:111], off, off offset:96
	s_mov_b32 s0, exec_lo
	s_wait_loadcnt 0x0
	ds_store_b64 v1, v[110:111]
	s_wait_storecnt_dscnt 0x0
	s_barrier_signal -1
	s_barrier_wait -1
	s_wait_xcnt 0x0
	v_cmpx_gt_u32_e32 12, v0
	s_cbranch_execz .LBB116_640
; %bb.631:
	v_cmp_ne_u32_e32 vcc_lo, 1, v112
	s_cbranch_vccnz .LBB116_633
; %bb.632:
	scratch_load_b64 v[110:111], v59, off
	ds_load_b64 v[114:115], v1
	s_wait_loadcnt_dscnt 0x0
	v_pk_mul_f32 v[116:117], v[114:115], v[110:111] op_sel:[1,1] op_sel_hi:[0,1]
	s_delay_alu instid0(VALU_DEP_1) | instskip(SKIP_1) | instid1(VALU_DEP_2)
	v_pk_fma_f32 v[118:119], v[114:115], v[110:111], v[116:117] op_sel_hi:[1,0,1]
	v_pk_fma_f32 v[110:111], v[114:115], v[110:111], v[116:117] neg_lo:[0,0,1] neg_hi:[0,0,1]
	v_mov_b32_e32 v111, v119
	s_cbranch_execz .LBB116_634
	s_branch .LBB116_635
.LBB116_633:
                                        ; implicit-def: $vgpr110_vgpr111
.LBB116_634:
	ds_load_b64 v[110:111], v1
.LBB116_635:
	s_mov_b32 s4, exec_lo
	v_cmpx_ne_u32_e32 11, v0
	s_cbranch_execz .LBB116_639
; %bb.636:
	v_add_nc_u32_e32 v113, 0x1b8, v58
	v_add3_u32 v114, 0, v58, 8
	v_mov_b32_e32 v115, v0
	s_mov_b32 s5, 0
.LBB116_637:                            ; =>This Inner Loop Header: Depth=1
	scratch_load_b64 v[116:117], v114, off
	ds_load_b64 v[118:119], v113
	s_wait_xcnt 0x0
	v_dual_add_nc_u32 v113, 8, v113 :: v_dual_add_nc_u32 v114, 8, v114
	s_wait_loadcnt_dscnt 0x0
	v_pk_mul_f32 v[120:121], v[118:119], v[116:117] op_sel:[1,1] op_sel_hi:[0,1]
	s_delay_alu instid0(VALU_DEP_1) | instskip(SKIP_2) | instid1(VALU_DEP_3)
	v_pk_fma_f32 v[122:123], v[118:119], v[116:117], v[120:121] op_sel_hi:[1,0,1]
	v_add_nc_u32_e32 v115, 1, v115
	v_pk_fma_f32 v[116:117], v[118:119], v[116:117], v[120:121] neg_lo:[0,0,1] neg_hi:[0,0,1]
	v_mov_b32_e32 v117, v123
	s_delay_alu instid0(VALU_DEP_3) | instskip(NEXT) | instid1(VALU_DEP_2)
	v_cmp_lt_u32_e32 vcc_lo, 10, v115
	v_pk_add_f32 v[110:111], v[110:111], v[116:117]
	s_or_b32 s5, vcc_lo, s5
	s_delay_alu instid0(SALU_CYCLE_1)
	s_and_not1_b32 exec_lo, exec_lo, s5
	s_cbranch_execnz .LBB116_637
; %bb.638:
	s_or_b32 exec_lo, exec_lo, s5
.LBB116_639:
	s_delay_alu instid0(SALU_CYCLE_1) | instskip(SKIP_4) | instid1(VALU_DEP_1)
	s_or_b32 exec_lo, exec_lo, s4
	v_mov_b32_e32 v113, 0
	ds_load_b64 v[114:115], v113 offset:96
	s_wait_dscnt 0x0
	v_pk_mul_f32 v[116:117], v[110:111], v[114:115] op_sel:[1,1] op_sel_hi:[0,1]
	v_pk_fma_f32 v[118:119], v[110:111], v[114:115], v[116:117] op_sel_hi:[1,0,1]
	v_pk_fma_f32 v[110:111], v[110:111], v[114:115], v[116:117] neg_lo:[0,0,1] neg_hi:[0,0,1]
	s_delay_alu instid0(VALU_DEP_2)
	v_mov_b32_e32 v111, v119
	scratch_store_b64 off, v[110:111], off offset:96
.LBB116_640:
	s_wait_xcnt 0x0
	s_or_b32 exec_lo, exec_lo, s0
	scratch_load_b64 v[110:111], off, off offset:104
	s_mov_b32 s0, exec_lo
	s_wait_loadcnt 0x0
	ds_store_b64 v1, v[110:111]
	s_wait_storecnt_dscnt 0x0
	s_barrier_signal -1
	s_barrier_wait -1
	s_wait_xcnt 0x0
	v_cmpx_gt_u32_e32 13, v0
	s_cbranch_execz .LBB116_650
; %bb.641:
	v_cmp_ne_u32_e32 vcc_lo, 1, v112
	s_cbranch_vccnz .LBB116_643
; %bb.642:
	scratch_load_b64 v[110:111], v59, off
	ds_load_b64 v[114:115], v1
	s_wait_loadcnt_dscnt 0x0
	v_pk_mul_f32 v[116:117], v[114:115], v[110:111] op_sel:[1,1] op_sel_hi:[0,1]
	s_delay_alu instid0(VALU_DEP_1) | instskip(SKIP_1) | instid1(VALU_DEP_2)
	v_pk_fma_f32 v[118:119], v[114:115], v[110:111], v[116:117] op_sel_hi:[1,0,1]
	v_pk_fma_f32 v[110:111], v[114:115], v[110:111], v[116:117] neg_lo:[0,0,1] neg_hi:[0,0,1]
	v_mov_b32_e32 v111, v119
	s_cbranch_execz .LBB116_644
	s_branch .LBB116_645
.LBB116_643:
                                        ; implicit-def: $vgpr110_vgpr111
.LBB116_644:
	ds_load_b64 v[110:111], v1
.LBB116_645:
	s_mov_b32 s4, exec_lo
	v_cmpx_ne_u32_e32 12, v0
	s_cbranch_execz .LBB116_649
; %bb.646:
	v_add_nc_u32_e32 v113, 0x1b8, v58
	v_add3_u32 v114, 0, v58, 8
	v_mov_b32_e32 v115, v0
	s_mov_b32 s5, 0
.LBB116_647:                            ; =>This Inner Loop Header: Depth=1
	scratch_load_b64 v[116:117], v114, off
	ds_load_b64 v[118:119], v113
	s_wait_xcnt 0x0
	v_dual_add_nc_u32 v113, 8, v113 :: v_dual_add_nc_u32 v114, 8, v114
	s_wait_loadcnt_dscnt 0x0
	v_pk_mul_f32 v[120:121], v[118:119], v[116:117] op_sel:[1,1] op_sel_hi:[0,1]
	s_delay_alu instid0(VALU_DEP_1) | instskip(SKIP_2) | instid1(VALU_DEP_3)
	v_pk_fma_f32 v[122:123], v[118:119], v[116:117], v[120:121] op_sel_hi:[1,0,1]
	v_add_nc_u32_e32 v115, 1, v115
	v_pk_fma_f32 v[116:117], v[118:119], v[116:117], v[120:121] neg_lo:[0,0,1] neg_hi:[0,0,1]
	v_mov_b32_e32 v117, v123
	s_delay_alu instid0(VALU_DEP_3) | instskip(NEXT) | instid1(VALU_DEP_2)
	v_cmp_lt_u32_e32 vcc_lo, 11, v115
	v_pk_add_f32 v[110:111], v[110:111], v[116:117]
	s_or_b32 s5, vcc_lo, s5
	s_delay_alu instid0(SALU_CYCLE_1)
	s_and_not1_b32 exec_lo, exec_lo, s5
	s_cbranch_execnz .LBB116_647
; %bb.648:
	s_or_b32 exec_lo, exec_lo, s5
.LBB116_649:
	s_delay_alu instid0(SALU_CYCLE_1) | instskip(SKIP_4) | instid1(VALU_DEP_1)
	s_or_b32 exec_lo, exec_lo, s4
	v_mov_b32_e32 v113, 0
	ds_load_b64 v[114:115], v113 offset:104
	s_wait_dscnt 0x0
	v_pk_mul_f32 v[116:117], v[110:111], v[114:115] op_sel:[1,1] op_sel_hi:[0,1]
	v_pk_fma_f32 v[118:119], v[110:111], v[114:115], v[116:117] op_sel_hi:[1,0,1]
	v_pk_fma_f32 v[110:111], v[110:111], v[114:115], v[116:117] neg_lo:[0,0,1] neg_hi:[0,0,1]
	s_delay_alu instid0(VALU_DEP_2)
	v_mov_b32_e32 v111, v119
	scratch_store_b64 off, v[110:111], off offset:104
.LBB116_650:
	s_wait_xcnt 0x0
	s_or_b32 exec_lo, exec_lo, s0
	scratch_load_b64 v[110:111], off, off offset:112
	s_mov_b32 s0, exec_lo
	s_wait_loadcnt 0x0
	ds_store_b64 v1, v[110:111]
	s_wait_storecnt_dscnt 0x0
	s_barrier_signal -1
	s_barrier_wait -1
	s_wait_xcnt 0x0
	v_cmpx_gt_u32_e32 14, v0
	s_cbranch_execz .LBB116_660
; %bb.651:
	v_cmp_ne_u32_e32 vcc_lo, 1, v112
	s_cbranch_vccnz .LBB116_653
; %bb.652:
	scratch_load_b64 v[110:111], v59, off
	ds_load_b64 v[114:115], v1
	s_wait_loadcnt_dscnt 0x0
	v_pk_mul_f32 v[116:117], v[114:115], v[110:111] op_sel:[1,1] op_sel_hi:[0,1]
	s_delay_alu instid0(VALU_DEP_1) | instskip(SKIP_1) | instid1(VALU_DEP_2)
	v_pk_fma_f32 v[118:119], v[114:115], v[110:111], v[116:117] op_sel_hi:[1,0,1]
	v_pk_fma_f32 v[110:111], v[114:115], v[110:111], v[116:117] neg_lo:[0,0,1] neg_hi:[0,0,1]
	v_mov_b32_e32 v111, v119
	s_cbranch_execz .LBB116_654
	s_branch .LBB116_655
.LBB116_653:
                                        ; implicit-def: $vgpr110_vgpr111
.LBB116_654:
	ds_load_b64 v[110:111], v1
.LBB116_655:
	s_mov_b32 s4, exec_lo
	v_cmpx_ne_u32_e32 13, v0
	s_cbranch_execz .LBB116_659
; %bb.656:
	v_add_nc_u32_e32 v113, 0x1b8, v58
	v_add3_u32 v114, 0, v58, 8
	v_mov_b32_e32 v115, v0
	s_mov_b32 s5, 0
.LBB116_657:                            ; =>This Inner Loop Header: Depth=1
	scratch_load_b64 v[116:117], v114, off
	ds_load_b64 v[118:119], v113
	s_wait_xcnt 0x0
	v_dual_add_nc_u32 v113, 8, v113 :: v_dual_add_nc_u32 v114, 8, v114
	s_wait_loadcnt_dscnt 0x0
	v_pk_mul_f32 v[120:121], v[118:119], v[116:117] op_sel:[1,1] op_sel_hi:[0,1]
	s_delay_alu instid0(VALU_DEP_1) | instskip(SKIP_2) | instid1(VALU_DEP_3)
	v_pk_fma_f32 v[122:123], v[118:119], v[116:117], v[120:121] op_sel_hi:[1,0,1]
	v_add_nc_u32_e32 v115, 1, v115
	v_pk_fma_f32 v[116:117], v[118:119], v[116:117], v[120:121] neg_lo:[0,0,1] neg_hi:[0,0,1]
	v_mov_b32_e32 v117, v123
	s_delay_alu instid0(VALU_DEP_3) | instskip(NEXT) | instid1(VALU_DEP_2)
	v_cmp_lt_u32_e32 vcc_lo, 12, v115
	v_pk_add_f32 v[110:111], v[110:111], v[116:117]
	s_or_b32 s5, vcc_lo, s5
	s_delay_alu instid0(SALU_CYCLE_1)
	s_and_not1_b32 exec_lo, exec_lo, s5
	s_cbranch_execnz .LBB116_657
; %bb.658:
	s_or_b32 exec_lo, exec_lo, s5
.LBB116_659:
	s_delay_alu instid0(SALU_CYCLE_1) | instskip(SKIP_4) | instid1(VALU_DEP_1)
	s_or_b32 exec_lo, exec_lo, s4
	v_mov_b32_e32 v113, 0
	ds_load_b64 v[114:115], v113 offset:112
	s_wait_dscnt 0x0
	v_pk_mul_f32 v[116:117], v[110:111], v[114:115] op_sel:[1,1] op_sel_hi:[0,1]
	v_pk_fma_f32 v[118:119], v[110:111], v[114:115], v[116:117] op_sel_hi:[1,0,1]
	v_pk_fma_f32 v[110:111], v[110:111], v[114:115], v[116:117] neg_lo:[0,0,1] neg_hi:[0,0,1]
	s_delay_alu instid0(VALU_DEP_2)
	v_mov_b32_e32 v111, v119
	scratch_store_b64 off, v[110:111], off offset:112
.LBB116_660:
	s_wait_xcnt 0x0
	s_or_b32 exec_lo, exec_lo, s0
	scratch_load_b64 v[110:111], off, off offset:120
	s_mov_b32 s0, exec_lo
	s_wait_loadcnt 0x0
	ds_store_b64 v1, v[110:111]
	s_wait_storecnt_dscnt 0x0
	s_barrier_signal -1
	s_barrier_wait -1
	s_wait_xcnt 0x0
	v_cmpx_gt_u32_e32 15, v0
	s_cbranch_execz .LBB116_670
; %bb.661:
	v_cmp_ne_u32_e32 vcc_lo, 1, v112
	s_cbranch_vccnz .LBB116_663
; %bb.662:
	scratch_load_b64 v[110:111], v59, off
	ds_load_b64 v[114:115], v1
	s_wait_loadcnt_dscnt 0x0
	v_pk_mul_f32 v[116:117], v[114:115], v[110:111] op_sel:[1,1] op_sel_hi:[0,1]
	s_delay_alu instid0(VALU_DEP_1) | instskip(SKIP_1) | instid1(VALU_DEP_2)
	v_pk_fma_f32 v[118:119], v[114:115], v[110:111], v[116:117] op_sel_hi:[1,0,1]
	v_pk_fma_f32 v[110:111], v[114:115], v[110:111], v[116:117] neg_lo:[0,0,1] neg_hi:[0,0,1]
	v_mov_b32_e32 v111, v119
	s_cbranch_execz .LBB116_664
	s_branch .LBB116_665
.LBB116_663:
                                        ; implicit-def: $vgpr110_vgpr111
.LBB116_664:
	ds_load_b64 v[110:111], v1
.LBB116_665:
	s_mov_b32 s4, exec_lo
	v_cmpx_ne_u32_e32 14, v0
	s_cbranch_execz .LBB116_669
; %bb.666:
	v_add_nc_u32_e32 v113, 0x1b8, v58
	v_add3_u32 v114, 0, v58, 8
	v_mov_b32_e32 v115, v0
	s_mov_b32 s5, 0
.LBB116_667:                            ; =>This Inner Loop Header: Depth=1
	scratch_load_b64 v[116:117], v114, off
	ds_load_b64 v[118:119], v113
	s_wait_xcnt 0x0
	v_dual_add_nc_u32 v113, 8, v113 :: v_dual_add_nc_u32 v114, 8, v114
	s_wait_loadcnt_dscnt 0x0
	v_pk_mul_f32 v[120:121], v[118:119], v[116:117] op_sel:[1,1] op_sel_hi:[0,1]
	s_delay_alu instid0(VALU_DEP_1) | instskip(SKIP_2) | instid1(VALU_DEP_3)
	v_pk_fma_f32 v[122:123], v[118:119], v[116:117], v[120:121] op_sel_hi:[1,0,1]
	v_add_nc_u32_e32 v115, 1, v115
	v_pk_fma_f32 v[116:117], v[118:119], v[116:117], v[120:121] neg_lo:[0,0,1] neg_hi:[0,0,1]
	v_mov_b32_e32 v117, v123
	s_delay_alu instid0(VALU_DEP_3) | instskip(NEXT) | instid1(VALU_DEP_2)
	v_cmp_lt_u32_e32 vcc_lo, 13, v115
	v_pk_add_f32 v[110:111], v[110:111], v[116:117]
	s_or_b32 s5, vcc_lo, s5
	s_delay_alu instid0(SALU_CYCLE_1)
	s_and_not1_b32 exec_lo, exec_lo, s5
	s_cbranch_execnz .LBB116_667
; %bb.668:
	s_or_b32 exec_lo, exec_lo, s5
.LBB116_669:
	s_delay_alu instid0(SALU_CYCLE_1) | instskip(SKIP_4) | instid1(VALU_DEP_1)
	s_or_b32 exec_lo, exec_lo, s4
	v_mov_b32_e32 v113, 0
	ds_load_b64 v[114:115], v113 offset:120
	s_wait_dscnt 0x0
	v_pk_mul_f32 v[116:117], v[110:111], v[114:115] op_sel:[1,1] op_sel_hi:[0,1]
	v_pk_fma_f32 v[118:119], v[110:111], v[114:115], v[116:117] op_sel_hi:[1,0,1]
	v_pk_fma_f32 v[110:111], v[110:111], v[114:115], v[116:117] neg_lo:[0,0,1] neg_hi:[0,0,1]
	s_delay_alu instid0(VALU_DEP_2)
	v_mov_b32_e32 v111, v119
	scratch_store_b64 off, v[110:111], off offset:120
.LBB116_670:
	s_wait_xcnt 0x0
	s_or_b32 exec_lo, exec_lo, s0
	scratch_load_b64 v[110:111], off, off offset:128
	s_mov_b32 s0, exec_lo
	s_wait_loadcnt 0x0
	ds_store_b64 v1, v[110:111]
	s_wait_storecnt_dscnt 0x0
	s_barrier_signal -1
	s_barrier_wait -1
	s_wait_xcnt 0x0
	v_cmpx_gt_u32_e32 16, v0
	s_cbranch_execz .LBB116_680
; %bb.671:
	v_cmp_ne_u32_e32 vcc_lo, 1, v112
	s_cbranch_vccnz .LBB116_673
; %bb.672:
	scratch_load_b64 v[110:111], v59, off
	ds_load_b64 v[114:115], v1
	s_wait_loadcnt_dscnt 0x0
	v_pk_mul_f32 v[116:117], v[114:115], v[110:111] op_sel:[1,1] op_sel_hi:[0,1]
	s_delay_alu instid0(VALU_DEP_1) | instskip(SKIP_1) | instid1(VALU_DEP_2)
	v_pk_fma_f32 v[118:119], v[114:115], v[110:111], v[116:117] op_sel_hi:[1,0,1]
	v_pk_fma_f32 v[110:111], v[114:115], v[110:111], v[116:117] neg_lo:[0,0,1] neg_hi:[0,0,1]
	v_mov_b32_e32 v111, v119
	s_cbranch_execz .LBB116_674
	s_branch .LBB116_675
.LBB116_673:
                                        ; implicit-def: $vgpr110_vgpr111
.LBB116_674:
	ds_load_b64 v[110:111], v1
.LBB116_675:
	s_mov_b32 s4, exec_lo
	v_cmpx_ne_u32_e32 15, v0
	s_cbranch_execz .LBB116_679
; %bb.676:
	v_add_nc_u32_e32 v113, 0x1b8, v58
	v_add3_u32 v114, 0, v58, 8
	v_mov_b32_e32 v115, v0
	s_mov_b32 s5, 0
.LBB116_677:                            ; =>This Inner Loop Header: Depth=1
	scratch_load_b64 v[116:117], v114, off
	ds_load_b64 v[118:119], v113
	s_wait_xcnt 0x0
	v_dual_add_nc_u32 v113, 8, v113 :: v_dual_add_nc_u32 v114, 8, v114
	s_wait_loadcnt_dscnt 0x0
	v_pk_mul_f32 v[120:121], v[118:119], v[116:117] op_sel:[1,1] op_sel_hi:[0,1]
	s_delay_alu instid0(VALU_DEP_1) | instskip(SKIP_2) | instid1(VALU_DEP_3)
	v_pk_fma_f32 v[122:123], v[118:119], v[116:117], v[120:121] op_sel_hi:[1,0,1]
	v_add_nc_u32_e32 v115, 1, v115
	v_pk_fma_f32 v[116:117], v[118:119], v[116:117], v[120:121] neg_lo:[0,0,1] neg_hi:[0,0,1]
	v_mov_b32_e32 v117, v123
	s_delay_alu instid0(VALU_DEP_3) | instskip(NEXT) | instid1(VALU_DEP_2)
	v_cmp_lt_u32_e32 vcc_lo, 14, v115
	v_pk_add_f32 v[110:111], v[110:111], v[116:117]
	s_or_b32 s5, vcc_lo, s5
	s_delay_alu instid0(SALU_CYCLE_1)
	s_and_not1_b32 exec_lo, exec_lo, s5
	s_cbranch_execnz .LBB116_677
; %bb.678:
	s_or_b32 exec_lo, exec_lo, s5
.LBB116_679:
	s_delay_alu instid0(SALU_CYCLE_1) | instskip(SKIP_4) | instid1(VALU_DEP_1)
	s_or_b32 exec_lo, exec_lo, s4
	v_mov_b32_e32 v113, 0
	ds_load_b64 v[114:115], v113 offset:128
	s_wait_dscnt 0x0
	v_pk_mul_f32 v[116:117], v[110:111], v[114:115] op_sel:[1,1] op_sel_hi:[0,1]
	v_pk_fma_f32 v[118:119], v[110:111], v[114:115], v[116:117] op_sel_hi:[1,0,1]
	v_pk_fma_f32 v[110:111], v[110:111], v[114:115], v[116:117] neg_lo:[0,0,1] neg_hi:[0,0,1]
	s_delay_alu instid0(VALU_DEP_2)
	v_mov_b32_e32 v111, v119
	scratch_store_b64 off, v[110:111], off offset:128
.LBB116_680:
	s_wait_xcnt 0x0
	s_or_b32 exec_lo, exec_lo, s0
	scratch_load_b64 v[110:111], off, off offset:136
	s_mov_b32 s0, exec_lo
	s_wait_loadcnt 0x0
	ds_store_b64 v1, v[110:111]
	s_wait_storecnt_dscnt 0x0
	s_barrier_signal -1
	s_barrier_wait -1
	s_wait_xcnt 0x0
	v_cmpx_gt_u32_e32 17, v0
	s_cbranch_execz .LBB116_690
; %bb.681:
	v_cmp_ne_u32_e32 vcc_lo, 1, v112
	s_cbranch_vccnz .LBB116_683
; %bb.682:
	scratch_load_b64 v[110:111], v59, off
	ds_load_b64 v[114:115], v1
	s_wait_loadcnt_dscnt 0x0
	v_pk_mul_f32 v[116:117], v[114:115], v[110:111] op_sel:[1,1] op_sel_hi:[0,1]
	s_delay_alu instid0(VALU_DEP_1) | instskip(SKIP_1) | instid1(VALU_DEP_2)
	v_pk_fma_f32 v[118:119], v[114:115], v[110:111], v[116:117] op_sel_hi:[1,0,1]
	v_pk_fma_f32 v[110:111], v[114:115], v[110:111], v[116:117] neg_lo:[0,0,1] neg_hi:[0,0,1]
	v_mov_b32_e32 v111, v119
	s_cbranch_execz .LBB116_684
	s_branch .LBB116_685
.LBB116_683:
                                        ; implicit-def: $vgpr110_vgpr111
.LBB116_684:
	ds_load_b64 v[110:111], v1
.LBB116_685:
	s_mov_b32 s4, exec_lo
	v_cmpx_ne_u32_e32 16, v0
	s_cbranch_execz .LBB116_689
; %bb.686:
	v_add_nc_u32_e32 v113, 0x1b8, v58
	v_add3_u32 v114, 0, v58, 8
	v_mov_b32_e32 v115, v0
	s_mov_b32 s5, 0
.LBB116_687:                            ; =>This Inner Loop Header: Depth=1
	scratch_load_b64 v[116:117], v114, off
	ds_load_b64 v[118:119], v113
	s_wait_xcnt 0x0
	v_dual_add_nc_u32 v113, 8, v113 :: v_dual_add_nc_u32 v114, 8, v114
	s_wait_loadcnt_dscnt 0x0
	v_pk_mul_f32 v[120:121], v[118:119], v[116:117] op_sel:[1,1] op_sel_hi:[0,1]
	s_delay_alu instid0(VALU_DEP_1) | instskip(SKIP_2) | instid1(VALU_DEP_3)
	v_pk_fma_f32 v[122:123], v[118:119], v[116:117], v[120:121] op_sel_hi:[1,0,1]
	v_add_nc_u32_e32 v115, 1, v115
	v_pk_fma_f32 v[116:117], v[118:119], v[116:117], v[120:121] neg_lo:[0,0,1] neg_hi:[0,0,1]
	v_mov_b32_e32 v117, v123
	s_delay_alu instid0(VALU_DEP_3) | instskip(NEXT) | instid1(VALU_DEP_2)
	v_cmp_lt_u32_e32 vcc_lo, 15, v115
	v_pk_add_f32 v[110:111], v[110:111], v[116:117]
	s_or_b32 s5, vcc_lo, s5
	s_delay_alu instid0(SALU_CYCLE_1)
	s_and_not1_b32 exec_lo, exec_lo, s5
	s_cbranch_execnz .LBB116_687
; %bb.688:
	s_or_b32 exec_lo, exec_lo, s5
.LBB116_689:
	s_delay_alu instid0(SALU_CYCLE_1) | instskip(SKIP_4) | instid1(VALU_DEP_1)
	s_or_b32 exec_lo, exec_lo, s4
	v_mov_b32_e32 v113, 0
	ds_load_b64 v[114:115], v113 offset:136
	s_wait_dscnt 0x0
	v_pk_mul_f32 v[116:117], v[110:111], v[114:115] op_sel:[1,1] op_sel_hi:[0,1]
	v_pk_fma_f32 v[118:119], v[110:111], v[114:115], v[116:117] op_sel_hi:[1,0,1]
	v_pk_fma_f32 v[110:111], v[110:111], v[114:115], v[116:117] neg_lo:[0,0,1] neg_hi:[0,0,1]
	s_delay_alu instid0(VALU_DEP_2)
	v_mov_b32_e32 v111, v119
	scratch_store_b64 off, v[110:111], off offset:136
.LBB116_690:
	s_wait_xcnt 0x0
	s_or_b32 exec_lo, exec_lo, s0
	scratch_load_b64 v[110:111], off, off offset:144
	s_mov_b32 s0, exec_lo
	s_wait_loadcnt 0x0
	ds_store_b64 v1, v[110:111]
	s_wait_storecnt_dscnt 0x0
	s_barrier_signal -1
	s_barrier_wait -1
	s_wait_xcnt 0x0
	v_cmpx_gt_u32_e32 18, v0
	s_cbranch_execz .LBB116_700
; %bb.691:
	v_cmp_ne_u32_e32 vcc_lo, 1, v112
	s_cbranch_vccnz .LBB116_693
; %bb.692:
	scratch_load_b64 v[110:111], v59, off
	ds_load_b64 v[114:115], v1
	s_wait_loadcnt_dscnt 0x0
	v_pk_mul_f32 v[116:117], v[114:115], v[110:111] op_sel:[1,1] op_sel_hi:[0,1]
	s_delay_alu instid0(VALU_DEP_1) | instskip(SKIP_1) | instid1(VALU_DEP_2)
	v_pk_fma_f32 v[118:119], v[114:115], v[110:111], v[116:117] op_sel_hi:[1,0,1]
	v_pk_fma_f32 v[110:111], v[114:115], v[110:111], v[116:117] neg_lo:[0,0,1] neg_hi:[0,0,1]
	v_mov_b32_e32 v111, v119
	s_cbranch_execz .LBB116_694
	s_branch .LBB116_695
.LBB116_693:
                                        ; implicit-def: $vgpr110_vgpr111
.LBB116_694:
	ds_load_b64 v[110:111], v1
.LBB116_695:
	s_mov_b32 s4, exec_lo
	v_cmpx_ne_u32_e32 17, v0
	s_cbranch_execz .LBB116_699
; %bb.696:
	v_add_nc_u32_e32 v113, 0x1b8, v58
	v_add3_u32 v114, 0, v58, 8
	v_mov_b32_e32 v115, v0
	s_mov_b32 s5, 0
.LBB116_697:                            ; =>This Inner Loop Header: Depth=1
	scratch_load_b64 v[116:117], v114, off
	ds_load_b64 v[118:119], v113
	s_wait_xcnt 0x0
	v_dual_add_nc_u32 v113, 8, v113 :: v_dual_add_nc_u32 v114, 8, v114
	s_wait_loadcnt_dscnt 0x0
	v_pk_mul_f32 v[120:121], v[118:119], v[116:117] op_sel:[1,1] op_sel_hi:[0,1]
	s_delay_alu instid0(VALU_DEP_1) | instskip(SKIP_2) | instid1(VALU_DEP_3)
	v_pk_fma_f32 v[122:123], v[118:119], v[116:117], v[120:121] op_sel_hi:[1,0,1]
	v_add_nc_u32_e32 v115, 1, v115
	v_pk_fma_f32 v[116:117], v[118:119], v[116:117], v[120:121] neg_lo:[0,0,1] neg_hi:[0,0,1]
	v_mov_b32_e32 v117, v123
	s_delay_alu instid0(VALU_DEP_3) | instskip(NEXT) | instid1(VALU_DEP_2)
	v_cmp_lt_u32_e32 vcc_lo, 16, v115
	v_pk_add_f32 v[110:111], v[110:111], v[116:117]
	s_or_b32 s5, vcc_lo, s5
	s_delay_alu instid0(SALU_CYCLE_1)
	s_and_not1_b32 exec_lo, exec_lo, s5
	s_cbranch_execnz .LBB116_697
; %bb.698:
	s_or_b32 exec_lo, exec_lo, s5
.LBB116_699:
	s_delay_alu instid0(SALU_CYCLE_1) | instskip(SKIP_4) | instid1(VALU_DEP_1)
	s_or_b32 exec_lo, exec_lo, s4
	v_mov_b32_e32 v113, 0
	ds_load_b64 v[114:115], v113 offset:144
	s_wait_dscnt 0x0
	v_pk_mul_f32 v[116:117], v[110:111], v[114:115] op_sel:[1,1] op_sel_hi:[0,1]
	v_pk_fma_f32 v[118:119], v[110:111], v[114:115], v[116:117] op_sel_hi:[1,0,1]
	v_pk_fma_f32 v[110:111], v[110:111], v[114:115], v[116:117] neg_lo:[0,0,1] neg_hi:[0,0,1]
	s_delay_alu instid0(VALU_DEP_2)
	v_mov_b32_e32 v111, v119
	scratch_store_b64 off, v[110:111], off offset:144
.LBB116_700:
	s_wait_xcnt 0x0
	s_or_b32 exec_lo, exec_lo, s0
	scratch_load_b64 v[110:111], off, off offset:152
	s_mov_b32 s0, exec_lo
	s_wait_loadcnt 0x0
	ds_store_b64 v1, v[110:111]
	s_wait_storecnt_dscnt 0x0
	s_barrier_signal -1
	s_barrier_wait -1
	s_wait_xcnt 0x0
	v_cmpx_gt_u32_e32 19, v0
	s_cbranch_execz .LBB116_710
; %bb.701:
	v_cmp_ne_u32_e32 vcc_lo, 1, v112
	s_cbranch_vccnz .LBB116_703
; %bb.702:
	scratch_load_b64 v[110:111], v59, off
	ds_load_b64 v[114:115], v1
	s_wait_loadcnt_dscnt 0x0
	v_pk_mul_f32 v[116:117], v[114:115], v[110:111] op_sel:[1,1] op_sel_hi:[0,1]
	s_delay_alu instid0(VALU_DEP_1) | instskip(SKIP_1) | instid1(VALU_DEP_2)
	v_pk_fma_f32 v[118:119], v[114:115], v[110:111], v[116:117] op_sel_hi:[1,0,1]
	v_pk_fma_f32 v[110:111], v[114:115], v[110:111], v[116:117] neg_lo:[0,0,1] neg_hi:[0,0,1]
	v_mov_b32_e32 v111, v119
	s_cbranch_execz .LBB116_704
	s_branch .LBB116_705
.LBB116_703:
                                        ; implicit-def: $vgpr110_vgpr111
.LBB116_704:
	ds_load_b64 v[110:111], v1
.LBB116_705:
	s_mov_b32 s4, exec_lo
	v_cmpx_ne_u32_e32 18, v0
	s_cbranch_execz .LBB116_709
; %bb.706:
	v_add_nc_u32_e32 v113, 0x1b8, v58
	v_add3_u32 v114, 0, v58, 8
	v_mov_b32_e32 v115, v0
	s_mov_b32 s5, 0
.LBB116_707:                            ; =>This Inner Loop Header: Depth=1
	scratch_load_b64 v[116:117], v114, off
	ds_load_b64 v[118:119], v113
	s_wait_xcnt 0x0
	v_dual_add_nc_u32 v113, 8, v113 :: v_dual_add_nc_u32 v114, 8, v114
	s_wait_loadcnt_dscnt 0x0
	v_pk_mul_f32 v[120:121], v[118:119], v[116:117] op_sel:[1,1] op_sel_hi:[0,1]
	s_delay_alu instid0(VALU_DEP_1) | instskip(SKIP_2) | instid1(VALU_DEP_3)
	v_pk_fma_f32 v[122:123], v[118:119], v[116:117], v[120:121] op_sel_hi:[1,0,1]
	v_add_nc_u32_e32 v115, 1, v115
	v_pk_fma_f32 v[116:117], v[118:119], v[116:117], v[120:121] neg_lo:[0,0,1] neg_hi:[0,0,1]
	v_mov_b32_e32 v117, v123
	s_delay_alu instid0(VALU_DEP_3) | instskip(NEXT) | instid1(VALU_DEP_2)
	v_cmp_lt_u32_e32 vcc_lo, 17, v115
	v_pk_add_f32 v[110:111], v[110:111], v[116:117]
	s_or_b32 s5, vcc_lo, s5
	s_delay_alu instid0(SALU_CYCLE_1)
	s_and_not1_b32 exec_lo, exec_lo, s5
	s_cbranch_execnz .LBB116_707
; %bb.708:
	s_or_b32 exec_lo, exec_lo, s5
.LBB116_709:
	s_delay_alu instid0(SALU_CYCLE_1) | instskip(SKIP_4) | instid1(VALU_DEP_1)
	s_or_b32 exec_lo, exec_lo, s4
	v_mov_b32_e32 v113, 0
	ds_load_b64 v[114:115], v113 offset:152
	s_wait_dscnt 0x0
	v_pk_mul_f32 v[116:117], v[110:111], v[114:115] op_sel:[1,1] op_sel_hi:[0,1]
	v_pk_fma_f32 v[118:119], v[110:111], v[114:115], v[116:117] op_sel_hi:[1,0,1]
	v_pk_fma_f32 v[110:111], v[110:111], v[114:115], v[116:117] neg_lo:[0,0,1] neg_hi:[0,0,1]
	s_delay_alu instid0(VALU_DEP_2)
	v_mov_b32_e32 v111, v119
	scratch_store_b64 off, v[110:111], off offset:152
.LBB116_710:
	s_wait_xcnt 0x0
	s_or_b32 exec_lo, exec_lo, s0
	scratch_load_b64 v[110:111], off, off offset:160
	s_mov_b32 s0, exec_lo
	s_wait_loadcnt 0x0
	ds_store_b64 v1, v[110:111]
	s_wait_storecnt_dscnt 0x0
	s_barrier_signal -1
	s_barrier_wait -1
	s_wait_xcnt 0x0
	v_cmpx_gt_u32_e32 20, v0
	s_cbranch_execz .LBB116_720
; %bb.711:
	v_cmp_ne_u32_e32 vcc_lo, 1, v112
	s_cbranch_vccnz .LBB116_713
; %bb.712:
	scratch_load_b64 v[110:111], v59, off
	ds_load_b64 v[114:115], v1
	s_wait_loadcnt_dscnt 0x0
	v_pk_mul_f32 v[116:117], v[114:115], v[110:111] op_sel:[1,1] op_sel_hi:[0,1]
	s_delay_alu instid0(VALU_DEP_1) | instskip(SKIP_1) | instid1(VALU_DEP_2)
	v_pk_fma_f32 v[118:119], v[114:115], v[110:111], v[116:117] op_sel_hi:[1,0,1]
	v_pk_fma_f32 v[110:111], v[114:115], v[110:111], v[116:117] neg_lo:[0,0,1] neg_hi:[0,0,1]
	v_mov_b32_e32 v111, v119
	s_cbranch_execz .LBB116_714
	s_branch .LBB116_715
.LBB116_713:
                                        ; implicit-def: $vgpr110_vgpr111
.LBB116_714:
	ds_load_b64 v[110:111], v1
.LBB116_715:
	s_mov_b32 s4, exec_lo
	v_cmpx_ne_u32_e32 19, v0
	s_cbranch_execz .LBB116_719
; %bb.716:
	v_add_nc_u32_e32 v113, 0x1b8, v58
	v_add3_u32 v114, 0, v58, 8
	v_mov_b32_e32 v115, v0
	s_mov_b32 s5, 0
.LBB116_717:                            ; =>This Inner Loop Header: Depth=1
	scratch_load_b64 v[116:117], v114, off
	ds_load_b64 v[118:119], v113
	s_wait_xcnt 0x0
	v_dual_add_nc_u32 v113, 8, v113 :: v_dual_add_nc_u32 v114, 8, v114
	s_wait_loadcnt_dscnt 0x0
	v_pk_mul_f32 v[120:121], v[118:119], v[116:117] op_sel:[1,1] op_sel_hi:[0,1]
	s_delay_alu instid0(VALU_DEP_1) | instskip(SKIP_2) | instid1(VALU_DEP_3)
	v_pk_fma_f32 v[122:123], v[118:119], v[116:117], v[120:121] op_sel_hi:[1,0,1]
	v_add_nc_u32_e32 v115, 1, v115
	v_pk_fma_f32 v[116:117], v[118:119], v[116:117], v[120:121] neg_lo:[0,0,1] neg_hi:[0,0,1]
	v_mov_b32_e32 v117, v123
	s_delay_alu instid0(VALU_DEP_3) | instskip(NEXT) | instid1(VALU_DEP_2)
	v_cmp_lt_u32_e32 vcc_lo, 18, v115
	v_pk_add_f32 v[110:111], v[110:111], v[116:117]
	s_or_b32 s5, vcc_lo, s5
	s_delay_alu instid0(SALU_CYCLE_1)
	s_and_not1_b32 exec_lo, exec_lo, s5
	s_cbranch_execnz .LBB116_717
; %bb.718:
	s_or_b32 exec_lo, exec_lo, s5
.LBB116_719:
	s_delay_alu instid0(SALU_CYCLE_1) | instskip(SKIP_4) | instid1(VALU_DEP_1)
	s_or_b32 exec_lo, exec_lo, s4
	v_mov_b32_e32 v113, 0
	ds_load_b64 v[114:115], v113 offset:160
	s_wait_dscnt 0x0
	v_pk_mul_f32 v[116:117], v[110:111], v[114:115] op_sel:[1,1] op_sel_hi:[0,1]
	v_pk_fma_f32 v[118:119], v[110:111], v[114:115], v[116:117] op_sel_hi:[1,0,1]
	v_pk_fma_f32 v[110:111], v[110:111], v[114:115], v[116:117] neg_lo:[0,0,1] neg_hi:[0,0,1]
	s_delay_alu instid0(VALU_DEP_2)
	v_mov_b32_e32 v111, v119
	scratch_store_b64 off, v[110:111], off offset:160
.LBB116_720:
	s_wait_xcnt 0x0
	s_or_b32 exec_lo, exec_lo, s0
	scratch_load_b64 v[110:111], off, off offset:168
	s_mov_b32 s0, exec_lo
	s_wait_loadcnt 0x0
	ds_store_b64 v1, v[110:111]
	s_wait_storecnt_dscnt 0x0
	s_barrier_signal -1
	s_barrier_wait -1
	s_wait_xcnt 0x0
	v_cmpx_gt_u32_e32 21, v0
	s_cbranch_execz .LBB116_730
; %bb.721:
	v_cmp_ne_u32_e32 vcc_lo, 1, v112
	s_cbranch_vccnz .LBB116_723
; %bb.722:
	scratch_load_b64 v[110:111], v59, off
	ds_load_b64 v[114:115], v1
	s_wait_loadcnt_dscnt 0x0
	v_pk_mul_f32 v[116:117], v[114:115], v[110:111] op_sel:[1,1] op_sel_hi:[0,1]
	s_delay_alu instid0(VALU_DEP_1) | instskip(SKIP_1) | instid1(VALU_DEP_2)
	v_pk_fma_f32 v[118:119], v[114:115], v[110:111], v[116:117] op_sel_hi:[1,0,1]
	v_pk_fma_f32 v[110:111], v[114:115], v[110:111], v[116:117] neg_lo:[0,0,1] neg_hi:[0,0,1]
	v_mov_b32_e32 v111, v119
	s_cbranch_execz .LBB116_724
	s_branch .LBB116_725
.LBB116_723:
                                        ; implicit-def: $vgpr110_vgpr111
.LBB116_724:
	ds_load_b64 v[110:111], v1
.LBB116_725:
	s_mov_b32 s4, exec_lo
	v_cmpx_ne_u32_e32 20, v0
	s_cbranch_execz .LBB116_729
; %bb.726:
	v_add_nc_u32_e32 v113, 0x1b8, v58
	v_add3_u32 v114, 0, v58, 8
	v_mov_b32_e32 v115, v0
	s_mov_b32 s5, 0
.LBB116_727:                            ; =>This Inner Loop Header: Depth=1
	scratch_load_b64 v[116:117], v114, off
	ds_load_b64 v[118:119], v113
	s_wait_xcnt 0x0
	v_dual_add_nc_u32 v113, 8, v113 :: v_dual_add_nc_u32 v114, 8, v114
	s_wait_loadcnt_dscnt 0x0
	v_pk_mul_f32 v[120:121], v[118:119], v[116:117] op_sel:[1,1] op_sel_hi:[0,1]
	s_delay_alu instid0(VALU_DEP_1) | instskip(SKIP_2) | instid1(VALU_DEP_3)
	v_pk_fma_f32 v[122:123], v[118:119], v[116:117], v[120:121] op_sel_hi:[1,0,1]
	v_add_nc_u32_e32 v115, 1, v115
	v_pk_fma_f32 v[116:117], v[118:119], v[116:117], v[120:121] neg_lo:[0,0,1] neg_hi:[0,0,1]
	v_mov_b32_e32 v117, v123
	s_delay_alu instid0(VALU_DEP_3) | instskip(NEXT) | instid1(VALU_DEP_2)
	v_cmp_lt_u32_e32 vcc_lo, 19, v115
	v_pk_add_f32 v[110:111], v[110:111], v[116:117]
	s_or_b32 s5, vcc_lo, s5
	s_delay_alu instid0(SALU_CYCLE_1)
	s_and_not1_b32 exec_lo, exec_lo, s5
	s_cbranch_execnz .LBB116_727
; %bb.728:
	s_or_b32 exec_lo, exec_lo, s5
.LBB116_729:
	s_delay_alu instid0(SALU_CYCLE_1) | instskip(SKIP_4) | instid1(VALU_DEP_1)
	s_or_b32 exec_lo, exec_lo, s4
	v_mov_b32_e32 v113, 0
	ds_load_b64 v[114:115], v113 offset:168
	s_wait_dscnt 0x0
	v_pk_mul_f32 v[116:117], v[110:111], v[114:115] op_sel:[1,1] op_sel_hi:[0,1]
	v_pk_fma_f32 v[118:119], v[110:111], v[114:115], v[116:117] op_sel_hi:[1,0,1]
	v_pk_fma_f32 v[110:111], v[110:111], v[114:115], v[116:117] neg_lo:[0,0,1] neg_hi:[0,0,1]
	s_delay_alu instid0(VALU_DEP_2)
	v_mov_b32_e32 v111, v119
	scratch_store_b64 off, v[110:111], off offset:168
.LBB116_730:
	s_wait_xcnt 0x0
	s_or_b32 exec_lo, exec_lo, s0
	scratch_load_b64 v[110:111], off, off offset:176
	s_mov_b32 s0, exec_lo
	s_wait_loadcnt 0x0
	ds_store_b64 v1, v[110:111]
	s_wait_storecnt_dscnt 0x0
	s_barrier_signal -1
	s_barrier_wait -1
	s_wait_xcnt 0x0
	v_cmpx_gt_u32_e32 22, v0
	s_cbranch_execz .LBB116_740
; %bb.731:
	v_cmp_ne_u32_e32 vcc_lo, 1, v112
	s_cbranch_vccnz .LBB116_733
; %bb.732:
	scratch_load_b64 v[110:111], v59, off
	ds_load_b64 v[114:115], v1
	s_wait_loadcnt_dscnt 0x0
	v_pk_mul_f32 v[116:117], v[114:115], v[110:111] op_sel:[1,1] op_sel_hi:[0,1]
	s_delay_alu instid0(VALU_DEP_1) | instskip(SKIP_1) | instid1(VALU_DEP_2)
	v_pk_fma_f32 v[118:119], v[114:115], v[110:111], v[116:117] op_sel_hi:[1,0,1]
	v_pk_fma_f32 v[110:111], v[114:115], v[110:111], v[116:117] neg_lo:[0,0,1] neg_hi:[0,0,1]
	v_mov_b32_e32 v111, v119
	s_cbranch_execz .LBB116_734
	s_branch .LBB116_735
.LBB116_733:
                                        ; implicit-def: $vgpr110_vgpr111
.LBB116_734:
	ds_load_b64 v[110:111], v1
.LBB116_735:
	s_mov_b32 s4, exec_lo
	v_cmpx_ne_u32_e32 21, v0
	s_cbranch_execz .LBB116_739
; %bb.736:
	v_add_nc_u32_e32 v113, 0x1b8, v58
	v_add3_u32 v114, 0, v58, 8
	v_mov_b32_e32 v115, v0
	s_mov_b32 s5, 0
.LBB116_737:                            ; =>This Inner Loop Header: Depth=1
	scratch_load_b64 v[116:117], v114, off
	ds_load_b64 v[118:119], v113
	s_wait_xcnt 0x0
	v_dual_add_nc_u32 v113, 8, v113 :: v_dual_add_nc_u32 v114, 8, v114
	s_wait_loadcnt_dscnt 0x0
	v_pk_mul_f32 v[120:121], v[118:119], v[116:117] op_sel:[1,1] op_sel_hi:[0,1]
	s_delay_alu instid0(VALU_DEP_1) | instskip(SKIP_2) | instid1(VALU_DEP_3)
	v_pk_fma_f32 v[122:123], v[118:119], v[116:117], v[120:121] op_sel_hi:[1,0,1]
	v_add_nc_u32_e32 v115, 1, v115
	v_pk_fma_f32 v[116:117], v[118:119], v[116:117], v[120:121] neg_lo:[0,0,1] neg_hi:[0,0,1]
	v_mov_b32_e32 v117, v123
	s_delay_alu instid0(VALU_DEP_3) | instskip(NEXT) | instid1(VALU_DEP_2)
	v_cmp_lt_u32_e32 vcc_lo, 20, v115
	v_pk_add_f32 v[110:111], v[110:111], v[116:117]
	s_or_b32 s5, vcc_lo, s5
	s_delay_alu instid0(SALU_CYCLE_1)
	s_and_not1_b32 exec_lo, exec_lo, s5
	s_cbranch_execnz .LBB116_737
; %bb.738:
	s_or_b32 exec_lo, exec_lo, s5
.LBB116_739:
	s_delay_alu instid0(SALU_CYCLE_1) | instskip(SKIP_4) | instid1(VALU_DEP_1)
	s_or_b32 exec_lo, exec_lo, s4
	v_mov_b32_e32 v113, 0
	ds_load_b64 v[114:115], v113 offset:176
	s_wait_dscnt 0x0
	v_pk_mul_f32 v[116:117], v[110:111], v[114:115] op_sel:[1,1] op_sel_hi:[0,1]
	v_pk_fma_f32 v[118:119], v[110:111], v[114:115], v[116:117] op_sel_hi:[1,0,1]
	v_pk_fma_f32 v[110:111], v[110:111], v[114:115], v[116:117] neg_lo:[0,0,1] neg_hi:[0,0,1]
	s_delay_alu instid0(VALU_DEP_2)
	v_mov_b32_e32 v111, v119
	scratch_store_b64 off, v[110:111], off offset:176
.LBB116_740:
	s_wait_xcnt 0x0
	s_or_b32 exec_lo, exec_lo, s0
	scratch_load_b64 v[110:111], off, off offset:184
	s_mov_b32 s0, exec_lo
	s_wait_loadcnt 0x0
	ds_store_b64 v1, v[110:111]
	s_wait_storecnt_dscnt 0x0
	s_barrier_signal -1
	s_barrier_wait -1
	s_wait_xcnt 0x0
	v_cmpx_gt_u32_e32 23, v0
	s_cbranch_execz .LBB116_750
; %bb.741:
	v_cmp_ne_u32_e32 vcc_lo, 1, v112
	s_cbranch_vccnz .LBB116_743
; %bb.742:
	scratch_load_b64 v[110:111], v59, off
	ds_load_b64 v[114:115], v1
	s_wait_loadcnt_dscnt 0x0
	v_pk_mul_f32 v[116:117], v[114:115], v[110:111] op_sel:[1,1] op_sel_hi:[0,1]
	s_delay_alu instid0(VALU_DEP_1) | instskip(SKIP_1) | instid1(VALU_DEP_2)
	v_pk_fma_f32 v[118:119], v[114:115], v[110:111], v[116:117] op_sel_hi:[1,0,1]
	v_pk_fma_f32 v[110:111], v[114:115], v[110:111], v[116:117] neg_lo:[0,0,1] neg_hi:[0,0,1]
	v_mov_b32_e32 v111, v119
	s_cbranch_execz .LBB116_744
	s_branch .LBB116_745
.LBB116_743:
                                        ; implicit-def: $vgpr110_vgpr111
.LBB116_744:
	ds_load_b64 v[110:111], v1
.LBB116_745:
	s_mov_b32 s4, exec_lo
	v_cmpx_ne_u32_e32 22, v0
	s_cbranch_execz .LBB116_749
; %bb.746:
	v_add_nc_u32_e32 v113, 0x1b8, v58
	v_add3_u32 v114, 0, v58, 8
	v_mov_b32_e32 v115, v0
	s_mov_b32 s5, 0
.LBB116_747:                            ; =>This Inner Loop Header: Depth=1
	scratch_load_b64 v[116:117], v114, off
	ds_load_b64 v[118:119], v113
	s_wait_xcnt 0x0
	v_dual_add_nc_u32 v113, 8, v113 :: v_dual_add_nc_u32 v114, 8, v114
	s_wait_loadcnt_dscnt 0x0
	v_pk_mul_f32 v[120:121], v[118:119], v[116:117] op_sel:[1,1] op_sel_hi:[0,1]
	s_delay_alu instid0(VALU_DEP_1) | instskip(SKIP_2) | instid1(VALU_DEP_3)
	v_pk_fma_f32 v[122:123], v[118:119], v[116:117], v[120:121] op_sel_hi:[1,0,1]
	v_add_nc_u32_e32 v115, 1, v115
	v_pk_fma_f32 v[116:117], v[118:119], v[116:117], v[120:121] neg_lo:[0,0,1] neg_hi:[0,0,1]
	v_mov_b32_e32 v117, v123
	s_delay_alu instid0(VALU_DEP_3) | instskip(NEXT) | instid1(VALU_DEP_2)
	v_cmp_lt_u32_e32 vcc_lo, 21, v115
	v_pk_add_f32 v[110:111], v[110:111], v[116:117]
	s_or_b32 s5, vcc_lo, s5
	s_delay_alu instid0(SALU_CYCLE_1)
	s_and_not1_b32 exec_lo, exec_lo, s5
	s_cbranch_execnz .LBB116_747
; %bb.748:
	s_or_b32 exec_lo, exec_lo, s5
.LBB116_749:
	s_delay_alu instid0(SALU_CYCLE_1) | instskip(SKIP_4) | instid1(VALU_DEP_1)
	s_or_b32 exec_lo, exec_lo, s4
	v_mov_b32_e32 v113, 0
	ds_load_b64 v[114:115], v113 offset:184
	s_wait_dscnt 0x0
	v_pk_mul_f32 v[116:117], v[110:111], v[114:115] op_sel:[1,1] op_sel_hi:[0,1]
	v_pk_fma_f32 v[118:119], v[110:111], v[114:115], v[116:117] op_sel_hi:[1,0,1]
	v_pk_fma_f32 v[110:111], v[110:111], v[114:115], v[116:117] neg_lo:[0,0,1] neg_hi:[0,0,1]
	s_delay_alu instid0(VALU_DEP_2)
	v_mov_b32_e32 v111, v119
	scratch_store_b64 off, v[110:111], off offset:184
.LBB116_750:
	s_wait_xcnt 0x0
	s_or_b32 exec_lo, exec_lo, s0
	scratch_load_b64 v[110:111], off, off offset:192
	s_mov_b32 s0, exec_lo
	s_wait_loadcnt 0x0
	ds_store_b64 v1, v[110:111]
	s_wait_storecnt_dscnt 0x0
	s_barrier_signal -1
	s_barrier_wait -1
	s_wait_xcnt 0x0
	v_cmpx_gt_u32_e32 24, v0
	s_cbranch_execz .LBB116_760
; %bb.751:
	v_cmp_ne_u32_e32 vcc_lo, 1, v112
	s_cbranch_vccnz .LBB116_753
; %bb.752:
	scratch_load_b64 v[110:111], v59, off
	ds_load_b64 v[114:115], v1
	s_wait_loadcnt_dscnt 0x0
	v_pk_mul_f32 v[116:117], v[114:115], v[110:111] op_sel:[1,1] op_sel_hi:[0,1]
	s_delay_alu instid0(VALU_DEP_1) | instskip(SKIP_1) | instid1(VALU_DEP_2)
	v_pk_fma_f32 v[118:119], v[114:115], v[110:111], v[116:117] op_sel_hi:[1,0,1]
	v_pk_fma_f32 v[110:111], v[114:115], v[110:111], v[116:117] neg_lo:[0,0,1] neg_hi:[0,0,1]
	v_mov_b32_e32 v111, v119
	s_cbranch_execz .LBB116_754
	s_branch .LBB116_755
.LBB116_753:
                                        ; implicit-def: $vgpr110_vgpr111
.LBB116_754:
	ds_load_b64 v[110:111], v1
.LBB116_755:
	s_mov_b32 s4, exec_lo
	v_cmpx_ne_u32_e32 23, v0
	s_cbranch_execz .LBB116_759
; %bb.756:
	v_add_nc_u32_e32 v113, 0x1b8, v58
	v_add3_u32 v114, 0, v58, 8
	v_mov_b32_e32 v115, v0
	s_mov_b32 s5, 0
.LBB116_757:                            ; =>This Inner Loop Header: Depth=1
	scratch_load_b64 v[116:117], v114, off
	ds_load_b64 v[118:119], v113
	s_wait_xcnt 0x0
	v_dual_add_nc_u32 v113, 8, v113 :: v_dual_add_nc_u32 v114, 8, v114
	s_wait_loadcnt_dscnt 0x0
	v_pk_mul_f32 v[120:121], v[118:119], v[116:117] op_sel:[1,1] op_sel_hi:[0,1]
	s_delay_alu instid0(VALU_DEP_1) | instskip(SKIP_2) | instid1(VALU_DEP_3)
	v_pk_fma_f32 v[122:123], v[118:119], v[116:117], v[120:121] op_sel_hi:[1,0,1]
	v_add_nc_u32_e32 v115, 1, v115
	v_pk_fma_f32 v[116:117], v[118:119], v[116:117], v[120:121] neg_lo:[0,0,1] neg_hi:[0,0,1]
	v_mov_b32_e32 v117, v123
	s_delay_alu instid0(VALU_DEP_3) | instskip(NEXT) | instid1(VALU_DEP_2)
	v_cmp_lt_u32_e32 vcc_lo, 22, v115
	v_pk_add_f32 v[110:111], v[110:111], v[116:117]
	s_or_b32 s5, vcc_lo, s5
	s_delay_alu instid0(SALU_CYCLE_1)
	s_and_not1_b32 exec_lo, exec_lo, s5
	s_cbranch_execnz .LBB116_757
; %bb.758:
	s_or_b32 exec_lo, exec_lo, s5
.LBB116_759:
	s_delay_alu instid0(SALU_CYCLE_1) | instskip(SKIP_4) | instid1(VALU_DEP_1)
	s_or_b32 exec_lo, exec_lo, s4
	v_mov_b32_e32 v113, 0
	ds_load_b64 v[114:115], v113 offset:192
	s_wait_dscnt 0x0
	v_pk_mul_f32 v[116:117], v[110:111], v[114:115] op_sel:[1,1] op_sel_hi:[0,1]
	v_pk_fma_f32 v[118:119], v[110:111], v[114:115], v[116:117] op_sel_hi:[1,0,1]
	v_pk_fma_f32 v[110:111], v[110:111], v[114:115], v[116:117] neg_lo:[0,0,1] neg_hi:[0,0,1]
	s_delay_alu instid0(VALU_DEP_2)
	v_mov_b32_e32 v111, v119
	scratch_store_b64 off, v[110:111], off offset:192
.LBB116_760:
	s_wait_xcnt 0x0
	s_or_b32 exec_lo, exec_lo, s0
	scratch_load_b64 v[110:111], off, off offset:200
	s_mov_b32 s0, exec_lo
	s_wait_loadcnt 0x0
	ds_store_b64 v1, v[110:111]
	s_wait_storecnt_dscnt 0x0
	s_barrier_signal -1
	s_barrier_wait -1
	s_wait_xcnt 0x0
	v_cmpx_gt_u32_e32 25, v0
	s_cbranch_execz .LBB116_770
; %bb.761:
	v_cmp_ne_u32_e32 vcc_lo, 1, v112
	s_cbranch_vccnz .LBB116_763
; %bb.762:
	scratch_load_b64 v[110:111], v59, off
	ds_load_b64 v[114:115], v1
	s_wait_loadcnt_dscnt 0x0
	v_pk_mul_f32 v[116:117], v[114:115], v[110:111] op_sel:[1,1] op_sel_hi:[0,1]
	s_delay_alu instid0(VALU_DEP_1) | instskip(SKIP_1) | instid1(VALU_DEP_2)
	v_pk_fma_f32 v[118:119], v[114:115], v[110:111], v[116:117] op_sel_hi:[1,0,1]
	v_pk_fma_f32 v[110:111], v[114:115], v[110:111], v[116:117] neg_lo:[0,0,1] neg_hi:[0,0,1]
	v_mov_b32_e32 v111, v119
	s_cbranch_execz .LBB116_764
	s_branch .LBB116_765
.LBB116_763:
                                        ; implicit-def: $vgpr110_vgpr111
.LBB116_764:
	ds_load_b64 v[110:111], v1
.LBB116_765:
	s_mov_b32 s4, exec_lo
	v_cmpx_ne_u32_e32 24, v0
	s_cbranch_execz .LBB116_769
; %bb.766:
	v_add_nc_u32_e32 v113, 0x1b8, v58
	v_add3_u32 v114, 0, v58, 8
	v_mov_b32_e32 v115, v0
	s_mov_b32 s5, 0
.LBB116_767:                            ; =>This Inner Loop Header: Depth=1
	scratch_load_b64 v[116:117], v114, off
	ds_load_b64 v[118:119], v113
	s_wait_xcnt 0x0
	v_dual_add_nc_u32 v113, 8, v113 :: v_dual_add_nc_u32 v114, 8, v114
	s_wait_loadcnt_dscnt 0x0
	v_pk_mul_f32 v[120:121], v[118:119], v[116:117] op_sel:[1,1] op_sel_hi:[0,1]
	s_delay_alu instid0(VALU_DEP_1) | instskip(SKIP_2) | instid1(VALU_DEP_3)
	v_pk_fma_f32 v[122:123], v[118:119], v[116:117], v[120:121] op_sel_hi:[1,0,1]
	v_add_nc_u32_e32 v115, 1, v115
	v_pk_fma_f32 v[116:117], v[118:119], v[116:117], v[120:121] neg_lo:[0,0,1] neg_hi:[0,0,1]
	v_mov_b32_e32 v117, v123
	s_delay_alu instid0(VALU_DEP_3) | instskip(NEXT) | instid1(VALU_DEP_2)
	v_cmp_lt_u32_e32 vcc_lo, 23, v115
	v_pk_add_f32 v[110:111], v[110:111], v[116:117]
	s_or_b32 s5, vcc_lo, s5
	s_delay_alu instid0(SALU_CYCLE_1)
	s_and_not1_b32 exec_lo, exec_lo, s5
	s_cbranch_execnz .LBB116_767
; %bb.768:
	s_or_b32 exec_lo, exec_lo, s5
.LBB116_769:
	s_delay_alu instid0(SALU_CYCLE_1) | instskip(SKIP_4) | instid1(VALU_DEP_1)
	s_or_b32 exec_lo, exec_lo, s4
	v_mov_b32_e32 v113, 0
	ds_load_b64 v[114:115], v113 offset:200
	s_wait_dscnt 0x0
	v_pk_mul_f32 v[116:117], v[110:111], v[114:115] op_sel:[1,1] op_sel_hi:[0,1]
	v_pk_fma_f32 v[118:119], v[110:111], v[114:115], v[116:117] op_sel_hi:[1,0,1]
	v_pk_fma_f32 v[110:111], v[110:111], v[114:115], v[116:117] neg_lo:[0,0,1] neg_hi:[0,0,1]
	s_delay_alu instid0(VALU_DEP_2)
	v_mov_b32_e32 v111, v119
	scratch_store_b64 off, v[110:111], off offset:200
.LBB116_770:
	s_wait_xcnt 0x0
	s_or_b32 exec_lo, exec_lo, s0
	scratch_load_b64 v[110:111], off, off offset:208
	s_mov_b32 s0, exec_lo
	s_wait_loadcnt 0x0
	ds_store_b64 v1, v[110:111]
	s_wait_storecnt_dscnt 0x0
	s_barrier_signal -1
	s_barrier_wait -1
	s_wait_xcnt 0x0
	v_cmpx_gt_u32_e32 26, v0
	s_cbranch_execz .LBB116_780
; %bb.771:
	v_cmp_ne_u32_e32 vcc_lo, 1, v112
	s_cbranch_vccnz .LBB116_773
; %bb.772:
	scratch_load_b64 v[110:111], v59, off
	ds_load_b64 v[114:115], v1
	s_wait_loadcnt_dscnt 0x0
	v_pk_mul_f32 v[116:117], v[114:115], v[110:111] op_sel:[1,1] op_sel_hi:[0,1]
	s_delay_alu instid0(VALU_DEP_1) | instskip(SKIP_1) | instid1(VALU_DEP_2)
	v_pk_fma_f32 v[118:119], v[114:115], v[110:111], v[116:117] op_sel_hi:[1,0,1]
	v_pk_fma_f32 v[110:111], v[114:115], v[110:111], v[116:117] neg_lo:[0,0,1] neg_hi:[0,0,1]
	v_mov_b32_e32 v111, v119
	s_cbranch_execz .LBB116_774
	s_branch .LBB116_775
.LBB116_773:
                                        ; implicit-def: $vgpr110_vgpr111
.LBB116_774:
	ds_load_b64 v[110:111], v1
.LBB116_775:
	s_mov_b32 s4, exec_lo
	v_cmpx_ne_u32_e32 25, v0
	s_cbranch_execz .LBB116_779
; %bb.776:
	v_add_nc_u32_e32 v113, 0x1b8, v58
	v_add3_u32 v114, 0, v58, 8
	v_mov_b32_e32 v115, v0
	s_mov_b32 s5, 0
.LBB116_777:                            ; =>This Inner Loop Header: Depth=1
	scratch_load_b64 v[116:117], v114, off
	ds_load_b64 v[118:119], v113
	s_wait_xcnt 0x0
	v_dual_add_nc_u32 v113, 8, v113 :: v_dual_add_nc_u32 v114, 8, v114
	s_wait_loadcnt_dscnt 0x0
	v_pk_mul_f32 v[120:121], v[118:119], v[116:117] op_sel:[1,1] op_sel_hi:[0,1]
	s_delay_alu instid0(VALU_DEP_1) | instskip(SKIP_2) | instid1(VALU_DEP_3)
	v_pk_fma_f32 v[122:123], v[118:119], v[116:117], v[120:121] op_sel_hi:[1,0,1]
	v_add_nc_u32_e32 v115, 1, v115
	v_pk_fma_f32 v[116:117], v[118:119], v[116:117], v[120:121] neg_lo:[0,0,1] neg_hi:[0,0,1]
	v_mov_b32_e32 v117, v123
	s_delay_alu instid0(VALU_DEP_3) | instskip(NEXT) | instid1(VALU_DEP_2)
	v_cmp_lt_u32_e32 vcc_lo, 24, v115
	v_pk_add_f32 v[110:111], v[110:111], v[116:117]
	s_or_b32 s5, vcc_lo, s5
	s_delay_alu instid0(SALU_CYCLE_1)
	s_and_not1_b32 exec_lo, exec_lo, s5
	s_cbranch_execnz .LBB116_777
; %bb.778:
	s_or_b32 exec_lo, exec_lo, s5
.LBB116_779:
	s_delay_alu instid0(SALU_CYCLE_1) | instskip(SKIP_4) | instid1(VALU_DEP_1)
	s_or_b32 exec_lo, exec_lo, s4
	v_mov_b32_e32 v113, 0
	ds_load_b64 v[114:115], v113 offset:208
	s_wait_dscnt 0x0
	v_pk_mul_f32 v[116:117], v[110:111], v[114:115] op_sel:[1,1] op_sel_hi:[0,1]
	v_pk_fma_f32 v[118:119], v[110:111], v[114:115], v[116:117] op_sel_hi:[1,0,1]
	v_pk_fma_f32 v[110:111], v[110:111], v[114:115], v[116:117] neg_lo:[0,0,1] neg_hi:[0,0,1]
	s_delay_alu instid0(VALU_DEP_2)
	v_mov_b32_e32 v111, v119
	scratch_store_b64 off, v[110:111], off offset:208
.LBB116_780:
	s_wait_xcnt 0x0
	s_or_b32 exec_lo, exec_lo, s0
	scratch_load_b64 v[110:111], off, off offset:216
	s_mov_b32 s0, exec_lo
	s_wait_loadcnt 0x0
	ds_store_b64 v1, v[110:111]
	s_wait_storecnt_dscnt 0x0
	s_barrier_signal -1
	s_barrier_wait -1
	s_wait_xcnt 0x0
	v_cmpx_gt_u32_e32 27, v0
	s_cbranch_execz .LBB116_790
; %bb.781:
	v_cmp_ne_u32_e32 vcc_lo, 1, v112
	s_cbranch_vccnz .LBB116_783
; %bb.782:
	scratch_load_b64 v[110:111], v59, off
	ds_load_b64 v[114:115], v1
	s_wait_loadcnt_dscnt 0x0
	v_pk_mul_f32 v[116:117], v[114:115], v[110:111] op_sel:[1,1] op_sel_hi:[0,1]
	s_delay_alu instid0(VALU_DEP_1) | instskip(SKIP_1) | instid1(VALU_DEP_2)
	v_pk_fma_f32 v[118:119], v[114:115], v[110:111], v[116:117] op_sel_hi:[1,0,1]
	v_pk_fma_f32 v[110:111], v[114:115], v[110:111], v[116:117] neg_lo:[0,0,1] neg_hi:[0,0,1]
	v_mov_b32_e32 v111, v119
	s_cbranch_execz .LBB116_784
	s_branch .LBB116_785
.LBB116_783:
                                        ; implicit-def: $vgpr110_vgpr111
.LBB116_784:
	ds_load_b64 v[110:111], v1
.LBB116_785:
	s_mov_b32 s4, exec_lo
	v_cmpx_ne_u32_e32 26, v0
	s_cbranch_execz .LBB116_789
; %bb.786:
	v_add_nc_u32_e32 v113, 0x1b8, v58
	v_add3_u32 v114, 0, v58, 8
	v_mov_b32_e32 v115, v0
	s_mov_b32 s5, 0
.LBB116_787:                            ; =>This Inner Loop Header: Depth=1
	scratch_load_b64 v[116:117], v114, off
	ds_load_b64 v[118:119], v113
	s_wait_xcnt 0x0
	v_dual_add_nc_u32 v113, 8, v113 :: v_dual_add_nc_u32 v114, 8, v114
	s_wait_loadcnt_dscnt 0x0
	v_pk_mul_f32 v[120:121], v[118:119], v[116:117] op_sel:[1,1] op_sel_hi:[0,1]
	s_delay_alu instid0(VALU_DEP_1) | instskip(SKIP_2) | instid1(VALU_DEP_3)
	v_pk_fma_f32 v[122:123], v[118:119], v[116:117], v[120:121] op_sel_hi:[1,0,1]
	v_add_nc_u32_e32 v115, 1, v115
	v_pk_fma_f32 v[116:117], v[118:119], v[116:117], v[120:121] neg_lo:[0,0,1] neg_hi:[0,0,1]
	v_mov_b32_e32 v117, v123
	s_delay_alu instid0(VALU_DEP_3) | instskip(NEXT) | instid1(VALU_DEP_2)
	v_cmp_lt_u32_e32 vcc_lo, 25, v115
	v_pk_add_f32 v[110:111], v[110:111], v[116:117]
	s_or_b32 s5, vcc_lo, s5
	s_delay_alu instid0(SALU_CYCLE_1)
	s_and_not1_b32 exec_lo, exec_lo, s5
	s_cbranch_execnz .LBB116_787
; %bb.788:
	s_or_b32 exec_lo, exec_lo, s5
.LBB116_789:
	s_delay_alu instid0(SALU_CYCLE_1) | instskip(SKIP_4) | instid1(VALU_DEP_1)
	s_or_b32 exec_lo, exec_lo, s4
	v_mov_b32_e32 v113, 0
	ds_load_b64 v[114:115], v113 offset:216
	s_wait_dscnt 0x0
	v_pk_mul_f32 v[116:117], v[110:111], v[114:115] op_sel:[1,1] op_sel_hi:[0,1]
	v_pk_fma_f32 v[118:119], v[110:111], v[114:115], v[116:117] op_sel_hi:[1,0,1]
	v_pk_fma_f32 v[110:111], v[110:111], v[114:115], v[116:117] neg_lo:[0,0,1] neg_hi:[0,0,1]
	s_delay_alu instid0(VALU_DEP_2)
	v_mov_b32_e32 v111, v119
	scratch_store_b64 off, v[110:111], off offset:216
.LBB116_790:
	s_wait_xcnt 0x0
	s_or_b32 exec_lo, exec_lo, s0
	scratch_load_b64 v[110:111], off, off offset:224
	s_mov_b32 s0, exec_lo
	s_wait_loadcnt 0x0
	ds_store_b64 v1, v[110:111]
	s_wait_storecnt_dscnt 0x0
	s_barrier_signal -1
	s_barrier_wait -1
	s_wait_xcnt 0x0
	v_cmpx_gt_u32_e32 28, v0
	s_cbranch_execz .LBB116_800
; %bb.791:
	v_cmp_ne_u32_e32 vcc_lo, 1, v112
	s_cbranch_vccnz .LBB116_793
; %bb.792:
	scratch_load_b64 v[110:111], v59, off
	ds_load_b64 v[114:115], v1
	s_wait_loadcnt_dscnt 0x0
	v_pk_mul_f32 v[116:117], v[114:115], v[110:111] op_sel:[1,1] op_sel_hi:[0,1]
	s_delay_alu instid0(VALU_DEP_1) | instskip(SKIP_1) | instid1(VALU_DEP_2)
	v_pk_fma_f32 v[118:119], v[114:115], v[110:111], v[116:117] op_sel_hi:[1,0,1]
	v_pk_fma_f32 v[110:111], v[114:115], v[110:111], v[116:117] neg_lo:[0,0,1] neg_hi:[0,0,1]
	v_mov_b32_e32 v111, v119
	s_cbranch_execz .LBB116_794
	s_branch .LBB116_795
.LBB116_793:
                                        ; implicit-def: $vgpr110_vgpr111
.LBB116_794:
	ds_load_b64 v[110:111], v1
.LBB116_795:
	s_mov_b32 s4, exec_lo
	v_cmpx_ne_u32_e32 27, v0
	s_cbranch_execz .LBB116_799
; %bb.796:
	v_add_nc_u32_e32 v113, 0x1b8, v58
	v_add3_u32 v114, 0, v58, 8
	v_mov_b32_e32 v115, v0
	s_mov_b32 s5, 0
.LBB116_797:                            ; =>This Inner Loop Header: Depth=1
	scratch_load_b64 v[116:117], v114, off
	ds_load_b64 v[118:119], v113
	s_wait_xcnt 0x0
	v_dual_add_nc_u32 v113, 8, v113 :: v_dual_add_nc_u32 v114, 8, v114
	s_wait_loadcnt_dscnt 0x0
	v_pk_mul_f32 v[120:121], v[118:119], v[116:117] op_sel:[1,1] op_sel_hi:[0,1]
	s_delay_alu instid0(VALU_DEP_1) | instskip(SKIP_2) | instid1(VALU_DEP_3)
	v_pk_fma_f32 v[122:123], v[118:119], v[116:117], v[120:121] op_sel_hi:[1,0,1]
	v_add_nc_u32_e32 v115, 1, v115
	v_pk_fma_f32 v[116:117], v[118:119], v[116:117], v[120:121] neg_lo:[0,0,1] neg_hi:[0,0,1]
	v_mov_b32_e32 v117, v123
	s_delay_alu instid0(VALU_DEP_3) | instskip(NEXT) | instid1(VALU_DEP_2)
	v_cmp_lt_u32_e32 vcc_lo, 26, v115
	v_pk_add_f32 v[110:111], v[110:111], v[116:117]
	s_or_b32 s5, vcc_lo, s5
	s_delay_alu instid0(SALU_CYCLE_1)
	s_and_not1_b32 exec_lo, exec_lo, s5
	s_cbranch_execnz .LBB116_797
; %bb.798:
	s_or_b32 exec_lo, exec_lo, s5
.LBB116_799:
	s_delay_alu instid0(SALU_CYCLE_1) | instskip(SKIP_4) | instid1(VALU_DEP_1)
	s_or_b32 exec_lo, exec_lo, s4
	v_mov_b32_e32 v113, 0
	ds_load_b64 v[114:115], v113 offset:224
	s_wait_dscnt 0x0
	v_pk_mul_f32 v[116:117], v[110:111], v[114:115] op_sel:[1,1] op_sel_hi:[0,1]
	v_pk_fma_f32 v[118:119], v[110:111], v[114:115], v[116:117] op_sel_hi:[1,0,1]
	v_pk_fma_f32 v[110:111], v[110:111], v[114:115], v[116:117] neg_lo:[0,0,1] neg_hi:[0,0,1]
	s_delay_alu instid0(VALU_DEP_2)
	v_mov_b32_e32 v111, v119
	scratch_store_b64 off, v[110:111], off offset:224
.LBB116_800:
	s_wait_xcnt 0x0
	s_or_b32 exec_lo, exec_lo, s0
	scratch_load_b64 v[110:111], off, off offset:232
	s_mov_b32 s0, exec_lo
	s_wait_loadcnt 0x0
	ds_store_b64 v1, v[110:111]
	s_wait_storecnt_dscnt 0x0
	s_barrier_signal -1
	s_barrier_wait -1
	s_wait_xcnt 0x0
	v_cmpx_gt_u32_e32 29, v0
	s_cbranch_execz .LBB116_810
; %bb.801:
	v_cmp_ne_u32_e32 vcc_lo, 1, v112
	s_cbranch_vccnz .LBB116_803
; %bb.802:
	scratch_load_b64 v[110:111], v59, off
	ds_load_b64 v[114:115], v1
	s_wait_loadcnt_dscnt 0x0
	v_pk_mul_f32 v[116:117], v[114:115], v[110:111] op_sel:[1,1] op_sel_hi:[0,1]
	s_delay_alu instid0(VALU_DEP_1) | instskip(SKIP_1) | instid1(VALU_DEP_2)
	v_pk_fma_f32 v[118:119], v[114:115], v[110:111], v[116:117] op_sel_hi:[1,0,1]
	v_pk_fma_f32 v[110:111], v[114:115], v[110:111], v[116:117] neg_lo:[0,0,1] neg_hi:[0,0,1]
	v_mov_b32_e32 v111, v119
	s_cbranch_execz .LBB116_804
	s_branch .LBB116_805
.LBB116_803:
                                        ; implicit-def: $vgpr110_vgpr111
.LBB116_804:
	ds_load_b64 v[110:111], v1
.LBB116_805:
	s_mov_b32 s4, exec_lo
	v_cmpx_ne_u32_e32 28, v0
	s_cbranch_execz .LBB116_809
; %bb.806:
	v_add_nc_u32_e32 v113, 0x1b8, v58
	v_add3_u32 v114, 0, v58, 8
	v_mov_b32_e32 v115, v0
	s_mov_b32 s5, 0
.LBB116_807:                            ; =>This Inner Loop Header: Depth=1
	scratch_load_b64 v[116:117], v114, off
	ds_load_b64 v[118:119], v113
	s_wait_xcnt 0x0
	v_dual_add_nc_u32 v113, 8, v113 :: v_dual_add_nc_u32 v114, 8, v114
	s_wait_loadcnt_dscnt 0x0
	v_pk_mul_f32 v[120:121], v[118:119], v[116:117] op_sel:[1,1] op_sel_hi:[0,1]
	s_delay_alu instid0(VALU_DEP_1) | instskip(SKIP_2) | instid1(VALU_DEP_3)
	v_pk_fma_f32 v[122:123], v[118:119], v[116:117], v[120:121] op_sel_hi:[1,0,1]
	v_add_nc_u32_e32 v115, 1, v115
	v_pk_fma_f32 v[116:117], v[118:119], v[116:117], v[120:121] neg_lo:[0,0,1] neg_hi:[0,0,1]
	v_mov_b32_e32 v117, v123
	s_delay_alu instid0(VALU_DEP_3) | instskip(NEXT) | instid1(VALU_DEP_2)
	v_cmp_lt_u32_e32 vcc_lo, 27, v115
	v_pk_add_f32 v[110:111], v[110:111], v[116:117]
	s_or_b32 s5, vcc_lo, s5
	s_delay_alu instid0(SALU_CYCLE_1)
	s_and_not1_b32 exec_lo, exec_lo, s5
	s_cbranch_execnz .LBB116_807
; %bb.808:
	s_or_b32 exec_lo, exec_lo, s5
.LBB116_809:
	s_delay_alu instid0(SALU_CYCLE_1) | instskip(SKIP_4) | instid1(VALU_DEP_1)
	s_or_b32 exec_lo, exec_lo, s4
	v_mov_b32_e32 v113, 0
	ds_load_b64 v[114:115], v113 offset:232
	s_wait_dscnt 0x0
	v_pk_mul_f32 v[116:117], v[110:111], v[114:115] op_sel:[1,1] op_sel_hi:[0,1]
	v_pk_fma_f32 v[118:119], v[110:111], v[114:115], v[116:117] op_sel_hi:[1,0,1]
	v_pk_fma_f32 v[110:111], v[110:111], v[114:115], v[116:117] neg_lo:[0,0,1] neg_hi:[0,0,1]
	s_delay_alu instid0(VALU_DEP_2)
	v_mov_b32_e32 v111, v119
	scratch_store_b64 off, v[110:111], off offset:232
.LBB116_810:
	s_wait_xcnt 0x0
	s_or_b32 exec_lo, exec_lo, s0
	scratch_load_b64 v[110:111], off, off offset:240
	s_mov_b32 s0, exec_lo
	s_wait_loadcnt 0x0
	ds_store_b64 v1, v[110:111]
	s_wait_storecnt_dscnt 0x0
	s_barrier_signal -1
	s_barrier_wait -1
	s_wait_xcnt 0x0
	v_cmpx_gt_u32_e32 30, v0
	s_cbranch_execz .LBB116_820
; %bb.811:
	v_cmp_ne_u32_e32 vcc_lo, 1, v112
	s_cbranch_vccnz .LBB116_813
; %bb.812:
	scratch_load_b64 v[110:111], v59, off
	ds_load_b64 v[114:115], v1
	s_wait_loadcnt_dscnt 0x0
	v_pk_mul_f32 v[116:117], v[114:115], v[110:111] op_sel:[1,1] op_sel_hi:[0,1]
	s_delay_alu instid0(VALU_DEP_1) | instskip(SKIP_1) | instid1(VALU_DEP_2)
	v_pk_fma_f32 v[118:119], v[114:115], v[110:111], v[116:117] op_sel_hi:[1,0,1]
	v_pk_fma_f32 v[110:111], v[114:115], v[110:111], v[116:117] neg_lo:[0,0,1] neg_hi:[0,0,1]
	v_mov_b32_e32 v111, v119
	s_cbranch_execz .LBB116_814
	s_branch .LBB116_815
.LBB116_813:
                                        ; implicit-def: $vgpr110_vgpr111
.LBB116_814:
	ds_load_b64 v[110:111], v1
.LBB116_815:
	s_mov_b32 s4, exec_lo
	v_cmpx_ne_u32_e32 29, v0
	s_cbranch_execz .LBB116_819
; %bb.816:
	v_add_nc_u32_e32 v113, 0x1b8, v58
	v_add3_u32 v114, 0, v58, 8
	v_mov_b32_e32 v115, v0
	s_mov_b32 s5, 0
.LBB116_817:                            ; =>This Inner Loop Header: Depth=1
	scratch_load_b64 v[116:117], v114, off
	ds_load_b64 v[118:119], v113
	s_wait_xcnt 0x0
	v_dual_add_nc_u32 v113, 8, v113 :: v_dual_add_nc_u32 v114, 8, v114
	s_wait_loadcnt_dscnt 0x0
	v_pk_mul_f32 v[120:121], v[118:119], v[116:117] op_sel:[1,1] op_sel_hi:[0,1]
	s_delay_alu instid0(VALU_DEP_1) | instskip(SKIP_2) | instid1(VALU_DEP_3)
	v_pk_fma_f32 v[122:123], v[118:119], v[116:117], v[120:121] op_sel_hi:[1,0,1]
	v_add_nc_u32_e32 v115, 1, v115
	v_pk_fma_f32 v[116:117], v[118:119], v[116:117], v[120:121] neg_lo:[0,0,1] neg_hi:[0,0,1]
	v_mov_b32_e32 v117, v123
	s_delay_alu instid0(VALU_DEP_3) | instskip(NEXT) | instid1(VALU_DEP_2)
	v_cmp_lt_u32_e32 vcc_lo, 28, v115
	v_pk_add_f32 v[110:111], v[110:111], v[116:117]
	s_or_b32 s5, vcc_lo, s5
	s_delay_alu instid0(SALU_CYCLE_1)
	s_and_not1_b32 exec_lo, exec_lo, s5
	s_cbranch_execnz .LBB116_817
; %bb.818:
	s_or_b32 exec_lo, exec_lo, s5
.LBB116_819:
	s_delay_alu instid0(SALU_CYCLE_1) | instskip(SKIP_4) | instid1(VALU_DEP_1)
	s_or_b32 exec_lo, exec_lo, s4
	v_mov_b32_e32 v113, 0
	ds_load_b64 v[114:115], v113 offset:240
	s_wait_dscnt 0x0
	v_pk_mul_f32 v[116:117], v[110:111], v[114:115] op_sel:[1,1] op_sel_hi:[0,1]
	v_pk_fma_f32 v[118:119], v[110:111], v[114:115], v[116:117] op_sel_hi:[1,0,1]
	v_pk_fma_f32 v[110:111], v[110:111], v[114:115], v[116:117] neg_lo:[0,0,1] neg_hi:[0,0,1]
	s_delay_alu instid0(VALU_DEP_2)
	v_mov_b32_e32 v111, v119
	scratch_store_b64 off, v[110:111], off offset:240
.LBB116_820:
	s_wait_xcnt 0x0
	s_or_b32 exec_lo, exec_lo, s0
	scratch_load_b64 v[110:111], off, off offset:248
	s_mov_b32 s0, exec_lo
	s_wait_loadcnt 0x0
	ds_store_b64 v1, v[110:111]
	s_wait_storecnt_dscnt 0x0
	s_barrier_signal -1
	s_barrier_wait -1
	s_wait_xcnt 0x0
	v_cmpx_gt_u32_e32 31, v0
	s_cbranch_execz .LBB116_830
; %bb.821:
	v_cmp_ne_u32_e32 vcc_lo, 1, v112
	s_cbranch_vccnz .LBB116_823
; %bb.822:
	scratch_load_b64 v[110:111], v59, off
	ds_load_b64 v[114:115], v1
	s_wait_loadcnt_dscnt 0x0
	v_pk_mul_f32 v[116:117], v[114:115], v[110:111] op_sel:[1,1] op_sel_hi:[0,1]
	s_delay_alu instid0(VALU_DEP_1) | instskip(SKIP_1) | instid1(VALU_DEP_2)
	v_pk_fma_f32 v[118:119], v[114:115], v[110:111], v[116:117] op_sel_hi:[1,0,1]
	v_pk_fma_f32 v[110:111], v[114:115], v[110:111], v[116:117] neg_lo:[0,0,1] neg_hi:[0,0,1]
	v_mov_b32_e32 v111, v119
	s_cbranch_execz .LBB116_824
	s_branch .LBB116_825
.LBB116_823:
                                        ; implicit-def: $vgpr110_vgpr111
.LBB116_824:
	ds_load_b64 v[110:111], v1
.LBB116_825:
	s_mov_b32 s4, exec_lo
	v_cmpx_ne_u32_e32 30, v0
	s_cbranch_execz .LBB116_829
; %bb.826:
	v_add_nc_u32_e32 v113, 0x1b8, v58
	v_add3_u32 v114, 0, v58, 8
	v_mov_b32_e32 v115, v0
	s_mov_b32 s5, 0
.LBB116_827:                            ; =>This Inner Loop Header: Depth=1
	scratch_load_b64 v[116:117], v114, off
	ds_load_b64 v[118:119], v113
	s_wait_xcnt 0x0
	v_dual_add_nc_u32 v113, 8, v113 :: v_dual_add_nc_u32 v114, 8, v114
	s_wait_loadcnt_dscnt 0x0
	v_pk_mul_f32 v[120:121], v[118:119], v[116:117] op_sel:[1,1] op_sel_hi:[0,1]
	s_delay_alu instid0(VALU_DEP_1) | instskip(SKIP_2) | instid1(VALU_DEP_3)
	v_pk_fma_f32 v[122:123], v[118:119], v[116:117], v[120:121] op_sel_hi:[1,0,1]
	v_add_nc_u32_e32 v115, 1, v115
	v_pk_fma_f32 v[116:117], v[118:119], v[116:117], v[120:121] neg_lo:[0,0,1] neg_hi:[0,0,1]
	v_mov_b32_e32 v117, v123
	s_delay_alu instid0(VALU_DEP_3) | instskip(NEXT) | instid1(VALU_DEP_2)
	v_cmp_lt_u32_e32 vcc_lo, 29, v115
	v_pk_add_f32 v[110:111], v[110:111], v[116:117]
	s_or_b32 s5, vcc_lo, s5
	s_delay_alu instid0(SALU_CYCLE_1)
	s_and_not1_b32 exec_lo, exec_lo, s5
	s_cbranch_execnz .LBB116_827
; %bb.828:
	s_or_b32 exec_lo, exec_lo, s5
.LBB116_829:
	s_delay_alu instid0(SALU_CYCLE_1) | instskip(SKIP_4) | instid1(VALU_DEP_1)
	s_or_b32 exec_lo, exec_lo, s4
	v_mov_b32_e32 v113, 0
	ds_load_b64 v[114:115], v113 offset:248
	s_wait_dscnt 0x0
	v_pk_mul_f32 v[116:117], v[110:111], v[114:115] op_sel:[1,1] op_sel_hi:[0,1]
	v_pk_fma_f32 v[118:119], v[110:111], v[114:115], v[116:117] op_sel_hi:[1,0,1]
	v_pk_fma_f32 v[110:111], v[110:111], v[114:115], v[116:117] neg_lo:[0,0,1] neg_hi:[0,0,1]
	s_delay_alu instid0(VALU_DEP_2)
	v_mov_b32_e32 v111, v119
	scratch_store_b64 off, v[110:111], off offset:248
.LBB116_830:
	s_wait_xcnt 0x0
	s_or_b32 exec_lo, exec_lo, s0
	scratch_load_b64 v[110:111], off, off offset:256
	s_mov_b32 s0, exec_lo
	s_wait_loadcnt 0x0
	ds_store_b64 v1, v[110:111]
	s_wait_storecnt_dscnt 0x0
	s_barrier_signal -1
	s_barrier_wait -1
	s_wait_xcnt 0x0
	v_cmpx_gt_u32_e32 32, v0
	s_cbranch_execz .LBB116_840
; %bb.831:
	v_cmp_ne_u32_e32 vcc_lo, 1, v112
	s_cbranch_vccnz .LBB116_833
; %bb.832:
	scratch_load_b64 v[110:111], v59, off
	ds_load_b64 v[114:115], v1
	s_wait_loadcnt_dscnt 0x0
	v_pk_mul_f32 v[116:117], v[114:115], v[110:111] op_sel:[1,1] op_sel_hi:[0,1]
	s_delay_alu instid0(VALU_DEP_1) | instskip(SKIP_1) | instid1(VALU_DEP_2)
	v_pk_fma_f32 v[118:119], v[114:115], v[110:111], v[116:117] op_sel_hi:[1,0,1]
	v_pk_fma_f32 v[110:111], v[114:115], v[110:111], v[116:117] neg_lo:[0,0,1] neg_hi:[0,0,1]
	v_mov_b32_e32 v111, v119
	s_cbranch_execz .LBB116_834
	s_branch .LBB116_835
.LBB116_833:
                                        ; implicit-def: $vgpr110_vgpr111
.LBB116_834:
	ds_load_b64 v[110:111], v1
.LBB116_835:
	s_mov_b32 s4, exec_lo
	v_cmpx_ne_u32_e32 31, v0
	s_cbranch_execz .LBB116_839
; %bb.836:
	v_add_nc_u32_e32 v113, 0x1b8, v58
	v_add3_u32 v114, 0, v58, 8
	v_mov_b32_e32 v115, v0
	s_mov_b32 s5, 0
.LBB116_837:                            ; =>This Inner Loop Header: Depth=1
	scratch_load_b64 v[116:117], v114, off
	ds_load_b64 v[118:119], v113
	s_wait_xcnt 0x0
	v_dual_add_nc_u32 v113, 8, v113 :: v_dual_add_nc_u32 v114, 8, v114
	s_wait_loadcnt_dscnt 0x0
	v_pk_mul_f32 v[120:121], v[118:119], v[116:117] op_sel:[1,1] op_sel_hi:[0,1]
	s_delay_alu instid0(VALU_DEP_1) | instskip(SKIP_2) | instid1(VALU_DEP_3)
	v_pk_fma_f32 v[122:123], v[118:119], v[116:117], v[120:121] op_sel_hi:[1,0,1]
	v_add_nc_u32_e32 v115, 1, v115
	v_pk_fma_f32 v[116:117], v[118:119], v[116:117], v[120:121] neg_lo:[0,0,1] neg_hi:[0,0,1]
	v_mov_b32_e32 v117, v123
	s_delay_alu instid0(VALU_DEP_3) | instskip(NEXT) | instid1(VALU_DEP_2)
	v_cmp_lt_u32_e32 vcc_lo, 30, v115
	v_pk_add_f32 v[110:111], v[110:111], v[116:117]
	s_or_b32 s5, vcc_lo, s5
	s_delay_alu instid0(SALU_CYCLE_1)
	s_and_not1_b32 exec_lo, exec_lo, s5
	s_cbranch_execnz .LBB116_837
; %bb.838:
	s_or_b32 exec_lo, exec_lo, s5
.LBB116_839:
	s_delay_alu instid0(SALU_CYCLE_1) | instskip(SKIP_4) | instid1(VALU_DEP_1)
	s_or_b32 exec_lo, exec_lo, s4
	v_mov_b32_e32 v113, 0
	ds_load_b64 v[114:115], v113 offset:256
	s_wait_dscnt 0x0
	v_pk_mul_f32 v[116:117], v[110:111], v[114:115] op_sel:[1,1] op_sel_hi:[0,1]
	v_pk_fma_f32 v[118:119], v[110:111], v[114:115], v[116:117] op_sel_hi:[1,0,1]
	v_pk_fma_f32 v[110:111], v[110:111], v[114:115], v[116:117] neg_lo:[0,0,1] neg_hi:[0,0,1]
	s_delay_alu instid0(VALU_DEP_2)
	v_mov_b32_e32 v111, v119
	scratch_store_b64 off, v[110:111], off offset:256
.LBB116_840:
	s_wait_xcnt 0x0
	s_or_b32 exec_lo, exec_lo, s0
	scratch_load_b64 v[110:111], off, off offset:264
	s_mov_b32 s0, exec_lo
	s_wait_loadcnt 0x0
	ds_store_b64 v1, v[110:111]
	s_wait_storecnt_dscnt 0x0
	s_barrier_signal -1
	s_barrier_wait -1
	s_wait_xcnt 0x0
	v_cmpx_gt_u32_e32 33, v0
	s_cbranch_execz .LBB116_850
; %bb.841:
	v_cmp_ne_u32_e32 vcc_lo, 1, v112
	s_cbranch_vccnz .LBB116_843
; %bb.842:
	scratch_load_b64 v[110:111], v59, off
	ds_load_b64 v[114:115], v1
	s_wait_loadcnt_dscnt 0x0
	v_pk_mul_f32 v[116:117], v[114:115], v[110:111] op_sel:[1,1] op_sel_hi:[0,1]
	s_delay_alu instid0(VALU_DEP_1) | instskip(SKIP_1) | instid1(VALU_DEP_2)
	v_pk_fma_f32 v[118:119], v[114:115], v[110:111], v[116:117] op_sel_hi:[1,0,1]
	v_pk_fma_f32 v[110:111], v[114:115], v[110:111], v[116:117] neg_lo:[0,0,1] neg_hi:[0,0,1]
	v_mov_b32_e32 v111, v119
	s_cbranch_execz .LBB116_844
	s_branch .LBB116_845
.LBB116_843:
                                        ; implicit-def: $vgpr110_vgpr111
.LBB116_844:
	ds_load_b64 v[110:111], v1
.LBB116_845:
	s_mov_b32 s4, exec_lo
	v_cmpx_ne_u32_e32 32, v0
	s_cbranch_execz .LBB116_849
; %bb.846:
	v_add_nc_u32_e32 v113, 0x1b8, v58
	v_add3_u32 v114, 0, v58, 8
	v_mov_b32_e32 v115, v0
	s_mov_b32 s5, 0
.LBB116_847:                            ; =>This Inner Loop Header: Depth=1
	scratch_load_b64 v[116:117], v114, off
	ds_load_b64 v[118:119], v113
	s_wait_xcnt 0x0
	v_dual_add_nc_u32 v113, 8, v113 :: v_dual_add_nc_u32 v114, 8, v114
	s_wait_loadcnt_dscnt 0x0
	v_pk_mul_f32 v[120:121], v[118:119], v[116:117] op_sel:[1,1] op_sel_hi:[0,1]
	s_delay_alu instid0(VALU_DEP_1) | instskip(SKIP_2) | instid1(VALU_DEP_3)
	v_pk_fma_f32 v[122:123], v[118:119], v[116:117], v[120:121] op_sel_hi:[1,0,1]
	v_add_nc_u32_e32 v115, 1, v115
	v_pk_fma_f32 v[116:117], v[118:119], v[116:117], v[120:121] neg_lo:[0,0,1] neg_hi:[0,0,1]
	v_mov_b32_e32 v117, v123
	s_delay_alu instid0(VALU_DEP_3) | instskip(NEXT) | instid1(VALU_DEP_2)
	v_cmp_lt_u32_e32 vcc_lo, 31, v115
	v_pk_add_f32 v[110:111], v[110:111], v[116:117]
	s_or_b32 s5, vcc_lo, s5
	s_delay_alu instid0(SALU_CYCLE_1)
	s_and_not1_b32 exec_lo, exec_lo, s5
	s_cbranch_execnz .LBB116_847
; %bb.848:
	s_or_b32 exec_lo, exec_lo, s5
.LBB116_849:
	s_delay_alu instid0(SALU_CYCLE_1) | instskip(SKIP_4) | instid1(VALU_DEP_1)
	s_or_b32 exec_lo, exec_lo, s4
	v_mov_b32_e32 v113, 0
	ds_load_b64 v[114:115], v113 offset:264
	s_wait_dscnt 0x0
	v_pk_mul_f32 v[116:117], v[110:111], v[114:115] op_sel:[1,1] op_sel_hi:[0,1]
	v_pk_fma_f32 v[118:119], v[110:111], v[114:115], v[116:117] op_sel_hi:[1,0,1]
	v_pk_fma_f32 v[110:111], v[110:111], v[114:115], v[116:117] neg_lo:[0,0,1] neg_hi:[0,0,1]
	s_delay_alu instid0(VALU_DEP_2)
	v_mov_b32_e32 v111, v119
	scratch_store_b64 off, v[110:111], off offset:264
.LBB116_850:
	s_wait_xcnt 0x0
	s_or_b32 exec_lo, exec_lo, s0
	scratch_load_b64 v[110:111], off, off offset:272
	s_mov_b32 s0, exec_lo
	s_wait_loadcnt 0x0
	ds_store_b64 v1, v[110:111]
	s_wait_storecnt_dscnt 0x0
	s_barrier_signal -1
	s_barrier_wait -1
	s_wait_xcnt 0x0
	v_cmpx_gt_u32_e32 34, v0
	s_cbranch_execz .LBB116_860
; %bb.851:
	v_cmp_ne_u32_e32 vcc_lo, 1, v112
	s_cbranch_vccnz .LBB116_853
; %bb.852:
	scratch_load_b64 v[110:111], v59, off
	ds_load_b64 v[114:115], v1
	s_wait_loadcnt_dscnt 0x0
	v_pk_mul_f32 v[116:117], v[114:115], v[110:111] op_sel:[1,1] op_sel_hi:[0,1]
	s_delay_alu instid0(VALU_DEP_1) | instskip(SKIP_1) | instid1(VALU_DEP_2)
	v_pk_fma_f32 v[118:119], v[114:115], v[110:111], v[116:117] op_sel_hi:[1,0,1]
	v_pk_fma_f32 v[110:111], v[114:115], v[110:111], v[116:117] neg_lo:[0,0,1] neg_hi:[0,0,1]
	v_mov_b32_e32 v111, v119
	s_cbranch_execz .LBB116_854
	s_branch .LBB116_855
.LBB116_853:
                                        ; implicit-def: $vgpr110_vgpr111
.LBB116_854:
	ds_load_b64 v[110:111], v1
.LBB116_855:
	s_mov_b32 s4, exec_lo
	v_cmpx_ne_u32_e32 33, v0
	s_cbranch_execz .LBB116_859
; %bb.856:
	v_add_nc_u32_e32 v113, 0x1b8, v58
	v_add3_u32 v114, 0, v58, 8
	v_mov_b32_e32 v115, v0
	s_mov_b32 s5, 0
.LBB116_857:                            ; =>This Inner Loop Header: Depth=1
	scratch_load_b64 v[116:117], v114, off
	ds_load_b64 v[118:119], v113
	s_wait_xcnt 0x0
	v_dual_add_nc_u32 v113, 8, v113 :: v_dual_add_nc_u32 v114, 8, v114
	s_wait_loadcnt_dscnt 0x0
	v_pk_mul_f32 v[120:121], v[118:119], v[116:117] op_sel:[1,1] op_sel_hi:[0,1]
	s_delay_alu instid0(VALU_DEP_1) | instskip(SKIP_2) | instid1(VALU_DEP_3)
	v_pk_fma_f32 v[122:123], v[118:119], v[116:117], v[120:121] op_sel_hi:[1,0,1]
	v_add_nc_u32_e32 v115, 1, v115
	v_pk_fma_f32 v[116:117], v[118:119], v[116:117], v[120:121] neg_lo:[0,0,1] neg_hi:[0,0,1]
	v_mov_b32_e32 v117, v123
	s_delay_alu instid0(VALU_DEP_3) | instskip(NEXT) | instid1(VALU_DEP_2)
	v_cmp_lt_u32_e32 vcc_lo, 32, v115
	v_pk_add_f32 v[110:111], v[110:111], v[116:117]
	s_or_b32 s5, vcc_lo, s5
	s_delay_alu instid0(SALU_CYCLE_1)
	s_and_not1_b32 exec_lo, exec_lo, s5
	s_cbranch_execnz .LBB116_857
; %bb.858:
	s_or_b32 exec_lo, exec_lo, s5
.LBB116_859:
	s_delay_alu instid0(SALU_CYCLE_1) | instskip(SKIP_4) | instid1(VALU_DEP_1)
	s_or_b32 exec_lo, exec_lo, s4
	v_mov_b32_e32 v113, 0
	ds_load_b64 v[114:115], v113 offset:272
	s_wait_dscnt 0x0
	v_pk_mul_f32 v[116:117], v[110:111], v[114:115] op_sel:[1,1] op_sel_hi:[0,1]
	v_pk_fma_f32 v[118:119], v[110:111], v[114:115], v[116:117] op_sel_hi:[1,0,1]
	v_pk_fma_f32 v[110:111], v[110:111], v[114:115], v[116:117] neg_lo:[0,0,1] neg_hi:[0,0,1]
	s_delay_alu instid0(VALU_DEP_2)
	v_mov_b32_e32 v111, v119
	scratch_store_b64 off, v[110:111], off offset:272
.LBB116_860:
	s_wait_xcnt 0x0
	s_or_b32 exec_lo, exec_lo, s0
	scratch_load_b64 v[110:111], off, off offset:280
	s_mov_b32 s0, exec_lo
	s_wait_loadcnt 0x0
	ds_store_b64 v1, v[110:111]
	s_wait_storecnt_dscnt 0x0
	s_barrier_signal -1
	s_barrier_wait -1
	s_wait_xcnt 0x0
	v_cmpx_gt_u32_e32 35, v0
	s_cbranch_execz .LBB116_870
; %bb.861:
	v_cmp_ne_u32_e32 vcc_lo, 1, v112
	s_cbranch_vccnz .LBB116_863
; %bb.862:
	scratch_load_b64 v[110:111], v59, off
	ds_load_b64 v[114:115], v1
	s_wait_loadcnt_dscnt 0x0
	v_pk_mul_f32 v[116:117], v[114:115], v[110:111] op_sel:[1,1] op_sel_hi:[0,1]
	s_delay_alu instid0(VALU_DEP_1) | instskip(SKIP_1) | instid1(VALU_DEP_2)
	v_pk_fma_f32 v[118:119], v[114:115], v[110:111], v[116:117] op_sel_hi:[1,0,1]
	v_pk_fma_f32 v[110:111], v[114:115], v[110:111], v[116:117] neg_lo:[0,0,1] neg_hi:[0,0,1]
	v_mov_b32_e32 v111, v119
	s_cbranch_execz .LBB116_864
	s_branch .LBB116_865
.LBB116_863:
                                        ; implicit-def: $vgpr110_vgpr111
.LBB116_864:
	ds_load_b64 v[110:111], v1
.LBB116_865:
	s_mov_b32 s4, exec_lo
	v_cmpx_ne_u32_e32 34, v0
	s_cbranch_execz .LBB116_869
; %bb.866:
	v_add_nc_u32_e32 v113, 0x1b8, v58
	v_add3_u32 v114, 0, v58, 8
	v_mov_b32_e32 v115, v0
	s_mov_b32 s5, 0
.LBB116_867:                            ; =>This Inner Loop Header: Depth=1
	scratch_load_b64 v[116:117], v114, off
	ds_load_b64 v[118:119], v113
	s_wait_xcnt 0x0
	v_dual_add_nc_u32 v113, 8, v113 :: v_dual_add_nc_u32 v114, 8, v114
	s_wait_loadcnt_dscnt 0x0
	v_pk_mul_f32 v[120:121], v[118:119], v[116:117] op_sel:[1,1] op_sel_hi:[0,1]
	s_delay_alu instid0(VALU_DEP_1) | instskip(SKIP_2) | instid1(VALU_DEP_3)
	v_pk_fma_f32 v[122:123], v[118:119], v[116:117], v[120:121] op_sel_hi:[1,0,1]
	v_add_nc_u32_e32 v115, 1, v115
	v_pk_fma_f32 v[116:117], v[118:119], v[116:117], v[120:121] neg_lo:[0,0,1] neg_hi:[0,0,1]
	v_mov_b32_e32 v117, v123
	s_delay_alu instid0(VALU_DEP_3) | instskip(NEXT) | instid1(VALU_DEP_2)
	v_cmp_lt_u32_e32 vcc_lo, 33, v115
	v_pk_add_f32 v[110:111], v[110:111], v[116:117]
	s_or_b32 s5, vcc_lo, s5
	s_delay_alu instid0(SALU_CYCLE_1)
	s_and_not1_b32 exec_lo, exec_lo, s5
	s_cbranch_execnz .LBB116_867
; %bb.868:
	s_or_b32 exec_lo, exec_lo, s5
.LBB116_869:
	s_delay_alu instid0(SALU_CYCLE_1) | instskip(SKIP_4) | instid1(VALU_DEP_1)
	s_or_b32 exec_lo, exec_lo, s4
	v_mov_b32_e32 v113, 0
	ds_load_b64 v[114:115], v113 offset:280
	s_wait_dscnt 0x0
	v_pk_mul_f32 v[116:117], v[110:111], v[114:115] op_sel:[1,1] op_sel_hi:[0,1]
	v_pk_fma_f32 v[118:119], v[110:111], v[114:115], v[116:117] op_sel_hi:[1,0,1]
	v_pk_fma_f32 v[110:111], v[110:111], v[114:115], v[116:117] neg_lo:[0,0,1] neg_hi:[0,0,1]
	s_delay_alu instid0(VALU_DEP_2)
	v_mov_b32_e32 v111, v119
	scratch_store_b64 off, v[110:111], off offset:280
.LBB116_870:
	s_wait_xcnt 0x0
	s_or_b32 exec_lo, exec_lo, s0
	scratch_load_b64 v[110:111], off, off offset:288
	s_mov_b32 s0, exec_lo
	s_wait_loadcnt 0x0
	ds_store_b64 v1, v[110:111]
	s_wait_storecnt_dscnt 0x0
	s_barrier_signal -1
	s_barrier_wait -1
	s_wait_xcnt 0x0
	v_cmpx_gt_u32_e32 36, v0
	s_cbranch_execz .LBB116_880
; %bb.871:
	v_cmp_ne_u32_e32 vcc_lo, 1, v112
	s_cbranch_vccnz .LBB116_873
; %bb.872:
	scratch_load_b64 v[110:111], v59, off
	ds_load_b64 v[114:115], v1
	s_wait_loadcnt_dscnt 0x0
	v_pk_mul_f32 v[116:117], v[114:115], v[110:111] op_sel:[1,1] op_sel_hi:[0,1]
	s_delay_alu instid0(VALU_DEP_1) | instskip(SKIP_1) | instid1(VALU_DEP_2)
	v_pk_fma_f32 v[118:119], v[114:115], v[110:111], v[116:117] op_sel_hi:[1,0,1]
	v_pk_fma_f32 v[110:111], v[114:115], v[110:111], v[116:117] neg_lo:[0,0,1] neg_hi:[0,0,1]
	v_mov_b32_e32 v111, v119
	s_cbranch_execz .LBB116_874
	s_branch .LBB116_875
.LBB116_873:
                                        ; implicit-def: $vgpr110_vgpr111
.LBB116_874:
	ds_load_b64 v[110:111], v1
.LBB116_875:
	s_mov_b32 s4, exec_lo
	v_cmpx_ne_u32_e32 35, v0
	s_cbranch_execz .LBB116_879
; %bb.876:
	v_add_nc_u32_e32 v113, 0x1b8, v58
	v_add3_u32 v114, 0, v58, 8
	v_mov_b32_e32 v115, v0
	s_mov_b32 s5, 0
.LBB116_877:                            ; =>This Inner Loop Header: Depth=1
	scratch_load_b64 v[116:117], v114, off
	ds_load_b64 v[118:119], v113
	s_wait_xcnt 0x0
	v_dual_add_nc_u32 v113, 8, v113 :: v_dual_add_nc_u32 v114, 8, v114
	s_wait_loadcnt_dscnt 0x0
	v_pk_mul_f32 v[120:121], v[118:119], v[116:117] op_sel:[1,1] op_sel_hi:[0,1]
	s_delay_alu instid0(VALU_DEP_1) | instskip(SKIP_2) | instid1(VALU_DEP_3)
	v_pk_fma_f32 v[122:123], v[118:119], v[116:117], v[120:121] op_sel_hi:[1,0,1]
	v_add_nc_u32_e32 v115, 1, v115
	v_pk_fma_f32 v[116:117], v[118:119], v[116:117], v[120:121] neg_lo:[0,0,1] neg_hi:[0,0,1]
	v_mov_b32_e32 v117, v123
	s_delay_alu instid0(VALU_DEP_3) | instskip(NEXT) | instid1(VALU_DEP_2)
	v_cmp_lt_u32_e32 vcc_lo, 34, v115
	v_pk_add_f32 v[110:111], v[110:111], v[116:117]
	s_or_b32 s5, vcc_lo, s5
	s_delay_alu instid0(SALU_CYCLE_1)
	s_and_not1_b32 exec_lo, exec_lo, s5
	s_cbranch_execnz .LBB116_877
; %bb.878:
	s_or_b32 exec_lo, exec_lo, s5
.LBB116_879:
	s_delay_alu instid0(SALU_CYCLE_1) | instskip(SKIP_4) | instid1(VALU_DEP_1)
	s_or_b32 exec_lo, exec_lo, s4
	v_mov_b32_e32 v113, 0
	ds_load_b64 v[114:115], v113 offset:288
	s_wait_dscnt 0x0
	v_pk_mul_f32 v[116:117], v[110:111], v[114:115] op_sel:[1,1] op_sel_hi:[0,1]
	v_pk_fma_f32 v[118:119], v[110:111], v[114:115], v[116:117] op_sel_hi:[1,0,1]
	v_pk_fma_f32 v[110:111], v[110:111], v[114:115], v[116:117] neg_lo:[0,0,1] neg_hi:[0,0,1]
	s_delay_alu instid0(VALU_DEP_2)
	v_mov_b32_e32 v111, v119
	scratch_store_b64 off, v[110:111], off offset:288
.LBB116_880:
	s_wait_xcnt 0x0
	s_or_b32 exec_lo, exec_lo, s0
	scratch_load_b64 v[110:111], off, off offset:296
	s_mov_b32 s0, exec_lo
	s_wait_loadcnt 0x0
	ds_store_b64 v1, v[110:111]
	s_wait_storecnt_dscnt 0x0
	s_barrier_signal -1
	s_barrier_wait -1
	s_wait_xcnt 0x0
	v_cmpx_gt_u32_e32 37, v0
	s_cbranch_execz .LBB116_890
; %bb.881:
	v_cmp_ne_u32_e32 vcc_lo, 1, v112
	s_cbranch_vccnz .LBB116_883
; %bb.882:
	scratch_load_b64 v[110:111], v59, off
	ds_load_b64 v[114:115], v1
	s_wait_loadcnt_dscnt 0x0
	v_pk_mul_f32 v[116:117], v[114:115], v[110:111] op_sel:[1,1] op_sel_hi:[0,1]
	s_delay_alu instid0(VALU_DEP_1) | instskip(SKIP_1) | instid1(VALU_DEP_2)
	v_pk_fma_f32 v[118:119], v[114:115], v[110:111], v[116:117] op_sel_hi:[1,0,1]
	v_pk_fma_f32 v[110:111], v[114:115], v[110:111], v[116:117] neg_lo:[0,0,1] neg_hi:[0,0,1]
	v_mov_b32_e32 v111, v119
	s_cbranch_execz .LBB116_884
	s_branch .LBB116_885
.LBB116_883:
                                        ; implicit-def: $vgpr110_vgpr111
.LBB116_884:
	ds_load_b64 v[110:111], v1
.LBB116_885:
	s_mov_b32 s4, exec_lo
	v_cmpx_ne_u32_e32 36, v0
	s_cbranch_execz .LBB116_889
; %bb.886:
	v_add_nc_u32_e32 v113, 0x1b8, v58
	v_add3_u32 v114, 0, v58, 8
	v_mov_b32_e32 v115, v0
	s_mov_b32 s5, 0
.LBB116_887:                            ; =>This Inner Loop Header: Depth=1
	scratch_load_b64 v[116:117], v114, off
	ds_load_b64 v[118:119], v113
	s_wait_xcnt 0x0
	v_dual_add_nc_u32 v113, 8, v113 :: v_dual_add_nc_u32 v114, 8, v114
	s_wait_loadcnt_dscnt 0x0
	v_pk_mul_f32 v[120:121], v[118:119], v[116:117] op_sel:[1,1] op_sel_hi:[0,1]
	s_delay_alu instid0(VALU_DEP_1) | instskip(SKIP_2) | instid1(VALU_DEP_3)
	v_pk_fma_f32 v[122:123], v[118:119], v[116:117], v[120:121] op_sel_hi:[1,0,1]
	v_add_nc_u32_e32 v115, 1, v115
	v_pk_fma_f32 v[116:117], v[118:119], v[116:117], v[120:121] neg_lo:[0,0,1] neg_hi:[0,0,1]
	v_mov_b32_e32 v117, v123
	s_delay_alu instid0(VALU_DEP_3) | instskip(NEXT) | instid1(VALU_DEP_2)
	v_cmp_lt_u32_e32 vcc_lo, 35, v115
	v_pk_add_f32 v[110:111], v[110:111], v[116:117]
	s_or_b32 s5, vcc_lo, s5
	s_delay_alu instid0(SALU_CYCLE_1)
	s_and_not1_b32 exec_lo, exec_lo, s5
	s_cbranch_execnz .LBB116_887
; %bb.888:
	s_or_b32 exec_lo, exec_lo, s5
.LBB116_889:
	s_delay_alu instid0(SALU_CYCLE_1) | instskip(SKIP_4) | instid1(VALU_DEP_1)
	s_or_b32 exec_lo, exec_lo, s4
	v_mov_b32_e32 v113, 0
	ds_load_b64 v[114:115], v113 offset:296
	s_wait_dscnt 0x0
	v_pk_mul_f32 v[116:117], v[110:111], v[114:115] op_sel:[1,1] op_sel_hi:[0,1]
	v_pk_fma_f32 v[118:119], v[110:111], v[114:115], v[116:117] op_sel_hi:[1,0,1]
	v_pk_fma_f32 v[110:111], v[110:111], v[114:115], v[116:117] neg_lo:[0,0,1] neg_hi:[0,0,1]
	s_delay_alu instid0(VALU_DEP_2)
	v_mov_b32_e32 v111, v119
	scratch_store_b64 off, v[110:111], off offset:296
.LBB116_890:
	s_wait_xcnt 0x0
	s_or_b32 exec_lo, exec_lo, s0
	scratch_load_b64 v[110:111], off, off offset:304
	s_mov_b32 s0, exec_lo
	s_wait_loadcnt 0x0
	ds_store_b64 v1, v[110:111]
	s_wait_storecnt_dscnt 0x0
	s_barrier_signal -1
	s_barrier_wait -1
	s_wait_xcnt 0x0
	v_cmpx_gt_u32_e32 38, v0
	s_cbranch_execz .LBB116_900
; %bb.891:
	v_cmp_ne_u32_e32 vcc_lo, 1, v112
	s_cbranch_vccnz .LBB116_893
; %bb.892:
	scratch_load_b64 v[110:111], v59, off
	ds_load_b64 v[114:115], v1
	s_wait_loadcnt_dscnt 0x0
	v_pk_mul_f32 v[116:117], v[114:115], v[110:111] op_sel:[1,1] op_sel_hi:[0,1]
	s_delay_alu instid0(VALU_DEP_1) | instskip(SKIP_1) | instid1(VALU_DEP_2)
	v_pk_fma_f32 v[118:119], v[114:115], v[110:111], v[116:117] op_sel_hi:[1,0,1]
	v_pk_fma_f32 v[110:111], v[114:115], v[110:111], v[116:117] neg_lo:[0,0,1] neg_hi:[0,0,1]
	v_mov_b32_e32 v111, v119
	s_cbranch_execz .LBB116_894
	s_branch .LBB116_895
.LBB116_893:
                                        ; implicit-def: $vgpr110_vgpr111
.LBB116_894:
	ds_load_b64 v[110:111], v1
.LBB116_895:
	s_mov_b32 s4, exec_lo
	v_cmpx_ne_u32_e32 37, v0
	s_cbranch_execz .LBB116_899
; %bb.896:
	v_add_nc_u32_e32 v113, 0x1b8, v58
	v_add3_u32 v114, 0, v58, 8
	v_mov_b32_e32 v115, v0
	s_mov_b32 s5, 0
.LBB116_897:                            ; =>This Inner Loop Header: Depth=1
	scratch_load_b64 v[116:117], v114, off
	ds_load_b64 v[118:119], v113
	s_wait_xcnt 0x0
	v_dual_add_nc_u32 v113, 8, v113 :: v_dual_add_nc_u32 v114, 8, v114
	s_wait_loadcnt_dscnt 0x0
	v_pk_mul_f32 v[120:121], v[118:119], v[116:117] op_sel:[1,1] op_sel_hi:[0,1]
	s_delay_alu instid0(VALU_DEP_1) | instskip(SKIP_2) | instid1(VALU_DEP_3)
	v_pk_fma_f32 v[122:123], v[118:119], v[116:117], v[120:121] op_sel_hi:[1,0,1]
	v_add_nc_u32_e32 v115, 1, v115
	v_pk_fma_f32 v[116:117], v[118:119], v[116:117], v[120:121] neg_lo:[0,0,1] neg_hi:[0,0,1]
	v_mov_b32_e32 v117, v123
	s_delay_alu instid0(VALU_DEP_3) | instskip(NEXT) | instid1(VALU_DEP_2)
	v_cmp_lt_u32_e32 vcc_lo, 36, v115
	v_pk_add_f32 v[110:111], v[110:111], v[116:117]
	s_or_b32 s5, vcc_lo, s5
	s_delay_alu instid0(SALU_CYCLE_1)
	s_and_not1_b32 exec_lo, exec_lo, s5
	s_cbranch_execnz .LBB116_897
; %bb.898:
	s_or_b32 exec_lo, exec_lo, s5
.LBB116_899:
	s_delay_alu instid0(SALU_CYCLE_1) | instskip(SKIP_4) | instid1(VALU_DEP_1)
	s_or_b32 exec_lo, exec_lo, s4
	v_mov_b32_e32 v113, 0
	ds_load_b64 v[114:115], v113 offset:304
	s_wait_dscnt 0x0
	v_pk_mul_f32 v[116:117], v[110:111], v[114:115] op_sel:[1,1] op_sel_hi:[0,1]
	v_pk_fma_f32 v[118:119], v[110:111], v[114:115], v[116:117] op_sel_hi:[1,0,1]
	v_pk_fma_f32 v[110:111], v[110:111], v[114:115], v[116:117] neg_lo:[0,0,1] neg_hi:[0,0,1]
	s_delay_alu instid0(VALU_DEP_2)
	v_mov_b32_e32 v111, v119
	scratch_store_b64 off, v[110:111], off offset:304
.LBB116_900:
	s_wait_xcnt 0x0
	s_or_b32 exec_lo, exec_lo, s0
	scratch_load_b64 v[110:111], off, off offset:312
	s_mov_b32 s0, exec_lo
	s_wait_loadcnt 0x0
	ds_store_b64 v1, v[110:111]
	s_wait_storecnt_dscnt 0x0
	s_barrier_signal -1
	s_barrier_wait -1
	s_wait_xcnt 0x0
	v_cmpx_gt_u32_e32 39, v0
	s_cbranch_execz .LBB116_910
; %bb.901:
	v_cmp_ne_u32_e32 vcc_lo, 1, v112
	s_cbranch_vccnz .LBB116_903
; %bb.902:
	scratch_load_b64 v[110:111], v59, off
	ds_load_b64 v[114:115], v1
	s_wait_loadcnt_dscnt 0x0
	v_pk_mul_f32 v[116:117], v[114:115], v[110:111] op_sel:[1,1] op_sel_hi:[0,1]
	s_delay_alu instid0(VALU_DEP_1) | instskip(SKIP_1) | instid1(VALU_DEP_2)
	v_pk_fma_f32 v[118:119], v[114:115], v[110:111], v[116:117] op_sel_hi:[1,0,1]
	v_pk_fma_f32 v[110:111], v[114:115], v[110:111], v[116:117] neg_lo:[0,0,1] neg_hi:[0,0,1]
	v_mov_b32_e32 v111, v119
	s_cbranch_execz .LBB116_904
	s_branch .LBB116_905
.LBB116_903:
                                        ; implicit-def: $vgpr110_vgpr111
.LBB116_904:
	ds_load_b64 v[110:111], v1
.LBB116_905:
	s_mov_b32 s4, exec_lo
	v_cmpx_ne_u32_e32 38, v0
	s_cbranch_execz .LBB116_909
; %bb.906:
	v_add_nc_u32_e32 v113, 0x1b8, v58
	v_add3_u32 v114, 0, v58, 8
	v_mov_b32_e32 v115, v0
	s_mov_b32 s5, 0
.LBB116_907:                            ; =>This Inner Loop Header: Depth=1
	scratch_load_b64 v[116:117], v114, off
	ds_load_b64 v[118:119], v113
	s_wait_xcnt 0x0
	v_dual_add_nc_u32 v113, 8, v113 :: v_dual_add_nc_u32 v114, 8, v114
	s_wait_loadcnt_dscnt 0x0
	v_pk_mul_f32 v[120:121], v[118:119], v[116:117] op_sel:[1,1] op_sel_hi:[0,1]
	s_delay_alu instid0(VALU_DEP_1) | instskip(SKIP_2) | instid1(VALU_DEP_3)
	v_pk_fma_f32 v[122:123], v[118:119], v[116:117], v[120:121] op_sel_hi:[1,0,1]
	v_add_nc_u32_e32 v115, 1, v115
	v_pk_fma_f32 v[116:117], v[118:119], v[116:117], v[120:121] neg_lo:[0,0,1] neg_hi:[0,0,1]
	v_mov_b32_e32 v117, v123
	s_delay_alu instid0(VALU_DEP_3) | instskip(NEXT) | instid1(VALU_DEP_2)
	v_cmp_lt_u32_e32 vcc_lo, 37, v115
	v_pk_add_f32 v[110:111], v[110:111], v[116:117]
	s_or_b32 s5, vcc_lo, s5
	s_delay_alu instid0(SALU_CYCLE_1)
	s_and_not1_b32 exec_lo, exec_lo, s5
	s_cbranch_execnz .LBB116_907
; %bb.908:
	s_or_b32 exec_lo, exec_lo, s5
.LBB116_909:
	s_delay_alu instid0(SALU_CYCLE_1) | instskip(SKIP_4) | instid1(VALU_DEP_1)
	s_or_b32 exec_lo, exec_lo, s4
	v_mov_b32_e32 v113, 0
	ds_load_b64 v[114:115], v113 offset:312
	s_wait_dscnt 0x0
	v_pk_mul_f32 v[116:117], v[110:111], v[114:115] op_sel:[1,1] op_sel_hi:[0,1]
	v_pk_fma_f32 v[118:119], v[110:111], v[114:115], v[116:117] op_sel_hi:[1,0,1]
	v_pk_fma_f32 v[110:111], v[110:111], v[114:115], v[116:117] neg_lo:[0,0,1] neg_hi:[0,0,1]
	s_delay_alu instid0(VALU_DEP_2)
	v_mov_b32_e32 v111, v119
	scratch_store_b64 off, v[110:111], off offset:312
.LBB116_910:
	s_wait_xcnt 0x0
	s_or_b32 exec_lo, exec_lo, s0
	scratch_load_b64 v[110:111], off, off offset:320
	s_mov_b32 s0, exec_lo
	s_wait_loadcnt 0x0
	ds_store_b64 v1, v[110:111]
	s_wait_storecnt_dscnt 0x0
	s_barrier_signal -1
	s_barrier_wait -1
	s_wait_xcnt 0x0
	v_cmpx_gt_u32_e32 40, v0
	s_cbranch_execz .LBB116_920
; %bb.911:
	v_cmp_ne_u32_e32 vcc_lo, 1, v112
	s_cbranch_vccnz .LBB116_913
; %bb.912:
	scratch_load_b64 v[110:111], v59, off
	ds_load_b64 v[114:115], v1
	s_wait_loadcnt_dscnt 0x0
	v_pk_mul_f32 v[116:117], v[114:115], v[110:111] op_sel:[1,1] op_sel_hi:[0,1]
	s_delay_alu instid0(VALU_DEP_1) | instskip(SKIP_1) | instid1(VALU_DEP_2)
	v_pk_fma_f32 v[118:119], v[114:115], v[110:111], v[116:117] op_sel_hi:[1,0,1]
	v_pk_fma_f32 v[110:111], v[114:115], v[110:111], v[116:117] neg_lo:[0,0,1] neg_hi:[0,0,1]
	v_mov_b32_e32 v111, v119
	s_cbranch_execz .LBB116_914
	s_branch .LBB116_915
.LBB116_913:
                                        ; implicit-def: $vgpr110_vgpr111
.LBB116_914:
	ds_load_b64 v[110:111], v1
.LBB116_915:
	s_mov_b32 s4, exec_lo
	v_cmpx_ne_u32_e32 39, v0
	s_cbranch_execz .LBB116_919
; %bb.916:
	v_add_nc_u32_e32 v113, 0x1b8, v58
	v_add3_u32 v114, 0, v58, 8
	v_mov_b32_e32 v115, v0
	s_mov_b32 s5, 0
.LBB116_917:                            ; =>This Inner Loop Header: Depth=1
	scratch_load_b64 v[116:117], v114, off
	ds_load_b64 v[118:119], v113
	s_wait_xcnt 0x0
	v_dual_add_nc_u32 v113, 8, v113 :: v_dual_add_nc_u32 v114, 8, v114
	s_wait_loadcnt_dscnt 0x0
	v_pk_mul_f32 v[120:121], v[118:119], v[116:117] op_sel:[1,1] op_sel_hi:[0,1]
	s_delay_alu instid0(VALU_DEP_1) | instskip(SKIP_2) | instid1(VALU_DEP_3)
	v_pk_fma_f32 v[122:123], v[118:119], v[116:117], v[120:121] op_sel_hi:[1,0,1]
	v_add_nc_u32_e32 v115, 1, v115
	v_pk_fma_f32 v[116:117], v[118:119], v[116:117], v[120:121] neg_lo:[0,0,1] neg_hi:[0,0,1]
	v_mov_b32_e32 v117, v123
	s_delay_alu instid0(VALU_DEP_3) | instskip(NEXT) | instid1(VALU_DEP_2)
	v_cmp_lt_u32_e32 vcc_lo, 38, v115
	v_pk_add_f32 v[110:111], v[110:111], v[116:117]
	s_or_b32 s5, vcc_lo, s5
	s_delay_alu instid0(SALU_CYCLE_1)
	s_and_not1_b32 exec_lo, exec_lo, s5
	s_cbranch_execnz .LBB116_917
; %bb.918:
	s_or_b32 exec_lo, exec_lo, s5
.LBB116_919:
	s_delay_alu instid0(SALU_CYCLE_1) | instskip(SKIP_4) | instid1(VALU_DEP_1)
	s_or_b32 exec_lo, exec_lo, s4
	v_mov_b32_e32 v113, 0
	ds_load_b64 v[114:115], v113 offset:320
	s_wait_dscnt 0x0
	v_pk_mul_f32 v[116:117], v[110:111], v[114:115] op_sel:[1,1] op_sel_hi:[0,1]
	v_pk_fma_f32 v[118:119], v[110:111], v[114:115], v[116:117] op_sel_hi:[1,0,1]
	v_pk_fma_f32 v[110:111], v[110:111], v[114:115], v[116:117] neg_lo:[0,0,1] neg_hi:[0,0,1]
	s_delay_alu instid0(VALU_DEP_2)
	v_mov_b32_e32 v111, v119
	scratch_store_b64 off, v[110:111], off offset:320
.LBB116_920:
	s_wait_xcnt 0x0
	s_or_b32 exec_lo, exec_lo, s0
	scratch_load_b64 v[110:111], off, off offset:328
	s_mov_b32 s0, exec_lo
	s_wait_loadcnt 0x0
	ds_store_b64 v1, v[110:111]
	s_wait_storecnt_dscnt 0x0
	s_barrier_signal -1
	s_barrier_wait -1
	s_wait_xcnt 0x0
	v_cmpx_gt_u32_e32 41, v0
	s_cbranch_execz .LBB116_930
; %bb.921:
	v_cmp_ne_u32_e32 vcc_lo, 1, v112
	s_cbranch_vccnz .LBB116_923
; %bb.922:
	scratch_load_b64 v[110:111], v59, off
	ds_load_b64 v[114:115], v1
	s_wait_loadcnt_dscnt 0x0
	v_pk_mul_f32 v[116:117], v[114:115], v[110:111] op_sel:[1,1] op_sel_hi:[0,1]
	s_delay_alu instid0(VALU_DEP_1) | instskip(SKIP_1) | instid1(VALU_DEP_2)
	v_pk_fma_f32 v[118:119], v[114:115], v[110:111], v[116:117] op_sel_hi:[1,0,1]
	v_pk_fma_f32 v[110:111], v[114:115], v[110:111], v[116:117] neg_lo:[0,0,1] neg_hi:[0,0,1]
	v_mov_b32_e32 v111, v119
	s_cbranch_execz .LBB116_924
	s_branch .LBB116_925
.LBB116_923:
                                        ; implicit-def: $vgpr110_vgpr111
.LBB116_924:
	ds_load_b64 v[110:111], v1
.LBB116_925:
	s_mov_b32 s4, exec_lo
	v_cmpx_ne_u32_e32 40, v0
	s_cbranch_execz .LBB116_929
; %bb.926:
	v_add_nc_u32_e32 v113, 0x1b8, v58
	v_add3_u32 v114, 0, v58, 8
	v_mov_b32_e32 v115, v0
	s_mov_b32 s5, 0
.LBB116_927:                            ; =>This Inner Loop Header: Depth=1
	scratch_load_b64 v[116:117], v114, off
	ds_load_b64 v[118:119], v113
	s_wait_xcnt 0x0
	v_dual_add_nc_u32 v113, 8, v113 :: v_dual_add_nc_u32 v114, 8, v114
	s_wait_loadcnt_dscnt 0x0
	v_pk_mul_f32 v[120:121], v[118:119], v[116:117] op_sel:[1,1] op_sel_hi:[0,1]
	s_delay_alu instid0(VALU_DEP_1) | instskip(SKIP_2) | instid1(VALU_DEP_3)
	v_pk_fma_f32 v[122:123], v[118:119], v[116:117], v[120:121] op_sel_hi:[1,0,1]
	v_add_nc_u32_e32 v115, 1, v115
	v_pk_fma_f32 v[116:117], v[118:119], v[116:117], v[120:121] neg_lo:[0,0,1] neg_hi:[0,0,1]
	v_mov_b32_e32 v117, v123
	s_delay_alu instid0(VALU_DEP_3) | instskip(NEXT) | instid1(VALU_DEP_2)
	v_cmp_lt_u32_e32 vcc_lo, 39, v115
	v_pk_add_f32 v[110:111], v[110:111], v[116:117]
	s_or_b32 s5, vcc_lo, s5
	s_delay_alu instid0(SALU_CYCLE_1)
	s_and_not1_b32 exec_lo, exec_lo, s5
	s_cbranch_execnz .LBB116_927
; %bb.928:
	s_or_b32 exec_lo, exec_lo, s5
.LBB116_929:
	s_delay_alu instid0(SALU_CYCLE_1) | instskip(SKIP_4) | instid1(VALU_DEP_1)
	s_or_b32 exec_lo, exec_lo, s4
	v_mov_b32_e32 v113, 0
	ds_load_b64 v[114:115], v113 offset:328
	s_wait_dscnt 0x0
	v_pk_mul_f32 v[116:117], v[110:111], v[114:115] op_sel:[1,1] op_sel_hi:[0,1]
	v_pk_fma_f32 v[118:119], v[110:111], v[114:115], v[116:117] op_sel_hi:[1,0,1]
	v_pk_fma_f32 v[110:111], v[110:111], v[114:115], v[116:117] neg_lo:[0,0,1] neg_hi:[0,0,1]
	s_delay_alu instid0(VALU_DEP_2)
	v_mov_b32_e32 v111, v119
	scratch_store_b64 off, v[110:111], off offset:328
.LBB116_930:
	s_wait_xcnt 0x0
	s_or_b32 exec_lo, exec_lo, s0
	scratch_load_b64 v[110:111], off, off offset:336
	s_mov_b32 s0, exec_lo
	s_wait_loadcnt 0x0
	ds_store_b64 v1, v[110:111]
	s_wait_storecnt_dscnt 0x0
	s_barrier_signal -1
	s_barrier_wait -1
	s_wait_xcnt 0x0
	v_cmpx_gt_u32_e32 42, v0
	s_cbranch_execz .LBB116_940
; %bb.931:
	v_cmp_ne_u32_e32 vcc_lo, 1, v112
	s_cbranch_vccnz .LBB116_933
; %bb.932:
	scratch_load_b64 v[110:111], v59, off
	ds_load_b64 v[114:115], v1
	s_wait_loadcnt_dscnt 0x0
	v_pk_mul_f32 v[116:117], v[114:115], v[110:111] op_sel:[1,1] op_sel_hi:[0,1]
	s_delay_alu instid0(VALU_DEP_1) | instskip(SKIP_1) | instid1(VALU_DEP_2)
	v_pk_fma_f32 v[118:119], v[114:115], v[110:111], v[116:117] op_sel_hi:[1,0,1]
	v_pk_fma_f32 v[110:111], v[114:115], v[110:111], v[116:117] neg_lo:[0,0,1] neg_hi:[0,0,1]
	v_mov_b32_e32 v111, v119
	s_cbranch_execz .LBB116_934
	s_branch .LBB116_935
.LBB116_933:
                                        ; implicit-def: $vgpr110_vgpr111
.LBB116_934:
	ds_load_b64 v[110:111], v1
.LBB116_935:
	s_mov_b32 s4, exec_lo
	v_cmpx_ne_u32_e32 41, v0
	s_cbranch_execz .LBB116_939
; %bb.936:
	v_add_nc_u32_e32 v113, 0x1b8, v58
	v_add3_u32 v114, 0, v58, 8
	v_mov_b32_e32 v115, v0
	s_mov_b32 s5, 0
.LBB116_937:                            ; =>This Inner Loop Header: Depth=1
	scratch_load_b64 v[116:117], v114, off
	ds_load_b64 v[118:119], v113
	s_wait_xcnt 0x0
	v_dual_add_nc_u32 v113, 8, v113 :: v_dual_add_nc_u32 v114, 8, v114
	s_wait_loadcnt_dscnt 0x0
	v_pk_mul_f32 v[120:121], v[118:119], v[116:117] op_sel:[1,1] op_sel_hi:[0,1]
	s_delay_alu instid0(VALU_DEP_1) | instskip(SKIP_2) | instid1(VALU_DEP_3)
	v_pk_fma_f32 v[122:123], v[118:119], v[116:117], v[120:121] op_sel_hi:[1,0,1]
	v_add_nc_u32_e32 v115, 1, v115
	v_pk_fma_f32 v[116:117], v[118:119], v[116:117], v[120:121] neg_lo:[0,0,1] neg_hi:[0,0,1]
	v_mov_b32_e32 v117, v123
	s_delay_alu instid0(VALU_DEP_3) | instskip(NEXT) | instid1(VALU_DEP_2)
	v_cmp_lt_u32_e32 vcc_lo, 40, v115
	v_pk_add_f32 v[110:111], v[110:111], v[116:117]
	s_or_b32 s5, vcc_lo, s5
	s_delay_alu instid0(SALU_CYCLE_1)
	s_and_not1_b32 exec_lo, exec_lo, s5
	s_cbranch_execnz .LBB116_937
; %bb.938:
	s_or_b32 exec_lo, exec_lo, s5
.LBB116_939:
	s_delay_alu instid0(SALU_CYCLE_1) | instskip(SKIP_4) | instid1(VALU_DEP_1)
	s_or_b32 exec_lo, exec_lo, s4
	v_mov_b32_e32 v113, 0
	ds_load_b64 v[114:115], v113 offset:336
	s_wait_dscnt 0x0
	v_pk_mul_f32 v[116:117], v[110:111], v[114:115] op_sel:[1,1] op_sel_hi:[0,1]
	v_pk_fma_f32 v[118:119], v[110:111], v[114:115], v[116:117] op_sel_hi:[1,0,1]
	v_pk_fma_f32 v[110:111], v[110:111], v[114:115], v[116:117] neg_lo:[0,0,1] neg_hi:[0,0,1]
	s_delay_alu instid0(VALU_DEP_2)
	v_mov_b32_e32 v111, v119
	scratch_store_b64 off, v[110:111], off offset:336
.LBB116_940:
	s_wait_xcnt 0x0
	s_or_b32 exec_lo, exec_lo, s0
	scratch_load_b64 v[110:111], off, off offset:344
	s_mov_b32 s0, exec_lo
	s_wait_loadcnt 0x0
	ds_store_b64 v1, v[110:111]
	s_wait_storecnt_dscnt 0x0
	s_barrier_signal -1
	s_barrier_wait -1
	s_wait_xcnt 0x0
	v_cmpx_gt_u32_e32 43, v0
	s_cbranch_execz .LBB116_950
; %bb.941:
	v_cmp_ne_u32_e32 vcc_lo, 1, v112
	s_cbranch_vccnz .LBB116_943
; %bb.942:
	scratch_load_b64 v[110:111], v59, off
	ds_load_b64 v[114:115], v1
	s_wait_loadcnt_dscnt 0x0
	v_pk_mul_f32 v[116:117], v[114:115], v[110:111] op_sel:[1,1] op_sel_hi:[0,1]
	s_delay_alu instid0(VALU_DEP_1) | instskip(SKIP_1) | instid1(VALU_DEP_2)
	v_pk_fma_f32 v[118:119], v[114:115], v[110:111], v[116:117] op_sel_hi:[1,0,1]
	v_pk_fma_f32 v[110:111], v[114:115], v[110:111], v[116:117] neg_lo:[0,0,1] neg_hi:[0,0,1]
	v_mov_b32_e32 v111, v119
	s_cbranch_execz .LBB116_944
	s_branch .LBB116_945
.LBB116_943:
                                        ; implicit-def: $vgpr110_vgpr111
.LBB116_944:
	ds_load_b64 v[110:111], v1
.LBB116_945:
	s_mov_b32 s4, exec_lo
	v_cmpx_ne_u32_e32 42, v0
	s_cbranch_execz .LBB116_949
; %bb.946:
	v_add_nc_u32_e32 v113, 0x1b8, v58
	v_add3_u32 v114, 0, v58, 8
	v_mov_b32_e32 v115, v0
	s_mov_b32 s5, 0
.LBB116_947:                            ; =>This Inner Loop Header: Depth=1
	scratch_load_b64 v[116:117], v114, off
	ds_load_b64 v[118:119], v113
	s_wait_xcnt 0x0
	v_dual_add_nc_u32 v113, 8, v113 :: v_dual_add_nc_u32 v114, 8, v114
	s_wait_loadcnt_dscnt 0x0
	v_pk_mul_f32 v[120:121], v[118:119], v[116:117] op_sel:[1,1] op_sel_hi:[0,1]
	s_delay_alu instid0(VALU_DEP_1) | instskip(SKIP_2) | instid1(VALU_DEP_3)
	v_pk_fma_f32 v[122:123], v[118:119], v[116:117], v[120:121] op_sel_hi:[1,0,1]
	v_add_nc_u32_e32 v115, 1, v115
	v_pk_fma_f32 v[116:117], v[118:119], v[116:117], v[120:121] neg_lo:[0,0,1] neg_hi:[0,0,1]
	v_mov_b32_e32 v117, v123
	s_delay_alu instid0(VALU_DEP_3) | instskip(NEXT) | instid1(VALU_DEP_2)
	v_cmp_lt_u32_e32 vcc_lo, 41, v115
	v_pk_add_f32 v[110:111], v[110:111], v[116:117]
	s_or_b32 s5, vcc_lo, s5
	s_delay_alu instid0(SALU_CYCLE_1)
	s_and_not1_b32 exec_lo, exec_lo, s5
	s_cbranch_execnz .LBB116_947
; %bb.948:
	s_or_b32 exec_lo, exec_lo, s5
.LBB116_949:
	s_delay_alu instid0(SALU_CYCLE_1) | instskip(SKIP_4) | instid1(VALU_DEP_1)
	s_or_b32 exec_lo, exec_lo, s4
	v_mov_b32_e32 v113, 0
	ds_load_b64 v[114:115], v113 offset:344
	s_wait_dscnt 0x0
	v_pk_mul_f32 v[116:117], v[110:111], v[114:115] op_sel:[1,1] op_sel_hi:[0,1]
	v_pk_fma_f32 v[118:119], v[110:111], v[114:115], v[116:117] op_sel_hi:[1,0,1]
	v_pk_fma_f32 v[110:111], v[110:111], v[114:115], v[116:117] neg_lo:[0,0,1] neg_hi:[0,0,1]
	s_delay_alu instid0(VALU_DEP_2)
	v_mov_b32_e32 v111, v119
	scratch_store_b64 off, v[110:111], off offset:344
.LBB116_950:
	s_wait_xcnt 0x0
	s_or_b32 exec_lo, exec_lo, s0
	scratch_load_b64 v[110:111], off, off offset:352
	s_mov_b32 s0, exec_lo
	s_wait_loadcnt 0x0
	ds_store_b64 v1, v[110:111]
	s_wait_storecnt_dscnt 0x0
	s_barrier_signal -1
	s_barrier_wait -1
	s_wait_xcnt 0x0
	v_cmpx_gt_u32_e32 44, v0
	s_cbranch_execz .LBB116_960
; %bb.951:
	v_cmp_ne_u32_e32 vcc_lo, 1, v112
	s_cbranch_vccnz .LBB116_953
; %bb.952:
	scratch_load_b64 v[110:111], v59, off
	ds_load_b64 v[114:115], v1
	s_wait_loadcnt_dscnt 0x0
	v_pk_mul_f32 v[116:117], v[114:115], v[110:111] op_sel:[1,1] op_sel_hi:[0,1]
	s_delay_alu instid0(VALU_DEP_1) | instskip(SKIP_1) | instid1(VALU_DEP_2)
	v_pk_fma_f32 v[118:119], v[114:115], v[110:111], v[116:117] op_sel_hi:[1,0,1]
	v_pk_fma_f32 v[110:111], v[114:115], v[110:111], v[116:117] neg_lo:[0,0,1] neg_hi:[0,0,1]
	v_mov_b32_e32 v111, v119
	s_cbranch_execz .LBB116_954
	s_branch .LBB116_955
.LBB116_953:
                                        ; implicit-def: $vgpr110_vgpr111
.LBB116_954:
	ds_load_b64 v[110:111], v1
.LBB116_955:
	s_mov_b32 s4, exec_lo
	v_cmpx_ne_u32_e32 43, v0
	s_cbranch_execz .LBB116_959
; %bb.956:
	v_add_nc_u32_e32 v113, 0x1b8, v58
	v_add3_u32 v114, 0, v58, 8
	v_mov_b32_e32 v115, v0
	s_mov_b32 s5, 0
.LBB116_957:                            ; =>This Inner Loop Header: Depth=1
	scratch_load_b64 v[116:117], v114, off
	ds_load_b64 v[118:119], v113
	s_wait_xcnt 0x0
	v_dual_add_nc_u32 v113, 8, v113 :: v_dual_add_nc_u32 v114, 8, v114
	s_wait_loadcnt_dscnt 0x0
	v_pk_mul_f32 v[120:121], v[118:119], v[116:117] op_sel:[1,1] op_sel_hi:[0,1]
	s_delay_alu instid0(VALU_DEP_1) | instskip(SKIP_2) | instid1(VALU_DEP_3)
	v_pk_fma_f32 v[122:123], v[118:119], v[116:117], v[120:121] op_sel_hi:[1,0,1]
	v_add_nc_u32_e32 v115, 1, v115
	v_pk_fma_f32 v[116:117], v[118:119], v[116:117], v[120:121] neg_lo:[0,0,1] neg_hi:[0,0,1]
	v_mov_b32_e32 v117, v123
	s_delay_alu instid0(VALU_DEP_3) | instskip(NEXT) | instid1(VALU_DEP_2)
	v_cmp_lt_u32_e32 vcc_lo, 42, v115
	v_pk_add_f32 v[110:111], v[110:111], v[116:117]
	s_or_b32 s5, vcc_lo, s5
	s_delay_alu instid0(SALU_CYCLE_1)
	s_and_not1_b32 exec_lo, exec_lo, s5
	s_cbranch_execnz .LBB116_957
; %bb.958:
	s_or_b32 exec_lo, exec_lo, s5
.LBB116_959:
	s_delay_alu instid0(SALU_CYCLE_1) | instskip(SKIP_4) | instid1(VALU_DEP_1)
	s_or_b32 exec_lo, exec_lo, s4
	v_mov_b32_e32 v113, 0
	ds_load_b64 v[114:115], v113 offset:352
	s_wait_dscnt 0x0
	v_pk_mul_f32 v[116:117], v[110:111], v[114:115] op_sel:[1,1] op_sel_hi:[0,1]
	v_pk_fma_f32 v[118:119], v[110:111], v[114:115], v[116:117] op_sel_hi:[1,0,1]
	v_pk_fma_f32 v[110:111], v[110:111], v[114:115], v[116:117] neg_lo:[0,0,1] neg_hi:[0,0,1]
	s_delay_alu instid0(VALU_DEP_2)
	v_mov_b32_e32 v111, v119
	scratch_store_b64 off, v[110:111], off offset:352
.LBB116_960:
	s_wait_xcnt 0x0
	s_or_b32 exec_lo, exec_lo, s0
	scratch_load_b64 v[110:111], off, off offset:360
	s_mov_b32 s0, exec_lo
	s_wait_loadcnt 0x0
	ds_store_b64 v1, v[110:111]
	s_wait_storecnt_dscnt 0x0
	s_barrier_signal -1
	s_barrier_wait -1
	s_wait_xcnt 0x0
	v_cmpx_gt_u32_e32 45, v0
	s_cbranch_execz .LBB116_970
; %bb.961:
	v_cmp_ne_u32_e32 vcc_lo, 1, v112
	s_cbranch_vccnz .LBB116_963
; %bb.962:
	scratch_load_b64 v[110:111], v59, off
	ds_load_b64 v[114:115], v1
	s_wait_loadcnt_dscnt 0x0
	v_pk_mul_f32 v[116:117], v[114:115], v[110:111] op_sel:[1,1] op_sel_hi:[0,1]
	s_delay_alu instid0(VALU_DEP_1) | instskip(SKIP_1) | instid1(VALU_DEP_2)
	v_pk_fma_f32 v[118:119], v[114:115], v[110:111], v[116:117] op_sel_hi:[1,0,1]
	v_pk_fma_f32 v[110:111], v[114:115], v[110:111], v[116:117] neg_lo:[0,0,1] neg_hi:[0,0,1]
	v_mov_b32_e32 v111, v119
	s_cbranch_execz .LBB116_964
	s_branch .LBB116_965
.LBB116_963:
                                        ; implicit-def: $vgpr110_vgpr111
.LBB116_964:
	ds_load_b64 v[110:111], v1
.LBB116_965:
	s_mov_b32 s4, exec_lo
	v_cmpx_ne_u32_e32 44, v0
	s_cbranch_execz .LBB116_969
; %bb.966:
	v_add_nc_u32_e32 v113, 0x1b8, v58
	v_add3_u32 v114, 0, v58, 8
	v_mov_b32_e32 v115, v0
	s_mov_b32 s5, 0
.LBB116_967:                            ; =>This Inner Loop Header: Depth=1
	scratch_load_b64 v[116:117], v114, off
	ds_load_b64 v[118:119], v113
	s_wait_xcnt 0x0
	v_dual_add_nc_u32 v113, 8, v113 :: v_dual_add_nc_u32 v114, 8, v114
	s_wait_loadcnt_dscnt 0x0
	v_pk_mul_f32 v[120:121], v[118:119], v[116:117] op_sel:[1,1] op_sel_hi:[0,1]
	s_delay_alu instid0(VALU_DEP_1) | instskip(SKIP_2) | instid1(VALU_DEP_3)
	v_pk_fma_f32 v[122:123], v[118:119], v[116:117], v[120:121] op_sel_hi:[1,0,1]
	v_add_nc_u32_e32 v115, 1, v115
	v_pk_fma_f32 v[116:117], v[118:119], v[116:117], v[120:121] neg_lo:[0,0,1] neg_hi:[0,0,1]
	v_mov_b32_e32 v117, v123
	s_delay_alu instid0(VALU_DEP_3) | instskip(NEXT) | instid1(VALU_DEP_2)
	v_cmp_lt_u32_e32 vcc_lo, 43, v115
	v_pk_add_f32 v[110:111], v[110:111], v[116:117]
	s_or_b32 s5, vcc_lo, s5
	s_delay_alu instid0(SALU_CYCLE_1)
	s_and_not1_b32 exec_lo, exec_lo, s5
	s_cbranch_execnz .LBB116_967
; %bb.968:
	s_or_b32 exec_lo, exec_lo, s5
.LBB116_969:
	s_delay_alu instid0(SALU_CYCLE_1) | instskip(SKIP_4) | instid1(VALU_DEP_1)
	s_or_b32 exec_lo, exec_lo, s4
	v_mov_b32_e32 v113, 0
	ds_load_b64 v[114:115], v113 offset:360
	s_wait_dscnt 0x0
	v_pk_mul_f32 v[116:117], v[110:111], v[114:115] op_sel:[1,1] op_sel_hi:[0,1]
	v_pk_fma_f32 v[118:119], v[110:111], v[114:115], v[116:117] op_sel_hi:[1,0,1]
	v_pk_fma_f32 v[110:111], v[110:111], v[114:115], v[116:117] neg_lo:[0,0,1] neg_hi:[0,0,1]
	s_delay_alu instid0(VALU_DEP_2)
	v_mov_b32_e32 v111, v119
	scratch_store_b64 off, v[110:111], off offset:360
.LBB116_970:
	s_wait_xcnt 0x0
	s_or_b32 exec_lo, exec_lo, s0
	scratch_load_b64 v[110:111], off, off offset:368
	s_mov_b32 s0, exec_lo
	s_wait_loadcnt 0x0
	ds_store_b64 v1, v[110:111]
	s_wait_storecnt_dscnt 0x0
	s_barrier_signal -1
	s_barrier_wait -1
	s_wait_xcnt 0x0
	v_cmpx_gt_u32_e32 46, v0
	s_cbranch_execz .LBB116_980
; %bb.971:
	v_cmp_ne_u32_e32 vcc_lo, 1, v112
	s_cbranch_vccnz .LBB116_973
; %bb.972:
	scratch_load_b64 v[110:111], v59, off
	ds_load_b64 v[114:115], v1
	s_wait_loadcnt_dscnt 0x0
	v_pk_mul_f32 v[116:117], v[114:115], v[110:111] op_sel:[1,1] op_sel_hi:[0,1]
	s_delay_alu instid0(VALU_DEP_1) | instskip(SKIP_1) | instid1(VALU_DEP_2)
	v_pk_fma_f32 v[118:119], v[114:115], v[110:111], v[116:117] op_sel_hi:[1,0,1]
	v_pk_fma_f32 v[110:111], v[114:115], v[110:111], v[116:117] neg_lo:[0,0,1] neg_hi:[0,0,1]
	v_mov_b32_e32 v111, v119
	s_cbranch_execz .LBB116_974
	s_branch .LBB116_975
.LBB116_973:
                                        ; implicit-def: $vgpr110_vgpr111
.LBB116_974:
	ds_load_b64 v[110:111], v1
.LBB116_975:
	s_mov_b32 s4, exec_lo
	v_cmpx_ne_u32_e32 45, v0
	s_cbranch_execz .LBB116_979
; %bb.976:
	v_add_nc_u32_e32 v113, 0x1b8, v58
	v_add3_u32 v114, 0, v58, 8
	v_mov_b32_e32 v115, v0
	s_mov_b32 s5, 0
.LBB116_977:                            ; =>This Inner Loop Header: Depth=1
	scratch_load_b64 v[116:117], v114, off
	ds_load_b64 v[118:119], v113
	s_wait_xcnt 0x0
	v_dual_add_nc_u32 v113, 8, v113 :: v_dual_add_nc_u32 v114, 8, v114
	s_wait_loadcnt_dscnt 0x0
	v_pk_mul_f32 v[120:121], v[118:119], v[116:117] op_sel:[1,1] op_sel_hi:[0,1]
	s_delay_alu instid0(VALU_DEP_1) | instskip(SKIP_2) | instid1(VALU_DEP_3)
	v_pk_fma_f32 v[122:123], v[118:119], v[116:117], v[120:121] op_sel_hi:[1,0,1]
	v_add_nc_u32_e32 v115, 1, v115
	v_pk_fma_f32 v[116:117], v[118:119], v[116:117], v[120:121] neg_lo:[0,0,1] neg_hi:[0,0,1]
	v_mov_b32_e32 v117, v123
	s_delay_alu instid0(VALU_DEP_3) | instskip(NEXT) | instid1(VALU_DEP_2)
	v_cmp_lt_u32_e32 vcc_lo, 44, v115
	v_pk_add_f32 v[110:111], v[110:111], v[116:117]
	s_or_b32 s5, vcc_lo, s5
	s_delay_alu instid0(SALU_CYCLE_1)
	s_and_not1_b32 exec_lo, exec_lo, s5
	s_cbranch_execnz .LBB116_977
; %bb.978:
	s_or_b32 exec_lo, exec_lo, s5
.LBB116_979:
	s_delay_alu instid0(SALU_CYCLE_1) | instskip(SKIP_4) | instid1(VALU_DEP_1)
	s_or_b32 exec_lo, exec_lo, s4
	v_mov_b32_e32 v113, 0
	ds_load_b64 v[114:115], v113 offset:368
	s_wait_dscnt 0x0
	v_pk_mul_f32 v[116:117], v[110:111], v[114:115] op_sel:[1,1] op_sel_hi:[0,1]
	v_pk_fma_f32 v[118:119], v[110:111], v[114:115], v[116:117] op_sel_hi:[1,0,1]
	v_pk_fma_f32 v[110:111], v[110:111], v[114:115], v[116:117] neg_lo:[0,0,1] neg_hi:[0,0,1]
	s_delay_alu instid0(VALU_DEP_2)
	v_mov_b32_e32 v111, v119
	scratch_store_b64 off, v[110:111], off offset:368
.LBB116_980:
	s_wait_xcnt 0x0
	s_or_b32 exec_lo, exec_lo, s0
	scratch_load_b64 v[110:111], off, off offset:376
	s_mov_b32 s0, exec_lo
	s_wait_loadcnt 0x0
	ds_store_b64 v1, v[110:111]
	s_wait_storecnt_dscnt 0x0
	s_barrier_signal -1
	s_barrier_wait -1
	s_wait_xcnt 0x0
	v_cmpx_gt_u32_e32 47, v0
	s_cbranch_execz .LBB116_990
; %bb.981:
	v_cmp_ne_u32_e32 vcc_lo, 1, v112
	s_cbranch_vccnz .LBB116_983
; %bb.982:
	scratch_load_b64 v[110:111], v59, off
	ds_load_b64 v[114:115], v1
	s_wait_loadcnt_dscnt 0x0
	v_pk_mul_f32 v[116:117], v[114:115], v[110:111] op_sel:[1,1] op_sel_hi:[0,1]
	s_delay_alu instid0(VALU_DEP_1) | instskip(SKIP_1) | instid1(VALU_DEP_2)
	v_pk_fma_f32 v[118:119], v[114:115], v[110:111], v[116:117] op_sel_hi:[1,0,1]
	v_pk_fma_f32 v[110:111], v[114:115], v[110:111], v[116:117] neg_lo:[0,0,1] neg_hi:[0,0,1]
	v_mov_b32_e32 v111, v119
	s_cbranch_execz .LBB116_984
	s_branch .LBB116_985
.LBB116_983:
                                        ; implicit-def: $vgpr110_vgpr111
.LBB116_984:
	ds_load_b64 v[110:111], v1
.LBB116_985:
	s_mov_b32 s4, exec_lo
	v_cmpx_ne_u32_e32 46, v0
	s_cbranch_execz .LBB116_989
; %bb.986:
	v_add_nc_u32_e32 v113, 0x1b8, v58
	v_add3_u32 v114, 0, v58, 8
	v_mov_b32_e32 v115, v0
	s_mov_b32 s5, 0
.LBB116_987:                            ; =>This Inner Loop Header: Depth=1
	scratch_load_b64 v[116:117], v114, off
	ds_load_b64 v[118:119], v113
	s_wait_xcnt 0x0
	v_dual_add_nc_u32 v113, 8, v113 :: v_dual_add_nc_u32 v114, 8, v114
	s_wait_loadcnt_dscnt 0x0
	v_pk_mul_f32 v[120:121], v[118:119], v[116:117] op_sel:[1,1] op_sel_hi:[0,1]
	s_delay_alu instid0(VALU_DEP_1) | instskip(SKIP_2) | instid1(VALU_DEP_3)
	v_pk_fma_f32 v[122:123], v[118:119], v[116:117], v[120:121] op_sel_hi:[1,0,1]
	v_add_nc_u32_e32 v115, 1, v115
	v_pk_fma_f32 v[116:117], v[118:119], v[116:117], v[120:121] neg_lo:[0,0,1] neg_hi:[0,0,1]
	v_mov_b32_e32 v117, v123
	s_delay_alu instid0(VALU_DEP_3) | instskip(NEXT) | instid1(VALU_DEP_2)
	v_cmp_lt_u32_e32 vcc_lo, 45, v115
	v_pk_add_f32 v[110:111], v[110:111], v[116:117]
	s_or_b32 s5, vcc_lo, s5
	s_delay_alu instid0(SALU_CYCLE_1)
	s_and_not1_b32 exec_lo, exec_lo, s5
	s_cbranch_execnz .LBB116_987
; %bb.988:
	s_or_b32 exec_lo, exec_lo, s5
.LBB116_989:
	s_delay_alu instid0(SALU_CYCLE_1) | instskip(SKIP_4) | instid1(VALU_DEP_1)
	s_or_b32 exec_lo, exec_lo, s4
	v_mov_b32_e32 v113, 0
	ds_load_b64 v[114:115], v113 offset:376
	s_wait_dscnt 0x0
	v_pk_mul_f32 v[116:117], v[110:111], v[114:115] op_sel:[1,1] op_sel_hi:[0,1]
	v_pk_fma_f32 v[118:119], v[110:111], v[114:115], v[116:117] op_sel_hi:[1,0,1]
	v_pk_fma_f32 v[110:111], v[110:111], v[114:115], v[116:117] neg_lo:[0,0,1] neg_hi:[0,0,1]
	s_delay_alu instid0(VALU_DEP_2)
	v_mov_b32_e32 v111, v119
	scratch_store_b64 off, v[110:111], off offset:376
.LBB116_990:
	s_wait_xcnt 0x0
	s_or_b32 exec_lo, exec_lo, s0
	scratch_load_b64 v[110:111], off, off offset:384
	s_mov_b32 s0, exec_lo
	s_wait_loadcnt 0x0
	ds_store_b64 v1, v[110:111]
	s_wait_storecnt_dscnt 0x0
	s_barrier_signal -1
	s_barrier_wait -1
	s_wait_xcnt 0x0
	v_cmpx_gt_u32_e32 48, v0
	s_cbranch_execz .LBB116_1000
; %bb.991:
	v_cmp_ne_u32_e32 vcc_lo, 1, v112
	s_cbranch_vccnz .LBB116_993
; %bb.992:
	scratch_load_b64 v[110:111], v59, off
	ds_load_b64 v[114:115], v1
	s_wait_loadcnt_dscnt 0x0
	v_pk_mul_f32 v[116:117], v[114:115], v[110:111] op_sel:[1,1] op_sel_hi:[0,1]
	s_delay_alu instid0(VALU_DEP_1) | instskip(SKIP_1) | instid1(VALU_DEP_2)
	v_pk_fma_f32 v[118:119], v[114:115], v[110:111], v[116:117] op_sel_hi:[1,0,1]
	v_pk_fma_f32 v[110:111], v[114:115], v[110:111], v[116:117] neg_lo:[0,0,1] neg_hi:[0,0,1]
	v_mov_b32_e32 v111, v119
	s_cbranch_execz .LBB116_994
	s_branch .LBB116_995
.LBB116_993:
                                        ; implicit-def: $vgpr110_vgpr111
.LBB116_994:
	ds_load_b64 v[110:111], v1
.LBB116_995:
	s_mov_b32 s4, exec_lo
	v_cmpx_ne_u32_e32 47, v0
	s_cbranch_execz .LBB116_999
; %bb.996:
	v_add_nc_u32_e32 v113, 0x1b8, v58
	v_add3_u32 v114, 0, v58, 8
	v_mov_b32_e32 v115, v0
	s_mov_b32 s5, 0
.LBB116_997:                            ; =>This Inner Loop Header: Depth=1
	scratch_load_b64 v[116:117], v114, off
	ds_load_b64 v[118:119], v113
	s_wait_xcnt 0x0
	v_dual_add_nc_u32 v113, 8, v113 :: v_dual_add_nc_u32 v114, 8, v114
	s_wait_loadcnt_dscnt 0x0
	v_pk_mul_f32 v[120:121], v[118:119], v[116:117] op_sel:[1,1] op_sel_hi:[0,1]
	s_delay_alu instid0(VALU_DEP_1) | instskip(SKIP_2) | instid1(VALU_DEP_3)
	v_pk_fma_f32 v[122:123], v[118:119], v[116:117], v[120:121] op_sel_hi:[1,0,1]
	v_add_nc_u32_e32 v115, 1, v115
	v_pk_fma_f32 v[116:117], v[118:119], v[116:117], v[120:121] neg_lo:[0,0,1] neg_hi:[0,0,1]
	v_mov_b32_e32 v117, v123
	s_delay_alu instid0(VALU_DEP_3) | instskip(NEXT) | instid1(VALU_DEP_2)
	v_cmp_lt_u32_e32 vcc_lo, 46, v115
	v_pk_add_f32 v[110:111], v[110:111], v[116:117]
	s_or_b32 s5, vcc_lo, s5
	s_delay_alu instid0(SALU_CYCLE_1)
	s_and_not1_b32 exec_lo, exec_lo, s5
	s_cbranch_execnz .LBB116_997
; %bb.998:
	s_or_b32 exec_lo, exec_lo, s5
.LBB116_999:
	s_delay_alu instid0(SALU_CYCLE_1) | instskip(SKIP_4) | instid1(VALU_DEP_1)
	s_or_b32 exec_lo, exec_lo, s4
	v_mov_b32_e32 v113, 0
	ds_load_b64 v[114:115], v113 offset:384
	s_wait_dscnt 0x0
	v_pk_mul_f32 v[116:117], v[110:111], v[114:115] op_sel:[1,1] op_sel_hi:[0,1]
	v_pk_fma_f32 v[118:119], v[110:111], v[114:115], v[116:117] op_sel_hi:[1,0,1]
	v_pk_fma_f32 v[110:111], v[110:111], v[114:115], v[116:117] neg_lo:[0,0,1] neg_hi:[0,0,1]
	s_delay_alu instid0(VALU_DEP_2)
	v_mov_b32_e32 v111, v119
	scratch_store_b64 off, v[110:111], off offset:384
.LBB116_1000:
	s_wait_xcnt 0x0
	s_or_b32 exec_lo, exec_lo, s0
	scratch_load_b64 v[110:111], off, off offset:392
	s_mov_b32 s0, exec_lo
	s_wait_loadcnt 0x0
	ds_store_b64 v1, v[110:111]
	s_wait_storecnt_dscnt 0x0
	s_barrier_signal -1
	s_barrier_wait -1
	s_wait_xcnt 0x0
	v_cmpx_gt_u32_e32 49, v0
	s_cbranch_execz .LBB116_1010
; %bb.1001:
	v_cmp_ne_u32_e32 vcc_lo, 1, v112
	s_cbranch_vccnz .LBB116_1003
; %bb.1002:
	scratch_load_b64 v[110:111], v59, off
	ds_load_b64 v[114:115], v1
	s_wait_loadcnt_dscnt 0x0
	v_pk_mul_f32 v[116:117], v[114:115], v[110:111] op_sel:[1,1] op_sel_hi:[0,1]
	s_delay_alu instid0(VALU_DEP_1) | instskip(SKIP_1) | instid1(VALU_DEP_2)
	v_pk_fma_f32 v[118:119], v[114:115], v[110:111], v[116:117] op_sel_hi:[1,0,1]
	v_pk_fma_f32 v[110:111], v[114:115], v[110:111], v[116:117] neg_lo:[0,0,1] neg_hi:[0,0,1]
	v_mov_b32_e32 v111, v119
	s_cbranch_execz .LBB116_1004
	s_branch .LBB116_1005
.LBB116_1003:
                                        ; implicit-def: $vgpr110_vgpr111
.LBB116_1004:
	ds_load_b64 v[110:111], v1
.LBB116_1005:
	s_mov_b32 s4, exec_lo
	v_cmpx_ne_u32_e32 48, v0
	s_cbranch_execz .LBB116_1009
; %bb.1006:
	v_add_nc_u32_e32 v113, 0x1b8, v58
	v_add3_u32 v114, 0, v58, 8
	v_mov_b32_e32 v115, v0
	s_mov_b32 s5, 0
.LBB116_1007:                           ; =>This Inner Loop Header: Depth=1
	scratch_load_b64 v[116:117], v114, off
	ds_load_b64 v[118:119], v113
	s_wait_xcnt 0x0
	v_dual_add_nc_u32 v113, 8, v113 :: v_dual_add_nc_u32 v114, 8, v114
	s_wait_loadcnt_dscnt 0x0
	v_pk_mul_f32 v[120:121], v[118:119], v[116:117] op_sel:[1,1] op_sel_hi:[0,1]
	s_delay_alu instid0(VALU_DEP_1) | instskip(SKIP_2) | instid1(VALU_DEP_3)
	v_pk_fma_f32 v[122:123], v[118:119], v[116:117], v[120:121] op_sel_hi:[1,0,1]
	v_add_nc_u32_e32 v115, 1, v115
	v_pk_fma_f32 v[116:117], v[118:119], v[116:117], v[120:121] neg_lo:[0,0,1] neg_hi:[0,0,1]
	v_mov_b32_e32 v117, v123
	s_delay_alu instid0(VALU_DEP_3) | instskip(NEXT) | instid1(VALU_DEP_2)
	v_cmp_lt_u32_e32 vcc_lo, 47, v115
	v_pk_add_f32 v[110:111], v[110:111], v[116:117]
	s_or_b32 s5, vcc_lo, s5
	s_delay_alu instid0(SALU_CYCLE_1)
	s_and_not1_b32 exec_lo, exec_lo, s5
	s_cbranch_execnz .LBB116_1007
; %bb.1008:
	s_or_b32 exec_lo, exec_lo, s5
.LBB116_1009:
	s_delay_alu instid0(SALU_CYCLE_1) | instskip(SKIP_4) | instid1(VALU_DEP_1)
	s_or_b32 exec_lo, exec_lo, s4
	v_mov_b32_e32 v113, 0
	ds_load_b64 v[114:115], v113 offset:392
	s_wait_dscnt 0x0
	v_pk_mul_f32 v[116:117], v[110:111], v[114:115] op_sel:[1,1] op_sel_hi:[0,1]
	v_pk_fma_f32 v[118:119], v[110:111], v[114:115], v[116:117] op_sel_hi:[1,0,1]
	v_pk_fma_f32 v[110:111], v[110:111], v[114:115], v[116:117] neg_lo:[0,0,1] neg_hi:[0,0,1]
	s_delay_alu instid0(VALU_DEP_2)
	v_mov_b32_e32 v111, v119
	scratch_store_b64 off, v[110:111], off offset:392
.LBB116_1010:
	s_wait_xcnt 0x0
	s_or_b32 exec_lo, exec_lo, s0
	scratch_load_b64 v[110:111], off, off offset:400
	s_mov_b32 s0, exec_lo
	s_wait_loadcnt 0x0
	ds_store_b64 v1, v[110:111]
	s_wait_storecnt_dscnt 0x0
	s_barrier_signal -1
	s_barrier_wait -1
	s_wait_xcnt 0x0
	v_cmpx_gt_u32_e32 50, v0
	s_cbranch_execz .LBB116_1020
; %bb.1011:
	v_cmp_ne_u32_e32 vcc_lo, 1, v112
	s_cbranch_vccnz .LBB116_1013
; %bb.1012:
	scratch_load_b64 v[110:111], v59, off
	ds_load_b64 v[114:115], v1
	s_wait_loadcnt_dscnt 0x0
	v_pk_mul_f32 v[116:117], v[114:115], v[110:111] op_sel:[1,1] op_sel_hi:[0,1]
	s_delay_alu instid0(VALU_DEP_1) | instskip(SKIP_1) | instid1(VALU_DEP_2)
	v_pk_fma_f32 v[118:119], v[114:115], v[110:111], v[116:117] op_sel_hi:[1,0,1]
	v_pk_fma_f32 v[110:111], v[114:115], v[110:111], v[116:117] neg_lo:[0,0,1] neg_hi:[0,0,1]
	v_mov_b32_e32 v111, v119
	s_cbranch_execz .LBB116_1014
	s_branch .LBB116_1015
.LBB116_1013:
                                        ; implicit-def: $vgpr110_vgpr111
.LBB116_1014:
	ds_load_b64 v[110:111], v1
.LBB116_1015:
	s_mov_b32 s4, exec_lo
	v_cmpx_ne_u32_e32 49, v0
	s_cbranch_execz .LBB116_1019
; %bb.1016:
	v_add_nc_u32_e32 v113, 0x1b8, v58
	v_add3_u32 v114, 0, v58, 8
	v_mov_b32_e32 v115, v0
	s_mov_b32 s5, 0
.LBB116_1017:                           ; =>This Inner Loop Header: Depth=1
	scratch_load_b64 v[116:117], v114, off
	ds_load_b64 v[118:119], v113
	s_wait_xcnt 0x0
	v_dual_add_nc_u32 v113, 8, v113 :: v_dual_add_nc_u32 v114, 8, v114
	s_wait_loadcnt_dscnt 0x0
	v_pk_mul_f32 v[120:121], v[118:119], v[116:117] op_sel:[1,1] op_sel_hi:[0,1]
	s_delay_alu instid0(VALU_DEP_1) | instskip(SKIP_2) | instid1(VALU_DEP_3)
	v_pk_fma_f32 v[122:123], v[118:119], v[116:117], v[120:121] op_sel_hi:[1,0,1]
	v_add_nc_u32_e32 v115, 1, v115
	v_pk_fma_f32 v[116:117], v[118:119], v[116:117], v[120:121] neg_lo:[0,0,1] neg_hi:[0,0,1]
	v_mov_b32_e32 v117, v123
	s_delay_alu instid0(VALU_DEP_3) | instskip(NEXT) | instid1(VALU_DEP_2)
	v_cmp_lt_u32_e32 vcc_lo, 48, v115
	v_pk_add_f32 v[110:111], v[110:111], v[116:117]
	s_or_b32 s5, vcc_lo, s5
	s_delay_alu instid0(SALU_CYCLE_1)
	s_and_not1_b32 exec_lo, exec_lo, s5
	s_cbranch_execnz .LBB116_1017
; %bb.1018:
	s_or_b32 exec_lo, exec_lo, s5
.LBB116_1019:
	s_delay_alu instid0(SALU_CYCLE_1) | instskip(SKIP_4) | instid1(VALU_DEP_1)
	s_or_b32 exec_lo, exec_lo, s4
	v_mov_b32_e32 v113, 0
	ds_load_b64 v[114:115], v113 offset:400
	s_wait_dscnt 0x0
	v_pk_mul_f32 v[116:117], v[110:111], v[114:115] op_sel:[1,1] op_sel_hi:[0,1]
	v_pk_fma_f32 v[118:119], v[110:111], v[114:115], v[116:117] op_sel_hi:[1,0,1]
	v_pk_fma_f32 v[110:111], v[110:111], v[114:115], v[116:117] neg_lo:[0,0,1] neg_hi:[0,0,1]
	s_delay_alu instid0(VALU_DEP_2)
	v_mov_b32_e32 v111, v119
	scratch_store_b64 off, v[110:111], off offset:400
.LBB116_1020:
	s_wait_xcnt 0x0
	s_or_b32 exec_lo, exec_lo, s0
	scratch_load_b64 v[110:111], off, off offset:408
	v_cmp_gt_u32_e64 s0, 51, v0
	s_wait_loadcnt 0x0
	ds_store_b64 v1, v[110:111]
	s_wait_storecnt_dscnt 0x0
	s_barrier_signal -1
	s_barrier_wait -1
	s_wait_xcnt 0x0
	s_and_saveexec_b32 s4, s0
	s_cbranch_execz .LBB116_1030
; %bb.1021:
	v_cmp_ne_u32_e32 vcc_lo, 1, v112
	s_cbranch_vccnz .LBB116_1023
; %bb.1022:
	scratch_load_b64 v[110:111], v59, off
	ds_load_b64 v[114:115], v1
	s_wait_loadcnt_dscnt 0x0
	v_pk_mul_f32 v[116:117], v[114:115], v[110:111] op_sel:[1,1] op_sel_hi:[0,1]
	s_delay_alu instid0(VALU_DEP_1) | instskip(SKIP_1) | instid1(VALU_DEP_2)
	v_pk_fma_f32 v[118:119], v[114:115], v[110:111], v[116:117] op_sel_hi:[1,0,1]
	v_pk_fma_f32 v[110:111], v[114:115], v[110:111], v[116:117] neg_lo:[0,0,1] neg_hi:[0,0,1]
	v_mov_b32_e32 v111, v119
	s_cbranch_execz .LBB116_1024
	s_branch .LBB116_1025
.LBB116_1023:
                                        ; implicit-def: $vgpr110_vgpr111
.LBB116_1024:
	ds_load_b64 v[110:111], v1
.LBB116_1025:
	s_mov_b32 s5, exec_lo
	v_cmpx_ne_u32_e32 50, v0
	s_cbranch_execz .LBB116_1029
; %bb.1026:
	v_add_nc_u32_e32 v113, 0x1b8, v58
	v_add3_u32 v114, 0, v58, 8
	v_mov_b32_e32 v115, v0
	s_mov_b32 s6, 0
.LBB116_1027:                           ; =>This Inner Loop Header: Depth=1
	scratch_load_b64 v[116:117], v114, off
	ds_load_b64 v[118:119], v113
	s_wait_xcnt 0x0
	v_dual_add_nc_u32 v113, 8, v113 :: v_dual_add_nc_u32 v114, 8, v114
	s_wait_loadcnt_dscnt 0x0
	v_pk_mul_f32 v[120:121], v[118:119], v[116:117] op_sel:[1,1] op_sel_hi:[0,1]
	s_delay_alu instid0(VALU_DEP_1) | instskip(SKIP_2) | instid1(VALU_DEP_3)
	v_pk_fma_f32 v[122:123], v[118:119], v[116:117], v[120:121] op_sel_hi:[1,0,1]
	v_add_nc_u32_e32 v115, 1, v115
	v_pk_fma_f32 v[116:117], v[118:119], v[116:117], v[120:121] neg_lo:[0,0,1] neg_hi:[0,0,1]
	v_mov_b32_e32 v117, v123
	s_delay_alu instid0(VALU_DEP_3) | instskip(NEXT) | instid1(VALU_DEP_2)
	v_cmp_lt_u32_e32 vcc_lo, 49, v115
	v_pk_add_f32 v[110:111], v[110:111], v[116:117]
	s_or_b32 s6, vcc_lo, s6
	s_delay_alu instid0(SALU_CYCLE_1)
	s_and_not1_b32 exec_lo, exec_lo, s6
	s_cbranch_execnz .LBB116_1027
; %bb.1028:
	s_or_b32 exec_lo, exec_lo, s6
.LBB116_1029:
	s_delay_alu instid0(SALU_CYCLE_1) | instskip(SKIP_4) | instid1(VALU_DEP_1)
	s_or_b32 exec_lo, exec_lo, s5
	v_mov_b32_e32 v113, 0
	ds_load_b64 v[114:115], v113 offset:408
	s_wait_dscnt 0x0
	v_pk_mul_f32 v[116:117], v[110:111], v[114:115] op_sel:[1,1] op_sel_hi:[0,1]
	v_pk_fma_f32 v[118:119], v[110:111], v[114:115], v[116:117] op_sel_hi:[1,0,1]
	v_pk_fma_f32 v[110:111], v[110:111], v[114:115], v[116:117] neg_lo:[0,0,1] neg_hi:[0,0,1]
	s_delay_alu instid0(VALU_DEP_2)
	v_mov_b32_e32 v111, v119
	scratch_store_b64 off, v[110:111], off offset:408
.LBB116_1030:
	s_wait_xcnt 0x0
	s_or_b32 exec_lo, exec_lo, s4
	scratch_load_b64 v[110:111], off, off offset:416
	s_mov_b32 s4, exec_lo
                                        ; implicit-def: $vgpr158
                                        ; implicit-def: $sgpr7
	s_wait_loadcnt 0x0
	ds_store_b64 v1, v[110:111]
	s_wait_storecnt_dscnt 0x0
	s_barrier_signal -1
	s_barrier_wait -1
	s_wait_xcnt 0x0
	v_cmpx_ne_u32_e32 52, v0
	s_cbranch_execz .LBB116_1040
; %bb.1031:
	v_cmp_ne_u32_e32 vcc_lo, 1, v112
	s_cbranch_vccnz .LBB116_1033
; %bb.1032:
	scratch_load_b64 v[112:113], v59, off
	ds_load_b64 v[114:115], v1
	s_wait_loadcnt_dscnt 0x0
	v_dual_mul_f32 v59, v115, v113 :: v_dual_mul_f32 v111, v114, v113
	s_delay_alu instid0(VALU_DEP_1) | instskip(NEXT) | instid1(VALU_DEP_2)
	v_fma_f32 v110, v114, v112, -v59
	v_fmac_f32_e32 v111, v115, v112
	s_cbranch_execz .LBB116_1034
	s_branch .LBB116_1035
.LBB116_1033:
                                        ; implicit-def: $vgpr111
.LBB116_1034:
	ds_load_b64 v[110:111], v1
.LBB116_1035:
	s_and_saveexec_b32 s5, s0
	s_cbranch_execz .LBB116_1039
; %bb.1036:
	v_add_nc_u32_e32 v1, 0x1b8, v58
	v_add3_u32 v58, 0, v58, 8
	s_mov_b32 s0, 0
.LBB116_1037:                           ; =>This Inner Loop Header: Depth=1
	scratch_load_b64 v[112:113], v58, off
	ds_load_b64 v[114:115], v1
	v_dual_add_nc_u32 v0, 1, v0 :: v_dual_add_nc_u32 v1, 8, v1
	s_delay_alu instid0(VALU_DEP_1) | instskip(SKIP_3) | instid1(VALU_DEP_1)
	v_cmp_lt_u32_e32 vcc_lo, 50, v0
	s_or_b32 s0, vcc_lo, s0
	s_wait_loadcnt_dscnt 0x0
	v_dual_mul_f32 v59, v115, v113 :: v_dual_mul_f32 v113, v114, v113
	v_dual_fma_f32 v59, v114, v112, -v59 :: v_dual_fmac_f32 v113, v115, v112
	s_delay_alu instid0(VALU_DEP_1) | instskip(NEXT) | instid1(VALU_DEP_2)
	v_dual_add_nc_u32 v58, 8, v58 :: v_dual_add_f32 v110, v110, v59
	v_add_f32_e32 v111, v111, v113
	s_and_not1_b32 exec_lo, exec_lo, s0
	s_cbranch_execnz .LBB116_1037
; %bb.1038:
	s_or_b32 exec_lo, exec_lo, s0
.LBB116_1039:
	s_delay_alu instid0(SALU_CYCLE_1)
	s_or_b32 exec_lo, exec_lo, s5
	v_mov_b32_e32 v0, 0
	s_movk_i32 s7, 0x1a4
	s_or_b32 s1, s1, exec_lo
	ds_load_b64 v[0:1], v0 offset:416
	s_wait_dscnt 0x0
	v_dual_mul_f32 v58, v111, v1 :: v_dual_mul_f32 v158, v110, v1
	s_delay_alu instid0(VALU_DEP_1) | instskip(NEXT) | instid1(VALU_DEP_2)
	v_fma_f32 v1, v110, v0, -v58
	v_fmac_f32_e32 v158, v111, v0
	scratch_store_b32 off, v1, off offset:416
.LBB116_1040:
	s_wait_xcnt 0x0
	s_or_b32 exec_lo, exec_lo, s4
.LBB116_1041:
	v_lshl_add_u64 v[156:157], v[6:7], 3, s[2:3]
	v_lshl_add_u64 v[154:155], v[8:9], 3, s[2:3]
	;; [unrolled: 1-line block ×51, first 2 shown]
	s_and_saveexec_b32 s0, s1
	s_cbranch_execz .LBB116_1043
; %bb.1042:
	scratch_store_b32 off, v158, s7
.LBB116_1043:
	s_wait_xcnt 0x0
	s_or_b32 exec_lo, exec_lo, s0
	scratch_load_b64 v[56:57], off, off
	s_wait_loadcnt 0x0
	flat_store_b64 v[2:3], v[56:57]
	scratch_load_b64 v[2:3], off, off offset:8
	s_wait_loadcnt 0x0
	flat_store_b64 v[4:5], v[2:3]
	scratch_load_b64 v[2:3], off, off offset:16
	;; [unrolled: 3-line block ×52, first 2 shown]
	s_wait_loadcnt 0x0
	flat_store_b64 v[0:1], v[2:3]
.LBB116_1044:
	s_sendmsg sendmsg(MSG_DEALLOC_VGPRS)
	s_endpgm
	.section	.rodata,"a",@progbits
	.p2align	6, 0x0
	.amdhsa_kernel _ZN9rocsolver6v33100L18trti2_kernel_smallILi53E19rocblas_complex_numIfEPKPS3_EEv13rocblas_fill_17rocblas_diagonal_T1_iil
		.amdhsa_group_segment_fixed_size 856
		.amdhsa_private_segment_fixed_size 432
		.amdhsa_kernarg_size 32
		.amdhsa_user_sgpr_count 2
		.amdhsa_user_sgpr_dispatch_ptr 0
		.amdhsa_user_sgpr_queue_ptr 0
		.amdhsa_user_sgpr_kernarg_segment_ptr 1
		.amdhsa_user_sgpr_dispatch_id 0
		.amdhsa_user_sgpr_kernarg_preload_length 0
		.amdhsa_user_sgpr_kernarg_preload_offset 0
		.amdhsa_user_sgpr_private_segment_size 0
		.amdhsa_wavefront_size32 1
		.amdhsa_uses_dynamic_stack 0
		.amdhsa_enable_private_segment 1
		.amdhsa_system_sgpr_workgroup_id_x 1
		.amdhsa_system_sgpr_workgroup_id_y 0
		.amdhsa_system_sgpr_workgroup_id_z 0
		.amdhsa_system_sgpr_workgroup_info 0
		.amdhsa_system_vgpr_workitem_id 0
		.amdhsa_next_free_vgpr 159
		.amdhsa_next_free_sgpr 59
		.amdhsa_named_barrier_count 0
		.amdhsa_reserve_vcc 1
		.amdhsa_float_round_mode_32 0
		.amdhsa_float_round_mode_16_64 0
		.amdhsa_float_denorm_mode_32 3
		.amdhsa_float_denorm_mode_16_64 3
		.amdhsa_fp16_overflow 0
		.amdhsa_memory_ordered 1
		.amdhsa_forward_progress 1
		.amdhsa_inst_pref_size 255
		.amdhsa_round_robin_scheduling 0
		.amdhsa_exception_fp_ieee_invalid_op 0
		.amdhsa_exception_fp_denorm_src 0
		.amdhsa_exception_fp_ieee_div_zero 0
		.amdhsa_exception_fp_ieee_overflow 0
		.amdhsa_exception_fp_ieee_underflow 0
		.amdhsa_exception_fp_ieee_inexact 0
		.amdhsa_exception_int_div_zero 0
	.end_amdhsa_kernel
	.section	.text._ZN9rocsolver6v33100L18trti2_kernel_smallILi53E19rocblas_complex_numIfEPKPS3_EEv13rocblas_fill_17rocblas_diagonal_T1_iil,"axG",@progbits,_ZN9rocsolver6v33100L18trti2_kernel_smallILi53E19rocblas_complex_numIfEPKPS3_EEv13rocblas_fill_17rocblas_diagonal_T1_iil,comdat
.Lfunc_end116:
	.size	_ZN9rocsolver6v33100L18trti2_kernel_smallILi53E19rocblas_complex_numIfEPKPS3_EEv13rocblas_fill_17rocblas_diagonal_T1_iil, .Lfunc_end116-_ZN9rocsolver6v33100L18trti2_kernel_smallILi53E19rocblas_complex_numIfEPKPS3_EEv13rocblas_fill_17rocblas_diagonal_T1_iil
                                        ; -- End function
	.set _ZN9rocsolver6v33100L18trti2_kernel_smallILi53E19rocblas_complex_numIfEPKPS3_EEv13rocblas_fill_17rocblas_diagonal_T1_iil.num_vgpr, 159
	.set _ZN9rocsolver6v33100L18trti2_kernel_smallILi53E19rocblas_complex_numIfEPKPS3_EEv13rocblas_fill_17rocblas_diagonal_T1_iil.num_agpr, 0
	.set _ZN9rocsolver6v33100L18trti2_kernel_smallILi53E19rocblas_complex_numIfEPKPS3_EEv13rocblas_fill_17rocblas_diagonal_T1_iil.numbered_sgpr, 59
	.set _ZN9rocsolver6v33100L18trti2_kernel_smallILi53E19rocblas_complex_numIfEPKPS3_EEv13rocblas_fill_17rocblas_diagonal_T1_iil.num_named_barrier, 0
	.set _ZN9rocsolver6v33100L18trti2_kernel_smallILi53E19rocblas_complex_numIfEPKPS3_EEv13rocblas_fill_17rocblas_diagonal_T1_iil.private_seg_size, 432
	.set _ZN9rocsolver6v33100L18trti2_kernel_smallILi53E19rocblas_complex_numIfEPKPS3_EEv13rocblas_fill_17rocblas_diagonal_T1_iil.uses_vcc, 1
	.set _ZN9rocsolver6v33100L18trti2_kernel_smallILi53E19rocblas_complex_numIfEPKPS3_EEv13rocblas_fill_17rocblas_diagonal_T1_iil.uses_flat_scratch, 0
	.set _ZN9rocsolver6v33100L18trti2_kernel_smallILi53E19rocblas_complex_numIfEPKPS3_EEv13rocblas_fill_17rocblas_diagonal_T1_iil.has_dyn_sized_stack, 0
	.set _ZN9rocsolver6v33100L18trti2_kernel_smallILi53E19rocblas_complex_numIfEPKPS3_EEv13rocblas_fill_17rocblas_diagonal_T1_iil.has_recursion, 0
	.set _ZN9rocsolver6v33100L18trti2_kernel_smallILi53E19rocblas_complex_numIfEPKPS3_EEv13rocblas_fill_17rocblas_diagonal_T1_iil.has_indirect_call, 0
	.section	.AMDGPU.csdata,"",@progbits
; Kernel info:
; codeLenInByte = 40948
; TotalNumSgprs: 61
; NumVgprs: 159
; ScratchSize: 432
; MemoryBound: 0
; FloatMode: 240
; IeeeMode: 1
; LDSByteSize: 856 bytes/workgroup (compile time only)
; SGPRBlocks: 0
; VGPRBlocks: 9
; NumSGPRsForWavesPerEU: 61
; NumVGPRsForWavesPerEU: 159
; NamedBarCnt: 0
; Occupancy: 6
; WaveLimiterHint : 1
; COMPUTE_PGM_RSRC2:SCRATCH_EN: 1
; COMPUTE_PGM_RSRC2:USER_SGPR: 2
; COMPUTE_PGM_RSRC2:TRAP_HANDLER: 0
; COMPUTE_PGM_RSRC2:TGID_X_EN: 1
; COMPUTE_PGM_RSRC2:TGID_Y_EN: 0
; COMPUTE_PGM_RSRC2:TGID_Z_EN: 0
; COMPUTE_PGM_RSRC2:TIDIG_COMP_CNT: 0
	.section	.text._ZN9rocsolver6v33100L18trti2_kernel_smallILi54E19rocblas_complex_numIfEPKPS3_EEv13rocblas_fill_17rocblas_diagonal_T1_iil,"axG",@progbits,_ZN9rocsolver6v33100L18trti2_kernel_smallILi54E19rocblas_complex_numIfEPKPS3_EEv13rocblas_fill_17rocblas_diagonal_T1_iil,comdat
	.globl	_ZN9rocsolver6v33100L18trti2_kernel_smallILi54E19rocblas_complex_numIfEPKPS3_EEv13rocblas_fill_17rocblas_diagonal_T1_iil ; -- Begin function _ZN9rocsolver6v33100L18trti2_kernel_smallILi54E19rocblas_complex_numIfEPKPS3_EEv13rocblas_fill_17rocblas_diagonal_T1_iil
	.p2align	8
	.type	_ZN9rocsolver6v33100L18trti2_kernel_smallILi54E19rocblas_complex_numIfEPKPS3_EEv13rocblas_fill_17rocblas_diagonal_T1_iil,@function
_ZN9rocsolver6v33100L18trti2_kernel_smallILi54E19rocblas_complex_numIfEPKPS3_EEv13rocblas_fill_17rocblas_diagonal_T1_iil: ; @_ZN9rocsolver6v33100L18trti2_kernel_smallILi54E19rocblas_complex_numIfEPKPS3_EEv13rocblas_fill_17rocblas_diagonal_T1_iil
; %bb.0:
	s_mov_b32 s2, exec_lo
	v_cmpx_gt_u32_e32 54, v0
	s_cbranch_execz .LBB117_1064
; %bb.1:
	s_clause 0x1
	s_load_b64 s[2:3], s[0:1], 0x10
	s_load_b128 s[4:7], s[0:1], 0x0
	s_wait_xcnt 0x0
	s_bfe_u32 s0, ttmp6, 0x4000c
	s_and_b32 s1, ttmp6, 15
	s_add_co_i32 s0, s0, 1
	s_getreg_b32 s8, hwreg(HW_REG_IB_STS2, 6, 4)
	s_mul_i32 s0, ttmp9, s0
	v_dual_mov_b32 v59, 0 :: v_dual_lshlrev_b32 v58, 3, v0
	s_add_co_i32 s0, s1, s0
	s_wait_kmcnt 0x0
	s_ashr_i32 s1, s2, 31
	s_cmp_eq_u32 s8, 0
	s_cselect_b32 s8, ttmp9, s0
	s_mov_b32 s0, s2
	s_ashr_i32 s9, s8, 31
	s_lshl_b64 s[0:1], s[0:1], 3
	s_lshl_b64 s[8:9], s[8:9], 3
	s_delay_alu instid0(SALU_CYCLE_1)
	s_add_nc_u64 s[6:7], s[6:7], s[8:9]
	s_load_b64 s[6:7], s[6:7], 0x0
	s_wait_kmcnt 0x0
	s_add_nc_u64 s[6:7], s[6:7], s[0:1]
	s_mov_b32 s0, s3
	flat_load_b64 v[6:7], v0, s[6:7] scale_offset
	v_add_nc_u64_e32 v[2:3], s[6:7], v[58:59]
	s_ashr_i32 s1, s3, 31
	s_cmp_lg_u32 s5, 0x84
	s_delay_alu instid0(VALU_DEP_1)
	v_lshl_add_u64 v[4:5], s[0:1], 3, v[2:3]
	s_mov_b32 s0, -1
	s_wait_loadcnt_dscnt 0x0
	scratch_store_b64 off, v[6:7], off
	flat_load_b64 v[8:9], v[4:5]
	s_wait_xcnt 0x1
	v_add3_u32 v6, s3, s3, v0
	s_wait_loadcnt_dscnt 0x0
	scratch_store_b64 off, v[8:9], off offset:8
	flat_load_b64 v[10:11], v6, s[6:7] scale_offset
	s_wait_xcnt 0x1
	v_add_nc_u32_e32 v8, s3, v6
	s_wait_loadcnt_dscnt 0x0
	scratch_store_b64 off, v[10:11], off offset:16
	flat_load_b64 v[12:13], v8, s[6:7] scale_offset
	s_wait_xcnt 0x1
	v_add_nc_u32_e32 v10, s3, v8
	s_wait_loadcnt_dscnt 0x0
	scratch_store_b64 off, v[12:13], off offset:24
	flat_load_b64 v[14:15], v10, s[6:7] scale_offset
	s_wait_xcnt 0x1
	v_add_nc_u32_e32 v12, s3, v10
	s_wait_loadcnt_dscnt 0x0
	scratch_store_b64 off, v[14:15], off offset:32
	flat_load_b64 v[16:17], v12, s[6:7] scale_offset
	s_wait_xcnt 0x1
	v_add_nc_u32_e32 v14, s3, v12
	s_wait_loadcnt_dscnt 0x0
	scratch_store_b64 off, v[16:17], off offset:40
	flat_load_b64 v[18:19], v14, s[6:7] scale_offset
	s_wait_xcnt 0x1
	v_add_nc_u32_e32 v16, s3, v14
	s_wait_loadcnt_dscnt 0x0
	scratch_store_b64 off, v[18:19], off offset:48
	flat_load_b64 v[20:21], v16, s[6:7] scale_offset
	s_wait_xcnt 0x1
	v_add_nc_u32_e32 v18, s3, v16
	s_wait_loadcnt_dscnt 0x0
	scratch_store_b64 off, v[20:21], off offset:56
	flat_load_b64 v[22:23], v18, s[6:7] scale_offset
	s_wait_xcnt 0x1
	v_add_nc_u32_e32 v20, s3, v18
	s_wait_loadcnt_dscnt 0x0
	scratch_store_b64 off, v[22:23], off offset:64
	flat_load_b64 v[24:25], v20, s[6:7] scale_offset
	s_wait_xcnt 0x1
	v_add_nc_u32_e32 v22, s3, v20
	s_wait_loadcnt_dscnt 0x0
	scratch_store_b64 off, v[24:25], off offset:72
	flat_load_b64 v[26:27], v22, s[6:7] scale_offset
	s_wait_xcnt 0x1
	v_add_nc_u32_e32 v24, s3, v22
	s_wait_loadcnt_dscnt 0x0
	scratch_store_b64 off, v[26:27], off offset:80
	flat_load_b64 v[28:29], v24, s[6:7] scale_offset
	s_wait_xcnt 0x1
	v_add_nc_u32_e32 v26, s3, v24
	s_wait_loadcnt_dscnt 0x0
	scratch_store_b64 off, v[28:29], off offset:88
	flat_load_b64 v[30:31], v26, s[6:7] scale_offset
	s_wait_xcnt 0x1
	v_add_nc_u32_e32 v28, s3, v26
	s_wait_loadcnt_dscnt 0x0
	scratch_store_b64 off, v[30:31], off offset:96
	flat_load_b64 v[32:33], v28, s[6:7] scale_offset
	s_wait_xcnt 0x1
	v_add_nc_u32_e32 v30, s3, v28
	s_wait_loadcnt_dscnt 0x0
	scratch_store_b64 off, v[32:33], off offset:104
	flat_load_b64 v[34:35], v30, s[6:7] scale_offset
	s_wait_xcnt 0x1
	v_add_nc_u32_e32 v32, s3, v30
	s_wait_loadcnt_dscnt 0x0
	scratch_store_b64 off, v[34:35], off offset:112
	flat_load_b64 v[36:37], v32, s[6:7] scale_offset
	s_wait_xcnt 0x1
	v_add_nc_u32_e32 v34, s3, v32
	s_wait_loadcnt_dscnt 0x0
	scratch_store_b64 off, v[36:37], off offset:120
	flat_load_b64 v[38:39], v34, s[6:7] scale_offset
	s_wait_xcnt 0x1
	v_add_nc_u32_e32 v36, s3, v34
	s_wait_loadcnt_dscnt 0x0
	scratch_store_b64 off, v[38:39], off offset:128
	flat_load_b64 v[40:41], v36, s[6:7] scale_offset
	s_wait_xcnt 0x1
	v_add_nc_u32_e32 v38, s3, v36
	s_wait_loadcnt_dscnt 0x0
	scratch_store_b64 off, v[40:41], off offset:136
	flat_load_b64 v[42:43], v38, s[6:7] scale_offset
	s_wait_xcnt 0x1
	v_add_nc_u32_e32 v40, s3, v38
	s_wait_loadcnt_dscnt 0x0
	scratch_store_b64 off, v[42:43], off offset:144
	flat_load_b64 v[44:45], v40, s[6:7] scale_offset
	s_wait_xcnt 0x1
	v_add_nc_u32_e32 v42, s3, v40
	s_wait_loadcnt_dscnt 0x0
	scratch_store_b64 off, v[44:45], off offset:152
	flat_load_b64 v[46:47], v42, s[6:7] scale_offset
	s_wait_xcnt 0x1
	v_add_nc_u32_e32 v44, s3, v42
	s_wait_loadcnt_dscnt 0x0
	scratch_store_b64 off, v[46:47], off offset:160
	flat_load_b64 v[48:49], v44, s[6:7] scale_offset
	s_wait_xcnt 0x1
	v_add_nc_u32_e32 v46, s3, v44
	s_wait_loadcnt_dscnt 0x0
	scratch_store_b64 off, v[48:49], off offset:168
	flat_load_b64 v[50:51], v46, s[6:7] scale_offset
	s_wait_xcnt 0x1
	v_add_nc_u32_e32 v48, s3, v46
	s_wait_loadcnt_dscnt 0x0
	scratch_store_b64 off, v[50:51], off offset:176
	flat_load_b64 v[52:53], v48, s[6:7] scale_offset
	s_wait_xcnt 0x1
	v_add_nc_u32_e32 v50, s3, v48
	s_wait_loadcnt_dscnt 0x0
	scratch_store_b64 off, v[52:53], off offset:184
	flat_load_b64 v[54:55], v50, s[6:7] scale_offset
	s_wait_xcnt 0x1
	v_add_nc_u32_e32 v52, s3, v50
	s_wait_loadcnt_dscnt 0x0
	scratch_store_b64 off, v[54:55], off offset:192
	flat_load_b64 v[56:57], v52, s[6:7] scale_offset
	s_wait_xcnt 0x1
	v_add_nc_u32_e32 v54, s3, v52
	s_wait_loadcnt_dscnt 0x0
	scratch_store_b64 off, v[56:57], off offset:200
	flat_load_b64 v[60:61], v54, s[6:7] scale_offset
	s_wait_xcnt 0x1
	v_add_nc_u32_e32 v56, s3, v54
	s_wait_loadcnt_dscnt 0x0
	scratch_store_b64 off, v[60:61], off offset:208
	flat_load_b64 v[62:63], v56, s[6:7] scale_offset
	s_wait_xcnt 0x1
	v_add_nc_u32_e32 v60, s3, v56
	s_wait_loadcnt_dscnt 0x0
	scratch_store_b64 off, v[62:63], off offset:216
	flat_load_b64 v[64:65], v60, s[6:7] scale_offset
	s_wait_xcnt 0x1
	v_add_nc_u32_e32 v62, s3, v60
	s_wait_loadcnt_dscnt 0x0
	scratch_store_b64 off, v[64:65], off offset:224
	flat_load_b64 v[66:67], v62, s[6:7] scale_offset
	s_wait_xcnt 0x1
	v_add_nc_u32_e32 v64, s3, v62
	s_wait_loadcnt_dscnt 0x0
	scratch_store_b64 off, v[66:67], off offset:232
	flat_load_b64 v[68:69], v64, s[6:7] scale_offset
	s_wait_xcnt 0x1
	v_add_nc_u32_e32 v66, s3, v64
	s_wait_loadcnt_dscnt 0x0
	scratch_store_b64 off, v[68:69], off offset:240
	flat_load_b64 v[70:71], v66, s[6:7] scale_offset
	s_wait_xcnt 0x1
	v_add_nc_u32_e32 v68, s3, v66
	s_wait_loadcnt_dscnt 0x0
	scratch_store_b64 off, v[70:71], off offset:248
	flat_load_b64 v[72:73], v68, s[6:7] scale_offset
	s_wait_xcnt 0x1
	v_add_nc_u32_e32 v70, s3, v68
	s_wait_loadcnt_dscnt 0x0
	scratch_store_b64 off, v[72:73], off offset:256
	flat_load_b64 v[74:75], v70, s[6:7] scale_offset
	s_wait_xcnt 0x1
	v_add_nc_u32_e32 v72, s3, v70
	s_wait_loadcnt_dscnt 0x0
	scratch_store_b64 off, v[74:75], off offset:264
	flat_load_b64 v[76:77], v72, s[6:7] scale_offset
	s_wait_xcnt 0x1
	v_add_nc_u32_e32 v74, s3, v72
	s_wait_loadcnt_dscnt 0x0
	scratch_store_b64 off, v[76:77], off offset:272
	flat_load_b64 v[78:79], v74, s[6:7] scale_offset
	s_wait_xcnt 0x1
	v_add_nc_u32_e32 v76, s3, v74
	s_wait_loadcnt_dscnt 0x0
	scratch_store_b64 off, v[78:79], off offset:280
	flat_load_b64 v[80:81], v76, s[6:7] scale_offset
	s_wait_xcnt 0x1
	v_add_nc_u32_e32 v78, s3, v76
	s_wait_loadcnt_dscnt 0x0
	scratch_store_b64 off, v[80:81], off offset:288
	flat_load_b64 v[82:83], v78, s[6:7] scale_offset
	s_wait_xcnt 0x1
	v_add_nc_u32_e32 v80, s3, v78
	s_wait_loadcnt_dscnt 0x0
	scratch_store_b64 off, v[82:83], off offset:296
	flat_load_b64 v[84:85], v80, s[6:7] scale_offset
	s_wait_xcnt 0x1
	v_add_nc_u32_e32 v82, s3, v80
	s_wait_loadcnt_dscnt 0x0
	scratch_store_b64 off, v[84:85], off offset:304
	flat_load_b64 v[86:87], v82, s[6:7] scale_offset
	s_wait_xcnt 0x1
	v_add_nc_u32_e32 v84, s3, v82
	s_wait_loadcnt_dscnt 0x0
	scratch_store_b64 off, v[86:87], off offset:312
	flat_load_b64 v[88:89], v84, s[6:7] scale_offset
	s_wait_xcnt 0x1
	v_add_nc_u32_e32 v86, s3, v84
	s_wait_loadcnt_dscnt 0x0
	scratch_store_b64 off, v[88:89], off offset:320
	flat_load_b64 v[90:91], v86, s[6:7] scale_offset
	s_wait_xcnt 0x1
	v_add_nc_u32_e32 v88, s3, v86
	s_wait_loadcnt_dscnt 0x0
	scratch_store_b64 off, v[90:91], off offset:328
	flat_load_b64 v[92:93], v88, s[6:7] scale_offset
	s_wait_xcnt 0x1
	v_add_nc_u32_e32 v90, s3, v88
	s_wait_loadcnt_dscnt 0x0
	scratch_store_b64 off, v[92:93], off offset:336
	flat_load_b64 v[94:95], v90, s[6:7] scale_offset
	s_wait_xcnt 0x1
	v_add_nc_u32_e32 v92, s3, v90
	s_wait_loadcnt_dscnt 0x0
	scratch_store_b64 off, v[94:95], off offset:344
	flat_load_b64 v[96:97], v92, s[6:7] scale_offset
	s_wait_xcnt 0x1
	v_add_nc_u32_e32 v94, s3, v92
	s_wait_loadcnt_dscnt 0x0
	scratch_store_b64 off, v[96:97], off offset:352
	flat_load_b64 v[98:99], v94, s[6:7] scale_offset
	s_wait_xcnt 0x1
	v_add_nc_u32_e32 v96, s3, v94
	s_wait_loadcnt_dscnt 0x0
	scratch_store_b64 off, v[98:99], off offset:360
	flat_load_b64 v[100:101], v96, s[6:7] scale_offset
	s_wait_xcnt 0x1
	v_add_nc_u32_e32 v98, s3, v96
	s_wait_loadcnt_dscnt 0x0
	scratch_store_b64 off, v[100:101], off offset:368
	flat_load_b64 v[102:103], v98, s[6:7] scale_offset
	s_wait_xcnt 0x1
	v_add_nc_u32_e32 v100, s3, v98
	s_wait_loadcnt_dscnt 0x0
	scratch_store_b64 off, v[102:103], off offset:376
	flat_load_b64 v[104:105], v100, s[6:7] scale_offset
	s_wait_xcnt 0x1
	v_add_nc_u32_e32 v102, s3, v100
	s_wait_loadcnt_dscnt 0x0
	scratch_store_b64 off, v[104:105], off offset:384
	flat_load_b64 v[106:107], v102, s[6:7] scale_offset
	s_wait_xcnt 0x1
	v_add_nc_u32_e32 v104, s3, v102
	s_wait_loadcnt_dscnt 0x0
	scratch_store_b64 off, v[106:107], off offset:392
	flat_load_b64 v[108:109], v104, s[6:7] scale_offset
	s_wait_xcnt 0x1
	v_add_nc_u32_e32 v106, s3, v104
	s_wait_loadcnt_dscnt 0x0
	scratch_store_b64 off, v[108:109], off offset:400
	flat_load_b64 v[110:111], v106, s[6:7] scale_offset
	s_wait_xcnt 0x1
	v_add_nc_u32_e32 v108, s3, v106
	s_wait_loadcnt_dscnt 0x0
	scratch_store_b64 off, v[110:111], off offset:408
	flat_load_b64 v[112:113], v108, s[6:7] scale_offset
	s_wait_xcnt 0x1
	v_add_nc_u32_e32 v110, s3, v108
	s_cselect_b32 s3, -1, 0
	s_delay_alu instid0(SALU_CYCLE_1)
	s_and_b32 vcc_lo, exec_lo, s3
	s_wait_loadcnt_dscnt 0x0
	scratch_store_b64 off, v[112:113], off offset:416
	flat_load_b64 v[112:113], v110, s[6:7] scale_offset
	s_wait_loadcnt_dscnt 0x0
	scratch_store_b64 off, v[112:113], off offset:424
	s_cbranch_vccz .LBB117_7
; %bb.2:
	scratch_load_b64 v[112:113], v0, off scale_offset
                                        ; implicit-def: $vgpr117
                                        ; implicit-def: $vgpr114
	s_wait_loadcnt 0x0
	v_cmp_ngt_f32_e64 s0, |v112|, |v113|
	s_wait_xcnt 0x0
	s_and_saveexec_b32 s1, s0
	s_delay_alu instid0(SALU_CYCLE_1)
	s_xor_b32 s0, exec_lo, s1
	s_cbranch_execz .LBB117_4
; %bb.3:
	v_div_scale_f32 v1, null, v113, v113, v112
	v_div_scale_f32 v11, vcc_lo, v112, v113, v112
	s_delay_alu instid0(VALU_DEP_2) | instskip(SKIP_1) | instid1(TRANS32_DEP_1)
	v_rcp_f32_e32 v7, v1
	v_nop
	v_fma_f32 v9, -v1, v7, 1.0
	s_delay_alu instid0(VALU_DEP_1) | instskip(NEXT) | instid1(VALU_DEP_1)
	v_fmac_f32_e32 v7, v9, v7
	v_mul_f32_e32 v9, v11, v7
	s_delay_alu instid0(VALU_DEP_1) | instskip(NEXT) | instid1(VALU_DEP_1)
	v_fma_f32 v13, -v1, v9, v11
	v_fmac_f32_e32 v9, v13, v7
	s_delay_alu instid0(VALU_DEP_1) | instskip(NEXT) | instid1(VALU_DEP_1)
	v_fma_f32 v1, -v1, v9, v11
	v_div_fmas_f32 v1, v1, v7, v9
	s_delay_alu instid0(VALU_DEP_1) | instskip(NEXT) | instid1(VALU_DEP_1)
	v_div_fixup_f32 v1, v1, v113, v112
	v_fmac_f32_e32 v113, v112, v1
	s_delay_alu instid0(VALU_DEP_1) | instskip(NEXT) | instid1(VALU_DEP_1)
	v_div_scale_f32 v7, null, v113, v113, -1.0
	v_rcp_f32_e32 v9, v7
	v_nop
	s_delay_alu instid0(TRANS32_DEP_1) | instskip(NEXT) | instid1(VALU_DEP_1)
	v_fma_f32 v11, -v7, v9, 1.0
	v_fmac_f32_e32 v9, v11, v9
	v_div_scale_f32 v11, vcc_lo, -1.0, v113, -1.0
	s_delay_alu instid0(VALU_DEP_1) | instskip(NEXT) | instid1(VALU_DEP_1)
	v_mul_f32_e32 v13, v11, v9
	v_fma_f32 v15, -v7, v13, v11
	s_delay_alu instid0(VALU_DEP_1) | instskip(NEXT) | instid1(VALU_DEP_1)
	v_fmac_f32_e32 v13, v15, v9
	v_fma_f32 v7, -v7, v13, v11
	s_delay_alu instid0(VALU_DEP_1) | instskip(NEXT) | instid1(VALU_DEP_1)
	v_div_fmas_f32 v7, v7, v9, v13
	v_div_fixup_f32 v117, v7, v113, -1.0
                                        ; implicit-def: $vgpr112_vgpr113
	s_delay_alu instid0(VALU_DEP_1) | instskip(NEXT) | instid1(VALU_DEP_1)
	v_mul_f32_e32 v114, v1, v117
	v_xor_b32_e32 v116, 0x80000000, v114
.LBB117_4:
	s_or_saveexec_b32 s0, s0
	v_lshl_add_u32 v1, v0, 3, 0
	s_xor_b32 exec_lo, exec_lo, s0
	s_cbranch_execz .LBB117_6
; %bb.5:
	v_div_scale_f32 v7, null, v112, v112, v113
	v_div_scale_f32 v13, vcc_lo, v113, v112, v113
	s_delay_alu instid0(VALU_DEP_2) | instskip(SKIP_1) | instid1(TRANS32_DEP_1)
	v_rcp_f32_e32 v9, v7
	v_nop
	v_fma_f32 v11, -v7, v9, 1.0
	s_delay_alu instid0(VALU_DEP_1) | instskip(NEXT) | instid1(VALU_DEP_1)
	v_fmac_f32_e32 v9, v11, v9
	v_mul_f32_e32 v11, v13, v9
	s_delay_alu instid0(VALU_DEP_1) | instskip(NEXT) | instid1(VALU_DEP_1)
	v_fma_f32 v15, -v7, v11, v13
	v_fmac_f32_e32 v11, v15, v9
	s_delay_alu instid0(VALU_DEP_1) | instskip(NEXT) | instid1(VALU_DEP_1)
	v_fma_f32 v7, -v7, v11, v13
	v_div_fmas_f32 v7, v7, v9, v11
	s_delay_alu instid0(VALU_DEP_1) | instskip(NEXT) | instid1(VALU_DEP_1)
	v_div_fixup_f32 v7, v7, v112, v113
	v_fmac_f32_e32 v112, v113, v7
	s_delay_alu instid0(VALU_DEP_1) | instskip(SKIP_1) | instid1(VALU_DEP_2)
	v_div_scale_f32 v9, null, v112, v112, 1.0
	v_div_scale_f32 v15, vcc_lo, 1.0, v112, 1.0
	v_rcp_f32_e32 v11, v9
	v_nop
	s_delay_alu instid0(TRANS32_DEP_1) | instskip(NEXT) | instid1(VALU_DEP_1)
	v_fma_f32 v13, -v9, v11, 1.0
	v_fmac_f32_e32 v11, v13, v11
	s_delay_alu instid0(VALU_DEP_1) | instskip(NEXT) | instid1(VALU_DEP_1)
	v_mul_f32_e32 v13, v15, v11
	v_fma_f32 v17, -v9, v13, v15
	s_delay_alu instid0(VALU_DEP_1) | instskip(NEXT) | instid1(VALU_DEP_1)
	v_fmac_f32_e32 v13, v17, v11
	v_fma_f32 v9, -v9, v13, v15
	s_delay_alu instid0(VALU_DEP_1) | instskip(NEXT) | instid1(VALU_DEP_1)
	v_div_fmas_f32 v9, v9, v11, v13
	v_div_fixup_f32 v116, v9, v112, 1.0
	s_delay_alu instid0(VALU_DEP_1)
	v_xor_b32_e32 v114, 0x80000000, v116
	v_mul_f32_e64 v117, v7, -v116
.LBB117_6:
	s_or_b32 exec_lo, exec_lo, s0
	s_delay_alu instid0(VALU_DEP_1)
	v_xor_b32_e32 v115, 0x80000000, v117
	s_mov_b32 s0, 0
	scratch_store_b64 v1, v[116:117], off
	ds_store_b64 v58, v[114:115]
.LBB117_7:
	s_and_b32 vcc_lo, exec_lo, s0
	s_cbranch_vccz .LBB117_9
; %bb.8:
	s_mov_b64 s[0:1], 0xbf800000
	s_wait_xcnt 0x0
	v_mov_b64_e32 v[112:113], s[0:1]
	ds_store_b64 v58, v[112:113]
.LBB117_9:
	v_dual_ashrrev_i32 v7, 31, v6 :: v_dual_ashrrev_i32 v9, 31, v8
	v_dual_ashrrev_i32 v11, 31, v10 :: v_dual_ashrrev_i32 v13, 31, v12
	;; [unrolled: 1-line block ×26, first 2 shown]
	s_wait_xcnt 0x0
	v_add_nc_u32_e32 v1, 0x1b0, v58
	v_mov_b32_e32 v59, v58
	s_cmp_eq_u32 s4, 0x79
	s_cbranch_scc1 .LBB117_13
; %bb.10:
	scratch_load_b64 v[112:113], off, off offset:416
	v_cmp_eq_u32_e64 s0, 53, v0
	s_movk_i32 s1, 0x48
	s_movk_i32 s14, 0x50
	s_movk_i32 s15, 0x58
	s_movk_i32 s16, 0x60
	s_movk_i32 s17, 0x68
	s_movk_i32 s18, 0x70
	s_movk_i32 s19, 0x78
	s_movk_i32 s20, 0x80
	s_movk_i32 s21, 0x88
	s_movk_i32 s22, 0x90
	s_movk_i32 s23, 0x98
	s_movk_i32 s24, 0xa0
	s_movk_i32 s25, 0xa8
	s_movk_i32 s26, 0xb0
	s_movk_i32 s27, 0xb8
	s_movk_i32 s28, 0xc0
	s_movk_i32 s29, 0xc8
	s_movk_i32 s30, 0xd0
	s_movk_i32 s31, 0xd8
	s_movk_i32 s33, 0xe0
	s_movk_i32 s34, 0xe8
	s_movk_i32 s35, 0xf0
	s_movk_i32 s36, 0xf8
	s_movk_i32 s37, 0x100
	s_movk_i32 s38, 0x108
	s_movk_i32 s39, 0x110
	s_movk_i32 s40, 0x118
	s_movk_i32 s41, 0x120
	s_movk_i32 s42, 0x128
	s_movk_i32 s43, 0x130
	s_movk_i32 s44, 0x138
	s_movk_i32 s45, 0x140
	s_movk_i32 s46, 0x148
	s_movk_i32 s47, 0x150
	s_movk_i32 s48, 0x158
	s_movk_i32 s49, 0x160
	s_movk_i32 s50, 0x168
	s_movk_i32 s51, 0x170
	s_movk_i32 s52, 0x178
	s_movk_i32 s53, 0x180
	s_movk_i32 s54, 0x188
	s_movk_i32 s55, 0x190
	s_movk_i32 s56, 0x198
	s_wait_loadcnt 0x0
	ds_store_b64 v1, v[112:113]
	s_wait_storecnt_dscnt 0x0
	s_barrier_signal -1
	s_barrier_wait -1
	s_wait_xcnt 0x0
	s_and_saveexec_b32 s2, s0
	s_cbranch_execz .LBB117_17
; %bb.11:
	s_and_b32 vcc_lo, exec_lo, s3
	s_cbranch_vccz .LBB117_14
; %bb.12:
	scratch_load_b64 v[112:113], v59, off
	ds_load_b64 v[114:115], v1
	s_wait_loadcnt_dscnt 0x0
	v_pk_mul_f32 v[116:117], v[114:115], v[112:113] op_sel:[1,1] op_sel_hi:[0,1]
	v_pk_mul_f32 v[118:119], v[114:115], v[112:113] op_sel_hi:[1,0]
	s_delay_alu instid0(VALU_DEP_2) | instskip(NEXT) | instid1(VALU_DEP_2)
	v_pk_fma_f32 v[112:113], v[114:115], v[112:113], v[116:117] op_sel_hi:[1,0,1]
	v_sub_f32_e32 v112, v118, v116
	s_cbranch_execz .LBB117_15
	s_branch .LBB117_16
.LBB117_13:
	s_mov_b32 s1, 0
                                        ; implicit-def: $vgpr160
                                        ; implicit-def: $sgpr5
	s_cbranch_execnz .LBB117_536
	s_branch .LBB117_1061
.LBB117_14:
                                        ; implicit-def: $vgpr113
.LBB117_15:
	ds_load_b64 v[112:113], v1
.LBB117_16:
	s_wait_dscnt 0x0
	v_dual_mov_b32 v114, 0 :: v_dual_mov_b32 v116, v113
	v_mov_b32_e32 v117, v112
	ds_load_b64 v[114:115], v114 offset:416
	s_wait_dscnt 0x0
	v_pk_mul_f32 v[116:117], v[116:117], v[114:115] op_sel:[0,1]
	s_delay_alu instid0(VALU_DEP_1) | instskip(SKIP_1) | instid1(VALU_DEP_2)
	v_pk_fma_f32 v[118:119], v[112:113], v[114:115], v[116:117] op_sel_hi:[1,0,1]
	v_pk_fma_f32 v[112:113], v[112:113], v[114:115], v[116:117] neg_lo:[0,0,1] neg_hi:[0,0,1]
	v_mov_b32_e32 v113, v119
	scratch_store_b64 off, v[112:113], off offset:416
.LBB117_17:
	s_wait_xcnt 0x0
	s_or_b32 exec_lo, exec_lo, s2
	scratch_load_b64 v[112:113], off, off offset:408
	s_mov_b32 s13, s1
	v_cmp_lt_u32_e64 s1, 51, v0
	s_or_b32 s4, 0, 8
	s_mov_b32 s5, 16
	s_mov_b32 s8, 24
	;; [unrolled: 1-line block ×7, first 2 shown]
	s_wait_loadcnt 0x0
	ds_store_b64 v1, v[112:113]
	s_wait_storecnt_dscnt 0x0
	s_barrier_signal -1
	s_barrier_wait -1
	s_wait_xcnt 0x0
	s_and_saveexec_b32 s57, s1
	s_cbranch_execz .LBB117_25
; %bb.18:
	s_and_not1_b32 vcc_lo, exec_lo, s3
	s_cbranch_vccnz .LBB117_20
; %bb.19:
	scratch_load_b64 v[112:113], v59, off
	ds_load_b64 v[114:115], v1
	s_wait_loadcnt_dscnt 0x0
	v_pk_mul_f32 v[116:117], v[114:115], v[112:113] op_sel:[1,1] op_sel_hi:[0,1]
	s_delay_alu instid0(VALU_DEP_1) | instskip(SKIP_1) | instid1(VALU_DEP_2)
	v_pk_fma_f32 v[118:119], v[114:115], v[112:113], v[116:117] op_sel_hi:[1,0,1]
	v_pk_fma_f32 v[112:113], v[114:115], v[112:113], v[116:117] neg_lo:[0,0,1] neg_hi:[0,0,1]
	v_mov_b32_e32 v113, v119
	s_cbranch_execz .LBB117_21
	s_branch .LBB117_22
.LBB117_20:
                                        ; implicit-def: $vgpr112_vgpr113
.LBB117_21:
	ds_load_b64 v[112:113], v1
.LBB117_22:
	s_and_saveexec_b32 s58, s0
	s_cbranch_execz .LBB117_24
; %bb.23:
	scratch_load_b64 v[114:115], off, off offset:416
	v_mov_b32_e32 v116, 0
	ds_load_b64 v[116:117], v116 offset:848
	s_wait_loadcnt_dscnt 0x0
	v_pk_mul_f32 v[118:119], v[116:117], v[114:115] op_sel:[1,1] op_sel_hi:[0,1]
	s_delay_alu instid0(VALU_DEP_1) | instskip(SKIP_1) | instid1(VALU_DEP_2)
	v_pk_fma_f32 v[120:121], v[116:117], v[114:115], v[118:119] op_sel_hi:[1,0,1]
	v_pk_fma_f32 v[114:115], v[116:117], v[114:115], v[118:119] neg_lo:[0,0,1] neg_hi:[0,0,1]
	v_mov_b32_e32 v115, v121
	s_delay_alu instid0(VALU_DEP_1)
	v_pk_add_f32 v[112:113], v[112:113], v[114:115]
.LBB117_24:
	s_or_b32 exec_lo, exec_lo, s58
	v_mov_b32_e32 v114, 0
	ds_load_b64 v[114:115], v114 offset:408
	s_wait_dscnt 0x0
	v_pk_mul_f32 v[116:117], v[112:113], v[114:115] op_sel:[1,1] op_sel_hi:[0,1]
	s_delay_alu instid0(VALU_DEP_1) | instskip(SKIP_1) | instid1(VALU_DEP_2)
	v_pk_fma_f32 v[118:119], v[112:113], v[114:115], v[116:117] op_sel_hi:[1,0,1]
	v_pk_fma_f32 v[112:113], v[112:113], v[114:115], v[116:117] neg_lo:[0,0,1] neg_hi:[0,0,1]
	v_mov_b32_e32 v113, v119
	scratch_store_b64 off, v[112:113], off offset:408
.LBB117_25:
	s_wait_xcnt 0x0
	s_or_b32 exec_lo, exec_lo, s57
	scratch_load_b64 v[112:113], off, off offset:400
	v_cmp_lt_u32_e64 s0, 50, v0
	s_wait_loadcnt 0x0
	ds_store_b64 v1, v[112:113]
	s_wait_storecnt_dscnt 0x0
	s_barrier_signal -1
	s_barrier_wait -1
	s_wait_xcnt 0x0
	s_and_saveexec_b32 s57, s0
	s_cbranch_execz .LBB117_35
; %bb.26:
	s_and_not1_b32 vcc_lo, exec_lo, s3
	s_cbranch_vccnz .LBB117_28
; %bb.27:
	scratch_load_b64 v[112:113], v59, off
	ds_load_b64 v[114:115], v1
	s_wait_loadcnt_dscnt 0x0
	v_pk_mul_f32 v[116:117], v[114:115], v[112:113] op_sel:[1,1] op_sel_hi:[0,1]
	s_delay_alu instid0(VALU_DEP_1) | instskip(SKIP_1) | instid1(VALU_DEP_2)
	v_pk_fma_f32 v[118:119], v[114:115], v[112:113], v[116:117] op_sel_hi:[1,0,1]
	v_pk_fma_f32 v[112:113], v[114:115], v[112:113], v[116:117] neg_lo:[0,0,1] neg_hi:[0,0,1]
	v_mov_b32_e32 v113, v119
	s_cbranch_execz .LBB117_29
	s_branch .LBB117_30
.LBB117_28:
                                        ; implicit-def: $vgpr112_vgpr113
.LBB117_29:
	ds_load_b64 v[112:113], v1
.LBB117_30:
	s_and_saveexec_b32 s58, s1
	s_cbranch_execz .LBB117_34
; %bb.31:
	v_subrev_nc_u32_e32 v114, 51, v0
	s_movk_i32 s59, 0x348
	s_mov_b32 s1, 0
.LBB117_32:                             ; =>This Inner Loop Header: Depth=1
	scratch_load_b64 v[116:117], off, s56
	v_dual_mov_b32 v115, s59 :: v_dual_add_nc_u32 v114, -1, v114
	s_add_co_i32 s59, s59, 8
	s_wait_xcnt 0x0
	s_add_co_i32 s56, s56, 8
	ds_load_b64 v[118:119], v115
	v_cmp_eq_u32_e32 vcc_lo, 0, v114
	s_or_b32 s1, vcc_lo, s1
	s_wait_loadcnt_dscnt 0x0
	v_pk_mul_f32 v[120:121], v[118:119], v[116:117] op_sel:[1,1] op_sel_hi:[0,1]
	s_delay_alu instid0(VALU_DEP_1) | instskip(SKIP_1) | instid1(VALU_DEP_2)
	v_pk_fma_f32 v[122:123], v[118:119], v[116:117], v[120:121] op_sel_hi:[1,0,1]
	v_pk_fma_f32 v[116:117], v[118:119], v[116:117], v[120:121] neg_lo:[0,0,1] neg_hi:[0,0,1]
	v_mov_b32_e32 v117, v123
	s_delay_alu instid0(VALU_DEP_1)
	v_pk_add_f32 v[112:113], v[112:113], v[116:117]
	s_and_not1_b32 exec_lo, exec_lo, s1
	s_cbranch_execnz .LBB117_32
; %bb.33:
	s_or_b32 exec_lo, exec_lo, s1
.LBB117_34:
	s_delay_alu instid0(SALU_CYCLE_1) | instskip(SKIP_4) | instid1(VALU_DEP_1)
	s_or_b32 exec_lo, exec_lo, s58
	v_mov_b32_e32 v114, 0
	ds_load_b64 v[114:115], v114 offset:400
	s_wait_dscnt 0x0
	v_pk_mul_f32 v[116:117], v[112:113], v[114:115] op_sel:[1,1] op_sel_hi:[0,1]
	v_pk_fma_f32 v[118:119], v[112:113], v[114:115], v[116:117] op_sel_hi:[1,0,1]
	v_pk_fma_f32 v[112:113], v[112:113], v[114:115], v[116:117] neg_lo:[0,0,1] neg_hi:[0,0,1]
	s_delay_alu instid0(VALU_DEP_2)
	v_mov_b32_e32 v113, v119
	scratch_store_b64 off, v[112:113], off offset:400
.LBB117_35:
	s_wait_xcnt 0x0
	s_or_b32 exec_lo, exec_lo, s57
	scratch_load_b64 v[112:113], off, off offset:392
	v_cmp_lt_u32_e64 s1, 49, v0
	s_wait_loadcnt 0x0
	ds_store_b64 v1, v[112:113]
	s_wait_storecnt_dscnt 0x0
	s_barrier_signal -1
	s_barrier_wait -1
	s_wait_xcnt 0x0
	s_and_saveexec_b32 s56, s1
	s_cbranch_execz .LBB117_45
; %bb.36:
	s_and_not1_b32 vcc_lo, exec_lo, s3
	s_cbranch_vccnz .LBB117_38
; %bb.37:
	scratch_load_b64 v[112:113], v59, off
	ds_load_b64 v[114:115], v1
	s_wait_loadcnt_dscnt 0x0
	v_pk_mul_f32 v[116:117], v[114:115], v[112:113] op_sel:[1,1] op_sel_hi:[0,1]
	s_delay_alu instid0(VALU_DEP_1) | instskip(SKIP_1) | instid1(VALU_DEP_2)
	v_pk_fma_f32 v[118:119], v[114:115], v[112:113], v[116:117] op_sel_hi:[1,0,1]
	v_pk_fma_f32 v[112:113], v[114:115], v[112:113], v[116:117] neg_lo:[0,0,1] neg_hi:[0,0,1]
	v_mov_b32_e32 v113, v119
	s_cbranch_execz .LBB117_39
	s_branch .LBB117_40
.LBB117_38:
                                        ; implicit-def: $vgpr112_vgpr113
.LBB117_39:
	ds_load_b64 v[112:113], v1
.LBB117_40:
	s_and_saveexec_b32 s57, s0
	s_cbranch_execz .LBB117_44
; %bb.41:
	v_subrev_nc_u32_e32 v114, 50, v0
	s_movk_i32 s58, 0x340
	s_mov_b32 s0, 0
.LBB117_42:                             ; =>This Inner Loop Header: Depth=1
	scratch_load_b64 v[116:117], off, s55
	v_dual_mov_b32 v115, s58 :: v_dual_add_nc_u32 v114, -1, v114
	s_add_co_i32 s58, s58, 8
	s_wait_xcnt 0x0
	s_add_co_i32 s55, s55, 8
	ds_load_b64 v[118:119], v115
	v_cmp_eq_u32_e32 vcc_lo, 0, v114
	s_or_b32 s0, vcc_lo, s0
	s_wait_loadcnt_dscnt 0x0
	v_pk_mul_f32 v[120:121], v[118:119], v[116:117] op_sel:[1,1] op_sel_hi:[0,1]
	s_delay_alu instid0(VALU_DEP_1) | instskip(SKIP_1) | instid1(VALU_DEP_2)
	v_pk_fma_f32 v[122:123], v[118:119], v[116:117], v[120:121] op_sel_hi:[1,0,1]
	v_pk_fma_f32 v[116:117], v[118:119], v[116:117], v[120:121] neg_lo:[0,0,1] neg_hi:[0,0,1]
	v_mov_b32_e32 v117, v123
	s_delay_alu instid0(VALU_DEP_1)
	v_pk_add_f32 v[112:113], v[112:113], v[116:117]
	s_and_not1_b32 exec_lo, exec_lo, s0
	s_cbranch_execnz .LBB117_42
; %bb.43:
	s_or_b32 exec_lo, exec_lo, s0
.LBB117_44:
	s_delay_alu instid0(SALU_CYCLE_1) | instskip(SKIP_4) | instid1(VALU_DEP_1)
	s_or_b32 exec_lo, exec_lo, s57
	v_mov_b32_e32 v114, 0
	ds_load_b64 v[114:115], v114 offset:392
	s_wait_dscnt 0x0
	v_pk_mul_f32 v[116:117], v[112:113], v[114:115] op_sel:[1,1] op_sel_hi:[0,1]
	v_pk_fma_f32 v[118:119], v[112:113], v[114:115], v[116:117] op_sel_hi:[1,0,1]
	v_pk_fma_f32 v[112:113], v[112:113], v[114:115], v[116:117] neg_lo:[0,0,1] neg_hi:[0,0,1]
	s_delay_alu instid0(VALU_DEP_2)
	v_mov_b32_e32 v113, v119
	scratch_store_b64 off, v[112:113], off offset:392
.LBB117_45:
	s_wait_xcnt 0x0
	s_or_b32 exec_lo, exec_lo, s56
	scratch_load_b64 v[112:113], off, off offset:384
	v_cmp_lt_u32_e64 s0, 48, v0
	s_wait_loadcnt 0x0
	ds_store_b64 v1, v[112:113]
	s_wait_storecnt_dscnt 0x0
	s_barrier_signal -1
	s_barrier_wait -1
	s_wait_xcnt 0x0
	s_and_saveexec_b32 s55, s0
	s_cbranch_execz .LBB117_55
; %bb.46:
	s_and_not1_b32 vcc_lo, exec_lo, s3
	s_cbranch_vccnz .LBB117_48
; %bb.47:
	scratch_load_b64 v[112:113], v59, off
	ds_load_b64 v[114:115], v1
	s_wait_loadcnt_dscnt 0x0
	v_pk_mul_f32 v[116:117], v[114:115], v[112:113] op_sel:[1,1] op_sel_hi:[0,1]
	s_delay_alu instid0(VALU_DEP_1) | instskip(SKIP_1) | instid1(VALU_DEP_2)
	v_pk_fma_f32 v[118:119], v[114:115], v[112:113], v[116:117] op_sel_hi:[1,0,1]
	v_pk_fma_f32 v[112:113], v[114:115], v[112:113], v[116:117] neg_lo:[0,0,1] neg_hi:[0,0,1]
	v_mov_b32_e32 v113, v119
	s_cbranch_execz .LBB117_49
	s_branch .LBB117_50
.LBB117_48:
                                        ; implicit-def: $vgpr112_vgpr113
.LBB117_49:
	ds_load_b64 v[112:113], v1
.LBB117_50:
	s_and_saveexec_b32 s56, s1
	s_cbranch_execz .LBB117_54
; %bb.51:
	v_subrev_nc_u32_e32 v114, 49, v0
	s_movk_i32 s57, 0x338
	s_mov_b32 s1, 0
.LBB117_52:                             ; =>This Inner Loop Header: Depth=1
	scratch_load_b64 v[116:117], off, s54
	v_dual_mov_b32 v115, s57 :: v_dual_add_nc_u32 v114, -1, v114
	s_add_co_i32 s57, s57, 8
	s_wait_xcnt 0x0
	s_add_co_i32 s54, s54, 8
	ds_load_b64 v[118:119], v115
	v_cmp_eq_u32_e32 vcc_lo, 0, v114
	s_or_b32 s1, vcc_lo, s1
	s_wait_loadcnt_dscnt 0x0
	v_pk_mul_f32 v[120:121], v[118:119], v[116:117] op_sel:[1,1] op_sel_hi:[0,1]
	s_delay_alu instid0(VALU_DEP_1) | instskip(SKIP_1) | instid1(VALU_DEP_2)
	v_pk_fma_f32 v[122:123], v[118:119], v[116:117], v[120:121] op_sel_hi:[1,0,1]
	v_pk_fma_f32 v[116:117], v[118:119], v[116:117], v[120:121] neg_lo:[0,0,1] neg_hi:[0,0,1]
	v_mov_b32_e32 v117, v123
	s_delay_alu instid0(VALU_DEP_1)
	v_pk_add_f32 v[112:113], v[112:113], v[116:117]
	s_and_not1_b32 exec_lo, exec_lo, s1
	s_cbranch_execnz .LBB117_52
; %bb.53:
	s_or_b32 exec_lo, exec_lo, s1
.LBB117_54:
	s_delay_alu instid0(SALU_CYCLE_1) | instskip(SKIP_4) | instid1(VALU_DEP_1)
	s_or_b32 exec_lo, exec_lo, s56
	v_mov_b32_e32 v114, 0
	ds_load_b64 v[114:115], v114 offset:384
	s_wait_dscnt 0x0
	v_pk_mul_f32 v[116:117], v[112:113], v[114:115] op_sel:[1,1] op_sel_hi:[0,1]
	v_pk_fma_f32 v[118:119], v[112:113], v[114:115], v[116:117] op_sel_hi:[1,0,1]
	v_pk_fma_f32 v[112:113], v[112:113], v[114:115], v[116:117] neg_lo:[0,0,1] neg_hi:[0,0,1]
	s_delay_alu instid0(VALU_DEP_2)
	v_mov_b32_e32 v113, v119
	scratch_store_b64 off, v[112:113], off offset:384
.LBB117_55:
	s_wait_xcnt 0x0
	s_or_b32 exec_lo, exec_lo, s55
	scratch_load_b64 v[112:113], off, off offset:376
	v_cmp_lt_u32_e64 s1, 47, v0
	s_wait_loadcnt 0x0
	ds_store_b64 v1, v[112:113]
	s_wait_storecnt_dscnt 0x0
	s_barrier_signal -1
	s_barrier_wait -1
	s_wait_xcnt 0x0
	s_and_saveexec_b32 s54, s1
	s_cbranch_execz .LBB117_65
; %bb.56:
	s_and_not1_b32 vcc_lo, exec_lo, s3
	s_cbranch_vccnz .LBB117_58
; %bb.57:
	scratch_load_b64 v[112:113], v59, off
	ds_load_b64 v[114:115], v1
	s_wait_loadcnt_dscnt 0x0
	v_pk_mul_f32 v[116:117], v[114:115], v[112:113] op_sel:[1,1] op_sel_hi:[0,1]
	s_delay_alu instid0(VALU_DEP_1) | instskip(SKIP_1) | instid1(VALU_DEP_2)
	v_pk_fma_f32 v[118:119], v[114:115], v[112:113], v[116:117] op_sel_hi:[1,0,1]
	v_pk_fma_f32 v[112:113], v[114:115], v[112:113], v[116:117] neg_lo:[0,0,1] neg_hi:[0,0,1]
	v_mov_b32_e32 v113, v119
	s_cbranch_execz .LBB117_59
	s_branch .LBB117_60
.LBB117_58:
                                        ; implicit-def: $vgpr112_vgpr113
.LBB117_59:
	ds_load_b64 v[112:113], v1
.LBB117_60:
	s_and_saveexec_b32 s55, s0
	s_cbranch_execz .LBB117_64
; %bb.61:
	v_subrev_nc_u32_e32 v114, 48, v0
	s_movk_i32 s56, 0x330
	s_mov_b32 s0, 0
.LBB117_62:                             ; =>This Inner Loop Header: Depth=1
	scratch_load_b64 v[116:117], off, s53
	v_dual_mov_b32 v115, s56 :: v_dual_add_nc_u32 v114, -1, v114
	s_add_co_i32 s56, s56, 8
	s_wait_xcnt 0x0
	s_add_co_i32 s53, s53, 8
	ds_load_b64 v[118:119], v115
	v_cmp_eq_u32_e32 vcc_lo, 0, v114
	s_or_b32 s0, vcc_lo, s0
	s_wait_loadcnt_dscnt 0x0
	v_pk_mul_f32 v[120:121], v[118:119], v[116:117] op_sel:[1,1] op_sel_hi:[0,1]
	s_delay_alu instid0(VALU_DEP_1) | instskip(SKIP_1) | instid1(VALU_DEP_2)
	v_pk_fma_f32 v[122:123], v[118:119], v[116:117], v[120:121] op_sel_hi:[1,0,1]
	v_pk_fma_f32 v[116:117], v[118:119], v[116:117], v[120:121] neg_lo:[0,0,1] neg_hi:[0,0,1]
	v_mov_b32_e32 v117, v123
	s_delay_alu instid0(VALU_DEP_1)
	v_pk_add_f32 v[112:113], v[112:113], v[116:117]
	s_and_not1_b32 exec_lo, exec_lo, s0
	s_cbranch_execnz .LBB117_62
; %bb.63:
	s_or_b32 exec_lo, exec_lo, s0
.LBB117_64:
	s_delay_alu instid0(SALU_CYCLE_1) | instskip(SKIP_4) | instid1(VALU_DEP_1)
	s_or_b32 exec_lo, exec_lo, s55
	v_mov_b32_e32 v114, 0
	ds_load_b64 v[114:115], v114 offset:376
	s_wait_dscnt 0x0
	v_pk_mul_f32 v[116:117], v[112:113], v[114:115] op_sel:[1,1] op_sel_hi:[0,1]
	v_pk_fma_f32 v[118:119], v[112:113], v[114:115], v[116:117] op_sel_hi:[1,0,1]
	v_pk_fma_f32 v[112:113], v[112:113], v[114:115], v[116:117] neg_lo:[0,0,1] neg_hi:[0,0,1]
	s_delay_alu instid0(VALU_DEP_2)
	v_mov_b32_e32 v113, v119
	scratch_store_b64 off, v[112:113], off offset:376
.LBB117_65:
	s_wait_xcnt 0x0
	s_or_b32 exec_lo, exec_lo, s54
	scratch_load_b64 v[112:113], off, off offset:368
	v_cmp_lt_u32_e64 s0, 46, v0
	s_wait_loadcnt 0x0
	ds_store_b64 v1, v[112:113]
	s_wait_storecnt_dscnt 0x0
	s_barrier_signal -1
	s_barrier_wait -1
	s_wait_xcnt 0x0
	s_and_saveexec_b32 s53, s0
	s_cbranch_execz .LBB117_75
; %bb.66:
	s_and_not1_b32 vcc_lo, exec_lo, s3
	s_cbranch_vccnz .LBB117_68
; %bb.67:
	scratch_load_b64 v[112:113], v59, off
	ds_load_b64 v[114:115], v1
	s_wait_loadcnt_dscnt 0x0
	v_pk_mul_f32 v[116:117], v[114:115], v[112:113] op_sel:[1,1] op_sel_hi:[0,1]
	s_delay_alu instid0(VALU_DEP_1) | instskip(SKIP_1) | instid1(VALU_DEP_2)
	v_pk_fma_f32 v[118:119], v[114:115], v[112:113], v[116:117] op_sel_hi:[1,0,1]
	v_pk_fma_f32 v[112:113], v[114:115], v[112:113], v[116:117] neg_lo:[0,0,1] neg_hi:[0,0,1]
	v_mov_b32_e32 v113, v119
	s_cbranch_execz .LBB117_69
	s_branch .LBB117_70
.LBB117_68:
                                        ; implicit-def: $vgpr112_vgpr113
.LBB117_69:
	ds_load_b64 v[112:113], v1
.LBB117_70:
	s_and_saveexec_b32 s54, s1
	s_cbranch_execz .LBB117_74
; %bb.71:
	v_subrev_nc_u32_e32 v114, 47, v0
	s_movk_i32 s55, 0x328
	s_mov_b32 s1, 0
.LBB117_72:                             ; =>This Inner Loop Header: Depth=1
	scratch_load_b64 v[116:117], off, s52
	v_dual_mov_b32 v115, s55 :: v_dual_add_nc_u32 v114, -1, v114
	s_add_co_i32 s55, s55, 8
	s_wait_xcnt 0x0
	s_add_co_i32 s52, s52, 8
	ds_load_b64 v[118:119], v115
	v_cmp_eq_u32_e32 vcc_lo, 0, v114
	s_or_b32 s1, vcc_lo, s1
	s_wait_loadcnt_dscnt 0x0
	v_pk_mul_f32 v[120:121], v[118:119], v[116:117] op_sel:[1,1] op_sel_hi:[0,1]
	s_delay_alu instid0(VALU_DEP_1) | instskip(SKIP_1) | instid1(VALU_DEP_2)
	v_pk_fma_f32 v[122:123], v[118:119], v[116:117], v[120:121] op_sel_hi:[1,0,1]
	v_pk_fma_f32 v[116:117], v[118:119], v[116:117], v[120:121] neg_lo:[0,0,1] neg_hi:[0,0,1]
	v_mov_b32_e32 v117, v123
	s_delay_alu instid0(VALU_DEP_1)
	v_pk_add_f32 v[112:113], v[112:113], v[116:117]
	s_and_not1_b32 exec_lo, exec_lo, s1
	s_cbranch_execnz .LBB117_72
; %bb.73:
	s_or_b32 exec_lo, exec_lo, s1
.LBB117_74:
	s_delay_alu instid0(SALU_CYCLE_1) | instskip(SKIP_4) | instid1(VALU_DEP_1)
	s_or_b32 exec_lo, exec_lo, s54
	v_mov_b32_e32 v114, 0
	ds_load_b64 v[114:115], v114 offset:368
	s_wait_dscnt 0x0
	v_pk_mul_f32 v[116:117], v[112:113], v[114:115] op_sel:[1,1] op_sel_hi:[0,1]
	v_pk_fma_f32 v[118:119], v[112:113], v[114:115], v[116:117] op_sel_hi:[1,0,1]
	v_pk_fma_f32 v[112:113], v[112:113], v[114:115], v[116:117] neg_lo:[0,0,1] neg_hi:[0,0,1]
	s_delay_alu instid0(VALU_DEP_2)
	v_mov_b32_e32 v113, v119
	scratch_store_b64 off, v[112:113], off offset:368
.LBB117_75:
	s_wait_xcnt 0x0
	s_or_b32 exec_lo, exec_lo, s53
	scratch_load_b64 v[112:113], off, off offset:360
	v_cmp_lt_u32_e64 s1, 45, v0
	s_wait_loadcnt 0x0
	ds_store_b64 v1, v[112:113]
	s_wait_storecnt_dscnt 0x0
	s_barrier_signal -1
	s_barrier_wait -1
	s_wait_xcnt 0x0
	s_and_saveexec_b32 s52, s1
	s_cbranch_execz .LBB117_85
; %bb.76:
	s_and_not1_b32 vcc_lo, exec_lo, s3
	s_cbranch_vccnz .LBB117_78
; %bb.77:
	scratch_load_b64 v[112:113], v59, off
	ds_load_b64 v[114:115], v1
	s_wait_loadcnt_dscnt 0x0
	v_pk_mul_f32 v[116:117], v[114:115], v[112:113] op_sel:[1,1] op_sel_hi:[0,1]
	s_delay_alu instid0(VALU_DEP_1) | instskip(SKIP_1) | instid1(VALU_DEP_2)
	v_pk_fma_f32 v[118:119], v[114:115], v[112:113], v[116:117] op_sel_hi:[1,0,1]
	v_pk_fma_f32 v[112:113], v[114:115], v[112:113], v[116:117] neg_lo:[0,0,1] neg_hi:[0,0,1]
	v_mov_b32_e32 v113, v119
	s_cbranch_execz .LBB117_79
	s_branch .LBB117_80
.LBB117_78:
                                        ; implicit-def: $vgpr112_vgpr113
.LBB117_79:
	ds_load_b64 v[112:113], v1
.LBB117_80:
	s_and_saveexec_b32 s53, s0
	s_cbranch_execz .LBB117_84
; %bb.81:
	v_subrev_nc_u32_e32 v114, 46, v0
	s_movk_i32 s54, 0x320
	s_mov_b32 s0, 0
.LBB117_82:                             ; =>This Inner Loop Header: Depth=1
	scratch_load_b64 v[116:117], off, s51
	v_dual_mov_b32 v115, s54 :: v_dual_add_nc_u32 v114, -1, v114
	s_add_co_i32 s54, s54, 8
	s_wait_xcnt 0x0
	s_add_co_i32 s51, s51, 8
	ds_load_b64 v[118:119], v115
	v_cmp_eq_u32_e32 vcc_lo, 0, v114
	s_or_b32 s0, vcc_lo, s0
	s_wait_loadcnt_dscnt 0x0
	v_pk_mul_f32 v[120:121], v[118:119], v[116:117] op_sel:[1,1] op_sel_hi:[0,1]
	s_delay_alu instid0(VALU_DEP_1) | instskip(SKIP_1) | instid1(VALU_DEP_2)
	v_pk_fma_f32 v[122:123], v[118:119], v[116:117], v[120:121] op_sel_hi:[1,0,1]
	v_pk_fma_f32 v[116:117], v[118:119], v[116:117], v[120:121] neg_lo:[0,0,1] neg_hi:[0,0,1]
	v_mov_b32_e32 v117, v123
	s_delay_alu instid0(VALU_DEP_1)
	v_pk_add_f32 v[112:113], v[112:113], v[116:117]
	s_and_not1_b32 exec_lo, exec_lo, s0
	s_cbranch_execnz .LBB117_82
; %bb.83:
	s_or_b32 exec_lo, exec_lo, s0
.LBB117_84:
	s_delay_alu instid0(SALU_CYCLE_1) | instskip(SKIP_4) | instid1(VALU_DEP_1)
	s_or_b32 exec_lo, exec_lo, s53
	v_mov_b32_e32 v114, 0
	ds_load_b64 v[114:115], v114 offset:360
	s_wait_dscnt 0x0
	v_pk_mul_f32 v[116:117], v[112:113], v[114:115] op_sel:[1,1] op_sel_hi:[0,1]
	v_pk_fma_f32 v[118:119], v[112:113], v[114:115], v[116:117] op_sel_hi:[1,0,1]
	v_pk_fma_f32 v[112:113], v[112:113], v[114:115], v[116:117] neg_lo:[0,0,1] neg_hi:[0,0,1]
	s_delay_alu instid0(VALU_DEP_2)
	v_mov_b32_e32 v113, v119
	scratch_store_b64 off, v[112:113], off offset:360
.LBB117_85:
	s_wait_xcnt 0x0
	s_or_b32 exec_lo, exec_lo, s52
	scratch_load_b64 v[112:113], off, off offset:352
	v_cmp_lt_u32_e64 s0, 44, v0
	s_wait_loadcnt 0x0
	ds_store_b64 v1, v[112:113]
	s_wait_storecnt_dscnt 0x0
	s_barrier_signal -1
	s_barrier_wait -1
	s_wait_xcnt 0x0
	s_and_saveexec_b32 s51, s0
	s_cbranch_execz .LBB117_95
; %bb.86:
	s_and_not1_b32 vcc_lo, exec_lo, s3
	s_cbranch_vccnz .LBB117_88
; %bb.87:
	scratch_load_b64 v[112:113], v59, off
	ds_load_b64 v[114:115], v1
	s_wait_loadcnt_dscnt 0x0
	v_pk_mul_f32 v[116:117], v[114:115], v[112:113] op_sel:[1,1] op_sel_hi:[0,1]
	s_delay_alu instid0(VALU_DEP_1) | instskip(SKIP_1) | instid1(VALU_DEP_2)
	v_pk_fma_f32 v[118:119], v[114:115], v[112:113], v[116:117] op_sel_hi:[1,0,1]
	v_pk_fma_f32 v[112:113], v[114:115], v[112:113], v[116:117] neg_lo:[0,0,1] neg_hi:[0,0,1]
	v_mov_b32_e32 v113, v119
	s_cbranch_execz .LBB117_89
	s_branch .LBB117_90
.LBB117_88:
                                        ; implicit-def: $vgpr112_vgpr113
.LBB117_89:
	ds_load_b64 v[112:113], v1
.LBB117_90:
	s_and_saveexec_b32 s52, s1
	s_cbranch_execz .LBB117_94
; %bb.91:
	v_subrev_nc_u32_e32 v114, 45, v0
	s_movk_i32 s53, 0x318
	s_mov_b32 s1, 0
.LBB117_92:                             ; =>This Inner Loop Header: Depth=1
	scratch_load_b64 v[116:117], off, s50
	v_dual_mov_b32 v115, s53 :: v_dual_add_nc_u32 v114, -1, v114
	s_add_co_i32 s53, s53, 8
	s_wait_xcnt 0x0
	s_add_co_i32 s50, s50, 8
	ds_load_b64 v[118:119], v115
	v_cmp_eq_u32_e32 vcc_lo, 0, v114
	s_or_b32 s1, vcc_lo, s1
	s_wait_loadcnt_dscnt 0x0
	v_pk_mul_f32 v[120:121], v[118:119], v[116:117] op_sel:[1,1] op_sel_hi:[0,1]
	s_delay_alu instid0(VALU_DEP_1) | instskip(SKIP_1) | instid1(VALU_DEP_2)
	v_pk_fma_f32 v[122:123], v[118:119], v[116:117], v[120:121] op_sel_hi:[1,0,1]
	v_pk_fma_f32 v[116:117], v[118:119], v[116:117], v[120:121] neg_lo:[0,0,1] neg_hi:[0,0,1]
	v_mov_b32_e32 v117, v123
	s_delay_alu instid0(VALU_DEP_1)
	v_pk_add_f32 v[112:113], v[112:113], v[116:117]
	s_and_not1_b32 exec_lo, exec_lo, s1
	s_cbranch_execnz .LBB117_92
; %bb.93:
	s_or_b32 exec_lo, exec_lo, s1
.LBB117_94:
	s_delay_alu instid0(SALU_CYCLE_1) | instskip(SKIP_4) | instid1(VALU_DEP_1)
	s_or_b32 exec_lo, exec_lo, s52
	v_mov_b32_e32 v114, 0
	ds_load_b64 v[114:115], v114 offset:352
	s_wait_dscnt 0x0
	v_pk_mul_f32 v[116:117], v[112:113], v[114:115] op_sel:[1,1] op_sel_hi:[0,1]
	v_pk_fma_f32 v[118:119], v[112:113], v[114:115], v[116:117] op_sel_hi:[1,0,1]
	v_pk_fma_f32 v[112:113], v[112:113], v[114:115], v[116:117] neg_lo:[0,0,1] neg_hi:[0,0,1]
	s_delay_alu instid0(VALU_DEP_2)
	v_mov_b32_e32 v113, v119
	scratch_store_b64 off, v[112:113], off offset:352
.LBB117_95:
	s_wait_xcnt 0x0
	s_or_b32 exec_lo, exec_lo, s51
	scratch_load_b64 v[112:113], off, off offset:344
	v_cmp_lt_u32_e64 s1, 43, v0
	s_wait_loadcnt 0x0
	ds_store_b64 v1, v[112:113]
	s_wait_storecnt_dscnt 0x0
	s_barrier_signal -1
	s_barrier_wait -1
	s_wait_xcnt 0x0
	s_and_saveexec_b32 s50, s1
	s_cbranch_execz .LBB117_105
; %bb.96:
	s_and_not1_b32 vcc_lo, exec_lo, s3
	s_cbranch_vccnz .LBB117_98
; %bb.97:
	scratch_load_b64 v[112:113], v59, off
	ds_load_b64 v[114:115], v1
	s_wait_loadcnt_dscnt 0x0
	v_pk_mul_f32 v[116:117], v[114:115], v[112:113] op_sel:[1,1] op_sel_hi:[0,1]
	s_delay_alu instid0(VALU_DEP_1) | instskip(SKIP_1) | instid1(VALU_DEP_2)
	v_pk_fma_f32 v[118:119], v[114:115], v[112:113], v[116:117] op_sel_hi:[1,0,1]
	v_pk_fma_f32 v[112:113], v[114:115], v[112:113], v[116:117] neg_lo:[0,0,1] neg_hi:[0,0,1]
	v_mov_b32_e32 v113, v119
	s_cbranch_execz .LBB117_99
	s_branch .LBB117_100
.LBB117_98:
                                        ; implicit-def: $vgpr112_vgpr113
.LBB117_99:
	ds_load_b64 v[112:113], v1
.LBB117_100:
	s_and_saveexec_b32 s51, s0
	s_cbranch_execz .LBB117_104
; %bb.101:
	v_subrev_nc_u32_e32 v114, 44, v0
	s_movk_i32 s52, 0x310
	s_mov_b32 s0, 0
.LBB117_102:                            ; =>This Inner Loop Header: Depth=1
	scratch_load_b64 v[116:117], off, s49
	v_dual_mov_b32 v115, s52 :: v_dual_add_nc_u32 v114, -1, v114
	s_add_co_i32 s52, s52, 8
	s_wait_xcnt 0x0
	s_add_co_i32 s49, s49, 8
	ds_load_b64 v[118:119], v115
	v_cmp_eq_u32_e32 vcc_lo, 0, v114
	s_or_b32 s0, vcc_lo, s0
	s_wait_loadcnt_dscnt 0x0
	v_pk_mul_f32 v[120:121], v[118:119], v[116:117] op_sel:[1,1] op_sel_hi:[0,1]
	s_delay_alu instid0(VALU_DEP_1) | instskip(SKIP_1) | instid1(VALU_DEP_2)
	v_pk_fma_f32 v[122:123], v[118:119], v[116:117], v[120:121] op_sel_hi:[1,0,1]
	v_pk_fma_f32 v[116:117], v[118:119], v[116:117], v[120:121] neg_lo:[0,0,1] neg_hi:[0,0,1]
	v_mov_b32_e32 v117, v123
	s_delay_alu instid0(VALU_DEP_1)
	v_pk_add_f32 v[112:113], v[112:113], v[116:117]
	s_and_not1_b32 exec_lo, exec_lo, s0
	s_cbranch_execnz .LBB117_102
; %bb.103:
	s_or_b32 exec_lo, exec_lo, s0
.LBB117_104:
	s_delay_alu instid0(SALU_CYCLE_1) | instskip(SKIP_4) | instid1(VALU_DEP_1)
	s_or_b32 exec_lo, exec_lo, s51
	v_mov_b32_e32 v114, 0
	ds_load_b64 v[114:115], v114 offset:344
	s_wait_dscnt 0x0
	v_pk_mul_f32 v[116:117], v[112:113], v[114:115] op_sel:[1,1] op_sel_hi:[0,1]
	v_pk_fma_f32 v[118:119], v[112:113], v[114:115], v[116:117] op_sel_hi:[1,0,1]
	v_pk_fma_f32 v[112:113], v[112:113], v[114:115], v[116:117] neg_lo:[0,0,1] neg_hi:[0,0,1]
	s_delay_alu instid0(VALU_DEP_2)
	v_mov_b32_e32 v113, v119
	scratch_store_b64 off, v[112:113], off offset:344
.LBB117_105:
	s_wait_xcnt 0x0
	s_or_b32 exec_lo, exec_lo, s50
	scratch_load_b64 v[112:113], off, off offset:336
	v_cmp_lt_u32_e64 s0, 42, v0
	s_wait_loadcnt 0x0
	ds_store_b64 v1, v[112:113]
	s_wait_storecnt_dscnt 0x0
	s_barrier_signal -1
	s_barrier_wait -1
	s_wait_xcnt 0x0
	s_and_saveexec_b32 s49, s0
	s_cbranch_execz .LBB117_115
; %bb.106:
	s_and_not1_b32 vcc_lo, exec_lo, s3
	s_cbranch_vccnz .LBB117_108
; %bb.107:
	scratch_load_b64 v[112:113], v59, off
	ds_load_b64 v[114:115], v1
	s_wait_loadcnt_dscnt 0x0
	v_pk_mul_f32 v[116:117], v[114:115], v[112:113] op_sel:[1,1] op_sel_hi:[0,1]
	s_delay_alu instid0(VALU_DEP_1) | instskip(SKIP_1) | instid1(VALU_DEP_2)
	v_pk_fma_f32 v[118:119], v[114:115], v[112:113], v[116:117] op_sel_hi:[1,0,1]
	v_pk_fma_f32 v[112:113], v[114:115], v[112:113], v[116:117] neg_lo:[0,0,1] neg_hi:[0,0,1]
	v_mov_b32_e32 v113, v119
	s_cbranch_execz .LBB117_109
	s_branch .LBB117_110
.LBB117_108:
                                        ; implicit-def: $vgpr112_vgpr113
.LBB117_109:
	ds_load_b64 v[112:113], v1
.LBB117_110:
	s_and_saveexec_b32 s50, s1
	s_cbranch_execz .LBB117_114
; %bb.111:
	v_subrev_nc_u32_e32 v114, 43, v0
	s_movk_i32 s51, 0x308
	s_mov_b32 s1, 0
.LBB117_112:                            ; =>This Inner Loop Header: Depth=1
	scratch_load_b64 v[116:117], off, s48
	v_dual_mov_b32 v115, s51 :: v_dual_add_nc_u32 v114, -1, v114
	s_add_co_i32 s51, s51, 8
	s_wait_xcnt 0x0
	s_add_co_i32 s48, s48, 8
	ds_load_b64 v[118:119], v115
	v_cmp_eq_u32_e32 vcc_lo, 0, v114
	s_or_b32 s1, vcc_lo, s1
	s_wait_loadcnt_dscnt 0x0
	v_pk_mul_f32 v[120:121], v[118:119], v[116:117] op_sel:[1,1] op_sel_hi:[0,1]
	s_delay_alu instid0(VALU_DEP_1) | instskip(SKIP_1) | instid1(VALU_DEP_2)
	v_pk_fma_f32 v[122:123], v[118:119], v[116:117], v[120:121] op_sel_hi:[1,0,1]
	v_pk_fma_f32 v[116:117], v[118:119], v[116:117], v[120:121] neg_lo:[0,0,1] neg_hi:[0,0,1]
	v_mov_b32_e32 v117, v123
	s_delay_alu instid0(VALU_DEP_1)
	v_pk_add_f32 v[112:113], v[112:113], v[116:117]
	s_and_not1_b32 exec_lo, exec_lo, s1
	s_cbranch_execnz .LBB117_112
; %bb.113:
	s_or_b32 exec_lo, exec_lo, s1
.LBB117_114:
	s_delay_alu instid0(SALU_CYCLE_1) | instskip(SKIP_4) | instid1(VALU_DEP_1)
	s_or_b32 exec_lo, exec_lo, s50
	v_mov_b32_e32 v114, 0
	ds_load_b64 v[114:115], v114 offset:336
	s_wait_dscnt 0x0
	v_pk_mul_f32 v[116:117], v[112:113], v[114:115] op_sel:[1,1] op_sel_hi:[0,1]
	v_pk_fma_f32 v[118:119], v[112:113], v[114:115], v[116:117] op_sel_hi:[1,0,1]
	v_pk_fma_f32 v[112:113], v[112:113], v[114:115], v[116:117] neg_lo:[0,0,1] neg_hi:[0,0,1]
	s_delay_alu instid0(VALU_DEP_2)
	v_mov_b32_e32 v113, v119
	scratch_store_b64 off, v[112:113], off offset:336
.LBB117_115:
	s_wait_xcnt 0x0
	s_or_b32 exec_lo, exec_lo, s49
	scratch_load_b64 v[112:113], off, off offset:328
	v_cmp_lt_u32_e64 s1, 41, v0
	s_wait_loadcnt 0x0
	ds_store_b64 v1, v[112:113]
	s_wait_storecnt_dscnt 0x0
	s_barrier_signal -1
	s_barrier_wait -1
	s_wait_xcnt 0x0
	s_and_saveexec_b32 s48, s1
	s_cbranch_execz .LBB117_125
; %bb.116:
	s_and_not1_b32 vcc_lo, exec_lo, s3
	s_cbranch_vccnz .LBB117_118
; %bb.117:
	scratch_load_b64 v[112:113], v59, off
	ds_load_b64 v[114:115], v1
	s_wait_loadcnt_dscnt 0x0
	v_pk_mul_f32 v[116:117], v[114:115], v[112:113] op_sel:[1,1] op_sel_hi:[0,1]
	s_delay_alu instid0(VALU_DEP_1) | instskip(SKIP_1) | instid1(VALU_DEP_2)
	v_pk_fma_f32 v[118:119], v[114:115], v[112:113], v[116:117] op_sel_hi:[1,0,1]
	v_pk_fma_f32 v[112:113], v[114:115], v[112:113], v[116:117] neg_lo:[0,0,1] neg_hi:[0,0,1]
	v_mov_b32_e32 v113, v119
	s_cbranch_execz .LBB117_119
	s_branch .LBB117_120
.LBB117_118:
                                        ; implicit-def: $vgpr112_vgpr113
.LBB117_119:
	ds_load_b64 v[112:113], v1
.LBB117_120:
	s_and_saveexec_b32 s49, s0
	s_cbranch_execz .LBB117_124
; %bb.121:
	v_subrev_nc_u32_e32 v114, 42, v0
	s_movk_i32 s50, 0x300
	s_mov_b32 s0, 0
.LBB117_122:                            ; =>This Inner Loop Header: Depth=1
	scratch_load_b64 v[116:117], off, s47
	v_dual_mov_b32 v115, s50 :: v_dual_add_nc_u32 v114, -1, v114
	s_add_co_i32 s50, s50, 8
	s_wait_xcnt 0x0
	s_add_co_i32 s47, s47, 8
	ds_load_b64 v[118:119], v115
	v_cmp_eq_u32_e32 vcc_lo, 0, v114
	s_or_b32 s0, vcc_lo, s0
	s_wait_loadcnt_dscnt 0x0
	v_pk_mul_f32 v[120:121], v[118:119], v[116:117] op_sel:[1,1] op_sel_hi:[0,1]
	s_delay_alu instid0(VALU_DEP_1) | instskip(SKIP_1) | instid1(VALU_DEP_2)
	v_pk_fma_f32 v[122:123], v[118:119], v[116:117], v[120:121] op_sel_hi:[1,0,1]
	v_pk_fma_f32 v[116:117], v[118:119], v[116:117], v[120:121] neg_lo:[0,0,1] neg_hi:[0,0,1]
	v_mov_b32_e32 v117, v123
	s_delay_alu instid0(VALU_DEP_1)
	v_pk_add_f32 v[112:113], v[112:113], v[116:117]
	s_and_not1_b32 exec_lo, exec_lo, s0
	s_cbranch_execnz .LBB117_122
; %bb.123:
	s_or_b32 exec_lo, exec_lo, s0
.LBB117_124:
	s_delay_alu instid0(SALU_CYCLE_1) | instskip(SKIP_4) | instid1(VALU_DEP_1)
	s_or_b32 exec_lo, exec_lo, s49
	v_mov_b32_e32 v114, 0
	ds_load_b64 v[114:115], v114 offset:328
	s_wait_dscnt 0x0
	v_pk_mul_f32 v[116:117], v[112:113], v[114:115] op_sel:[1,1] op_sel_hi:[0,1]
	v_pk_fma_f32 v[118:119], v[112:113], v[114:115], v[116:117] op_sel_hi:[1,0,1]
	v_pk_fma_f32 v[112:113], v[112:113], v[114:115], v[116:117] neg_lo:[0,0,1] neg_hi:[0,0,1]
	s_delay_alu instid0(VALU_DEP_2)
	v_mov_b32_e32 v113, v119
	scratch_store_b64 off, v[112:113], off offset:328
.LBB117_125:
	s_wait_xcnt 0x0
	s_or_b32 exec_lo, exec_lo, s48
	scratch_load_b64 v[112:113], off, off offset:320
	v_cmp_lt_u32_e64 s0, 40, v0
	s_wait_loadcnt 0x0
	ds_store_b64 v1, v[112:113]
	s_wait_storecnt_dscnt 0x0
	s_barrier_signal -1
	s_barrier_wait -1
	s_wait_xcnt 0x0
	s_and_saveexec_b32 s47, s0
	s_cbranch_execz .LBB117_135
; %bb.126:
	s_and_not1_b32 vcc_lo, exec_lo, s3
	s_cbranch_vccnz .LBB117_128
; %bb.127:
	scratch_load_b64 v[112:113], v59, off
	ds_load_b64 v[114:115], v1
	s_wait_loadcnt_dscnt 0x0
	v_pk_mul_f32 v[116:117], v[114:115], v[112:113] op_sel:[1,1] op_sel_hi:[0,1]
	s_delay_alu instid0(VALU_DEP_1) | instskip(SKIP_1) | instid1(VALU_DEP_2)
	v_pk_fma_f32 v[118:119], v[114:115], v[112:113], v[116:117] op_sel_hi:[1,0,1]
	v_pk_fma_f32 v[112:113], v[114:115], v[112:113], v[116:117] neg_lo:[0,0,1] neg_hi:[0,0,1]
	v_mov_b32_e32 v113, v119
	s_cbranch_execz .LBB117_129
	s_branch .LBB117_130
.LBB117_128:
                                        ; implicit-def: $vgpr112_vgpr113
.LBB117_129:
	ds_load_b64 v[112:113], v1
.LBB117_130:
	s_and_saveexec_b32 s48, s1
	s_cbranch_execz .LBB117_134
; %bb.131:
	v_subrev_nc_u32_e32 v114, 41, v0
	s_movk_i32 s49, 0x2f8
	s_mov_b32 s1, 0
.LBB117_132:                            ; =>This Inner Loop Header: Depth=1
	scratch_load_b64 v[116:117], off, s46
	v_dual_mov_b32 v115, s49 :: v_dual_add_nc_u32 v114, -1, v114
	s_add_co_i32 s49, s49, 8
	s_wait_xcnt 0x0
	s_add_co_i32 s46, s46, 8
	ds_load_b64 v[118:119], v115
	v_cmp_eq_u32_e32 vcc_lo, 0, v114
	s_or_b32 s1, vcc_lo, s1
	s_wait_loadcnt_dscnt 0x0
	v_pk_mul_f32 v[120:121], v[118:119], v[116:117] op_sel:[1,1] op_sel_hi:[0,1]
	s_delay_alu instid0(VALU_DEP_1) | instskip(SKIP_1) | instid1(VALU_DEP_2)
	v_pk_fma_f32 v[122:123], v[118:119], v[116:117], v[120:121] op_sel_hi:[1,0,1]
	v_pk_fma_f32 v[116:117], v[118:119], v[116:117], v[120:121] neg_lo:[0,0,1] neg_hi:[0,0,1]
	v_mov_b32_e32 v117, v123
	s_delay_alu instid0(VALU_DEP_1)
	v_pk_add_f32 v[112:113], v[112:113], v[116:117]
	s_and_not1_b32 exec_lo, exec_lo, s1
	s_cbranch_execnz .LBB117_132
; %bb.133:
	s_or_b32 exec_lo, exec_lo, s1
.LBB117_134:
	s_delay_alu instid0(SALU_CYCLE_1) | instskip(SKIP_4) | instid1(VALU_DEP_1)
	s_or_b32 exec_lo, exec_lo, s48
	v_mov_b32_e32 v114, 0
	ds_load_b64 v[114:115], v114 offset:320
	s_wait_dscnt 0x0
	v_pk_mul_f32 v[116:117], v[112:113], v[114:115] op_sel:[1,1] op_sel_hi:[0,1]
	v_pk_fma_f32 v[118:119], v[112:113], v[114:115], v[116:117] op_sel_hi:[1,0,1]
	v_pk_fma_f32 v[112:113], v[112:113], v[114:115], v[116:117] neg_lo:[0,0,1] neg_hi:[0,0,1]
	s_delay_alu instid0(VALU_DEP_2)
	v_mov_b32_e32 v113, v119
	scratch_store_b64 off, v[112:113], off offset:320
.LBB117_135:
	s_wait_xcnt 0x0
	s_or_b32 exec_lo, exec_lo, s47
	scratch_load_b64 v[112:113], off, off offset:312
	v_cmp_lt_u32_e64 s1, 39, v0
	s_wait_loadcnt 0x0
	ds_store_b64 v1, v[112:113]
	s_wait_storecnt_dscnt 0x0
	s_barrier_signal -1
	s_barrier_wait -1
	s_wait_xcnt 0x0
	s_and_saveexec_b32 s46, s1
	s_cbranch_execz .LBB117_145
; %bb.136:
	s_and_not1_b32 vcc_lo, exec_lo, s3
	s_cbranch_vccnz .LBB117_138
; %bb.137:
	scratch_load_b64 v[112:113], v59, off
	ds_load_b64 v[114:115], v1
	s_wait_loadcnt_dscnt 0x0
	v_pk_mul_f32 v[116:117], v[114:115], v[112:113] op_sel:[1,1] op_sel_hi:[0,1]
	s_delay_alu instid0(VALU_DEP_1) | instskip(SKIP_1) | instid1(VALU_DEP_2)
	v_pk_fma_f32 v[118:119], v[114:115], v[112:113], v[116:117] op_sel_hi:[1,0,1]
	v_pk_fma_f32 v[112:113], v[114:115], v[112:113], v[116:117] neg_lo:[0,0,1] neg_hi:[0,0,1]
	v_mov_b32_e32 v113, v119
	s_cbranch_execz .LBB117_139
	s_branch .LBB117_140
.LBB117_138:
                                        ; implicit-def: $vgpr112_vgpr113
.LBB117_139:
	ds_load_b64 v[112:113], v1
.LBB117_140:
	s_and_saveexec_b32 s47, s0
	s_cbranch_execz .LBB117_144
; %bb.141:
	v_subrev_nc_u32_e32 v114, 40, v0
	s_movk_i32 s48, 0x2f0
	s_mov_b32 s0, 0
.LBB117_142:                            ; =>This Inner Loop Header: Depth=1
	scratch_load_b64 v[116:117], off, s45
	v_dual_mov_b32 v115, s48 :: v_dual_add_nc_u32 v114, -1, v114
	s_add_co_i32 s48, s48, 8
	s_wait_xcnt 0x0
	s_add_co_i32 s45, s45, 8
	ds_load_b64 v[118:119], v115
	v_cmp_eq_u32_e32 vcc_lo, 0, v114
	s_or_b32 s0, vcc_lo, s0
	s_wait_loadcnt_dscnt 0x0
	v_pk_mul_f32 v[120:121], v[118:119], v[116:117] op_sel:[1,1] op_sel_hi:[0,1]
	s_delay_alu instid0(VALU_DEP_1) | instskip(SKIP_1) | instid1(VALU_DEP_2)
	v_pk_fma_f32 v[122:123], v[118:119], v[116:117], v[120:121] op_sel_hi:[1,0,1]
	v_pk_fma_f32 v[116:117], v[118:119], v[116:117], v[120:121] neg_lo:[0,0,1] neg_hi:[0,0,1]
	v_mov_b32_e32 v117, v123
	s_delay_alu instid0(VALU_DEP_1)
	v_pk_add_f32 v[112:113], v[112:113], v[116:117]
	s_and_not1_b32 exec_lo, exec_lo, s0
	s_cbranch_execnz .LBB117_142
; %bb.143:
	s_or_b32 exec_lo, exec_lo, s0
.LBB117_144:
	s_delay_alu instid0(SALU_CYCLE_1) | instskip(SKIP_4) | instid1(VALU_DEP_1)
	s_or_b32 exec_lo, exec_lo, s47
	v_mov_b32_e32 v114, 0
	ds_load_b64 v[114:115], v114 offset:312
	s_wait_dscnt 0x0
	v_pk_mul_f32 v[116:117], v[112:113], v[114:115] op_sel:[1,1] op_sel_hi:[0,1]
	v_pk_fma_f32 v[118:119], v[112:113], v[114:115], v[116:117] op_sel_hi:[1,0,1]
	v_pk_fma_f32 v[112:113], v[112:113], v[114:115], v[116:117] neg_lo:[0,0,1] neg_hi:[0,0,1]
	s_delay_alu instid0(VALU_DEP_2)
	v_mov_b32_e32 v113, v119
	scratch_store_b64 off, v[112:113], off offset:312
.LBB117_145:
	s_wait_xcnt 0x0
	s_or_b32 exec_lo, exec_lo, s46
	scratch_load_b64 v[112:113], off, off offset:304
	v_cmp_lt_u32_e64 s0, 38, v0
	s_wait_loadcnt 0x0
	ds_store_b64 v1, v[112:113]
	s_wait_storecnt_dscnt 0x0
	s_barrier_signal -1
	s_barrier_wait -1
	s_wait_xcnt 0x0
	s_and_saveexec_b32 s45, s0
	s_cbranch_execz .LBB117_155
; %bb.146:
	s_and_not1_b32 vcc_lo, exec_lo, s3
	s_cbranch_vccnz .LBB117_148
; %bb.147:
	scratch_load_b64 v[112:113], v59, off
	ds_load_b64 v[114:115], v1
	s_wait_loadcnt_dscnt 0x0
	v_pk_mul_f32 v[116:117], v[114:115], v[112:113] op_sel:[1,1] op_sel_hi:[0,1]
	s_delay_alu instid0(VALU_DEP_1) | instskip(SKIP_1) | instid1(VALU_DEP_2)
	v_pk_fma_f32 v[118:119], v[114:115], v[112:113], v[116:117] op_sel_hi:[1,0,1]
	v_pk_fma_f32 v[112:113], v[114:115], v[112:113], v[116:117] neg_lo:[0,0,1] neg_hi:[0,0,1]
	v_mov_b32_e32 v113, v119
	s_cbranch_execz .LBB117_149
	s_branch .LBB117_150
.LBB117_148:
                                        ; implicit-def: $vgpr112_vgpr113
.LBB117_149:
	ds_load_b64 v[112:113], v1
.LBB117_150:
	s_and_saveexec_b32 s46, s1
	s_cbranch_execz .LBB117_154
; %bb.151:
	v_subrev_nc_u32_e32 v114, 39, v0
	s_movk_i32 s47, 0x2e8
	s_mov_b32 s1, 0
.LBB117_152:                            ; =>This Inner Loop Header: Depth=1
	scratch_load_b64 v[116:117], off, s44
	v_dual_mov_b32 v115, s47 :: v_dual_add_nc_u32 v114, -1, v114
	s_add_co_i32 s47, s47, 8
	s_wait_xcnt 0x0
	s_add_co_i32 s44, s44, 8
	ds_load_b64 v[118:119], v115
	v_cmp_eq_u32_e32 vcc_lo, 0, v114
	s_or_b32 s1, vcc_lo, s1
	s_wait_loadcnt_dscnt 0x0
	v_pk_mul_f32 v[120:121], v[118:119], v[116:117] op_sel:[1,1] op_sel_hi:[0,1]
	s_delay_alu instid0(VALU_DEP_1) | instskip(SKIP_1) | instid1(VALU_DEP_2)
	v_pk_fma_f32 v[122:123], v[118:119], v[116:117], v[120:121] op_sel_hi:[1,0,1]
	v_pk_fma_f32 v[116:117], v[118:119], v[116:117], v[120:121] neg_lo:[0,0,1] neg_hi:[0,0,1]
	v_mov_b32_e32 v117, v123
	s_delay_alu instid0(VALU_DEP_1)
	v_pk_add_f32 v[112:113], v[112:113], v[116:117]
	s_and_not1_b32 exec_lo, exec_lo, s1
	s_cbranch_execnz .LBB117_152
; %bb.153:
	s_or_b32 exec_lo, exec_lo, s1
.LBB117_154:
	s_delay_alu instid0(SALU_CYCLE_1) | instskip(SKIP_4) | instid1(VALU_DEP_1)
	s_or_b32 exec_lo, exec_lo, s46
	v_mov_b32_e32 v114, 0
	ds_load_b64 v[114:115], v114 offset:304
	s_wait_dscnt 0x0
	v_pk_mul_f32 v[116:117], v[112:113], v[114:115] op_sel:[1,1] op_sel_hi:[0,1]
	v_pk_fma_f32 v[118:119], v[112:113], v[114:115], v[116:117] op_sel_hi:[1,0,1]
	v_pk_fma_f32 v[112:113], v[112:113], v[114:115], v[116:117] neg_lo:[0,0,1] neg_hi:[0,0,1]
	s_delay_alu instid0(VALU_DEP_2)
	v_mov_b32_e32 v113, v119
	scratch_store_b64 off, v[112:113], off offset:304
.LBB117_155:
	s_wait_xcnt 0x0
	s_or_b32 exec_lo, exec_lo, s45
	scratch_load_b64 v[112:113], off, off offset:296
	v_cmp_lt_u32_e64 s1, 37, v0
	s_wait_loadcnt 0x0
	ds_store_b64 v1, v[112:113]
	s_wait_storecnt_dscnt 0x0
	s_barrier_signal -1
	s_barrier_wait -1
	s_wait_xcnt 0x0
	s_and_saveexec_b32 s44, s1
	s_cbranch_execz .LBB117_165
; %bb.156:
	s_and_not1_b32 vcc_lo, exec_lo, s3
	s_cbranch_vccnz .LBB117_158
; %bb.157:
	scratch_load_b64 v[112:113], v59, off
	ds_load_b64 v[114:115], v1
	s_wait_loadcnt_dscnt 0x0
	v_pk_mul_f32 v[116:117], v[114:115], v[112:113] op_sel:[1,1] op_sel_hi:[0,1]
	s_delay_alu instid0(VALU_DEP_1) | instskip(SKIP_1) | instid1(VALU_DEP_2)
	v_pk_fma_f32 v[118:119], v[114:115], v[112:113], v[116:117] op_sel_hi:[1,0,1]
	v_pk_fma_f32 v[112:113], v[114:115], v[112:113], v[116:117] neg_lo:[0,0,1] neg_hi:[0,0,1]
	v_mov_b32_e32 v113, v119
	s_cbranch_execz .LBB117_159
	s_branch .LBB117_160
.LBB117_158:
                                        ; implicit-def: $vgpr112_vgpr113
.LBB117_159:
	ds_load_b64 v[112:113], v1
.LBB117_160:
	s_and_saveexec_b32 s45, s0
	s_cbranch_execz .LBB117_164
; %bb.161:
	v_subrev_nc_u32_e32 v114, 38, v0
	s_movk_i32 s46, 0x2e0
	s_mov_b32 s0, 0
.LBB117_162:                            ; =>This Inner Loop Header: Depth=1
	scratch_load_b64 v[116:117], off, s43
	v_dual_mov_b32 v115, s46 :: v_dual_add_nc_u32 v114, -1, v114
	s_add_co_i32 s46, s46, 8
	s_wait_xcnt 0x0
	s_add_co_i32 s43, s43, 8
	ds_load_b64 v[118:119], v115
	v_cmp_eq_u32_e32 vcc_lo, 0, v114
	s_or_b32 s0, vcc_lo, s0
	s_wait_loadcnt_dscnt 0x0
	v_pk_mul_f32 v[120:121], v[118:119], v[116:117] op_sel:[1,1] op_sel_hi:[0,1]
	s_delay_alu instid0(VALU_DEP_1) | instskip(SKIP_1) | instid1(VALU_DEP_2)
	v_pk_fma_f32 v[122:123], v[118:119], v[116:117], v[120:121] op_sel_hi:[1,0,1]
	v_pk_fma_f32 v[116:117], v[118:119], v[116:117], v[120:121] neg_lo:[0,0,1] neg_hi:[0,0,1]
	v_mov_b32_e32 v117, v123
	s_delay_alu instid0(VALU_DEP_1)
	v_pk_add_f32 v[112:113], v[112:113], v[116:117]
	s_and_not1_b32 exec_lo, exec_lo, s0
	s_cbranch_execnz .LBB117_162
; %bb.163:
	s_or_b32 exec_lo, exec_lo, s0
.LBB117_164:
	s_delay_alu instid0(SALU_CYCLE_1) | instskip(SKIP_4) | instid1(VALU_DEP_1)
	s_or_b32 exec_lo, exec_lo, s45
	v_mov_b32_e32 v114, 0
	ds_load_b64 v[114:115], v114 offset:296
	s_wait_dscnt 0x0
	v_pk_mul_f32 v[116:117], v[112:113], v[114:115] op_sel:[1,1] op_sel_hi:[0,1]
	v_pk_fma_f32 v[118:119], v[112:113], v[114:115], v[116:117] op_sel_hi:[1,0,1]
	v_pk_fma_f32 v[112:113], v[112:113], v[114:115], v[116:117] neg_lo:[0,0,1] neg_hi:[0,0,1]
	s_delay_alu instid0(VALU_DEP_2)
	v_mov_b32_e32 v113, v119
	scratch_store_b64 off, v[112:113], off offset:296
.LBB117_165:
	s_wait_xcnt 0x0
	s_or_b32 exec_lo, exec_lo, s44
	scratch_load_b64 v[112:113], off, off offset:288
	v_cmp_lt_u32_e64 s0, 36, v0
	s_wait_loadcnt 0x0
	ds_store_b64 v1, v[112:113]
	s_wait_storecnt_dscnt 0x0
	s_barrier_signal -1
	s_barrier_wait -1
	s_wait_xcnt 0x0
	s_and_saveexec_b32 s43, s0
	s_cbranch_execz .LBB117_175
; %bb.166:
	s_and_not1_b32 vcc_lo, exec_lo, s3
	s_cbranch_vccnz .LBB117_168
; %bb.167:
	scratch_load_b64 v[112:113], v59, off
	ds_load_b64 v[114:115], v1
	s_wait_loadcnt_dscnt 0x0
	v_pk_mul_f32 v[116:117], v[114:115], v[112:113] op_sel:[1,1] op_sel_hi:[0,1]
	s_delay_alu instid0(VALU_DEP_1) | instskip(SKIP_1) | instid1(VALU_DEP_2)
	v_pk_fma_f32 v[118:119], v[114:115], v[112:113], v[116:117] op_sel_hi:[1,0,1]
	v_pk_fma_f32 v[112:113], v[114:115], v[112:113], v[116:117] neg_lo:[0,0,1] neg_hi:[0,0,1]
	v_mov_b32_e32 v113, v119
	s_cbranch_execz .LBB117_169
	s_branch .LBB117_170
.LBB117_168:
                                        ; implicit-def: $vgpr112_vgpr113
.LBB117_169:
	ds_load_b64 v[112:113], v1
.LBB117_170:
	s_and_saveexec_b32 s44, s1
	s_cbranch_execz .LBB117_174
; %bb.171:
	v_subrev_nc_u32_e32 v114, 37, v0
	s_movk_i32 s45, 0x2d8
	s_mov_b32 s1, 0
.LBB117_172:                            ; =>This Inner Loop Header: Depth=1
	scratch_load_b64 v[116:117], off, s42
	v_dual_mov_b32 v115, s45 :: v_dual_add_nc_u32 v114, -1, v114
	s_add_co_i32 s45, s45, 8
	s_wait_xcnt 0x0
	s_add_co_i32 s42, s42, 8
	ds_load_b64 v[118:119], v115
	v_cmp_eq_u32_e32 vcc_lo, 0, v114
	s_or_b32 s1, vcc_lo, s1
	s_wait_loadcnt_dscnt 0x0
	v_pk_mul_f32 v[120:121], v[118:119], v[116:117] op_sel:[1,1] op_sel_hi:[0,1]
	s_delay_alu instid0(VALU_DEP_1) | instskip(SKIP_1) | instid1(VALU_DEP_2)
	v_pk_fma_f32 v[122:123], v[118:119], v[116:117], v[120:121] op_sel_hi:[1,0,1]
	v_pk_fma_f32 v[116:117], v[118:119], v[116:117], v[120:121] neg_lo:[0,0,1] neg_hi:[0,0,1]
	v_mov_b32_e32 v117, v123
	s_delay_alu instid0(VALU_DEP_1)
	v_pk_add_f32 v[112:113], v[112:113], v[116:117]
	s_and_not1_b32 exec_lo, exec_lo, s1
	s_cbranch_execnz .LBB117_172
; %bb.173:
	s_or_b32 exec_lo, exec_lo, s1
.LBB117_174:
	s_delay_alu instid0(SALU_CYCLE_1) | instskip(SKIP_4) | instid1(VALU_DEP_1)
	s_or_b32 exec_lo, exec_lo, s44
	v_mov_b32_e32 v114, 0
	ds_load_b64 v[114:115], v114 offset:288
	s_wait_dscnt 0x0
	v_pk_mul_f32 v[116:117], v[112:113], v[114:115] op_sel:[1,1] op_sel_hi:[0,1]
	v_pk_fma_f32 v[118:119], v[112:113], v[114:115], v[116:117] op_sel_hi:[1,0,1]
	v_pk_fma_f32 v[112:113], v[112:113], v[114:115], v[116:117] neg_lo:[0,0,1] neg_hi:[0,0,1]
	s_delay_alu instid0(VALU_DEP_2)
	v_mov_b32_e32 v113, v119
	scratch_store_b64 off, v[112:113], off offset:288
.LBB117_175:
	s_wait_xcnt 0x0
	s_or_b32 exec_lo, exec_lo, s43
	scratch_load_b64 v[112:113], off, off offset:280
	v_cmp_lt_u32_e64 s1, 35, v0
	s_wait_loadcnt 0x0
	ds_store_b64 v1, v[112:113]
	s_wait_storecnt_dscnt 0x0
	s_barrier_signal -1
	s_barrier_wait -1
	s_wait_xcnt 0x0
	s_and_saveexec_b32 s42, s1
	s_cbranch_execz .LBB117_185
; %bb.176:
	s_and_not1_b32 vcc_lo, exec_lo, s3
	s_cbranch_vccnz .LBB117_178
; %bb.177:
	scratch_load_b64 v[112:113], v59, off
	ds_load_b64 v[114:115], v1
	s_wait_loadcnt_dscnt 0x0
	v_pk_mul_f32 v[116:117], v[114:115], v[112:113] op_sel:[1,1] op_sel_hi:[0,1]
	s_delay_alu instid0(VALU_DEP_1) | instskip(SKIP_1) | instid1(VALU_DEP_2)
	v_pk_fma_f32 v[118:119], v[114:115], v[112:113], v[116:117] op_sel_hi:[1,0,1]
	v_pk_fma_f32 v[112:113], v[114:115], v[112:113], v[116:117] neg_lo:[0,0,1] neg_hi:[0,0,1]
	v_mov_b32_e32 v113, v119
	s_cbranch_execz .LBB117_179
	s_branch .LBB117_180
.LBB117_178:
                                        ; implicit-def: $vgpr112_vgpr113
.LBB117_179:
	ds_load_b64 v[112:113], v1
.LBB117_180:
	s_and_saveexec_b32 s43, s0
	s_cbranch_execz .LBB117_184
; %bb.181:
	v_subrev_nc_u32_e32 v114, 36, v0
	s_movk_i32 s44, 0x2d0
	s_mov_b32 s0, 0
.LBB117_182:                            ; =>This Inner Loop Header: Depth=1
	scratch_load_b64 v[116:117], off, s41
	v_dual_mov_b32 v115, s44 :: v_dual_add_nc_u32 v114, -1, v114
	s_add_co_i32 s44, s44, 8
	s_wait_xcnt 0x0
	s_add_co_i32 s41, s41, 8
	ds_load_b64 v[118:119], v115
	v_cmp_eq_u32_e32 vcc_lo, 0, v114
	s_or_b32 s0, vcc_lo, s0
	s_wait_loadcnt_dscnt 0x0
	v_pk_mul_f32 v[120:121], v[118:119], v[116:117] op_sel:[1,1] op_sel_hi:[0,1]
	s_delay_alu instid0(VALU_DEP_1) | instskip(SKIP_1) | instid1(VALU_DEP_2)
	v_pk_fma_f32 v[122:123], v[118:119], v[116:117], v[120:121] op_sel_hi:[1,0,1]
	v_pk_fma_f32 v[116:117], v[118:119], v[116:117], v[120:121] neg_lo:[0,0,1] neg_hi:[0,0,1]
	v_mov_b32_e32 v117, v123
	s_delay_alu instid0(VALU_DEP_1)
	v_pk_add_f32 v[112:113], v[112:113], v[116:117]
	s_and_not1_b32 exec_lo, exec_lo, s0
	s_cbranch_execnz .LBB117_182
; %bb.183:
	s_or_b32 exec_lo, exec_lo, s0
.LBB117_184:
	s_delay_alu instid0(SALU_CYCLE_1) | instskip(SKIP_4) | instid1(VALU_DEP_1)
	s_or_b32 exec_lo, exec_lo, s43
	v_mov_b32_e32 v114, 0
	ds_load_b64 v[114:115], v114 offset:280
	s_wait_dscnt 0x0
	v_pk_mul_f32 v[116:117], v[112:113], v[114:115] op_sel:[1,1] op_sel_hi:[0,1]
	v_pk_fma_f32 v[118:119], v[112:113], v[114:115], v[116:117] op_sel_hi:[1,0,1]
	v_pk_fma_f32 v[112:113], v[112:113], v[114:115], v[116:117] neg_lo:[0,0,1] neg_hi:[0,0,1]
	s_delay_alu instid0(VALU_DEP_2)
	v_mov_b32_e32 v113, v119
	scratch_store_b64 off, v[112:113], off offset:280
.LBB117_185:
	s_wait_xcnt 0x0
	s_or_b32 exec_lo, exec_lo, s42
	scratch_load_b64 v[112:113], off, off offset:272
	v_cmp_lt_u32_e64 s0, 34, v0
	s_wait_loadcnt 0x0
	ds_store_b64 v1, v[112:113]
	s_wait_storecnt_dscnt 0x0
	s_barrier_signal -1
	s_barrier_wait -1
	s_wait_xcnt 0x0
	s_and_saveexec_b32 s41, s0
	s_cbranch_execz .LBB117_195
; %bb.186:
	s_and_not1_b32 vcc_lo, exec_lo, s3
	s_cbranch_vccnz .LBB117_188
; %bb.187:
	scratch_load_b64 v[112:113], v59, off
	ds_load_b64 v[114:115], v1
	s_wait_loadcnt_dscnt 0x0
	v_pk_mul_f32 v[116:117], v[114:115], v[112:113] op_sel:[1,1] op_sel_hi:[0,1]
	s_delay_alu instid0(VALU_DEP_1) | instskip(SKIP_1) | instid1(VALU_DEP_2)
	v_pk_fma_f32 v[118:119], v[114:115], v[112:113], v[116:117] op_sel_hi:[1,0,1]
	v_pk_fma_f32 v[112:113], v[114:115], v[112:113], v[116:117] neg_lo:[0,0,1] neg_hi:[0,0,1]
	v_mov_b32_e32 v113, v119
	s_cbranch_execz .LBB117_189
	s_branch .LBB117_190
.LBB117_188:
                                        ; implicit-def: $vgpr112_vgpr113
.LBB117_189:
	ds_load_b64 v[112:113], v1
.LBB117_190:
	s_and_saveexec_b32 s42, s1
	s_cbranch_execz .LBB117_194
; %bb.191:
	v_subrev_nc_u32_e32 v114, 35, v0
	s_movk_i32 s43, 0x2c8
	s_mov_b32 s1, 0
.LBB117_192:                            ; =>This Inner Loop Header: Depth=1
	scratch_load_b64 v[116:117], off, s40
	v_dual_mov_b32 v115, s43 :: v_dual_add_nc_u32 v114, -1, v114
	s_add_co_i32 s43, s43, 8
	s_wait_xcnt 0x0
	s_add_co_i32 s40, s40, 8
	ds_load_b64 v[118:119], v115
	v_cmp_eq_u32_e32 vcc_lo, 0, v114
	s_or_b32 s1, vcc_lo, s1
	s_wait_loadcnt_dscnt 0x0
	v_pk_mul_f32 v[120:121], v[118:119], v[116:117] op_sel:[1,1] op_sel_hi:[0,1]
	s_delay_alu instid0(VALU_DEP_1) | instskip(SKIP_1) | instid1(VALU_DEP_2)
	v_pk_fma_f32 v[122:123], v[118:119], v[116:117], v[120:121] op_sel_hi:[1,0,1]
	v_pk_fma_f32 v[116:117], v[118:119], v[116:117], v[120:121] neg_lo:[0,0,1] neg_hi:[0,0,1]
	v_mov_b32_e32 v117, v123
	s_delay_alu instid0(VALU_DEP_1)
	v_pk_add_f32 v[112:113], v[112:113], v[116:117]
	s_and_not1_b32 exec_lo, exec_lo, s1
	s_cbranch_execnz .LBB117_192
; %bb.193:
	s_or_b32 exec_lo, exec_lo, s1
.LBB117_194:
	s_delay_alu instid0(SALU_CYCLE_1) | instskip(SKIP_4) | instid1(VALU_DEP_1)
	s_or_b32 exec_lo, exec_lo, s42
	v_mov_b32_e32 v114, 0
	ds_load_b64 v[114:115], v114 offset:272
	s_wait_dscnt 0x0
	v_pk_mul_f32 v[116:117], v[112:113], v[114:115] op_sel:[1,1] op_sel_hi:[0,1]
	v_pk_fma_f32 v[118:119], v[112:113], v[114:115], v[116:117] op_sel_hi:[1,0,1]
	v_pk_fma_f32 v[112:113], v[112:113], v[114:115], v[116:117] neg_lo:[0,0,1] neg_hi:[0,0,1]
	s_delay_alu instid0(VALU_DEP_2)
	v_mov_b32_e32 v113, v119
	scratch_store_b64 off, v[112:113], off offset:272
.LBB117_195:
	s_wait_xcnt 0x0
	s_or_b32 exec_lo, exec_lo, s41
	scratch_load_b64 v[112:113], off, off offset:264
	v_cmp_lt_u32_e64 s1, 33, v0
	s_wait_loadcnt 0x0
	ds_store_b64 v1, v[112:113]
	s_wait_storecnt_dscnt 0x0
	s_barrier_signal -1
	s_barrier_wait -1
	s_wait_xcnt 0x0
	s_and_saveexec_b32 s40, s1
	s_cbranch_execz .LBB117_205
; %bb.196:
	s_and_not1_b32 vcc_lo, exec_lo, s3
	s_cbranch_vccnz .LBB117_198
; %bb.197:
	scratch_load_b64 v[112:113], v59, off
	ds_load_b64 v[114:115], v1
	s_wait_loadcnt_dscnt 0x0
	v_pk_mul_f32 v[116:117], v[114:115], v[112:113] op_sel:[1,1] op_sel_hi:[0,1]
	s_delay_alu instid0(VALU_DEP_1) | instskip(SKIP_1) | instid1(VALU_DEP_2)
	v_pk_fma_f32 v[118:119], v[114:115], v[112:113], v[116:117] op_sel_hi:[1,0,1]
	v_pk_fma_f32 v[112:113], v[114:115], v[112:113], v[116:117] neg_lo:[0,0,1] neg_hi:[0,0,1]
	v_mov_b32_e32 v113, v119
	s_cbranch_execz .LBB117_199
	s_branch .LBB117_200
.LBB117_198:
                                        ; implicit-def: $vgpr112_vgpr113
.LBB117_199:
	ds_load_b64 v[112:113], v1
.LBB117_200:
	s_and_saveexec_b32 s41, s0
	s_cbranch_execz .LBB117_204
; %bb.201:
	v_subrev_nc_u32_e32 v114, 34, v0
	s_movk_i32 s42, 0x2c0
	s_mov_b32 s0, 0
.LBB117_202:                            ; =>This Inner Loop Header: Depth=1
	scratch_load_b64 v[116:117], off, s39
	v_dual_mov_b32 v115, s42 :: v_dual_add_nc_u32 v114, -1, v114
	s_add_co_i32 s42, s42, 8
	s_wait_xcnt 0x0
	s_add_co_i32 s39, s39, 8
	ds_load_b64 v[118:119], v115
	v_cmp_eq_u32_e32 vcc_lo, 0, v114
	s_or_b32 s0, vcc_lo, s0
	s_wait_loadcnt_dscnt 0x0
	v_pk_mul_f32 v[120:121], v[118:119], v[116:117] op_sel:[1,1] op_sel_hi:[0,1]
	s_delay_alu instid0(VALU_DEP_1) | instskip(SKIP_1) | instid1(VALU_DEP_2)
	v_pk_fma_f32 v[122:123], v[118:119], v[116:117], v[120:121] op_sel_hi:[1,0,1]
	v_pk_fma_f32 v[116:117], v[118:119], v[116:117], v[120:121] neg_lo:[0,0,1] neg_hi:[0,0,1]
	v_mov_b32_e32 v117, v123
	s_delay_alu instid0(VALU_DEP_1)
	v_pk_add_f32 v[112:113], v[112:113], v[116:117]
	s_and_not1_b32 exec_lo, exec_lo, s0
	s_cbranch_execnz .LBB117_202
; %bb.203:
	s_or_b32 exec_lo, exec_lo, s0
.LBB117_204:
	s_delay_alu instid0(SALU_CYCLE_1) | instskip(SKIP_4) | instid1(VALU_DEP_1)
	s_or_b32 exec_lo, exec_lo, s41
	v_mov_b32_e32 v114, 0
	ds_load_b64 v[114:115], v114 offset:264
	s_wait_dscnt 0x0
	v_pk_mul_f32 v[116:117], v[112:113], v[114:115] op_sel:[1,1] op_sel_hi:[0,1]
	v_pk_fma_f32 v[118:119], v[112:113], v[114:115], v[116:117] op_sel_hi:[1,0,1]
	v_pk_fma_f32 v[112:113], v[112:113], v[114:115], v[116:117] neg_lo:[0,0,1] neg_hi:[0,0,1]
	s_delay_alu instid0(VALU_DEP_2)
	v_mov_b32_e32 v113, v119
	scratch_store_b64 off, v[112:113], off offset:264
.LBB117_205:
	s_wait_xcnt 0x0
	s_or_b32 exec_lo, exec_lo, s40
	scratch_load_b64 v[112:113], off, off offset:256
	v_cmp_lt_u32_e64 s0, 32, v0
	s_wait_loadcnt 0x0
	ds_store_b64 v1, v[112:113]
	s_wait_storecnt_dscnt 0x0
	s_barrier_signal -1
	s_barrier_wait -1
	s_wait_xcnt 0x0
	s_and_saveexec_b32 s39, s0
	s_cbranch_execz .LBB117_215
; %bb.206:
	s_and_not1_b32 vcc_lo, exec_lo, s3
	s_cbranch_vccnz .LBB117_208
; %bb.207:
	scratch_load_b64 v[112:113], v59, off
	ds_load_b64 v[114:115], v1
	s_wait_loadcnt_dscnt 0x0
	v_pk_mul_f32 v[116:117], v[114:115], v[112:113] op_sel:[1,1] op_sel_hi:[0,1]
	s_delay_alu instid0(VALU_DEP_1) | instskip(SKIP_1) | instid1(VALU_DEP_2)
	v_pk_fma_f32 v[118:119], v[114:115], v[112:113], v[116:117] op_sel_hi:[1,0,1]
	v_pk_fma_f32 v[112:113], v[114:115], v[112:113], v[116:117] neg_lo:[0,0,1] neg_hi:[0,0,1]
	v_mov_b32_e32 v113, v119
	s_cbranch_execz .LBB117_209
	s_branch .LBB117_210
.LBB117_208:
                                        ; implicit-def: $vgpr112_vgpr113
.LBB117_209:
	ds_load_b64 v[112:113], v1
.LBB117_210:
	s_and_saveexec_b32 s40, s1
	s_cbranch_execz .LBB117_214
; %bb.211:
	v_subrev_nc_u32_e32 v114, 33, v0
	s_movk_i32 s41, 0x2b8
	s_mov_b32 s1, 0
.LBB117_212:                            ; =>This Inner Loop Header: Depth=1
	scratch_load_b64 v[116:117], off, s38
	v_dual_mov_b32 v115, s41 :: v_dual_add_nc_u32 v114, -1, v114
	s_add_co_i32 s41, s41, 8
	s_wait_xcnt 0x0
	s_add_co_i32 s38, s38, 8
	ds_load_b64 v[118:119], v115
	v_cmp_eq_u32_e32 vcc_lo, 0, v114
	s_or_b32 s1, vcc_lo, s1
	s_wait_loadcnt_dscnt 0x0
	v_pk_mul_f32 v[120:121], v[118:119], v[116:117] op_sel:[1,1] op_sel_hi:[0,1]
	s_delay_alu instid0(VALU_DEP_1) | instskip(SKIP_1) | instid1(VALU_DEP_2)
	v_pk_fma_f32 v[122:123], v[118:119], v[116:117], v[120:121] op_sel_hi:[1,0,1]
	v_pk_fma_f32 v[116:117], v[118:119], v[116:117], v[120:121] neg_lo:[0,0,1] neg_hi:[0,0,1]
	v_mov_b32_e32 v117, v123
	s_delay_alu instid0(VALU_DEP_1)
	v_pk_add_f32 v[112:113], v[112:113], v[116:117]
	s_and_not1_b32 exec_lo, exec_lo, s1
	s_cbranch_execnz .LBB117_212
; %bb.213:
	s_or_b32 exec_lo, exec_lo, s1
.LBB117_214:
	s_delay_alu instid0(SALU_CYCLE_1) | instskip(SKIP_4) | instid1(VALU_DEP_1)
	s_or_b32 exec_lo, exec_lo, s40
	v_mov_b32_e32 v114, 0
	ds_load_b64 v[114:115], v114 offset:256
	s_wait_dscnt 0x0
	v_pk_mul_f32 v[116:117], v[112:113], v[114:115] op_sel:[1,1] op_sel_hi:[0,1]
	v_pk_fma_f32 v[118:119], v[112:113], v[114:115], v[116:117] op_sel_hi:[1,0,1]
	v_pk_fma_f32 v[112:113], v[112:113], v[114:115], v[116:117] neg_lo:[0,0,1] neg_hi:[0,0,1]
	s_delay_alu instid0(VALU_DEP_2)
	v_mov_b32_e32 v113, v119
	scratch_store_b64 off, v[112:113], off offset:256
.LBB117_215:
	s_wait_xcnt 0x0
	s_or_b32 exec_lo, exec_lo, s39
	scratch_load_b64 v[112:113], off, off offset:248
	v_cmp_lt_u32_e64 s1, 31, v0
	s_wait_loadcnt 0x0
	ds_store_b64 v1, v[112:113]
	s_wait_storecnt_dscnt 0x0
	s_barrier_signal -1
	s_barrier_wait -1
	s_wait_xcnt 0x0
	s_and_saveexec_b32 s38, s1
	s_cbranch_execz .LBB117_225
; %bb.216:
	s_and_not1_b32 vcc_lo, exec_lo, s3
	s_cbranch_vccnz .LBB117_218
; %bb.217:
	scratch_load_b64 v[112:113], v59, off
	ds_load_b64 v[114:115], v1
	s_wait_loadcnt_dscnt 0x0
	v_pk_mul_f32 v[116:117], v[114:115], v[112:113] op_sel:[1,1] op_sel_hi:[0,1]
	s_delay_alu instid0(VALU_DEP_1) | instskip(SKIP_1) | instid1(VALU_DEP_2)
	v_pk_fma_f32 v[118:119], v[114:115], v[112:113], v[116:117] op_sel_hi:[1,0,1]
	v_pk_fma_f32 v[112:113], v[114:115], v[112:113], v[116:117] neg_lo:[0,0,1] neg_hi:[0,0,1]
	v_mov_b32_e32 v113, v119
	s_cbranch_execz .LBB117_219
	s_branch .LBB117_220
.LBB117_218:
                                        ; implicit-def: $vgpr112_vgpr113
.LBB117_219:
	ds_load_b64 v[112:113], v1
.LBB117_220:
	s_and_saveexec_b32 s39, s0
	s_cbranch_execz .LBB117_224
; %bb.221:
	v_subrev_nc_u32_e32 v114, 32, v0
	s_movk_i32 s40, 0x2b0
	s_mov_b32 s0, 0
.LBB117_222:                            ; =>This Inner Loop Header: Depth=1
	scratch_load_b64 v[116:117], off, s37
	v_dual_mov_b32 v115, s40 :: v_dual_add_nc_u32 v114, -1, v114
	s_add_co_i32 s40, s40, 8
	s_wait_xcnt 0x0
	s_add_co_i32 s37, s37, 8
	ds_load_b64 v[118:119], v115
	v_cmp_eq_u32_e32 vcc_lo, 0, v114
	s_or_b32 s0, vcc_lo, s0
	s_wait_loadcnt_dscnt 0x0
	v_pk_mul_f32 v[120:121], v[118:119], v[116:117] op_sel:[1,1] op_sel_hi:[0,1]
	s_delay_alu instid0(VALU_DEP_1) | instskip(SKIP_1) | instid1(VALU_DEP_2)
	v_pk_fma_f32 v[122:123], v[118:119], v[116:117], v[120:121] op_sel_hi:[1,0,1]
	v_pk_fma_f32 v[116:117], v[118:119], v[116:117], v[120:121] neg_lo:[0,0,1] neg_hi:[0,0,1]
	v_mov_b32_e32 v117, v123
	s_delay_alu instid0(VALU_DEP_1)
	v_pk_add_f32 v[112:113], v[112:113], v[116:117]
	s_and_not1_b32 exec_lo, exec_lo, s0
	s_cbranch_execnz .LBB117_222
; %bb.223:
	s_or_b32 exec_lo, exec_lo, s0
.LBB117_224:
	s_delay_alu instid0(SALU_CYCLE_1) | instskip(SKIP_4) | instid1(VALU_DEP_1)
	s_or_b32 exec_lo, exec_lo, s39
	v_mov_b32_e32 v114, 0
	ds_load_b64 v[114:115], v114 offset:248
	s_wait_dscnt 0x0
	v_pk_mul_f32 v[116:117], v[112:113], v[114:115] op_sel:[1,1] op_sel_hi:[0,1]
	v_pk_fma_f32 v[118:119], v[112:113], v[114:115], v[116:117] op_sel_hi:[1,0,1]
	v_pk_fma_f32 v[112:113], v[112:113], v[114:115], v[116:117] neg_lo:[0,0,1] neg_hi:[0,0,1]
	s_delay_alu instid0(VALU_DEP_2)
	v_mov_b32_e32 v113, v119
	scratch_store_b64 off, v[112:113], off offset:248
.LBB117_225:
	s_wait_xcnt 0x0
	s_or_b32 exec_lo, exec_lo, s38
	scratch_load_b64 v[112:113], off, off offset:240
	v_cmp_lt_u32_e64 s0, 30, v0
	s_wait_loadcnt 0x0
	ds_store_b64 v1, v[112:113]
	s_wait_storecnt_dscnt 0x0
	s_barrier_signal -1
	s_barrier_wait -1
	s_wait_xcnt 0x0
	s_and_saveexec_b32 s37, s0
	s_cbranch_execz .LBB117_235
; %bb.226:
	s_and_not1_b32 vcc_lo, exec_lo, s3
	s_cbranch_vccnz .LBB117_228
; %bb.227:
	scratch_load_b64 v[112:113], v59, off
	ds_load_b64 v[114:115], v1
	s_wait_loadcnt_dscnt 0x0
	v_pk_mul_f32 v[116:117], v[114:115], v[112:113] op_sel:[1,1] op_sel_hi:[0,1]
	s_delay_alu instid0(VALU_DEP_1) | instskip(SKIP_1) | instid1(VALU_DEP_2)
	v_pk_fma_f32 v[118:119], v[114:115], v[112:113], v[116:117] op_sel_hi:[1,0,1]
	v_pk_fma_f32 v[112:113], v[114:115], v[112:113], v[116:117] neg_lo:[0,0,1] neg_hi:[0,0,1]
	v_mov_b32_e32 v113, v119
	s_cbranch_execz .LBB117_229
	s_branch .LBB117_230
.LBB117_228:
                                        ; implicit-def: $vgpr112_vgpr113
.LBB117_229:
	ds_load_b64 v[112:113], v1
.LBB117_230:
	s_and_saveexec_b32 s38, s1
	s_cbranch_execz .LBB117_234
; %bb.231:
	v_subrev_nc_u32_e32 v114, 31, v0
	s_movk_i32 s39, 0x2a8
	s_mov_b32 s1, 0
.LBB117_232:                            ; =>This Inner Loop Header: Depth=1
	scratch_load_b64 v[116:117], off, s36
	v_dual_mov_b32 v115, s39 :: v_dual_add_nc_u32 v114, -1, v114
	s_add_co_i32 s39, s39, 8
	s_wait_xcnt 0x0
	s_add_co_i32 s36, s36, 8
	ds_load_b64 v[118:119], v115
	v_cmp_eq_u32_e32 vcc_lo, 0, v114
	s_or_b32 s1, vcc_lo, s1
	s_wait_loadcnt_dscnt 0x0
	v_pk_mul_f32 v[120:121], v[118:119], v[116:117] op_sel:[1,1] op_sel_hi:[0,1]
	s_delay_alu instid0(VALU_DEP_1) | instskip(SKIP_1) | instid1(VALU_DEP_2)
	v_pk_fma_f32 v[122:123], v[118:119], v[116:117], v[120:121] op_sel_hi:[1,0,1]
	v_pk_fma_f32 v[116:117], v[118:119], v[116:117], v[120:121] neg_lo:[0,0,1] neg_hi:[0,0,1]
	v_mov_b32_e32 v117, v123
	s_delay_alu instid0(VALU_DEP_1)
	v_pk_add_f32 v[112:113], v[112:113], v[116:117]
	s_and_not1_b32 exec_lo, exec_lo, s1
	s_cbranch_execnz .LBB117_232
; %bb.233:
	s_or_b32 exec_lo, exec_lo, s1
.LBB117_234:
	s_delay_alu instid0(SALU_CYCLE_1) | instskip(SKIP_4) | instid1(VALU_DEP_1)
	s_or_b32 exec_lo, exec_lo, s38
	v_mov_b32_e32 v114, 0
	ds_load_b64 v[114:115], v114 offset:240
	s_wait_dscnt 0x0
	v_pk_mul_f32 v[116:117], v[112:113], v[114:115] op_sel:[1,1] op_sel_hi:[0,1]
	v_pk_fma_f32 v[118:119], v[112:113], v[114:115], v[116:117] op_sel_hi:[1,0,1]
	v_pk_fma_f32 v[112:113], v[112:113], v[114:115], v[116:117] neg_lo:[0,0,1] neg_hi:[0,0,1]
	s_delay_alu instid0(VALU_DEP_2)
	v_mov_b32_e32 v113, v119
	scratch_store_b64 off, v[112:113], off offset:240
.LBB117_235:
	s_wait_xcnt 0x0
	s_or_b32 exec_lo, exec_lo, s37
	scratch_load_b64 v[112:113], off, off offset:232
	v_cmp_lt_u32_e64 s1, 29, v0
	s_wait_loadcnt 0x0
	ds_store_b64 v1, v[112:113]
	s_wait_storecnt_dscnt 0x0
	s_barrier_signal -1
	s_barrier_wait -1
	s_wait_xcnt 0x0
	s_and_saveexec_b32 s36, s1
	s_cbranch_execz .LBB117_245
; %bb.236:
	s_and_not1_b32 vcc_lo, exec_lo, s3
	s_cbranch_vccnz .LBB117_238
; %bb.237:
	scratch_load_b64 v[112:113], v59, off
	ds_load_b64 v[114:115], v1
	s_wait_loadcnt_dscnt 0x0
	v_pk_mul_f32 v[116:117], v[114:115], v[112:113] op_sel:[1,1] op_sel_hi:[0,1]
	s_delay_alu instid0(VALU_DEP_1) | instskip(SKIP_1) | instid1(VALU_DEP_2)
	v_pk_fma_f32 v[118:119], v[114:115], v[112:113], v[116:117] op_sel_hi:[1,0,1]
	v_pk_fma_f32 v[112:113], v[114:115], v[112:113], v[116:117] neg_lo:[0,0,1] neg_hi:[0,0,1]
	v_mov_b32_e32 v113, v119
	s_cbranch_execz .LBB117_239
	s_branch .LBB117_240
.LBB117_238:
                                        ; implicit-def: $vgpr112_vgpr113
.LBB117_239:
	ds_load_b64 v[112:113], v1
.LBB117_240:
	s_and_saveexec_b32 s37, s0
	s_cbranch_execz .LBB117_244
; %bb.241:
	v_subrev_nc_u32_e32 v114, 30, v0
	s_movk_i32 s38, 0x2a0
	s_mov_b32 s0, 0
.LBB117_242:                            ; =>This Inner Loop Header: Depth=1
	scratch_load_b64 v[116:117], off, s35
	v_dual_mov_b32 v115, s38 :: v_dual_add_nc_u32 v114, -1, v114
	s_add_co_i32 s38, s38, 8
	s_wait_xcnt 0x0
	s_add_co_i32 s35, s35, 8
	ds_load_b64 v[118:119], v115
	v_cmp_eq_u32_e32 vcc_lo, 0, v114
	s_or_b32 s0, vcc_lo, s0
	s_wait_loadcnt_dscnt 0x0
	v_pk_mul_f32 v[120:121], v[118:119], v[116:117] op_sel:[1,1] op_sel_hi:[0,1]
	s_delay_alu instid0(VALU_DEP_1) | instskip(SKIP_1) | instid1(VALU_DEP_2)
	v_pk_fma_f32 v[122:123], v[118:119], v[116:117], v[120:121] op_sel_hi:[1,0,1]
	v_pk_fma_f32 v[116:117], v[118:119], v[116:117], v[120:121] neg_lo:[0,0,1] neg_hi:[0,0,1]
	v_mov_b32_e32 v117, v123
	s_delay_alu instid0(VALU_DEP_1)
	v_pk_add_f32 v[112:113], v[112:113], v[116:117]
	s_and_not1_b32 exec_lo, exec_lo, s0
	s_cbranch_execnz .LBB117_242
; %bb.243:
	s_or_b32 exec_lo, exec_lo, s0
.LBB117_244:
	s_delay_alu instid0(SALU_CYCLE_1) | instskip(SKIP_4) | instid1(VALU_DEP_1)
	s_or_b32 exec_lo, exec_lo, s37
	v_mov_b32_e32 v114, 0
	ds_load_b64 v[114:115], v114 offset:232
	s_wait_dscnt 0x0
	v_pk_mul_f32 v[116:117], v[112:113], v[114:115] op_sel:[1,1] op_sel_hi:[0,1]
	v_pk_fma_f32 v[118:119], v[112:113], v[114:115], v[116:117] op_sel_hi:[1,0,1]
	v_pk_fma_f32 v[112:113], v[112:113], v[114:115], v[116:117] neg_lo:[0,0,1] neg_hi:[0,0,1]
	s_delay_alu instid0(VALU_DEP_2)
	v_mov_b32_e32 v113, v119
	scratch_store_b64 off, v[112:113], off offset:232
.LBB117_245:
	s_wait_xcnt 0x0
	s_or_b32 exec_lo, exec_lo, s36
	scratch_load_b64 v[112:113], off, off offset:224
	v_cmp_lt_u32_e64 s0, 28, v0
	s_wait_loadcnt 0x0
	ds_store_b64 v1, v[112:113]
	s_wait_storecnt_dscnt 0x0
	s_barrier_signal -1
	s_barrier_wait -1
	s_wait_xcnt 0x0
	s_and_saveexec_b32 s35, s0
	s_cbranch_execz .LBB117_255
; %bb.246:
	s_and_not1_b32 vcc_lo, exec_lo, s3
	s_cbranch_vccnz .LBB117_248
; %bb.247:
	scratch_load_b64 v[112:113], v59, off
	ds_load_b64 v[114:115], v1
	s_wait_loadcnt_dscnt 0x0
	v_pk_mul_f32 v[116:117], v[114:115], v[112:113] op_sel:[1,1] op_sel_hi:[0,1]
	s_delay_alu instid0(VALU_DEP_1) | instskip(SKIP_1) | instid1(VALU_DEP_2)
	v_pk_fma_f32 v[118:119], v[114:115], v[112:113], v[116:117] op_sel_hi:[1,0,1]
	v_pk_fma_f32 v[112:113], v[114:115], v[112:113], v[116:117] neg_lo:[0,0,1] neg_hi:[0,0,1]
	v_mov_b32_e32 v113, v119
	s_cbranch_execz .LBB117_249
	s_branch .LBB117_250
.LBB117_248:
                                        ; implicit-def: $vgpr112_vgpr113
.LBB117_249:
	ds_load_b64 v[112:113], v1
.LBB117_250:
	s_and_saveexec_b32 s36, s1
	s_cbranch_execz .LBB117_254
; %bb.251:
	v_subrev_nc_u32_e32 v114, 29, v0
	s_movk_i32 s37, 0x298
	s_mov_b32 s1, 0
.LBB117_252:                            ; =>This Inner Loop Header: Depth=1
	scratch_load_b64 v[116:117], off, s34
	v_dual_mov_b32 v115, s37 :: v_dual_add_nc_u32 v114, -1, v114
	s_add_co_i32 s37, s37, 8
	s_wait_xcnt 0x0
	s_add_co_i32 s34, s34, 8
	ds_load_b64 v[118:119], v115
	v_cmp_eq_u32_e32 vcc_lo, 0, v114
	s_or_b32 s1, vcc_lo, s1
	s_wait_loadcnt_dscnt 0x0
	v_pk_mul_f32 v[120:121], v[118:119], v[116:117] op_sel:[1,1] op_sel_hi:[0,1]
	s_delay_alu instid0(VALU_DEP_1) | instskip(SKIP_1) | instid1(VALU_DEP_2)
	v_pk_fma_f32 v[122:123], v[118:119], v[116:117], v[120:121] op_sel_hi:[1,0,1]
	v_pk_fma_f32 v[116:117], v[118:119], v[116:117], v[120:121] neg_lo:[0,0,1] neg_hi:[0,0,1]
	v_mov_b32_e32 v117, v123
	s_delay_alu instid0(VALU_DEP_1)
	v_pk_add_f32 v[112:113], v[112:113], v[116:117]
	s_and_not1_b32 exec_lo, exec_lo, s1
	s_cbranch_execnz .LBB117_252
; %bb.253:
	s_or_b32 exec_lo, exec_lo, s1
.LBB117_254:
	s_delay_alu instid0(SALU_CYCLE_1) | instskip(SKIP_4) | instid1(VALU_DEP_1)
	s_or_b32 exec_lo, exec_lo, s36
	v_mov_b32_e32 v114, 0
	ds_load_b64 v[114:115], v114 offset:224
	s_wait_dscnt 0x0
	v_pk_mul_f32 v[116:117], v[112:113], v[114:115] op_sel:[1,1] op_sel_hi:[0,1]
	v_pk_fma_f32 v[118:119], v[112:113], v[114:115], v[116:117] op_sel_hi:[1,0,1]
	v_pk_fma_f32 v[112:113], v[112:113], v[114:115], v[116:117] neg_lo:[0,0,1] neg_hi:[0,0,1]
	s_delay_alu instid0(VALU_DEP_2)
	v_mov_b32_e32 v113, v119
	scratch_store_b64 off, v[112:113], off offset:224
.LBB117_255:
	s_wait_xcnt 0x0
	s_or_b32 exec_lo, exec_lo, s35
	scratch_load_b64 v[112:113], off, off offset:216
	v_cmp_lt_u32_e64 s1, 27, v0
	s_wait_loadcnt 0x0
	ds_store_b64 v1, v[112:113]
	s_wait_storecnt_dscnt 0x0
	s_barrier_signal -1
	s_barrier_wait -1
	s_wait_xcnt 0x0
	s_and_saveexec_b32 s34, s1
	s_cbranch_execz .LBB117_265
; %bb.256:
	s_and_not1_b32 vcc_lo, exec_lo, s3
	s_cbranch_vccnz .LBB117_258
; %bb.257:
	scratch_load_b64 v[112:113], v59, off
	ds_load_b64 v[114:115], v1
	s_wait_loadcnt_dscnt 0x0
	v_pk_mul_f32 v[116:117], v[114:115], v[112:113] op_sel:[1,1] op_sel_hi:[0,1]
	s_delay_alu instid0(VALU_DEP_1) | instskip(SKIP_1) | instid1(VALU_DEP_2)
	v_pk_fma_f32 v[118:119], v[114:115], v[112:113], v[116:117] op_sel_hi:[1,0,1]
	v_pk_fma_f32 v[112:113], v[114:115], v[112:113], v[116:117] neg_lo:[0,0,1] neg_hi:[0,0,1]
	v_mov_b32_e32 v113, v119
	s_cbranch_execz .LBB117_259
	s_branch .LBB117_260
.LBB117_258:
                                        ; implicit-def: $vgpr112_vgpr113
.LBB117_259:
	ds_load_b64 v[112:113], v1
.LBB117_260:
	s_and_saveexec_b32 s35, s0
	s_cbranch_execz .LBB117_264
; %bb.261:
	v_subrev_nc_u32_e32 v114, 28, v0
	s_movk_i32 s36, 0x290
	s_mov_b32 s0, 0
.LBB117_262:                            ; =>This Inner Loop Header: Depth=1
	scratch_load_b64 v[116:117], off, s33
	v_dual_mov_b32 v115, s36 :: v_dual_add_nc_u32 v114, -1, v114
	s_add_co_i32 s36, s36, 8
	s_wait_xcnt 0x0
	s_add_co_i32 s33, s33, 8
	ds_load_b64 v[118:119], v115
	v_cmp_eq_u32_e32 vcc_lo, 0, v114
	s_or_b32 s0, vcc_lo, s0
	s_wait_loadcnt_dscnt 0x0
	v_pk_mul_f32 v[120:121], v[118:119], v[116:117] op_sel:[1,1] op_sel_hi:[0,1]
	s_delay_alu instid0(VALU_DEP_1) | instskip(SKIP_1) | instid1(VALU_DEP_2)
	v_pk_fma_f32 v[122:123], v[118:119], v[116:117], v[120:121] op_sel_hi:[1,0,1]
	v_pk_fma_f32 v[116:117], v[118:119], v[116:117], v[120:121] neg_lo:[0,0,1] neg_hi:[0,0,1]
	v_mov_b32_e32 v117, v123
	s_delay_alu instid0(VALU_DEP_1)
	v_pk_add_f32 v[112:113], v[112:113], v[116:117]
	s_and_not1_b32 exec_lo, exec_lo, s0
	s_cbranch_execnz .LBB117_262
; %bb.263:
	s_or_b32 exec_lo, exec_lo, s0
.LBB117_264:
	s_delay_alu instid0(SALU_CYCLE_1) | instskip(SKIP_4) | instid1(VALU_DEP_1)
	s_or_b32 exec_lo, exec_lo, s35
	v_mov_b32_e32 v114, 0
	ds_load_b64 v[114:115], v114 offset:216
	s_wait_dscnt 0x0
	v_pk_mul_f32 v[116:117], v[112:113], v[114:115] op_sel:[1,1] op_sel_hi:[0,1]
	v_pk_fma_f32 v[118:119], v[112:113], v[114:115], v[116:117] op_sel_hi:[1,0,1]
	v_pk_fma_f32 v[112:113], v[112:113], v[114:115], v[116:117] neg_lo:[0,0,1] neg_hi:[0,0,1]
	s_delay_alu instid0(VALU_DEP_2)
	v_mov_b32_e32 v113, v119
	scratch_store_b64 off, v[112:113], off offset:216
.LBB117_265:
	s_wait_xcnt 0x0
	s_or_b32 exec_lo, exec_lo, s34
	scratch_load_b64 v[112:113], off, off offset:208
	v_cmp_lt_u32_e64 s0, 26, v0
	s_wait_loadcnt 0x0
	ds_store_b64 v1, v[112:113]
	s_wait_storecnt_dscnt 0x0
	s_barrier_signal -1
	s_barrier_wait -1
	s_wait_xcnt 0x0
	s_and_saveexec_b32 s33, s0
	s_cbranch_execz .LBB117_275
; %bb.266:
	s_and_not1_b32 vcc_lo, exec_lo, s3
	s_cbranch_vccnz .LBB117_268
; %bb.267:
	scratch_load_b64 v[112:113], v59, off
	ds_load_b64 v[114:115], v1
	s_wait_loadcnt_dscnt 0x0
	v_pk_mul_f32 v[116:117], v[114:115], v[112:113] op_sel:[1,1] op_sel_hi:[0,1]
	s_delay_alu instid0(VALU_DEP_1) | instskip(SKIP_1) | instid1(VALU_DEP_2)
	v_pk_fma_f32 v[118:119], v[114:115], v[112:113], v[116:117] op_sel_hi:[1,0,1]
	v_pk_fma_f32 v[112:113], v[114:115], v[112:113], v[116:117] neg_lo:[0,0,1] neg_hi:[0,0,1]
	v_mov_b32_e32 v113, v119
	s_cbranch_execz .LBB117_269
	s_branch .LBB117_270
.LBB117_268:
                                        ; implicit-def: $vgpr112_vgpr113
.LBB117_269:
	ds_load_b64 v[112:113], v1
.LBB117_270:
	s_and_saveexec_b32 s34, s1
	s_cbranch_execz .LBB117_274
; %bb.271:
	v_subrev_nc_u32_e32 v114, 27, v0
	s_movk_i32 s35, 0x288
	s_mov_b32 s1, 0
.LBB117_272:                            ; =>This Inner Loop Header: Depth=1
	scratch_load_b64 v[116:117], off, s31
	v_dual_mov_b32 v115, s35 :: v_dual_add_nc_u32 v114, -1, v114
	s_add_co_i32 s35, s35, 8
	s_wait_xcnt 0x0
	s_add_co_i32 s31, s31, 8
	ds_load_b64 v[118:119], v115
	v_cmp_eq_u32_e32 vcc_lo, 0, v114
	s_or_b32 s1, vcc_lo, s1
	s_wait_loadcnt_dscnt 0x0
	v_pk_mul_f32 v[120:121], v[118:119], v[116:117] op_sel:[1,1] op_sel_hi:[0,1]
	s_delay_alu instid0(VALU_DEP_1) | instskip(SKIP_1) | instid1(VALU_DEP_2)
	v_pk_fma_f32 v[122:123], v[118:119], v[116:117], v[120:121] op_sel_hi:[1,0,1]
	v_pk_fma_f32 v[116:117], v[118:119], v[116:117], v[120:121] neg_lo:[0,0,1] neg_hi:[0,0,1]
	v_mov_b32_e32 v117, v123
	s_delay_alu instid0(VALU_DEP_1)
	v_pk_add_f32 v[112:113], v[112:113], v[116:117]
	s_and_not1_b32 exec_lo, exec_lo, s1
	s_cbranch_execnz .LBB117_272
; %bb.273:
	s_or_b32 exec_lo, exec_lo, s1
.LBB117_274:
	s_delay_alu instid0(SALU_CYCLE_1) | instskip(SKIP_4) | instid1(VALU_DEP_1)
	s_or_b32 exec_lo, exec_lo, s34
	v_mov_b32_e32 v114, 0
	ds_load_b64 v[114:115], v114 offset:208
	s_wait_dscnt 0x0
	v_pk_mul_f32 v[116:117], v[112:113], v[114:115] op_sel:[1,1] op_sel_hi:[0,1]
	v_pk_fma_f32 v[118:119], v[112:113], v[114:115], v[116:117] op_sel_hi:[1,0,1]
	v_pk_fma_f32 v[112:113], v[112:113], v[114:115], v[116:117] neg_lo:[0,0,1] neg_hi:[0,0,1]
	s_delay_alu instid0(VALU_DEP_2)
	v_mov_b32_e32 v113, v119
	scratch_store_b64 off, v[112:113], off offset:208
.LBB117_275:
	s_wait_xcnt 0x0
	s_or_b32 exec_lo, exec_lo, s33
	scratch_load_b64 v[112:113], off, off offset:200
	v_cmp_lt_u32_e64 s1, 25, v0
	s_wait_loadcnt 0x0
	ds_store_b64 v1, v[112:113]
	s_wait_storecnt_dscnt 0x0
	s_barrier_signal -1
	s_barrier_wait -1
	s_wait_xcnt 0x0
	s_and_saveexec_b32 s31, s1
	s_cbranch_execz .LBB117_285
; %bb.276:
	s_and_not1_b32 vcc_lo, exec_lo, s3
	s_cbranch_vccnz .LBB117_278
; %bb.277:
	scratch_load_b64 v[112:113], v59, off
	ds_load_b64 v[114:115], v1
	s_wait_loadcnt_dscnt 0x0
	v_pk_mul_f32 v[116:117], v[114:115], v[112:113] op_sel:[1,1] op_sel_hi:[0,1]
	s_delay_alu instid0(VALU_DEP_1) | instskip(SKIP_1) | instid1(VALU_DEP_2)
	v_pk_fma_f32 v[118:119], v[114:115], v[112:113], v[116:117] op_sel_hi:[1,0,1]
	v_pk_fma_f32 v[112:113], v[114:115], v[112:113], v[116:117] neg_lo:[0,0,1] neg_hi:[0,0,1]
	v_mov_b32_e32 v113, v119
	s_cbranch_execz .LBB117_279
	s_branch .LBB117_280
.LBB117_278:
                                        ; implicit-def: $vgpr112_vgpr113
.LBB117_279:
	ds_load_b64 v[112:113], v1
.LBB117_280:
	s_and_saveexec_b32 s33, s0
	s_cbranch_execz .LBB117_284
; %bb.281:
	v_subrev_nc_u32_e32 v114, 26, v0
	s_movk_i32 s34, 0x280
	s_mov_b32 s0, 0
.LBB117_282:                            ; =>This Inner Loop Header: Depth=1
	scratch_load_b64 v[116:117], off, s30
	v_dual_mov_b32 v115, s34 :: v_dual_add_nc_u32 v114, -1, v114
	s_add_co_i32 s34, s34, 8
	s_wait_xcnt 0x0
	s_add_co_i32 s30, s30, 8
	ds_load_b64 v[118:119], v115
	v_cmp_eq_u32_e32 vcc_lo, 0, v114
	s_or_b32 s0, vcc_lo, s0
	s_wait_loadcnt_dscnt 0x0
	v_pk_mul_f32 v[120:121], v[118:119], v[116:117] op_sel:[1,1] op_sel_hi:[0,1]
	s_delay_alu instid0(VALU_DEP_1) | instskip(SKIP_1) | instid1(VALU_DEP_2)
	v_pk_fma_f32 v[122:123], v[118:119], v[116:117], v[120:121] op_sel_hi:[1,0,1]
	v_pk_fma_f32 v[116:117], v[118:119], v[116:117], v[120:121] neg_lo:[0,0,1] neg_hi:[0,0,1]
	v_mov_b32_e32 v117, v123
	s_delay_alu instid0(VALU_DEP_1)
	v_pk_add_f32 v[112:113], v[112:113], v[116:117]
	s_and_not1_b32 exec_lo, exec_lo, s0
	s_cbranch_execnz .LBB117_282
; %bb.283:
	s_or_b32 exec_lo, exec_lo, s0
.LBB117_284:
	s_delay_alu instid0(SALU_CYCLE_1) | instskip(SKIP_4) | instid1(VALU_DEP_1)
	s_or_b32 exec_lo, exec_lo, s33
	v_mov_b32_e32 v114, 0
	ds_load_b64 v[114:115], v114 offset:200
	s_wait_dscnt 0x0
	v_pk_mul_f32 v[116:117], v[112:113], v[114:115] op_sel:[1,1] op_sel_hi:[0,1]
	v_pk_fma_f32 v[118:119], v[112:113], v[114:115], v[116:117] op_sel_hi:[1,0,1]
	v_pk_fma_f32 v[112:113], v[112:113], v[114:115], v[116:117] neg_lo:[0,0,1] neg_hi:[0,0,1]
	s_delay_alu instid0(VALU_DEP_2)
	v_mov_b32_e32 v113, v119
	scratch_store_b64 off, v[112:113], off offset:200
.LBB117_285:
	s_wait_xcnt 0x0
	s_or_b32 exec_lo, exec_lo, s31
	scratch_load_b64 v[112:113], off, off offset:192
	v_cmp_lt_u32_e64 s0, 24, v0
	s_wait_loadcnt 0x0
	ds_store_b64 v1, v[112:113]
	s_wait_storecnt_dscnt 0x0
	s_barrier_signal -1
	s_barrier_wait -1
	s_wait_xcnt 0x0
	s_and_saveexec_b32 s30, s0
	s_cbranch_execz .LBB117_295
; %bb.286:
	s_and_not1_b32 vcc_lo, exec_lo, s3
	s_cbranch_vccnz .LBB117_288
; %bb.287:
	scratch_load_b64 v[112:113], v59, off
	ds_load_b64 v[114:115], v1
	s_wait_loadcnt_dscnt 0x0
	v_pk_mul_f32 v[116:117], v[114:115], v[112:113] op_sel:[1,1] op_sel_hi:[0,1]
	s_delay_alu instid0(VALU_DEP_1) | instskip(SKIP_1) | instid1(VALU_DEP_2)
	v_pk_fma_f32 v[118:119], v[114:115], v[112:113], v[116:117] op_sel_hi:[1,0,1]
	v_pk_fma_f32 v[112:113], v[114:115], v[112:113], v[116:117] neg_lo:[0,0,1] neg_hi:[0,0,1]
	v_mov_b32_e32 v113, v119
	s_cbranch_execz .LBB117_289
	s_branch .LBB117_290
.LBB117_288:
                                        ; implicit-def: $vgpr112_vgpr113
.LBB117_289:
	ds_load_b64 v[112:113], v1
.LBB117_290:
	s_and_saveexec_b32 s31, s1
	s_cbranch_execz .LBB117_294
; %bb.291:
	v_subrev_nc_u32_e32 v114, 25, v0
	s_movk_i32 s33, 0x278
	s_mov_b32 s1, 0
.LBB117_292:                            ; =>This Inner Loop Header: Depth=1
	scratch_load_b64 v[116:117], off, s29
	v_dual_mov_b32 v115, s33 :: v_dual_add_nc_u32 v114, -1, v114
	s_add_co_i32 s33, s33, 8
	s_wait_xcnt 0x0
	s_add_co_i32 s29, s29, 8
	ds_load_b64 v[118:119], v115
	v_cmp_eq_u32_e32 vcc_lo, 0, v114
	s_or_b32 s1, vcc_lo, s1
	s_wait_loadcnt_dscnt 0x0
	v_pk_mul_f32 v[120:121], v[118:119], v[116:117] op_sel:[1,1] op_sel_hi:[0,1]
	s_delay_alu instid0(VALU_DEP_1) | instskip(SKIP_1) | instid1(VALU_DEP_2)
	v_pk_fma_f32 v[122:123], v[118:119], v[116:117], v[120:121] op_sel_hi:[1,0,1]
	v_pk_fma_f32 v[116:117], v[118:119], v[116:117], v[120:121] neg_lo:[0,0,1] neg_hi:[0,0,1]
	v_mov_b32_e32 v117, v123
	s_delay_alu instid0(VALU_DEP_1)
	v_pk_add_f32 v[112:113], v[112:113], v[116:117]
	s_and_not1_b32 exec_lo, exec_lo, s1
	s_cbranch_execnz .LBB117_292
; %bb.293:
	s_or_b32 exec_lo, exec_lo, s1
.LBB117_294:
	s_delay_alu instid0(SALU_CYCLE_1) | instskip(SKIP_4) | instid1(VALU_DEP_1)
	s_or_b32 exec_lo, exec_lo, s31
	v_mov_b32_e32 v114, 0
	ds_load_b64 v[114:115], v114 offset:192
	s_wait_dscnt 0x0
	v_pk_mul_f32 v[116:117], v[112:113], v[114:115] op_sel:[1,1] op_sel_hi:[0,1]
	v_pk_fma_f32 v[118:119], v[112:113], v[114:115], v[116:117] op_sel_hi:[1,0,1]
	v_pk_fma_f32 v[112:113], v[112:113], v[114:115], v[116:117] neg_lo:[0,0,1] neg_hi:[0,0,1]
	s_delay_alu instid0(VALU_DEP_2)
	v_mov_b32_e32 v113, v119
	scratch_store_b64 off, v[112:113], off offset:192
.LBB117_295:
	s_wait_xcnt 0x0
	s_or_b32 exec_lo, exec_lo, s30
	scratch_load_b64 v[112:113], off, off offset:184
	v_cmp_lt_u32_e64 s1, 23, v0
	s_wait_loadcnt 0x0
	ds_store_b64 v1, v[112:113]
	s_wait_storecnt_dscnt 0x0
	s_barrier_signal -1
	s_barrier_wait -1
	s_wait_xcnt 0x0
	s_and_saveexec_b32 s29, s1
	s_cbranch_execz .LBB117_305
; %bb.296:
	s_and_not1_b32 vcc_lo, exec_lo, s3
	s_cbranch_vccnz .LBB117_298
; %bb.297:
	scratch_load_b64 v[112:113], v59, off
	ds_load_b64 v[114:115], v1
	s_wait_loadcnt_dscnt 0x0
	v_pk_mul_f32 v[116:117], v[114:115], v[112:113] op_sel:[1,1] op_sel_hi:[0,1]
	s_delay_alu instid0(VALU_DEP_1) | instskip(SKIP_1) | instid1(VALU_DEP_2)
	v_pk_fma_f32 v[118:119], v[114:115], v[112:113], v[116:117] op_sel_hi:[1,0,1]
	v_pk_fma_f32 v[112:113], v[114:115], v[112:113], v[116:117] neg_lo:[0,0,1] neg_hi:[0,0,1]
	v_mov_b32_e32 v113, v119
	s_cbranch_execz .LBB117_299
	s_branch .LBB117_300
.LBB117_298:
                                        ; implicit-def: $vgpr112_vgpr113
.LBB117_299:
	ds_load_b64 v[112:113], v1
.LBB117_300:
	s_and_saveexec_b32 s30, s0
	s_cbranch_execz .LBB117_304
; %bb.301:
	v_subrev_nc_u32_e32 v114, 24, v0
	s_movk_i32 s31, 0x270
	s_mov_b32 s0, 0
.LBB117_302:                            ; =>This Inner Loop Header: Depth=1
	scratch_load_b64 v[116:117], off, s28
	v_dual_mov_b32 v115, s31 :: v_dual_add_nc_u32 v114, -1, v114
	s_add_co_i32 s31, s31, 8
	s_wait_xcnt 0x0
	s_add_co_i32 s28, s28, 8
	ds_load_b64 v[118:119], v115
	v_cmp_eq_u32_e32 vcc_lo, 0, v114
	s_or_b32 s0, vcc_lo, s0
	s_wait_loadcnt_dscnt 0x0
	v_pk_mul_f32 v[120:121], v[118:119], v[116:117] op_sel:[1,1] op_sel_hi:[0,1]
	s_delay_alu instid0(VALU_DEP_1) | instskip(SKIP_1) | instid1(VALU_DEP_2)
	v_pk_fma_f32 v[122:123], v[118:119], v[116:117], v[120:121] op_sel_hi:[1,0,1]
	v_pk_fma_f32 v[116:117], v[118:119], v[116:117], v[120:121] neg_lo:[0,0,1] neg_hi:[0,0,1]
	v_mov_b32_e32 v117, v123
	s_delay_alu instid0(VALU_DEP_1)
	v_pk_add_f32 v[112:113], v[112:113], v[116:117]
	s_and_not1_b32 exec_lo, exec_lo, s0
	s_cbranch_execnz .LBB117_302
; %bb.303:
	s_or_b32 exec_lo, exec_lo, s0
.LBB117_304:
	s_delay_alu instid0(SALU_CYCLE_1) | instskip(SKIP_4) | instid1(VALU_DEP_1)
	s_or_b32 exec_lo, exec_lo, s30
	v_mov_b32_e32 v114, 0
	ds_load_b64 v[114:115], v114 offset:184
	s_wait_dscnt 0x0
	v_pk_mul_f32 v[116:117], v[112:113], v[114:115] op_sel:[1,1] op_sel_hi:[0,1]
	v_pk_fma_f32 v[118:119], v[112:113], v[114:115], v[116:117] op_sel_hi:[1,0,1]
	v_pk_fma_f32 v[112:113], v[112:113], v[114:115], v[116:117] neg_lo:[0,0,1] neg_hi:[0,0,1]
	s_delay_alu instid0(VALU_DEP_2)
	v_mov_b32_e32 v113, v119
	scratch_store_b64 off, v[112:113], off offset:184
.LBB117_305:
	s_wait_xcnt 0x0
	s_or_b32 exec_lo, exec_lo, s29
	scratch_load_b64 v[112:113], off, off offset:176
	v_cmp_lt_u32_e64 s0, 22, v0
	s_wait_loadcnt 0x0
	ds_store_b64 v1, v[112:113]
	s_wait_storecnt_dscnt 0x0
	s_barrier_signal -1
	s_barrier_wait -1
	s_wait_xcnt 0x0
	s_and_saveexec_b32 s28, s0
	s_cbranch_execz .LBB117_315
; %bb.306:
	s_and_not1_b32 vcc_lo, exec_lo, s3
	s_cbranch_vccnz .LBB117_308
; %bb.307:
	scratch_load_b64 v[112:113], v59, off
	ds_load_b64 v[114:115], v1
	s_wait_loadcnt_dscnt 0x0
	v_pk_mul_f32 v[116:117], v[114:115], v[112:113] op_sel:[1,1] op_sel_hi:[0,1]
	s_delay_alu instid0(VALU_DEP_1) | instskip(SKIP_1) | instid1(VALU_DEP_2)
	v_pk_fma_f32 v[118:119], v[114:115], v[112:113], v[116:117] op_sel_hi:[1,0,1]
	v_pk_fma_f32 v[112:113], v[114:115], v[112:113], v[116:117] neg_lo:[0,0,1] neg_hi:[0,0,1]
	v_mov_b32_e32 v113, v119
	s_cbranch_execz .LBB117_309
	s_branch .LBB117_310
.LBB117_308:
                                        ; implicit-def: $vgpr112_vgpr113
.LBB117_309:
	ds_load_b64 v[112:113], v1
.LBB117_310:
	s_and_saveexec_b32 s29, s1
	s_cbranch_execz .LBB117_314
; %bb.311:
	v_subrev_nc_u32_e32 v114, 23, v0
	s_movk_i32 s30, 0x268
	s_mov_b32 s1, 0
.LBB117_312:                            ; =>This Inner Loop Header: Depth=1
	scratch_load_b64 v[116:117], off, s27
	v_dual_mov_b32 v115, s30 :: v_dual_add_nc_u32 v114, -1, v114
	s_add_co_i32 s30, s30, 8
	s_wait_xcnt 0x0
	s_add_co_i32 s27, s27, 8
	ds_load_b64 v[118:119], v115
	v_cmp_eq_u32_e32 vcc_lo, 0, v114
	s_or_b32 s1, vcc_lo, s1
	s_wait_loadcnt_dscnt 0x0
	v_pk_mul_f32 v[120:121], v[118:119], v[116:117] op_sel:[1,1] op_sel_hi:[0,1]
	s_delay_alu instid0(VALU_DEP_1) | instskip(SKIP_1) | instid1(VALU_DEP_2)
	v_pk_fma_f32 v[122:123], v[118:119], v[116:117], v[120:121] op_sel_hi:[1,0,1]
	v_pk_fma_f32 v[116:117], v[118:119], v[116:117], v[120:121] neg_lo:[0,0,1] neg_hi:[0,0,1]
	v_mov_b32_e32 v117, v123
	s_delay_alu instid0(VALU_DEP_1)
	v_pk_add_f32 v[112:113], v[112:113], v[116:117]
	s_and_not1_b32 exec_lo, exec_lo, s1
	s_cbranch_execnz .LBB117_312
; %bb.313:
	s_or_b32 exec_lo, exec_lo, s1
.LBB117_314:
	s_delay_alu instid0(SALU_CYCLE_1) | instskip(SKIP_4) | instid1(VALU_DEP_1)
	s_or_b32 exec_lo, exec_lo, s29
	v_mov_b32_e32 v114, 0
	ds_load_b64 v[114:115], v114 offset:176
	s_wait_dscnt 0x0
	v_pk_mul_f32 v[116:117], v[112:113], v[114:115] op_sel:[1,1] op_sel_hi:[0,1]
	v_pk_fma_f32 v[118:119], v[112:113], v[114:115], v[116:117] op_sel_hi:[1,0,1]
	v_pk_fma_f32 v[112:113], v[112:113], v[114:115], v[116:117] neg_lo:[0,0,1] neg_hi:[0,0,1]
	s_delay_alu instid0(VALU_DEP_2)
	v_mov_b32_e32 v113, v119
	scratch_store_b64 off, v[112:113], off offset:176
.LBB117_315:
	s_wait_xcnt 0x0
	s_or_b32 exec_lo, exec_lo, s28
	scratch_load_b64 v[112:113], off, off offset:168
	v_cmp_lt_u32_e64 s1, 21, v0
	s_wait_loadcnt 0x0
	ds_store_b64 v1, v[112:113]
	s_wait_storecnt_dscnt 0x0
	s_barrier_signal -1
	s_barrier_wait -1
	s_wait_xcnt 0x0
	s_and_saveexec_b32 s27, s1
	s_cbranch_execz .LBB117_325
; %bb.316:
	s_and_not1_b32 vcc_lo, exec_lo, s3
	s_cbranch_vccnz .LBB117_318
; %bb.317:
	scratch_load_b64 v[112:113], v59, off
	ds_load_b64 v[114:115], v1
	s_wait_loadcnt_dscnt 0x0
	v_pk_mul_f32 v[116:117], v[114:115], v[112:113] op_sel:[1,1] op_sel_hi:[0,1]
	s_delay_alu instid0(VALU_DEP_1) | instskip(SKIP_1) | instid1(VALU_DEP_2)
	v_pk_fma_f32 v[118:119], v[114:115], v[112:113], v[116:117] op_sel_hi:[1,0,1]
	v_pk_fma_f32 v[112:113], v[114:115], v[112:113], v[116:117] neg_lo:[0,0,1] neg_hi:[0,0,1]
	v_mov_b32_e32 v113, v119
	s_cbranch_execz .LBB117_319
	s_branch .LBB117_320
.LBB117_318:
                                        ; implicit-def: $vgpr112_vgpr113
.LBB117_319:
	ds_load_b64 v[112:113], v1
.LBB117_320:
	s_and_saveexec_b32 s28, s0
	s_cbranch_execz .LBB117_324
; %bb.321:
	v_subrev_nc_u32_e32 v114, 22, v0
	s_movk_i32 s29, 0x260
	s_mov_b32 s0, 0
.LBB117_322:                            ; =>This Inner Loop Header: Depth=1
	scratch_load_b64 v[116:117], off, s26
	v_dual_mov_b32 v115, s29 :: v_dual_add_nc_u32 v114, -1, v114
	s_add_co_i32 s29, s29, 8
	s_wait_xcnt 0x0
	s_add_co_i32 s26, s26, 8
	ds_load_b64 v[118:119], v115
	v_cmp_eq_u32_e32 vcc_lo, 0, v114
	s_or_b32 s0, vcc_lo, s0
	s_wait_loadcnt_dscnt 0x0
	v_pk_mul_f32 v[120:121], v[118:119], v[116:117] op_sel:[1,1] op_sel_hi:[0,1]
	s_delay_alu instid0(VALU_DEP_1) | instskip(SKIP_1) | instid1(VALU_DEP_2)
	v_pk_fma_f32 v[122:123], v[118:119], v[116:117], v[120:121] op_sel_hi:[1,0,1]
	v_pk_fma_f32 v[116:117], v[118:119], v[116:117], v[120:121] neg_lo:[0,0,1] neg_hi:[0,0,1]
	v_mov_b32_e32 v117, v123
	s_delay_alu instid0(VALU_DEP_1)
	v_pk_add_f32 v[112:113], v[112:113], v[116:117]
	s_and_not1_b32 exec_lo, exec_lo, s0
	s_cbranch_execnz .LBB117_322
; %bb.323:
	s_or_b32 exec_lo, exec_lo, s0
.LBB117_324:
	s_delay_alu instid0(SALU_CYCLE_1) | instskip(SKIP_4) | instid1(VALU_DEP_1)
	s_or_b32 exec_lo, exec_lo, s28
	v_mov_b32_e32 v114, 0
	ds_load_b64 v[114:115], v114 offset:168
	s_wait_dscnt 0x0
	v_pk_mul_f32 v[116:117], v[112:113], v[114:115] op_sel:[1,1] op_sel_hi:[0,1]
	v_pk_fma_f32 v[118:119], v[112:113], v[114:115], v[116:117] op_sel_hi:[1,0,1]
	v_pk_fma_f32 v[112:113], v[112:113], v[114:115], v[116:117] neg_lo:[0,0,1] neg_hi:[0,0,1]
	s_delay_alu instid0(VALU_DEP_2)
	v_mov_b32_e32 v113, v119
	scratch_store_b64 off, v[112:113], off offset:168
.LBB117_325:
	s_wait_xcnt 0x0
	s_or_b32 exec_lo, exec_lo, s27
	scratch_load_b64 v[112:113], off, off offset:160
	v_cmp_lt_u32_e64 s0, 20, v0
	s_wait_loadcnt 0x0
	ds_store_b64 v1, v[112:113]
	s_wait_storecnt_dscnt 0x0
	s_barrier_signal -1
	s_barrier_wait -1
	s_wait_xcnt 0x0
	s_and_saveexec_b32 s26, s0
	s_cbranch_execz .LBB117_335
; %bb.326:
	s_and_not1_b32 vcc_lo, exec_lo, s3
	s_cbranch_vccnz .LBB117_328
; %bb.327:
	scratch_load_b64 v[112:113], v59, off
	ds_load_b64 v[114:115], v1
	s_wait_loadcnt_dscnt 0x0
	v_pk_mul_f32 v[116:117], v[114:115], v[112:113] op_sel:[1,1] op_sel_hi:[0,1]
	s_delay_alu instid0(VALU_DEP_1) | instskip(SKIP_1) | instid1(VALU_DEP_2)
	v_pk_fma_f32 v[118:119], v[114:115], v[112:113], v[116:117] op_sel_hi:[1,0,1]
	v_pk_fma_f32 v[112:113], v[114:115], v[112:113], v[116:117] neg_lo:[0,0,1] neg_hi:[0,0,1]
	v_mov_b32_e32 v113, v119
	s_cbranch_execz .LBB117_329
	s_branch .LBB117_330
.LBB117_328:
                                        ; implicit-def: $vgpr112_vgpr113
.LBB117_329:
	ds_load_b64 v[112:113], v1
.LBB117_330:
	s_and_saveexec_b32 s27, s1
	s_cbranch_execz .LBB117_334
; %bb.331:
	v_subrev_nc_u32_e32 v114, 21, v0
	s_movk_i32 s28, 0x258
	s_mov_b32 s1, 0
.LBB117_332:                            ; =>This Inner Loop Header: Depth=1
	scratch_load_b64 v[116:117], off, s25
	v_dual_mov_b32 v115, s28 :: v_dual_add_nc_u32 v114, -1, v114
	s_add_co_i32 s28, s28, 8
	s_wait_xcnt 0x0
	s_add_co_i32 s25, s25, 8
	ds_load_b64 v[118:119], v115
	v_cmp_eq_u32_e32 vcc_lo, 0, v114
	s_or_b32 s1, vcc_lo, s1
	s_wait_loadcnt_dscnt 0x0
	v_pk_mul_f32 v[120:121], v[118:119], v[116:117] op_sel:[1,1] op_sel_hi:[0,1]
	s_delay_alu instid0(VALU_DEP_1) | instskip(SKIP_1) | instid1(VALU_DEP_2)
	v_pk_fma_f32 v[122:123], v[118:119], v[116:117], v[120:121] op_sel_hi:[1,0,1]
	v_pk_fma_f32 v[116:117], v[118:119], v[116:117], v[120:121] neg_lo:[0,0,1] neg_hi:[0,0,1]
	v_mov_b32_e32 v117, v123
	s_delay_alu instid0(VALU_DEP_1)
	v_pk_add_f32 v[112:113], v[112:113], v[116:117]
	s_and_not1_b32 exec_lo, exec_lo, s1
	s_cbranch_execnz .LBB117_332
; %bb.333:
	s_or_b32 exec_lo, exec_lo, s1
.LBB117_334:
	s_delay_alu instid0(SALU_CYCLE_1) | instskip(SKIP_4) | instid1(VALU_DEP_1)
	s_or_b32 exec_lo, exec_lo, s27
	v_mov_b32_e32 v114, 0
	ds_load_b64 v[114:115], v114 offset:160
	s_wait_dscnt 0x0
	v_pk_mul_f32 v[116:117], v[112:113], v[114:115] op_sel:[1,1] op_sel_hi:[0,1]
	v_pk_fma_f32 v[118:119], v[112:113], v[114:115], v[116:117] op_sel_hi:[1,0,1]
	v_pk_fma_f32 v[112:113], v[112:113], v[114:115], v[116:117] neg_lo:[0,0,1] neg_hi:[0,0,1]
	s_delay_alu instid0(VALU_DEP_2)
	v_mov_b32_e32 v113, v119
	scratch_store_b64 off, v[112:113], off offset:160
.LBB117_335:
	s_wait_xcnt 0x0
	s_or_b32 exec_lo, exec_lo, s26
	scratch_load_b64 v[112:113], off, off offset:152
	v_cmp_lt_u32_e64 s1, 19, v0
	s_wait_loadcnt 0x0
	ds_store_b64 v1, v[112:113]
	s_wait_storecnt_dscnt 0x0
	s_barrier_signal -1
	s_barrier_wait -1
	s_wait_xcnt 0x0
	s_and_saveexec_b32 s25, s1
	s_cbranch_execz .LBB117_345
; %bb.336:
	s_and_not1_b32 vcc_lo, exec_lo, s3
	s_cbranch_vccnz .LBB117_338
; %bb.337:
	scratch_load_b64 v[112:113], v59, off
	ds_load_b64 v[114:115], v1
	s_wait_loadcnt_dscnt 0x0
	v_pk_mul_f32 v[116:117], v[114:115], v[112:113] op_sel:[1,1] op_sel_hi:[0,1]
	s_delay_alu instid0(VALU_DEP_1) | instskip(SKIP_1) | instid1(VALU_DEP_2)
	v_pk_fma_f32 v[118:119], v[114:115], v[112:113], v[116:117] op_sel_hi:[1,0,1]
	v_pk_fma_f32 v[112:113], v[114:115], v[112:113], v[116:117] neg_lo:[0,0,1] neg_hi:[0,0,1]
	v_mov_b32_e32 v113, v119
	s_cbranch_execz .LBB117_339
	s_branch .LBB117_340
.LBB117_338:
                                        ; implicit-def: $vgpr112_vgpr113
.LBB117_339:
	ds_load_b64 v[112:113], v1
.LBB117_340:
	s_and_saveexec_b32 s26, s0
	s_cbranch_execz .LBB117_344
; %bb.341:
	v_subrev_nc_u32_e32 v114, 20, v0
	s_movk_i32 s27, 0x250
	s_mov_b32 s0, 0
.LBB117_342:                            ; =>This Inner Loop Header: Depth=1
	scratch_load_b64 v[116:117], off, s24
	v_dual_mov_b32 v115, s27 :: v_dual_add_nc_u32 v114, -1, v114
	s_add_co_i32 s27, s27, 8
	s_wait_xcnt 0x0
	s_add_co_i32 s24, s24, 8
	ds_load_b64 v[118:119], v115
	v_cmp_eq_u32_e32 vcc_lo, 0, v114
	s_or_b32 s0, vcc_lo, s0
	s_wait_loadcnt_dscnt 0x0
	v_pk_mul_f32 v[120:121], v[118:119], v[116:117] op_sel:[1,1] op_sel_hi:[0,1]
	s_delay_alu instid0(VALU_DEP_1) | instskip(SKIP_1) | instid1(VALU_DEP_2)
	v_pk_fma_f32 v[122:123], v[118:119], v[116:117], v[120:121] op_sel_hi:[1,0,1]
	v_pk_fma_f32 v[116:117], v[118:119], v[116:117], v[120:121] neg_lo:[0,0,1] neg_hi:[0,0,1]
	v_mov_b32_e32 v117, v123
	s_delay_alu instid0(VALU_DEP_1)
	v_pk_add_f32 v[112:113], v[112:113], v[116:117]
	s_and_not1_b32 exec_lo, exec_lo, s0
	s_cbranch_execnz .LBB117_342
; %bb.343:
	s_or_b32 exec_lo, exec_lo, s0
.LBB117_344:
	s_delay_alu instid0(SALU_CYCLE_1) | instskip(SKIP_4) | instid1(VALU_DEP_1)
	s_or_b32 exec_lo, exec_lo, s26
	v_mov_b32_e32 v114, 0
	ds_load_b64 v[114:115], v114 offset:152
	s_wait_dscnt 0x0
	v_pk_mul_f32 v[116:117], v[112:113], v[114:115] op_sel:[1,1] op_sel_hi:[0,1]
	v_pk_fma_f32 v[118:119], v[112:113], v[114:115], v[116:117] op_sel_hi:[1,0,1]
	v_pk_fma_f32 v[112:113], v[112:113], v[114:115], v[116:117] neg_lo:[0,0,1] neg_hi:[0,0,1]
	s_delay_alu instid0(VALU_DEP_2)
	v_mov_b32_e32 v113, v119
	scratch_store_b64 off, v[112:113], off offset:152
.LBB117_345:
	s_wait_xcnt 0x0
	s_or_b32 exec_lo, exec_lo, s25
	scratch_load_b64 v[112:113], off, off offset:144
	v_cmp_lt_u32_e64 s0, 18, v0
	s_wait_loadcnt 0x0
	ds_store_b64 v1, v[112:113]
	s_wait_storecnt_dscnt 0x0
	s_barrier_signal -1
	s_barrier_wait -1
	s_wait_xcnt 0x0
	s_and_saveexec_b32 s24, s0
	s_cbranch_execz .LBB117_355
; %bb.346:
	s_and_not1_b32 vcc_lo, exec_lo, s3
	s_cbranch_vccnz .LBB117_348
; %bb.347:
	scratch_load_b64 v[112:113], v59, off
	ds_load_b64 v[114:115], v1
	s_wait_loadcnt_dscnt 0x0
	v_pk_mul_f32 v[116:117], v[114:115], v[112:113] op_sel:[1,1] op_sel_hi:[0,1]
	s_delay_alu instid0(VALU_DEP_1) | instskip(SKIP_1) | instid1(VALU_DEP_2)
	v_pk_fma_f32 v[118:119], v[114:115], v[112:113], v[116:117] op_sel_hi:[1,0,1]
	v_pk_fma_f32 v[112:113], v[114:115], v[112:113], v[116:117] neg_lo:[0,0,1] neg_hi:[0,0,1]
	v_mov_b32_e32 v113, v119
	s_cbranch_execz .LBB117_349
	s_branch .LBB117_350
.LBB117_348:
                                        ; implicit-def: $vgpr112_vgpr113
.LBB117_349:
	ds_load_b64 v[112:113], v1
.LBB117_350:
	s_and_saveexec_b32 s25, s1
	s_cbranch_execz .LBB117_354
; %bb.351:
	v_subrev_nc_u32_e32 v114, 19, v0
	s_movk_i32 s26, 0x248
	s_mov_b32 s1, 0
.LBB117_352:                            ; =>This Inner Loop Header: Depth=1
	scratch_load_b64 v[116:117], off, s23
	v_dual_mov_b32 v115, s26 :: v_dual_add_nc_u32 v114, -1, v114
	s_add_co_i32 s26, s26, 8
	s_wait_xcnt 0x0
	s_add_co_i32 s23, s23, 8
	ds_load_b64 v[118:119], v115
	v_cmp_eq_u32_e32 vcc_lo, 0, v114
	s_or_b32 s1, vcc_lo, s1
	s_wait_loadcnt_dscnt 0x0
	v_pk_mul_f32 v[120:121], v[118:119], v[116:117] op_sel:[1,1] op_sel_hi:[0,1]
	s_delay_alu instid0(VALU_DEP_1) | instskip(SKIP_1) | instid1(VALU_DEP_2)
	v_pk_fma_f32 v[122:123], v[118:119], v[116:117], v[120:121] op_sel_hi:[1,0,1]
	v_pk_fma_f32 v[116:117], v[118:119], v[116:117], v[120:121] neg_lo:[0,0,1] neg_hi:[0,0,1]
	v_mov_b32_e32 v117, v123
	s_delay_alu instid0(VALU_DEP_1)
	v_pk_add_f32 v[112:113], v[112:113], v[116:117]
	s_and_not1_b32 exec_lo, exec_lo, s1
	s_cbranch_execnz .LBB117_352
; %bb.353:
	s_or_b32 exec_lo, exec_lo, s1
.LBB117_354:
	s_delay_alu instid0(SALU_CYCLE_1) | instskip(SKIP_4) | instid1(VALU_DEP_1)
	s_or_b32 exec_lo, exec_lo, s25
	v_mov_b32_e32 v114, 0
	ds_load_b64 v[114:115], v114 offset:144
	s_wait_dscnt 0x0
	v_pk_mul_f32 v[116:117], v[112:113], v[114:115] op_sel:[1,1] op_sel_hi:[0,1]
	v_pk_fma_f32 v[118:119], v[112:113], v[114:115], v[116:117] op_sel_hi:[1,0,1]
	v_pk_fma_f32 v[112:113], v[112:113], v[114:115], v[116:117] neg_lo:[0,0,1] neg_hi:[0,0,1]
	s_delay_alu instid0(VALU_DEP_2)
	v_mov_b32_e32 v113, v119
	scratch_store_b64 off, v[112:113], off offset:144
.LBB117_355:
	s_wait_xcnt 0x0
	s_or_b32 exec_lo, exec_lo, s24
	scratch_load_b64 v[112:113], off, off offset:136
	v_cmp_lt_u32_e64 s1, 17, v0
	s_wait_loadcnt 0x0
	ds_store_b64 v1, v[112:113]
	s_wait_storecnt_dscnt 0x0
	s_barrier_signal -1
	s_barrier_wait -1
	s_wait_xcnt 0x0
	s_and_saveexec_b32 s23, s1
	s_cbranch_execz .LBB117_365
; %bb.356:
	s_and_not1_b32 vcc_lo, exec_lo, s3
	s_cbranch_vccnz .LBB117_358
; %bb.357:
	scratch_load_b64 v[112:113], v59, off
	ds_load_b64 v[114:115], v1
	s_wait_loadcnt_dscnt 0x0
	v_pk_mul_f32 v[116:117], v[114:115], v[112:113] op_sel:[1,1] op_sel_hi:[0,1]
	s_delay_alu instid0(VALU_DEP_1) | instskip(SKIP_1) | instid1(VALU_DEP_2)
	v_pk_fma_f32 v[118:119], v[114:115], v[112:113], v[116:117] op_sel_hi:[1,0,1]
	v_pk_fma_f32 v[112:113], v[114:115], v[112:113], v[116:117] neg_lo:[0,0,1] neg_hi:[0,0,1]
	v_mov_b32_e32 v113, v119
	s_cbranch_execz .LBB117_359
	s_branch .LBB117_360
.LBB117_358:
                                        ; implicit-def: $vgpr112_vgpr113
.LBB117_359:
	ds_load_b64 v[112:113], v1
.LBB117_360:
	s_and_saveexec_b32 s24, s0
	s_cbranch_execz .LBB117_364
; %bb.361:
	v_subrev_nc_u32_e32 v114, 18, v0
	s_movk_i32 s25, 0x240
	s_mov_b32 s0, 0
.LBB117_362:                            ; =>This Inner Loop Header: Depth=1
	scratch_load_b64 v[116:117], off, s22
	v_dual_mov_b32 v115, s25 :: v_dual_add_nc_u32 v114, -1, v114
	s_add_co_i32 s25, s25, 8
	s_wait_xcnt 0x0
	s_add_co_i32 s22, s22, 8
	ds_load_b64 v[118:119], v115
	v_cmp_eq_u32_e32 vcc_lo, 0, v114
	s_or_b32 s0, vcc_lo, s0
	s_wait_loadcnt_dscnt 0x0
	v_pk_mul_f32 v[120:121], v[118:119], v[116:117] op_sel:[1,1] op_sel_hi:[0,1]
	s_delay_alu instid0(VALU_DEP_1) | instskip(SKIP_1) | instid1(VALU_DEP_2)
	v_pk_fma_f32 v[122:123], v[118:119], v[116:117], v[120:121] op_sel_hi:[1,0,1]
	v_pk_fma_f32 v[116:117], v[118:119], v[116:117], v[120:121] neg_lo:[0,0,1] neg_hi:[0,0,1]
	v_mov_b32_e32 v117, v123
	s_delay_alu instid0(VALU_DEP_1)
	v_pk_add_f32 v[112:113], v[112:113], v[116:117]
	s_and_not1_b32 exec_lo, exec_lo, s0
	s_cbranch_execnz .LBB117_362
; %bb.363:
	s_or_b32 exec_lo, exec_lo, s0
.LBB117_364:
	s_delay_alu instid0(SALU_CYCLE_1) | instskip(SKIP_4) | instid1(VALU_DEP_1)
	s_or_b32 exec_lo, exec_lo, s24
	v_mov_b32_e32 v114, 0
	ds_load_b64 v[114:115], v114 offset:136
	s_wait_dscnt 0x0
	v_pk_mul_f32 v[116:117], v[112:113], v[114:115] op_sel:[1,1] op_sel_hi:[0,1]
	v_pk_fma_f32 v[118:119], v[112:113], v[114:115], v[116:117] op_sel_hi:[1,0,1]
	v_pk_fma_f32 v[112:113], v[112:113], v[114:115], v[116:117] neg_lo:[0,0,1] neg_hi:[0,0,1]
	s_delay_alu instid0(VALU_DEP_2)
	v_mov_b32_e32 v113, v119
	scratch_store_b64 off, v[112:113], off offset:136
.LBB117_365:
	s_wait_xcnt 0x0
	s_or_b32 exec_lo, exec_lo, s23
	scratch_load_b64 v[112:113], off, off offset:128
	v_cmp_lt_u32_e64 s0, 16, v0
	s_wait_loadcnt 0x0
	ds_store_b64 v1, v[112:113]
	s_wait_storecnt_dscnt 0x0
	s_barrier_signal -1
	s_barrier_wait -1
	s_wait_xcnt 0x0
	s_and_saveexec_b32 s22, s0
	s_cbranch_execz .LBB117_375
; %bb.366:
	s_and_not1_b32 vcc_lo, exec_lo, s3
	s_cbranch_vccnz .LBB117_368
; %bb.367:
	scratch_load_b64 v[112:113], v59, off
	ds_load_b64 v[114:115], v1
	s_wait_loadcnt_dscnt 0x0
	v_pk_mul_f32 v[116:117], v[114:115], v[112:113] op_sel:[1,1] op_sel_hi:[0,1]
	s_delay_alu instid0(VALU_DEP_1) | instskip(SKIP_1) | instid1(VALU_DEP_2)
	v_pk_fma_f32 v[118:119], v[114:115], v[112:113], v[116:117] op_sel_hi:[1,0,1]
	v_pk_fma_f32 v[112:113], v[114:115], v[112:113], v[116:117] neg_lo:[0,0,1] neg_hi:[0,0,1]
	v_mov_b32_e32 v113, v119
	s_cbranch_execz .LBB117_369
	s_branch .LBB117_370
.LBB117_368:
                                        ; implicit-def: $vgpr112_vgpr113
.LBB117_369:
	ds_load_b64 v[112:113], v1
.LBB117_370:
	s_and_saveexec_b32 s23, s1
	s_cbranch_execz .LBB117_374
; %bb.371:
	v_subrev_nc_u32_e32 v114, 17, v0
	s_movk_i32 s24, 0x238
	s_mov_b32 s1, 0
.LBB117_372:                            ; =>This Inner Loop Header: Depth=1
	scratch_load_b64 v[116:117], off, s21
	v_dual_mov_b32 v115, s24 :: v_dual_add_nc_u32 v114, -1, v114
	s_add_co_i32 s24, s24, 8
	s_wait_xcnt 0x0
	s_add_co_i32 s21, s21, 8
	ds_load_b64 v[118:119], v115
	v_cmp_eq_u32_e32 vcc_lo, 0, v114
	s_or_b32 s1, vcc_lo, s1
	s_wait_loadcnt_dscnt 0x0
	v_pk_mul_f32 v[120:121], v[118:119], v[116:117] op_sel:[1,1] op_sel_hi:[0,1]
	s_delay_alu instid0(VALU_DEP_1) | instskip(SKIP_1) | instid1(VALU_DEP_2)
	v_pk_fma_f32 v[122:123], v[118:119], v[116:117], v[120:121] op_sel_hi:[1,0,1]
	v_pk_fma_f32 v[116:117], v[118:119], v[116:117], v[120:121] neg_lo:[0,0,1] neg_hi:[0,0,1]
	v_mov_b32_e32 v117, v123
	s_delay_alu instid0(VALU_DEP_1)
	v_pk_add_f32 v[112:113], v[112:113], v[116:117]
	s_and_not1_b32 exec_lo, exec_lo, s1
	s_cbranch_execnz .LBB117_372
; %bb.373:
	s_or_b32 exec_lo, exec_lo, s1
.LBB117_374:
	s_delay_alu instid0(SALU_CYCLE_1) | instskip(SKIP_4) | instid1(VALU_DEP_1)
	s_or_b32 exec_lo, exec_lo, s23
	v_mov_b32_e32 v114, 0
	ds_load_b64 v[114:115], v114 offset:128
	s_wait_dscnt 0x0
	v_pk_mul_f32 v[116:117], v[112:113], v[114:115] op_sel:[1,1] op_sel_hi:[0,1]
	v_pk_fma_f32 v[118:119], v[112:113], v[114:115], v[116:117] op_sel_hi:[1,0,1]
	v_pk_fma_f32 v[112:113], v[112:113], v[114:115], v[116:117] neg_lo:[0,0,1] neg_hi:[0,0,1]
	s_delay_alu instid0(VALU_DEP_2)
	v_mov_b32_e32 v113, v119
	scratch_store_b64 off, v[112:113], off offset:128
.LBB117_375:
	s_wait_xcnt 0x0
	s_or_b32 exec_lo, exec_lo, s22
	scratch_load_b64 v[112:113], off, off offset:120
	v_cmp_lt_u32_e64 s1, 15, v0
	s_wait_loadcnt 0x0
	ds_store_b64 v1, v[112:113]
	s_wait_storecnt_dscnt 0x0
	s_barrier_signal -1
	s_barrier_wait -1
	s_wait_xcnt 0x0
	s_and_saveexec_b32 s21, s1
	s_cbranch_execz .LBB117_385
; %bb.376:
	s_and_not1_b32 vcc_lo, exec_lo, s3
	s_cbranch_vccnz .LBB117_378
; %bb.377:
	scratch_load_b64 v[112:113], v59, off
	ds_load_b64 v[114:115], v1
	s_wait_loadcnt_dscnt 0x0
	v_pk_mul_f32 v[116:117], v[114:115], v[112:113] op_sel:[1,1] op_sel_hi:[0,1]
	s_delay_alu instid0(VALU_DEP_1) | instskip(SKIP_1) | instid1(VALU_DEP_2)
	v_pk_fma_f32 v[118:119], v[114:115], v[112:113], v[116:117] op_sel_hi:[1,0,1]
	v_pk_fma_f32 v[112:113], v[114:115], v[112:113], v[116:117] neg_lo:[0,0,1] neg_hi:[0,0,1]
	v_mov_b32_e32 v113, v119
	s_cbranch_execz .LBB117_379
	s_branch .LBB117_380
.LBB117_378:
                                        ; implicit-def: $vgpr112_vgpr113
.LBB117_379:
	ds_load_b64 v[112:113], v1
.LBB117_380:
	s_and_saveexec_b32 s22, s0
	s_cbranch_execz .LBB117_384
; %bb.381:
	v_add_nc_u32_e32 v114, -16, v0
	s_movk_i32 s23, 0x230
	s_mov_b32 s0, 0
.LBB117_382:                            ; =>This Inner Loop Header: Depth=1
	scratch_load_b64 v[116:117], off, s20
	v_dual_mov_b32 v115, s23 :: v_dual_add_nc_u32 v114, -1, v114
	s_add_co_i32 s23, s23, 8
	s_wait_xcnt 0x0
	s_add_co_i32 s20, s20, 8
	ds_load_b64 v[118:119], v115
	v_cmp_eq_u32_e32 vcc_lo, 0, v114
	s_or_b32 s0, vcc_lo, s0
	s_wait_loadcnt_dscnt 0x0
	v_pk_mul_f32 v[120:121], v[118:119], v[116:117] op_sel:[1,1] op_sel_hi:[0,1]
	s_delay_alu instid0(VALU_DEP_1) | instskip(SKIP_1) | instid1(VALU_DEP_2)
	v_pk_fma_f32 v[122:123], v[118:119], v[116:117], v[120:121] op_sel_hi:[1,0,1]
	v_pk_fma_f32 v[116:117], v[118:119], v[116:117], v[120:121] neg_lo:[0,0,1] neg_hi:[0,0,1]
	v_mov_b32_e32 v117, v123
	s_delay_alu instid0(VALU_DEP_1)
	v_pk_add_f32 v[112:113], v[112:113], v[116:117]
	s_and_not1_b32 exec_lo, exec_lo, s0
	s_cbranch_execnz .LBB117_382
; %bb.383:
	s_or_b32 exec_lo, exec_lo, s0
.LBB117_384:
	s_delay_alu instid0(SALU_CYCLE_1) | instskip(SKIP_4) | instid1(VALU_DEP_1)
	s_or_b32 exec_lo, exec_lo, s22
	v_mov_b32_e32 v114, 0
	ds_load_b64 v[114:115], v114 offset:120
	s_wait_dscnt 0x0
	v_pk_mul_f32 v[116:117], v[112:113], v[114:115] op_sel:[1,1] op_sel_hi:[0,1]
	v_pk_fma_f32 v[118:119], v[112:113], v[114:115], v[116:117] op_sel_hi:[1,0,1]
	v_pk_fma_f32 v[112:113], v[112:113], v[114:115], v[116:117] neg_lo:[0,0,1] neg_hi:[0,0,1]
	s_delay_alu instid0(VALU_DEP_2)
	v_mov_b32_e32 v113, v119
	scratch_store_b64 off, v[112:113], off offset:120
.LBB117_385:
	s_wait_xcnt 0x0
	s_or_b32 exec_lo, exec_lo, s21
	scratch_load_b64 v[112:113], off, off offset:112
	v_cmp_lt_u32_e64 s0, 14, v0
	s_wait_loadcnt 0x0
	ds_store_b64 v1, v[112:113]
	s_wait_storecnt_dscnt 0x0
	s_barrier_signal -1
	s_barrier_wait -1
	s_wait_xcnt 0x0
	s_and_saveexec_b32 s20, s0
	s_cbranch_execz .LBB117_395
; %bb.386:
	s_and_not1_b32 vcc_lo, exec_lo, s3
	s_cbranch_vccnz .LBB117_388
; %bb.387:
	scratch_load_b64 v[112:113], v59, off
	ds_load_b64 v[114:115], v1
	s_wait_loadcnt_dscnt 0x0
	v_pk_mul_f32 v[116:117], v[114:115], v[112:113] op_sel:[1,1] op_sel_hi:[0,1]
	s_delay_alu instid0(VALU_DEP_1) | instskip(SKIP_1) | instid1(VALU_DEP_2)
	v_pk_fma_f32 v[118:119], v[114:115], v[112:113], v[116:117] op_sel_hi:[1,0,1]
	v_pk_fma_f32 v[112:113], v[114:115], v[112:113], v[116:117] neg_lo:[0,0,1] neg_hi:[0,0,1]
	v_mov_b32_e32 v113, v119
	s_cbranch_execz .LBB117_389
	s_branch .LBB117_390
.LBB117_388:
                                        ; implicit-def: $vgpr112_vgpr113
.LBB117_389:
	ds_load_b64 v[112:113], v1
.LBB117_390:
	s_and_saveexec_b32 s21, s1
	s_cbranch_execz .LBB117_394
; %bb.391:
	v_add_nc_u32_e32 v114, -15, v0
	s_movk_i32 s22, 0x228
	s_mov_b32 s1, 0
.LBB117_392:                            ; =>This Inner Loop Header: Depth=1
	scratch_load_b64 v[116:117], off, s19
	v_dual_mov_b32 v115, s22 :: v_dual_add_nc_u32 v114, -1, v114
	s_add_co_i32 s22, s22, 8
	s_wait_xcnt 0x0
	s_add_co_i32 s19, s19, 8
	ds_load_b64 v[118:119], v115
	v_cmp_eq_u32_e32 vcc_lo, 0, v114
	s_or_b32 s1, vcc_lo, s1
	s_wait_loadcnt_dscnt 0x0
	v_pk_mul_f32 v[120:121], v[118:119], v[116:117] op_sel:[1,1] op_sel_hi:[0,1]
	s_delay_alu instid0(VALU_DEP_1) | instskip(SKIP_1) | instid1(VALU_DEP_2)
	v_pk_fma_f32 v[122:123], v[118:119], v[116:117], v[120:121] op_sel_hi:[1,0,1]
	v_pk_fma_f32 v[116:117], v[118:119], v[116:117], v[120:121] neg_lo:[0,0,1] neg_hi:[0,0,1]
	v_mov_b32_e32 v117, v123
	s_delay_alu instid0(VALU_DEP_1)
	v_pk_add_f32 v[112:113], v[112:113], v[116:117]
	s_and_not1_b32 exec_lo, exec_lo, s1
	s_cbranch_execnz .LBB117_392
; %bb.393:
	s_or_b32 exec_lo, exec_lo, s1
.LBB117_394:
	s_delay_alu instid0(SALU_CYCLE_1) | instskip(SKIP_4) | instid1(VALU_DEP_1)
	s_or_b32 exec_lo, exec_lo, s21
	v_mov_b32_e32 v114, 0
	ds_load_b64 v[114:115], v114 offset:112
	s_wait_dscnt 0x0
	v_pk_mul_f32 v[116:117], v[112:113], v[114:115] op_sel:[1,1] op_sel_hi:[0,1]
	v_pk_fma_f32 v[118:119], v[112:113], v[114:115], v[116:117] op_sel_hi:[1,0,1]
	v_pk_fma_f32 v[112:113], v[112:113], v[114:115], v[116:117] neg_lo:[0,0,1] neg_hi:[0,0,1]
	s_delay_alu instid0(VALU_DEP_2)
	v_mov_b32_e32 v113, v119
	scratch_store_b64 off, v[112:113], off offset:112
.LBB117_395:
	s_wait_xcnt 0x0
	s_or_b32 exec_lo, exec_lo, s20
	scratch_load_b64 v[112:113], off, off offset:104
	v_cmp_lt_u32_e64 s1, 13, v0
	s_wait_loadcnt 0x0
	ds_store_b64 v1, v[112:113]
	s_wait_storecnt_dscnt 0x0
	s_barrier_signal -1
	s_barrier_wait -1
	s_wait_xcnt 0x0
	s_and_saveexec_b32 s19, s1
	s_cbranch_execz .LBB117_405
; %bb.396:
	s_and_not1_b32 vcc_lo, exec_lo, s3
	s_cbranch_vccnz .LBB117_398
; %bb.397:
	scratch_load_b64 v[112:113], v59, off
	ds_load_b64 v[114:115], v1
	s_wait_loadcnt_dscnt 0x0
	v_pk_mul_f32 v[116:117], v[114:115], v[112:113] op_sel:[1,1] op_sel_hi:[0,1]
	s_delay_alu instid0(VALU_DEP_1) | instskip(SKIP_1) | instid1(VALU_DEP_2)
	v_pk_fma_f32 v[118:119], v[114:115], v[112:113], v[116:117] op_sel_hi:[1,0,1]
	v_pk_fma_f32 v[112:113], v[114:115], v[112:113], v[116:117] neg_lo:[0,0,1] neg_hi:[0,0,1]
	v_mov_b32_e32 v113, v119
	s_cbranch_execz .LBB117_399
	s_branch .LBB117_400
.LBB117_398:
                                        ; implicit-def: $vgpr112_vgpr113
.LBB117_399:
	ds_load_b64 v[112:113], v1
.LBB117_400:
	s_and_saveexec_b32 s20, s0
	s_cbranch_execz .LBB117_404
; %bb.401:
	v_add_nc_u32_e32 v114, -14, v0
	s_movk_i32 s21, 0x220
	s_mov_b32 s0, 0
.LBB117_402:                            ; =>This Inner Loop Header: Depth=1
	scratch_load_b64 v[116:117], off, s18
	v_dual_mov_b32 v115, s21 :: v_dual_add_nc_u32 v114, -1, v114
	s_add_co_i32 s21, s21, 8
	s_wait_xcnt 0x0
	s_add_co_i32 s18, s18, 8
	ds_load_b64 v[118:119], v115
	v_cmp_eq_u32_e32 vcc_lo, 0, v114
	s_or_b32 s0, vcc_lo, s0
	s_wait_loadcnt_dscnt 0x0
	v_pk_mul_f32 v[120:121], v[118:119], v[116:117] op_sel:[1,1] op_sel_hi:[0,1]
	s_delay_alu instid0(VALU_DEP_1) | instskip(SKIP_1) | instid1(VALU_DEP_2)
	v_pk_fma_f32 v[122:123], v[118:119], v[116:117], v[120:121] op_sel_hi:[1,0,1]
	v_pk_fma_f32 v[116:117], v[118:119], v[116:117], v[120:121] neg_lo:[0,0,1] neg_hi:[0,0,1]
	v_mov_b32_e32 v117, v123
	s_delay_alu instid0(VALU_DEP_1)
	v_pk_add_f32 v[112:113], v[112:113], v[116:117]
	s_and_not1_b32 exec_lo, exec_lo, s0
	s_cbranch_execnz .LBB117_402
; %bb.403:
	s_or_b32 exec_lo, exec_lo, s0
.LBB117_404:
	s_delay_alu instid0(SALU_CYCLE_1) | instskip(SKIP_4) | instid1(VALU_DEP_1)
	s_or_b32 exec_lo, exec_lo, s20
	v_mov_b32_e32 v114, 0
	ds_load_b64 v[114:115], v114 offset:104
	s_wait_dscnt 0x0
	v_pk_mul_f32 v[116:117], v[112:113], v[114:115] op_sel:[1,1] op_sel_hi:[0,1]
	v_pk_fma_f32 v[118:119], v[112:113], v[114:115], v[116:117] op_sel_hi:[1,0,1]
	v_pk_fma_f32 v[112:113], v[112:113], v[114:115], v[116:117] neg_lo:[0,0,1] neg_hi:[0,0,1]
	s_delay_alu instid0(VALU_DEP_2)
	v_mov_b32_e32 v113, v119
	scratch_store_b64 off, v[112:113], off offset:104
.LBB117_405:
	s_wait_xcnt 0x0
	s_or_b32 exec_lo, exec_lo, s19
	scratch_load_b64 v[112:113], off, off offset:96
	v_cmp_lt_u32_e64 s0, 12, v0
	s_wait_loadcnt 0x0
	ds_store_b64 v1, v[112:113]
	s_wait_storecnt_dscnt 0x0
	s_barrier_signal -1
	s_barrier_wait -1
	s_wait_xcnt 0x0
	s_and_saveexec_b32 s18, s0
	s_cbranch_execz .LBB117_415
; %bb.406:
	s_and_not1_b32 vcc_lo, exec_lo, s3
	s_cbranch_vccnz .LBB117_408
; %bb.407:
	scratch_load_b64 v[112:113], v59, off
	ds_load_b64 v[114:115], v1
	s_wait_loadcnt_dscnt 0x0
	v_pk_mul_f32 v[116:117], v[114:115], v[112:113] op_sel:[1,1] op_sel_hi:[0,1]
	s_delay_alu instid0(VALU_DEP_1) | instskip(SKIP_1) | instid1(VALU_DEP_2)
	v_pk_fma_f32 v[118:119], v[114:115], v[112:113], v[116:117] op_sel_hi:[1,0,1]
	v_pk_fma_f32 v[112:113], v[114:115], v[112:113], v[116:117] neg_lo:[0,0,1] neg_hi:[0,0,1]
	v_mov_b32_e32 v113, v119
	s_cbranch_execz .LBB117_409
	s_branch .LBB117_410
.LBB117_408:
                                        ; implicit-def: $vgpr112_vgpr113
.LBB117_409:
	ds_load_b64 v[112:113], v1
.LBB117_410:
	s_and_saveexec_b32 s19, s1
	s_cbranch_execz .LBB117_414
; %bb.411:
	v_add_nc_u32_e32 v114, -13, v0
	s_movk_i32 s20, 0x218
	s_mov_b32 s1, 0
.LBB117_412:                            ; =>This Inner Loop Header: Depth=1
	scratch_load_b64 v[116:117], off, s17
	v_dual_mov_b32 v115, s20 :: v_dual_add_nc_u32 v114, -1, v114
	s_add_co_i32 s20, s20, 8
	s_wait_xcnt 0x0
	s_add_co_i32 s17, s17, 8
	ds_load_b64 v[118:119], v115
	v_cmp_eq_u32_e32 vcc_lo, 0, v114
	s_or_b32 s1, vcc_lo, s1
	s_wait_loadcnt_dscnt 0x0
	v_pk_mul_f32 v[120:121], v[118:119], v[116:117] op_sel:[1,1] op_sel_hi:[0,1]
	s_delay_alu instid0(VALU_DEP_1) | instskip(SKIP_1) | instid1(VALU_DEP_2)
	v_pk_fma_f32 v[122:123], v[118:119], v[116:117], v[120:121] op_sel_hi:[1,0,1]
	v_pk_fma_f32 v[116:117], v[118:119], v[116:117], v[120:121] neg_lo:[0,0,1] neg_hi:[0,0,1]
	v_mov_b32_e32 v117, v123
	s_delay_alu instid0(VALU_DEP_1)
	v_pk_add_f32 v[112:113], v[112:113], v[116:117]
	s_and_not1_b32 exec_lo, exec_lo, s1
	s_cbranch_execnz .LBB117_412
; %bb.413:
	s_or_b32 exec_lo, exec_lo, s1
.LBB117_414:
	s_delay_alu instid0(SALU_CYCLE_1) | instskip(SKIP_4) | instid1(VALU_DEP_1)
	s_or_b32 exec_lo, exec_lo, s19
	v_mov_b32_e32 v114, 0
	ds_load_b64 v[114:115], v114 offset:96
	s_wait_dscnt 0x0
	v_pk_mul_f32 v[116:117], v[112:113], v[114:115] op_sel:[1,1] op_sel_hi:[0,1]
	v_pk_fma_f32 v[118:119], v[112:113], v[114:115], v[116:117] op_sel_hi:[1,0,1]
	v_pk_fma_f32 v[112:113], v[112:113], v[114:115], v[116:117] neg_lo:[0,0,1] neg_hi:[0,0,1]
	s_delay_alu instid0(VALU_DEP_2)
	v_mov_b32_e32 v113, v119
	scratch_store_b64 off, v[112:113], off offset:96
.LBB117_415:
	s_wait_xcnt 0x0
	s_or_b32 exec_lo, exec_lo, s18
	scratch_load_b64 v[112:113], off, off offset:88
	v_cmp_lt_u32_e64 s1, 11, v0
	s_wait_loadcnt 0x0
	ds_store_b64 v1, v[112:113]
	s_wait_storecnt_dscnt 0x0
	s_barrier_signal -1
	s_barrier_wait -1
	s_wait_xcnt 0x0
	s_and_saveexec_b32 s17, s1
	s_cbranch_execz .LBB117_425
; %bb.416:
	s_and_not1_b32 vcc_lo, exec_lo, s3
	s_cbranch_vccnz .LBB117_418
; %bb.417:
	scratch_load_b64 v[112:113], v59, off
	ds_load_b64 v[114:115], v1
	s_wait_loadcnt_dscnt 0x0
	v_pk_mul_f32 v[116:117], v[114:115], v[112:113] op_sel:[1,1] op_sel_hi:[0,1]
	s_delay_alu instid0(VALU_DEP_1) | instskip(SKIP_1) | instid1(VALU_DEP_2)
	v_pk_fma_f32 v[118:119], v[114:115], v[112:113], v[116:117] op_sel_hi:[1,0,1]
	v_pk_fma_f32 v[112:113], v[114:115], v[112:113], v[116:117] neg_lo:[0,0,1] neg_hi:[0,0,1]
	v_mov_b32_e32 v113, v119
	s_cbranch_execz .LBB117_419
	s_branch .LBB117_420
.LBB117_418:
                                        ; implicit-def: $vgpr112_vgpr113
.LBB117_419:
	ds_load_b64 v[112:113], v1
.LBB117_420:
	s_and_saveexec_b32 s18, s0
	s_cbranch_execz .LBB117_424
; %bb.421:
	v_add_nc_u32_e32 v114, -12, v0
	s_movk_i32 s19, 0x210
	s_mov_b32 s0, 0
.LBB117_422:                            ; =>This Inner Loop Header: Depth=1
	scratch_load_b64 v[116:117], off, s16
	v_dual_mov_b32 v115, s19 :: v_dual_add_nc_u32 v114, -1, v114
	s_add_co_i32 s19, s19, 8
	s_wait_xcnt 0x0
	s_add_co_i32 s16, s16, 8
	ds_load_b64 v[118:119], v115
	v_cmp_eq_u32_e32 vcc_lo, 0, v114
	s_or_b32 s0, vcc_lo, s0
	s_wait_loadcnt_dscnt 0x0
	v_pk_mul_f32 v[120:121], v[118:119], v[116:117] op_sel:[1,1] op_sel_hi:[0,1]
	s_delay_alu instid0(VALU_DEP_1) | instskip(SKIP_1) | instid1(VALU_DEP_2)
	v_pk_fma_f32 v[122:123], v[118:119], v[116:117], v[120:121] op_sel_hi:[1,0,1]
	v_pk_fma_f32 v[116:117], v[118:119], v[116:117], v[120:121] neg_lo:[0,0,1] neg_hi:[0,0,1]
	v_mov_b32_e32 v117, v123
	s_delay_alu instid0(VALU_DEP_1)
	v_pk_add_f32 v[112:113], v[112:113], v[116:117]
	s_and_not1_b32 exec_lo, exec_lo, s0
	s_cbranch_execnz .LBB117_422
; %bb.423:
	s_or_b32 exec_lo, exec_lo, s0
.LBB117_424:
	s_delay_alu instid0(SALU_CYCLE_1) | instskip(SKIP_4) | instid1(VALU_DEP_1)
	s_or_b32 exec_lo, exec_lo, s18
	v_mov_b32_e32 v114, 0
	ds_load_b64 v[114:115], v114 offset:88
	s_wait_dscnt 0x0
	v_pk_mul_f32 v[116:117], v[112:113], v[114:115] op_sel:[1,1] op_sel_hi:[0,1]
	v_pk_fma_f32 v[118:119], v[112:113], v[114:115], v[116:117] op_sel_hi:[1,0,1]
	v_pk_fma_f32 v[112:113], v[112:113], v[114:115], v[116:117] neg_lo:[0,0,1] neg_hi:[0,0,1]
	s_delay_alu instid0(VALU_DEP_2)
	v_mov_b32_e32 v113, v119
	scratch_store_b64 off, v[112:113], off offset:88
.LBB117_425:
	s_wait_xcnt 0x0
	s_or_b32 exec_lo, exec_lo, s17
	scratch_load_b64 v[112:113], off, off offset:80
	v_cmp_lt_u32_e64 s0, 10, v0
	s_wait_loadcnt 0x0
	ds_store_b64 v1, v[112:113]
	s_wait_storecnt_dscnt 0x0
	s_barrier_signal -1
	s_barrier_wait -1
	s_wait_xcnt 0x0
	s_and_saveexec_b32 s16, s0
	s_cbranch_execz .LBB117_435
; %bb.426:
	s_and_not1_b32 vcc_lo, exec_lo, s3
	s_cbranch_vccnz .LBB117_428
; %bb.427:
	scratch_load_b64 v[112:113], v59, off
	ds_load_b64 v[114:115], v1
	s_wait_loadcnt_dscnt 0x0
	v_pk_mul_f32 v[116:117], v[114:115], v[112:113] op_sel:[1,1] op_sel_hi:[0,1]
	s_delay_alu instid0(VALU_DEP_1) | instskip(SKIP_1) | instid1(VALU_DEP_2)
	v_pk_fma_f32 v[118:119], v[114:115], v[112:113], v[116:117] op_sel_hi:[1,0,1]
	v_pk_fma_f32 v[112:113], v[114:115], v[112:113], v[116:117] neg_lo:[0,0,1] neg_hi:[0,0,1]
	v_mov_b32_e32 v113, v119
	s_cbranch_execz .LBB117_429
	s_branch .LBB117_430
.LBB117_428:
                                        ; implicit-def: $vgpr112_vgpr113
.LBB117_429:
	ds_load_b64 v[112:113], v1
.LBB117_430:
	s_and_saveexec_b32 s17, s1
	s_cbranch_execz .LBB117_434
; %bb.431:
	v_add_nc_u32_e32 v114, -11, v0
	s_movk_i32 s18, 0x208
	s_mov_b32 s1, 0
.LBB117_432:                            ; =>This Inner Loop Header: Depth=1
	scratch_load_b64 v[116:117], off, s15
	v_dual_mov_b32 v115, s18 :: v_dual_add_nc_u32 v114, -1, v114
	s_add_co_i32 s18, s18, 8
	s_wait_xcnt 0x0
	s_add_co_i32 s15, s15, 8
	ds_load_b64 v[118:119], v115
	v_cmp_eq_u32_e32 vcc_lo, 0, v114
	s_or_b32 s1, vcc_lo, s1
	s_wait_loadcnt_dscnt 0x0
	v_pk_mul_f32 v[120:121], v[118:119], v[116:117] op_sel:[1,1] op_sel_hi:[0,1]
	s_delay_alu instid0(VALU_DEP_1) | instskip(SKIP_1) | instid1(VALU_DEP_2)
	v_pk_fma_f32 v[122:123], v[118:119], v[116:117], v[120:121] op_sel_hi:[1,0,1]
	v_pk_fma_f32 v[116:117], v[118:119], v[116:117], v[120:121] neg_lo:[0,0,1] neg_hi:[0,0,1]
	v_mov_b32_e32 v117, v123
	s_delay_alu instid0(VALU_DEP_1)
	v_pk_add_f32 v[112:113], v[112:113], v[116:117]
	s_and_not1_b32 exec_lo, exec_lo, s1
	s_cbranch_execnz .LBB117_432
; %bb.433:
	s_or_b32 exec_lo, exec_lo, s1
.LBB117_434:
	s_delay_alu instid0(SALU_CYCLE_1) | instskip(SKIP_4) | instid1(VALU_DEP_1)
	s_or_b32 exec_lo, exec_lo, s17
	v_mov_b32_e32 v114, 0
	ds_load_b64 v[114:115], v114 offset:80
	s_wait_dscnt 0x0
	v_pk_mul_f32 v[116:117], v[112:113], v[114:115] op_sel:[1,1] op_sel_hi:[0,1]
	v_pk_fma_f32 v[118:119], v[112:113], v[114:115], v[116:117] op_sel_hi:[1,0,1]
	v_pk_fma_f32 v[112:113], v[112:113], v[114:115], v[116:117] neg_lo:[0,0,1] neg_hi:[0,0,1]
	s_delay_alu instid0(VALU_DEP_2)
	v_mov_b32_e32 v113, v119
	scratch_store_b64 off, v[112:113], off offset:80
.LBB117_435:
	s_wait_xcnt 0x0
	s_or_b32 exec_lo, exec_lo, s16
	scratch_load_b64 v[112:113], off, off offset:72
	v_cmp_lt_u32_e64 s1, 9, v0
	s_wait_loadcnt 0x0
	ds_store_b64 v1, v[112:113]
	s_wait_storecnt_dscnt 0x0
	s_barrier_signal -1
	s_barrier_wait -1
	s_wait_xcnt 0x0
	s_and_saveexec_b32 s15, s1
	s_cbranch_execz .LBB117_445
; %bb.436:
	s_and_not1_b32 vcc_lo, exec_lo, s3
	s_cbranch_vccnz .LBB117_438
; %bb.437:
	scratch_load_b64 v[112:113], v59, off
	ds_load_b64 v[114:115], v1
	s_wait_loadcnt_dscnt 0x0
	v_pk_mul_f32 v[116:117], v[114:115], v[112:113] op_sel:[1,1] op_sel_hi:[0,1]
	s_delay_alu instid0(VALU_DEP_1) | instskip(SKIP_1) | instid1(VALU_DEP_2)
	v_pk_fma_f32 v[118:119], v[114:115], v[112:113], v[116:117] op_sel_hi:[1,0,1]
	v_pk_fma_f32 v[112:113], v[114:115], v[112:113], v[116:117] neg_lo:[0,0,1] neg_hi:[0,0,1]
	v_mov_b32_e32 v113, v119
	s_cbranch_execz .LBB117_439
	s_branch .LBB117_440
.LBB117_438:
                                        ; implicit-def: $vgpr112_vgpr113
.LBB117_439:
	ds_load_b64 v[112:113], v1
.LBB117_440:
	s_and_saveexec_b32 s16, s0
	s_cbranch_execz .LBB117_444
; %bb.441:
	v_add_nc_u32_e32 v114, -10, v0
	s_movk_i32 s17, 0x200
	s_mov_b32 s0, 0
.LBB117_442:                            ; =>This Inner Loop Header: Depth=1
	scratch_load_b64 v[116:117], off, s14
	v_dual_mov_b32 v115, s17 :: v_dual_add_nc_u32 v114, -1, v114
	s_add_co_i32 s17, s17, 8
	s_wait_xcnt 0x0
	s_add_co_i32 s14, s14, 8
	ds_load_b64 v[118:119], v115
	v_cmp_eq_u32_e32 vcc_lo, 0, v114
	s_or_b32 s0, vcc_lo, s0
	s_wait_loadcnt_dscnt 0x0
	v_pk_mul_f32 v[120:121], v[118:119], v[116:117] op_sel:[1,1] op_sel_hi:[0,1]
	s_delay_alu instid0(VALU_DEP_1) | instskip(SKIP_1) | instid1(VALU_DEP_2)
	v_pk_fma_f32 v[122:123], v[118:119], v[116:117], v[120:121] op_sel_hi:[1,0,1]
	v_pk_fma_f32 v[116:117], v[118:119], v[116:117], v[120:121] neg_lo:[0,0,1] neg_hi:[0,0,1]
	v_mov_b32_e32 v117, v123
	s_delay_alu instid0(VALU_DEP_1)
	v_pk_add_f32 v[112:113], v[112:113], v[116:117]
	s_and_not1_b32 exec_lo, exec_lo, s0
	s_cbranch_execnz .LBB117_442
; %bb.443:
	s_or_b32 exec_lo, exec_lo, s0
.LBB117_444:
	s_delay_alu instid0(SALU_CYCLE_1) | instskip(SKIP_4) | instid1(VALU_DEP_1)
	s_or_b32 exec_lo, exec_lo, s16
	v_mov_b32_e32 v114, 0
	ds_load_b64 v[114:115], v114 offset:72
	s_wait_dscnt 0x0
	v_pk_mul_f32 v[116:117], v[112:113], v[114:115] op_sel:[1,1] op_sel_hi:[0,1]
	v_pk_fma_f32 v[118:119], v[112:113], v[114:115], v[116:117] op_sel_hi:[1,0,1]
	v_pk_fma_f32 v[112:113], v[112:113], v[114:115], v[116:117] neg_lo:[0,0,1] neg_hi:[0,0,1]
	s_delay_alu instid0(VALU_DEP_2)
	v_mov_b32_e32 v113, v119
	scratch_store_b64 off, v[112:113], off offset:72
.LBB117_445:
	s_wait_xcnt 0x0
	s_or_b32 exec_lo, exec_lo, s15
	scratch_load_b64 v[112:113], off, off offset:64
	v_cmp_lt_u32_e64 s0, 8, v0
	s_wait_loadcnt 0x0
	ds_store_b64 v1, v[112:113]
	s_wait_storecnt_dscnt 0x0
	s_barrier_signal -1
	s_barrier_wait -1
	s_wait_xcnt 0x0
	s_and_saveexec_b32 s14, s0
	s_cbranch_execz .LBB117_455
; %bb.446:
	s_and_not1_b32 vcc_lo, exec_lo, s3
	s_cbranch_vccnz .LBB117_448
; %bb.447:
	scratch_load_b64 v[112:113], v59, off
	ds_load_b64 v[114:115], v1
	s_wait_loadcnt_dscnt 0x0
	v_pk_mul_f32 v[116:117], v[114:115], v[112:113] op_sel:[1,1] op_sel_hi:[0,1]
	s_delay_alu instid0(VALU_DEP_1) | instskip(SKIP_1) | instid1(VALU_DEP_2)
	v_pk_fma_f32 v[118:119], v[114:115], v[112:113], v[116:117] op_sel_hi:[1,0,1]
	v_pk_fma_f32 v[112:113], v[114:115], v[112:113], v[116:117] neg_lo:[0,0,1] neg_hi:[0,0,1]
	v_mov_b32_e32 v113, v119
	s_cbranch_execz .LBB117_449
	s_branch .LBB117_450
.LBB117_448:
                                        ; implicit-def: $vgpr112_vgpr113
.LBB117_449:
	ds_load_b64 v[112:113], v1
.LBB117_450:
	s_and_saveexec_b32 s15, s1
	s_cbranch_execz .LBB117_454
; %bb.451:
	v_add_nc_u32_e32 v114, -9, v0
	s_movk_i32 s16, 0x1f8
	s_mov_b32 s1, 0
.LBB117_452:                            ; =>This Inner Loop Header: Depth=1
	scratch_load_b64 v[116:117], off, s13
	v_dual_mov_b32 v115, s16 :: v_dual_add_nc_u32 v114, -1, v114
	s_add_co_i32 s16, s16, 8
	s_wait_xcnt 0x0
	s_add_co_i32 s13, s13, 8
	ds_load_b64 v[118:119], v115
	v_cmp_eq_u32_e32 vcc_lo, 0, v114
	s_or_b32 s1, vcc_lo, s1
	s_wait_loadcnt_dscnt 0x0
	v_pk_mul_f32 v[120:121], v[118:119], v[116:117] op_sel:[1,1] op_sel_hi:[0,1]
	s_delay_alu instid0(VALU_DEP_1) | instskip(SKIP_1) | instid1(VALU_DEP_2)
	v_pk_fma_f32 v[122:123], v[118:119], v[116:117], v[120:121] op_sel_hi:[1,0,1]
	v_pk_fma_f32 v[116:117], v[118:119], v[116:117], v[120:121] neg_lo:[0,0,1] neg_hi:[0,0,1]
	v_mov_b32_e32 v117, v123
	s_delay_alu instid0(VALU_DEP_1)
	v_pk_add_f32 v[112:113], v[112:113], v[116:117]
	s_and_not1_b32 exec_lo, exec_lo, s1
	s_cbranch_execnz .LBB117_452
; %bb.453:
	s_or_b32 exec_lo, exec_lo, s1
.LBB117_454:
	s_delay_alu instid0(SALU_CYCLE_1) | instskip(SKIP_4) | instid1(VALU_DEP_1)
	s_or_b32 exec_lo, exec_lo, s15
	v_mov_b32_e32 v114, 0
	ds_load_b64 v[114:115], v114 offset:64
	s_wait_dscnt 0x0
	v_pk_mul_f32 v[116:117], v[112:113], v[114:115] op_sel:[1,1] op_sel_hi:[0,1]
	v_pk_fma_f32 v[118:119], v[112:113], v[114:115], v[116:117] op_sel_hi:[1,0,1]
	v_pk_fma_f32 v[112:113], v[112:113], v[114:115], v[116:117] neg_lo:[0,0,1] neg_hi:[0,0,1]
	s_delay_alu instid0(VALU_DEP_2)
	v_mov_b32_e32 v113, v119
	scratch_store_b64 off, v[112:113], off offset:64
.LBB117_455:
	s_wait_xcnt 0x0
	s_or_b32 exec_lo, exec_lo, s14
	scratch_load_b64 v[112:113], off, off offset:56
	v_cmp_lt_u32_e64 s1, 7, v0
	s_wait_loadcnt 0x0
	ds_store_b64 v1, v[112:113]
	s_wait_storecnt_dscnt 0x0
	s_barrier_signal -1
	s_barrier_wait -1
	s_wait_xcnt 0x0
	s_and_saveexec_b32 s13, s1
	s_cbranch_execz .LBB117_465
; %bb.456:
	s_and_not1_b32 vcc_lo, exec_lo, s3
	s_cbranch_vccnz .LBB117_458
; %bb.457:
	scratch_load_b64 v[112:113], v59, off
	ds_load_b64 v[114:115], v1
	s_wait_loadcnt_dscnt 0x0
	v_pk_mul_f32 v[116:117], v[114:115], v[112:113] op_sel:[1,1] op_sel_hi:[0,1]
	s_delay_alu instid0(VALU_DEP_1) | instskip(SKIP_1) | instid1(VALU_DEP_2)
	v_pk_fma_f32 v[118:119], v[114:115], v[112:113], v[116:117] op_sel_hi:[1,0,1]
	v_pk_fma_f32 v[112:113], v[114:115], v[112:113], v[116:117] neg_lo:[0,0,1] neg_hi:[0,0,1]
	v_mov_b32_e32 v113, v119
	s_cbranch_execz .LBB117_459
	s_branch .LBB117_460
.LBB117_458:
                                        ; implicit-def: $vgpr112_vgpr113
.LBB117_459:
	ds_load_b64 v[112:113], v1
.LBB117_460:
	s_and_saveexec_b32 s14, s0
	s_cbranch_execz .LBB117_464
; %bb.461:
	v_add_nc_u32_e32 v114, -8, v0
	s_movk_i32 s15, 0x1f0
	s_mov_b32 s0, 0
.LBB117_462:                            ; =>This Inner Loop Header: Depth=1
	scratch_load_b64 v[116:117], off, s12
	v_dual_mov_b32 v115, s15 :: v_dual_add_nc_u32 v114, -1, v114
	s_add_co_i32 s15, s15, 8
	s_wait_xcnt 0x0
	s_add_co_i32 s12, s12, 8
	ds_load_b64 v[118:119], v115
	v_cmp_eq_u32_e32 vcc_lo, 0, v114
	s_or_b32 s0, vcc_lo, s0
	s_wait_loadcnt_dscnt 0x0
	v_pk_mul_f32 v[120:121], v[118:119], v[116:117] op_sel:[1,1] op_sel_hi:[0,1]
	s_delay_alu instid0(VALU_DEP_1) | instskip(SKIP_1) | instid1(VALU_DEP_2)
	v_pk_fma_f32 v[122:123], v[118:119], v[116:117], v[120:121] op_sel_hi:[1,0,1]
	v_pk_fma_f32 v[116:117], v[118:119], v[116:117], v[120:121] neg_lo:[0,0,1] neg_hi:[0,0,1]
	v_mov_b32_e32 v117, v123
	s_delay_alu instid0(VALU_DEP_1)
	v_pk_add_f32 v[112:113], v[112:113], v[116:117]
	s_and_not1_b32 exec_lo, exec_lo, s0
	s_cbranch_execnz .LBB117_462
; %bb.463:
	s_or_b32 exec_lo, exec_lo, s0
.LBB117_464:
	s_delay_alu instid0(SALU_CYCLE_1) | instskip(SKIP_4) | instid1(VALU_DEP_1)
	s_or_b32 exec_lo, exec_lo, s14
	v_mov_b32_e32 v114, 0
	ds_load_b64 v[114:115], v114 offset:56
	s_wait_dscnt 0x0
	v_pk_mul_f32 v[116:117], v[112:113], v[114:115] op_sel:[1,1] op_sel_hi:[0,1]
	v_pk_fma_f32 v[118:119], v[112:113], v[114:115], v[116:117] op_sel_hi:[1,0,1]
	v_pk_fma_f32 v[112:113], v[112:113], v[114:115], v[116:117] neg_lo:[0,0,1] neg_hi:[0,0,1]
	s_delay_alu instid0(VALU_DEP_2)
	v_mov_b32_e32 v113, v119
	scratch_store_b64 off, v[112:113], off offset:56
.LBB117_465:
	s_wait_xcnt 0x0
	s_or_b32 exec_lo, exec_lo, s13
	scratch_load_b64 v[112:113], off, off offset:48
	v_cmp_lt_u32_e64 s0, 6, v0
	s_wait_loadcnt 0x0
	ds_store_b64 v1, v[112:113]
	s_wait_storecnt_dscnt 0x0
	s_barrier_signal -1
	s_barrier_wait -1
	s_wait_xcnt 0x0
	s_and_saveexec_b32 s12, s0
	s_cbranch_execz .LBB117_475
; %bb.466:
	s_and_not1_b32 vcc_lo, exec_lo, s3
	s_cbranch_vccnz .LBB117_468
; %bb.467:
	scratch_load_b64 v[112:113], v59, off
	ds_load_b64 v[114:115], v1
	s_wait_loadcnt_dscnt 0x0
	v_pk_mul_f32 v[116:117], v[114:115], v[112:113] op_sel:[1,1] op_sel_hi:[0,1]
	s_delay_alu instid0(VALU_DEP_1) | instskip(SKIP_1) | instid1(VALU_DEP_2)
	v_pk_fma_f32 v[118:119], v[114:115], v[112:113], v[116:117] op_sel_hi:[1,0,1]
	v_pk_fma_f32 v[112:113], v[114:115], v[112:113], v[116:117] neg_lo:[0,0,1] neg_hi:[0,0,1]
	v_mov_b32_e32 v113, v119
	s_cbranch_execz .LBB117_469
	s_branch .LBB117_470
.LBB117_468:
                                        ; implicit-def: $vgpr112_vgpr113
.LBB117_469:
	ds_load_b64 v[112:113], v1
.LBB117_470:
	s_and_saveexec_b32 s13, s1
	s_cbranch_execz .LBB117_474
; %bb.471:
	v_add_nc_u32_e32 v114, -7, v0
	s_movk_i32 s14, 0x1e8
	s_mov_b32 s1, 0
.LBB117_472:                            ; =>This Inner Loop Header: Depth=1
	scratch_load_b64 v[116:117], off, s11
	v_dual_mov_b32 v115, s14 :: v_dual_add_nc_u32 v114, -1, v114
	s_add_co_i32 s14, s14, 8
	s_wait_xcnt 0x0
	s_add_co_i32 s11, s11, 8
	ds_load_b64 v[118:119], v115
	v_cmp_eq_u32_e32 vcc_lo, 0, v114
	s_or_b32 s1, vcc_lo, s1
	s_wait_loadcnt_dscnt 0x0
	v_pk_mul_f32 v[120:121], v[118:119], v[116:117] op_sel:[1,1] op_sel_hi:[0,1]
	s_delay_alu instid0(VALU_DEP_1) | instskip(SKIP_1) | instid1(VALU_DEP_2)
	v_pk_fma_f32 v[122:123], v[118:119], v[116:117], v[120:121] op_sel_hi:[1,0,1]
	v_pk_fma_f32 v[116:117], v[118:119], v[116:117], v[120:121] neg_lo:[0,0,1] neg_hi:[0,0,1]
	v_mov_b32_e32 v117, v123
	s_delay_alu instid0(VALU_DEP_1)
	v_pk_add_f32 v[112:113], v[112:113], v[116:117]
	s_and_not1_b32 exec_lo, exec_lo, s1
	s_cbranch_execnz .LBB117_472
; %bb.473:
	s_or_b32 exec_lo, exec_lo, s1
.LBB117_474:
	s_delay_alu instid0(SALU_CYCLE_1) | instskip(SKIP_4) | instid1(VALU_DEP_1)
	s_or_b32 exec_lo, exec_lo, s13
	v_mov_b32_e32 v114, 0
	ds_load_b64 v[114:115], v114 offset:48
	s_wait_dscnt 0x0
	v_pk_mul_f32 v[116:117], v[112:113], v[114:115] op_sel:[1,1] op_sel_hi:[0,1]
	v_pk_fma_f32 v[118:119], v[112:113], v[114:115], v[116:117] op_sel_hi:[1,0,1]
	v_pk_fma_f32 v[112:113], v[112:113], v[114:115], v[116:117] neg_lo:[0,0,1] neg_hi:[0,0,1]
	s_delay_alu instid0(VALU_DEP_2)
	v_mov_b32_e32 v113, v119
	scratch_store_b64 off, v[112:113], off offset:48
.LBB117_475:
	s_wait_xcnt 0x0
	s_or_b32 exec_lo, exec_lo, s12
	scratch_load_b64 v[112:113], off, off offset:40
	v_cmp_lt_u32_e64 s1, 5, v0
	s_wait_loadcnt 0x0
	ds_store_b64 v1, v[112:113]
	s_wait_storecnt_dscnt 0x0
	s_barrier_signal -1
	s_barrier_wait -1
	s_wait_xcnt 0x0
	s_and_saveexec_b32 s11, s1
	s_cbranch_execz .LBB117_485
; %bb.476:
	s_and_not1_b32 vcc_lo, exec_lo, s3
	s_cbranch_vccnz .LBB117_478
; %bb.477:
	scratch_load_b64 v[112:113], v59, off
	ds_load_b64 v[114:115], v1
	s_wait_loadcnt_dscnt 0x0
	v_pk_mul_f32 v[116:117], v[114:115], v[112:113] op_sel:[1,1] op_sel_hi:[0,1]
	s_delay_alu instid0(VALU_DEP_1) | instskip(SKIP_1) | instid1(VALU_DEP_2)
	v_pk_fma_f32 v[118:119], v[114:115], v[112:113], v[116:117] op_sel_hi:[1,0,1]
	v_pk_fma_f32 v[112:113], v[114:115], v[112:113], v[116:117] neg_lo:[0,0,1] neg_hi:[0,0,1]
	v_mov_b32_e32 v113, v119
	s_cbranch_execz .LBB117_479
	s_branch .LBB117_480
.LBB117_478:
                                        ; implicit-def: $vgpr112_vgpr113
.LBB117_479:
	ds_load_b64 v[112:113], v1
.LBB117_480:
	s_and_saveexec_b32 s12, s0
	s_cbranch_execz .LBB117_484
; %bb.481:
	v_add_nc_u32_e32 v114, -6, v0
	s_movk_i32 s13, 0x1e0
	s_mov_b32 s0, 0
.LBB117_482:                            ; =>This Inner Loop Header: Depth=1
	scratch_load_b64 v[116:117], off, s10
	v_dual_mov_b32 v115, s13 :: v_dual_add_nc_u32 v114, -1, v114
	s_add_co_i32 s13, s13, 8
	s_wait_xcnt 0x0
	s_add_co_i32 s10, s10, 8
	ds_load_b64 v[118:119], v115
	v_cmp_eq_u32_e32 vcc_lo, 0, v114
	s_or_b32 s0, vcc_lo, s0
	s_wait_loadcnt_dscnt 0x0
	v_pk_mul_f32 v[120:121], v[118:119], v[116:117] op_sel:[1,1] op_sel_hi:[0,1]
	s_delay_alu instid0(VALU_DEP_1) | instskip(SKIP_1) | instid1(VALU_DEP_2)
	v_pk_fma_f32 v[122:123], v[118:119], v[116:117], v[120:121] op_sel_hi:[1,0,1]
	v_pk_fma_f32 v[116:117], v[118:119], v[116:117], v[120:121] neg_lo:[0,0,1] neg_hi:[0,0,1]
	v_mov_b32_e32 v117, v123
	s_delay_alu instid0(VALU_DEP_1)
	v_pk_add_f32 v[112:113], v[112:113], v[116:117]
	s_and_not1_b32 exec_lo, exec_lo, s0
	s_cbranch_execnz .LBB117_482
; %bb.483:
	s_or_b32 exec_lo, exec_lo, s0
.LBB117_484:
	s_delay_alu instid0(SALU_CYCLE_1) | instskip(SKIP_4) | instid1(VALU_DEP_1)
	s_or_b32 exec_lo, exec_lo, s12
	v_mov_b32_e32 v114, 0
	ds_load_b64 v[114:115], v114 offset:40
	s_wait_dscnt 0x0
	v_pk_mul_f32 v[116:117], v[112:113], v[114:115] op_sel:[1,1] op_sel_hi:[0,1]
	v_pk_fma_f32 v[118:119], v[112:113], v[114:115], v[116:117] op_sel_hi:[1,0,1]
	v_pk_fma_f32 v[112:113], v[112:113], v[114:115], v[116:117] neg_lo:[0,0,1] neg_hi:[0,0,1]
	s_delay_alu instid0(VALU_DEP_2)
	v_mov_b32_e32 v113, v119
	scratch_store_b64 off, v[112:113], off offset:40
.LBB117_485:
	s_wait_xcnt 0x0
	s_or_b32 exec_lo, exec_lo, s11
	scratch_load_b64 v[112:113], off, off offset:32
	v_cmp_lt_u32_e64 s0, 4, v0
	s_wait_loadcnt 0x0
	ds_store_b64 v1, v[112:113]
	s_wait_storecnt_dscnt 0x0
	s_barrier_signal -1
	s_barrier_wait -1
	s_wait_xcnt 0x0
	s_and_saveexec_b32 s10, s0
	s_cbranch_execz .LBB117_495
; %bb.486:
	s_and_not1_b32 vcc_lo, exec_lo, s3
	s_cbranch_vccnz .LBB117_488
; %bb.487:
	scratch_load_b64 v[112:113], v59, off
	ds_load_b64 v[114:115], v1
	s_wait_loadcnt_dscnt 0x0
	v_pk_mul_f32 v[116:117], v[114:115], v[112:113] op_sel:[1,1] op_sel_hi:[0,1]
	s_delay_alu instid0(VALU_DEP_1) | instskip(SKIP_1) | instid1(VALU_DEP_2)
	v_pk_fma_f32 v[118:119], v[114:115], v[112:113], v[116:117] op_sel_hi:[1,0,1]
	v_pk_fma_f32 v[112:113], v[114:115], v[112:113], v[116:117] neg_lo:[0,0,1] neg_hi:[0,0,1]
	v_mov_b32_e32 v113, v119
	s_cbranch_execz .LBB117_489
	s_branch .LBB117_490
.LBB117_488:
                                        ; implicit-def: $vgpr112_vgpr113
.LBB117_489:
	ds_load_b64 v[112:113], v1
.LBB117_490:
	s_and_saveexec_b32 s11, s1
	s_cbranch_execz .LBB117_494
; %bb.491:
	v_add_nc_u32_e32 v114, -5, v0
	s_movk_i32 s12, 0x1d8
	s_mov_b32 s1, 0
.LBB117_492:                            ; =>This Inner Loop Header: Depth=1
	scratch_load_b64 v[116:117], off, s9
	v_dual_mov_b32 v115, s12 :: v_dual_add_nc_u32 v114, -1, v114
	s_add_co_i32 s12, s12, 8
	s_wait_xcnt 0x0
	s_add_co_i32 s9, s9, 8
	ds_load_b64 v[118:119], v115
	v_cmp_eq_u32_e32 vcc_lo, 0, v114
	s_or_b32 s1, vcc_lo, s1
	s_wait_loadcnt_dscnt 0x0
	v_pk_mul_f32 v[120:121], v[118:119], v[116:117] op_sel:[1,1] op_sel_hi:[0,1]
	s_delay_alu instid0(VALU_DEP_1) | instskip(SKIP_1) | instid1(VALU_DEP_2)
	v_pk_fma_f32 v[122:123], v[118:119], v[116:117], v[120:121] op_sel_hi:[1,0,1]
	v_pk_fma_f32 v[116:117], v[118:119], v[116:117], v[120:121] neg_lo:[0,0,1] neg_hi:[0,0,1]
	v_mov_b32_e32 v117, v123
	s_delay_alu instid0(VALU_DEP_1)
	v_pk_add_f32 v[112:113], v[112:113], v[116:117]
	s_and_not1_b32 exec_lo, exec_lo, s1
	s_cbranch_execnz .LBB117_492
; %bb.493:
	s_or_b32 exec_lo, exec_lo, s1
.LBB117_494:
	s_delay_alu instid0(SALU_CYCLE_1) | instskip(SKIP_4) | instid1(VALU_DEP_1)
	s_or_b32 exec_lo, exec_lo, s11
	v_mov_b32_e32 v114, 0
	ds_load_b64 v[114:115], v114 offset:32
	s_wait_dscnt 0x0
	v_pk_mul_f32 v[116:117], v[112:113], v[114:115] op_sel:[1,1] op_sel_hi:[0,1]
	v_pk_fma_f32 v[118:119], v[112:113], v[114:115], v[116:117] op_sel_hi:[1,0,1]
	v_pk_fma_f32 v[112:113], v[112:113], v[114:115], v[116:117] neg_lo:[0,0,1] neg_hi:[0,0,1]
	s_delay_alu instid0(VALU_DEP_2)
	v_mov_b32_e32 v113, v119
	scratch_store_b64 off, v[112:113], off offset:32
.LBB117_495:
	s_wait_xcnt 0x0
	s_or_b32 exec_lo, exec_lo, s10
	scratch_load_b64 v[112:113], off, off offset:24
	v_cmp_lt_u32_e64 s1, 3, v0
	s_wait_loadcnt 0x0
	ds_store_b64 v1, v[112:113]
	s_wait_storecnt_dscnt 0x0
	s_barrier_signal -1
	s_barrier_wait -1
	s_wait_xcnt 0x0
	s_and_saveexec_b32 s9, s1
	s_cbranch_execz .LBB117_505
; %bb.496:
	s_and_not1_b32 vcc_lo, exec_lo, s3
	s_cbranch_vccnz .LBB117_498
; %bb.497:
	scratch_load_b64 v[112:113], v59, off
	ds_load_b64 v[114:115], v1
	s_wait_loadcnt_dscnt 0x0
	v_pk_mul_f32 v[116:117], v[114:115], v[112:113] op_sel:[1,1] op_sel_hi:[0,1]
	s_delay_alu instid0(VALU_DEP_1) | instskip(SKIP_1) | instid1(VALU_DEP_2)
	v_pk_fma_f32 v[118:119], v[114:115], v[112:113], v[116:117] op_sel_hi:[1,0,1]
	v_pk_fma_f32 v[112:113], v[114:115], v[112:113], v[116:117] neg_lo:[0,0,1] neg_hi:[0,0,1]
	v_mov_b32_e32 v113, v119
	s_cbranch_execz .LBB117_499
	s_branch .LBB117_500
.LBB117_498:
                                        ; implicit-def: $vgpr112_vgpr113
.LBB117_499:
	ds_load_b64 v[112:113], v1
.LBB117_500:
	s_and_saveexec_b32 s10, s0
	s_cbranch_execz .LBB117_504
; %bb.501:
	v_add_nc_u32_e32 v114, -4, v0
	s_movk_i32 s11, 0x1d0
	s_mov_b32 s0, 0
.LBB117_502:                            ; =>This Inner Loop Header: Depth=1
	scratch_load_b64 v[116:117], off, s2
	v_dual_mov_b32 v115, s11 :: v_dual_add_nc_u32 v114, -1, v114
	s_add_co_i32 s11, s11, 8
	s_wait_xcnt 0x0
	s_add_co_i32 s2, s2, 8
	ds_load_b64 v[118:119], v115
	v_cmp_eq_u32_e32 vcc_lo, 0, v114
	s_or_b32 s0, vcc_lo, s0
	s_wait_loadcnt_dscnt 0x0
	v_pk_mul_f32 v[120:121], v[118:119], v[116:117] op_sel:[1,1] op_sel_hi:[0,1]
	s_delay_alu instid0(VALU_DEP_1) | instskip(SKIP_1) | instid1(VALU_DEP_2)
	v_pk_fma_f32 v[122:123], v[118:119], v[116:117], v[120:121] op_sel_hi:[1,0,1]
	v_pk_fma_f32 v[116:117], v[118:119], v[116:117], v[120:121] neg_lo:[0,0,1] neg_hi:[0,0,1]
	v_mov_b32_e32 v117, v123
	s_delay_alu instid0(VALU_DEP_1)
	v_pk_add_f32 v[112:113], v[112:113], v[116:117]
	s_and_not1_b32 exec_lo, exec_lo, s0
	s_cbranch_execnz .LBB117_502
; %bb.503:
	s_or_b32 exec_lo, exec_lo, s0
.LBB117_504:
	s_delay_alu instid0(SALU_CYCLE_1) | instskip(SKIP_4) | instid1(VALU_DEP_1)
	s_or_b32 exec_lo, exec_lo, s10
	v_mov_b32_e32 v114, 0
	ds_load_b64 v[114:115], v114 offset:24
	s_wait_dscnt 0x0
	v_pk_mul_f32 v[116:117], v[112:113], v[114:115] op_sel:[1,1] op_sel_hi:[0,1]
	v_pk_fma_f32 v[118:119], v[112:113], v[114:115], v[116:117] op_sel_hi:[1,0,1]
	v_pk_fma_f32 v[112:113], v[112:113], v[114:115], v[116:117] neg_lo:[0,0,1] neg_hi:[0,0,1]
	s_delay_alu instid0(VALU_DEP_2)
	v_mov_b32_e32 v113, v119
	scratch_store_b64 off, v[112:113], off offset:24
.LBB117_505:
	s_wait_xcnt 0x0
	s_or_b32 exec_lo, exec_lo, s9
	scratch_load_b64 v[112:113], off, off offset:16
	v_cmp_lt_u32_e64 s2, 2, v0
	s_wait_loadcnt 0x0
	ds_store_b64 v1, v[112:113]
	s_wait_storecnt_dscnt 0x0
	s_barrier_signal -1
	s_barrier_wait -1
	s_wait_xcnt 0x0
	s_and_saveexec_b32 s0, s2
	s_cbranch_execz .LBB117_515
; %bb.506:
	s_and_not1_b32 vcc_lo, exec_lo, s3
	s_cbranch_vccnz .LBB117_508
; %bb.507:
	scratch_load_b64 v[112:113], v59, off
	ds_load_b64 v[114:115], v1
	s_wait_loadcnt_dscnt 0x0
	v_pk_mul_f32 v[116:117], v[114:115], v[112:113] op_sel:[1,1] op_sel_hi:[0,1]
	s_delay_alu instid0(VALU_DEP_1) | instskip(SKIP_1) | instid1(VALU_DEP_2)
	v_pk_fma_f32 v[118:119], v[114:115], v[112:113], v[116:117] op_sel_hi:[1,0,1]
	v_pk_fma_f32 v[112:113], v[114:115], v[112:113], v[116:117] neg_lo:[0,0,1] neg_hi:[0,0,1]
	v_mov_b32_e32 v113, v119
	s_cbranch_execz .LBB117_509
	s_branch .LBB117_510
.LBB117_508:
                                        ; implicit-def: $vgpr112_vgpr113
.LBB117_509:
	ds_load_b64 v[112:113], v1
.LBB117_510:
	s_and_saveexec_b32 s9, s1
	s_cbranch_execz .LBB117_514
; %bb.511:
	v_add_nc_u32_e32 v114, -3, v0
	s_movk_i32 s10, 0x1c8
	s_mov_b32 s1, 0
.LBB117_512:                            ; =>This Inner Loop Header: Depth=1
	scratch_load_b64 v[116:117], off, s8
	v_dual_mov_b32 v115, s10 :: v_dual_add_nc_u32 v114, -1, v114
	s_add_co_i32 s10, s10, 8
	s_wait_xcnt 0x0
	s_add_co_i32 s8, s8, 8
	ds_load_b64 v[118:119], v115
	v_cmp_eq_u32_e32 vcc_lo, 0, v114
	s_or_b32 s1, vcc_lo, s1
	s_wait_loadcnt_dscnt 0x0
	v_pk_mul_f32 v[120:121], v[118:119], v[116:117] op_sel:[1,1] op_sel_hi:[0,1]
	s_delay_alu instid0(VALU_DEP_1) | instskip(SKIP_1) | instid1(VALU_DEP_2)
	v_pk_fma_f32 v[122:123], v[118:119], v[116:117], v[120:121] op_sel_hi:[1,0,1]
	v_pk_fma_f32 v[116:117], v[118:119], v[116:117], v[120:121] neg_lo:[0,0,1] neg_hi:[0,0,1]
	v_mov_b32_e32 v117, v123
	s_delay_alu instid0(VALU_DEP_1)
	v_pk_add_f32 v[112:113], v[112:113], v[116:117]
	s_and_not1_b32 exec_lo, exec_lo, s1
	s_cbranch_execnz .LBB117_512
; %bb.513:
	s_or_b32 exec_lo, exec_lo, s1
.LBB117_514:
	s_delay_alu instid0(SALU_CYCLE_1) | instskip(SKIP_4) | instid1(VALU_DEP_1)
	s_or_b32 exec_lo, exec_lo, s9
	v_mov_b32_e32 v114, 0
	ds_load_b64 v[114:115], v114 offset:16
	s_wait_dscnt 0x0
	v_pk_mul_f32 v[116:117], v[112:113], v[114:115] op_sel:[1,1] op_sel_hi:[0,1]
	v_pk_fma_f32 v[118:119], v[112:113], v[114:115], v[116:117] op_sel_hi:[1,0,1]
	v_pk_fma_f32 v[112:113], v[112:113], v[114:115], v[116:117] neg_lo:[0,0,1] neg_hi:[0,0,1]
	s_delay_alu instid0(VALU_DEP_2)
	v_mov_b32_e32 v113, v119
	scratch_store_b64 off, v[112:113], off offset:16
.LBB117_515:
	s_wait_xcnt 0x0
	s_or_b32 exec_lo, exec_lo, s0
	scratch_load_b64 v[112:113], off, off offset:8
	v_cmp_lt_u32_e64 s0, 1, v0
	s_wait_loadcnt 0x0
	ds_store_b64 v1, v[112:113]
	s_wait_storecnt_dscnt 0x0
	s_barrier_signal -1
	s_barrier_wait -1
	s_wait_xcnt 0x0
	s_and_saveexec_b32 s1, s0
	s_cbranch_execz .LBB117_525
; %bb.516:
	s_and_not1_b32 vcc_lo, exec_lo, s3
	s_cbranch_vccnz .LBB117_518
; %bb.517:
	scratch_load_b64 v[112:113], v59, off
	ds_load_b64 v[114:115], v1
	s_wait_loadcnt_dscnt 0x0
	v_pk_mul_f32 v[116:117], v[114:115], v[112:113] op_sel:[1,1] op_sel_hi:[0,1]
	s_delay_alu instid0(VALU_DEP_1) | instskip(SKIP_1) | instid1(VALU_DEP_2)
	v_pk_fma_f32 v[118:119], v[114:115], v[112:113], v[116:117] op_sel_hi:[1,0,1]
	v_pk_fma_f32 v[112:113], v[114:115], v[112:113], v[116:117] neg_lo:[0,0,1] neg_hi:[0,0,1]
	v_mov_b32_e32 v113, v119
	s_cbranch_execz .LBB117_519
	s_branch .LBB117_520
.LBB117_518:
                                        ; implicit-def: $vgpr112_vgpr113
.LBB117_519:
	ds_load_b64 v[112:113], v1
.LBB117_520:
	s_and_saveexec_b32 s8, s2
	s_cbranch_execz .LBB117_524
; %bb.521:
	v_add_nc_u32_e32 v114, -2, v0
	s_movk_i32 s9, 0x1c0
	s_mov_b32 s2, 0
.LBB117_522:                            ; =>This Inner Loop Header: Depth=1
	scratch_load_b64 v[116:117], off, s5
	v_dual_mov_b32 v115, s9 :: v_dual_add_nc_u32 v114, -1, v114
	s_add_co_i32 s9, s9, 8
	s_wait_xcnt 0x0
	s_add_co_i32 s5, s5, 8
	ds_load_b64 v[118:119], v115
	v_cmp_eq_u32_e32 vcc_lo, 0, v114
	s_or_b32 s2, vcc_lo, s2
	s_wait_loadcnt_dscnt 0x0
	v_pk_mul_f32 v[120:121], v[118:119], v[116:117] op_sel:[1,1] op_sel_hi:[0,1]
	s_delay_alu instid0(VALU_DEP_1) | instskip(SKIP_1) | instid1(VALU_DEP_2)
	v_pk_fma_f32 v[122:123], v[118:119], v[116:117], v[120:121] op_sel_hi:[1,0,1]
	v_pk_fma_f32 v[116:117], v[118:119], v[116:117], v[120:121] neg_lo:[0,0,1] neg_hi:[0,0,1]
	v_mov_b32_e32 v117, v123
	s_delay_alu instid0(VALU_DEP_1)
	v_pk_add_f32 v[112:113], v[112:113], v[116:117]
	s_and_not1_b32 exec_lo, exec_lo, s2
	s_cbranch_execnz .LBB117_522
; %bb.523:
	s_or_b32 exec_lo, exec_lo, s2
.LBB117_524:
	s_delay_alu instid0(SALU_CYCLE_1) | instskip(SKIP_4) | instid1(VALU_DEP_1)
	s_or_b32 exec_lo, exec_lo, s8
	v_mov_b32_e32 v114, 0
	ds_load_b64 v[114:115], v114 offset:8
	s_wait_dscnt 0x0
	v_pk_mul_f32 v[116:117], v[112:113], v[114:115] op_sel:[1,1] op_sel_hi:[0,1]
	v_pk_fma_f32 v[118:119], v[112:113], v[114:115], v[116:117] op_sel_hi:[1,0,1]
	v_pk_fma_f32 v[112:113], v[112:113], v[114:115], v[116:117] neg_lo:[0,0,1] neg_hi:[0,0,1]
	s_delay_alu instid0(VALU_DEP_2)
	v_mov_b32_e32 v113, v119
	scratch_store_b64 off, v[112:113], off offset:8
.LBB117_525:
	s_wait_xcnt 0x0
	s_or_b32 exec_lo, exec_lo, s1
	scratch_load_b64 v[112:113], off, off
	s_mov_b32 s2, 0
	s_mov_b32 s1, 0
	s_mov_b32 s8, exec_lo
                                        ; implicit-def: $vgpr160
                                        ; implicit-def: $sgpr5
	s_wait_loadcnt 0x0
	ds_store_b64 v1, v[112:113]
	s_wait_storecnt_dscnt 0x0
	s_barrier_signal -1
	s_barrier_wait -1
	s_wait_xcnt 0x0
	v_cmpx_ne_u32_e32 0, v0
	s_cbranch_execz .LBB117_535
; %bb.526:
	s_and_not1_b32 vcc_lo, exec_lo, s3
	s_cbranch_vccnz .LBB117_528
; %bb.527:
	scratch_load_b64 v[114:115], v59, off
	ds_load_b64 v[116:117], v1
	s_wait_loadcnt_dscnt 0x0
	v_dual_mul_f32 v112, v117, v115 :: v_dual_mul_f32 v113, v116, v115
	s_delay_alu instid0(VALU_DEP_1)
	v_dual_fma_f32 v112, v116, v114, -v112 :: v_dual_fmac_f32 v113, v117, v114
	s_and_not1_b32 vcc_lo, exec_lo, s1
	s_cbranch_vccz .LBB117_529
	s_branch .LBB117_530
.LBB117_528:
                                        ; implicit-def: $vgpr112
.LBB117_529:
	ds_load_b64 v[112:113], v1
.LBB117_530:
	s_and_saveexec_b32 s1, s0
	s_cbranch_execz .LBB117_534
; %bb.531:
	v_add_nc_u32_e32 v114, -1, v0
	s_movk_i32 s5, 0x1b8
	s_mov_b32 s0, 0
.LBB117_532:                            ; =>This Inner Loop Header: Depth=1
	scratch_load_b64 v[116:117], off, s4
	v_mov_b32_e32 v115, s5
	s_add_co_i32 s5, s5, 8
	s_wait_xcnt 0x0
	s_add_co_i32 s4, s4, 8
	v_add_nc_u32_e32 v114, -1, v114
	ds_load_b64 v[118:119], v115
	v_cmp_eq_u32_e32 vcc_lo, 0, v114
	s_or_b32 s0, vcc_lo, s0
	s_wait_loadcnt_dscnt 0x0
	v_dual_mul_f32 v115, v119, v117 :: v_dual_mul_f32 v117, v118, v117
	s_delay_alu instid0(VALU_DEP_1) | instskip(NEXT) | instid1(VALU_DEP_1)
	v_dual_fma_f32 v115, v118, v116, -v115 :: v_dual_fmac_f32 v117, v119, v116
	v_dual_add_f32 v112, v112, v115 :: v_dual_add_f32 v113, v113, v117
	s_and_not1_b32 exec_lo, exec_lo, s0
	s_cbranch_execnz .LBB117_532
; %bb.533:
	s_or_b32 exec_lo, exec_lo, s0
.LBB117_534:
	s_delay_alu instid0(SALU_CYCLE_1)
	s_or_b32 exec_lo, exec_lo, s1
	v_mov_b32_e32 v114, 0
	s_mov_b32 s1, exec_lo
	s_or_b32 s5, 0, 4
	ds_load_b64 v[114:115], v114
	s_wait_dscnt 0x0
	v_dual_mul_f32 v116, v113, v115 :: v_dual_mul_f32 v160, v112, v115
	s_delay_alu instid0(VALU_DEP_1) | instskip(NEXT) | instid1(VALU_DEP_2)
	v_fma_f32 v112, v112, v114, -v116
	v_fmac_f32_e32 v160, v113, v114
	scratch_store_b32 off, v112, off
.LBB117_535:
	s_wait_xcnt 0x0
	s_or_b32 exec_lo, exec_lo, s8
	s_delay_alu instid0(SALU_CYCLE_1)
	s_and_b32 vcc_lo, exec_lo, s2
	s_cbranch_vccz .LBB117_1061
.LBB117_536:
	scratch_load_b64 v[112:113], off, off offset:8
	v_cmp_eq_u32_e64 s0, 0, v0
	s_wait_loadcnt 0x0
	ds_store_b64 v1, v[112:113]
	s_wait_storecnt_dscnt 0x0
	s_barrier_signal -1
	s_barrier_wait -1
	s_wait_xcnt 0x0
	s_and_saveexec_b32 s2, s0
	s_cbranch_execz .LBB117_542
; %bb.537:
	s_and_b32 vcc_lo, exec_lo, s3
	s_cbranch_vccz .LBB117_539
; %bb.538:
	scratch_load_b64 v[112:113], v59, off
	ds_load_b64 v[114:115], v1
	s_wait_loadcnt_dscnt 0x0
	v_pk_mul_f32 v[116:117], v[114:115], v[112:113] op_sel:[1,1] op_sel_hi:[0,1]
	v_pk_mul_f32 v[118:119], v[114:115], v[112:113] op_sel_hi:[1,0]
	s_delay_alu instid0(VALU_DEP_2) | instskip(NEXT) | instid1(VALU_DEP_2)
	v_pk_fma_f32 v[112:113], v[114:115], v[112:113], v[116:117] op_sel_hi:[1,0,1]
	v_sub_f32_e32 v112, v118, v116
	s_cbranch_execz .LBB117_540
	s_branch .LBB117_541
.LBB117_539:
                                        ; implicit-def: $vgpr113
.LBB117_540:
	ds_load_b64 v[112:113], v1
.LBB117_541:
	s_wait_dscnt 0x0
	v_dual_mov_b32 v114, 0 :: v_dual_mov_b32 v116, v113
	v_mov_b32_e32 v117, v112
	ds_load_b64 v[114:115], v114 offset:8
	s_wait_dscnt 0x0
	v_pk_mul_f32 v[116:117], v[116:117], v[114:115] op_sel:[0,1]
	s_delay_alu instid0(VALU_DEP_1) | instskip(SKIP_1) | instid1(VALU_DEP_2)
	v_pk_fma_f32 v[118:119], v[112:113], v[114:115], v[116:117] op_sel_hi:[1,0,1]
	v_pk_fma_f32 v[112:113], v[112:113], v[114:115], v[116:117] neg_lo:[0,0,1] neg_hi:[0,0,1]
	v_mov_b32_e32 v113, v119
	scratch_store_b64 off, v[112:113], off offset:8
.LBB117_542:
	s_wait_xcnt 0x0
	s_or_b32 exec_lo, exec_lo, s2
	scratch_load_b64 v[112:113], off, off offset:16
	v_cndmask_b32_e64 v114, 0, 1, s3
	s_mov_b32 s2, exec_lo
	s_wait_loadcnt 0x0
	ds_store_b64 v1, v[112:113]
	s_wait_storecnt_dscnt 0x0
	s_barrier_signal -1
	s_barrier_wait -1
	s_wait_xcnt 0x0
	v_cmpx_gt_u32_e32 2, v0
	s_cbranch_execz .LBB117_550
; %bb.543:
	s_and_not1_b32 vcc_lo, exec_lo, s3
	s_cbranch_vccnz .LBB117_545
; %bb.544:
	scratch_load_b64 v[112:113], v59, off
	ds_load_b64 v[116:117], v1
	s_wait_loadcnt_dscnt 0x0
	v_pk_mul_f32 v[118:119], v[116:117], v[112:113] op_sel:[1,1] op_sel_hi:[0,1]
	s_delay_alu instid0(VALU_DEP_1) | instskip(SKIP_1) | instid1(VALU_DEP_2)
	v_pk_fma_f32 v[120:121], v[116:117], v[112:113], v[118:119] op_sel_hi:[1,0,1]
	v_pk_fma_f32 v[112:113], v[116:117], v[112:113], v[118:119] neg_lo:[0,0,1] neg_hi:[0,0,1]
	v_mov_b32_e32 v113, v121
	s_cbranch_execz .LBB117_546
	s_branch .LBB117_547
.LBB117_545:
                                        ; implicit-def: $vgpr112_vgpr113
.LBB117_546:
	ds_load_b64 v[112:113], v1
.LBB117_547:
	s_and_saveexec_b32 s3, s0
	s_cbranch_execz .LBB117_549
; %bb.548:
	scratch_load_b64 v[116:117], off, off offset:8
	v_mov_b32_e32 v115, 0
	ds_load_b64 v[118:119], v115 offset:440
	s_wait_loadcnt_dscnt 0x0
	v_pk_mul_f32 v[120:121], v[118:119], v[116:117] op_sel:[1,1] op_sel_hi:[0,1]
	s_delay_alu instid0(VALU_DEP_1) | instskip(SKIP_1) | instid1(VALU_DEP_2)
	v_pk_fma_f32 v[122:123], v[118:119], v[116:117], v[120:121] op_sel_hi:[1,0,1]
	v_pk_fma_f32 v[116:117], v[118:119], v[116:117], v[120:121] neg_lo:[0,0,1] neg_hi:[0,0,1]
	v_mov_b32_e32 v117, v123
	s_delay_alu instid0(VALU_DEP_1)
	v_pk_add_f32 v[112:113], v[112:113], v[116:117]
.LBB117_549:
	s_or_b32 exec_lo, exec_lo, s3
	v_mov_b32_e32 v115, 0
	ds_load_b64 v[116:117], v115 offset:16
	s_wait_dscnt 0x0
	v_pk_mul_f32 v[118:119], v[112:113], v[116:117] op_sel:[1,1] op_sel_hi:[0,1]
	s_delay_alu instid0(VALU_DEP_1) | instskip(SKIP_1) | instid1(VALU_DEP_2)
	v_pk_fma_f32 v[120:121], v[112:113], v[116:117], v[118:119] op_sel_hi:[1,0,1]
	v_pk_fma_f32 v[112:113], v[112:113], v[116:117], v[118:119] neg_lo:[0,0,1] neg_hi:[0,0,1]
	v_mov_b32_e32 v113, v121
	scratch_store_b64 off, v[112:113], off offset:16
.LBB117_550:
	s_wait_xcnt 0x0
	s_or_b32 exec_lo, exec_lo, s2
	scratch_load_b64 v[112:113], off, off offset:24
	s_mov_b32 s2, exec_lo
	s_wait_loadcnt 0x0
	ds_store_b64 v1, v[112:113]
	s_wait_storecnt_dscnt 0x0
	s_barrier_signal -1
	s_barrier_wait -1
	s_wait_xcnt 0x0
	v_cmpx_gt_u32_e32 3, v0
	s_cbranch_execz .LBB117_560
; %bb.551:
	v_cmp_ne_u32_e32 vcc_lo, 1, v114
	s_cbranch_vccnz .LBB117_553
; %bb.552:
	scratch_load_b64 v[112:113], v59, off
	ds_load_b64 v[116:117], v1
	s_wait_loadcnt_dscnt 0x0
	v_pk_mul_f32 v[118:119], v[116:117], v[112:113] op_sel:[1,1] op_sel_hi:[0,1]
	s_delay_alu instid0(VALU_DEP_1) | instskip(SKIP_1) | instid1(VALU_DEP_2)
	v_pk_fma_f32 v[120:121], v[116:117], v[112:113], v[118:119] op_sel_hi:[1,0,1]
	v_pk_fma_f32 v[112:113], v[116:117], v[112:113], v[118:119] neg_lo:[0,0,1] neg_hi:[0,0,1]
	v_mov_b32_e32 v113, v121
	s_cbranch_execz .LBB117_554
	s_branch .LBB117_555
.LBB117_553:
                                        ; implicit-def: $vgpr112_vgpr113
.LBB117_554:
	ds_load_b64 v[112:113], v1
.LBB117_555:
	s_mov_b32 s3, exec_lo
	v_cmpx_ne_u32_e32 2, v0
	s_cbranch_execz .LBB117_559
; %bb.556:
	scratch_load_b64 v[116:117], v59, off offset:8
	ds_load_b64 v[118:119], v1 offset:8
	s_wait_loadcnt_dscnt 0x0
	v_pk_mul_f32 v[120:121], v[118:119], v[116:117] op_sel:[1,1] op_sel_hi:[0,1]
	s_delay_alu instid0(VALU_DEP_1) | instskip(SKIP_1) | instid1(VALU_DEP_2)
	v_pk_fma_f32 v[122:123], v[118:119], v[116:117], v[120:121] op_sel_hi:[1,0,1]
	v_pk_fma_f32 v[116:117], v[118:119], v[116:117], v[120:121] neg_lo:[0,0,1] neg_hi:[0,0,1]
	v_mov_b32_e32 v117, v123
	s_delay_alu instid0(VALU_DEP_1)
	v_pk_add_f32 v[112:113], v[112:113], v[116:117]
	s_and_saveexec_b32 s4, s0
	s_cbranch_execz .LBB117_558
; %bb.557:
	scratch_load_b64 v[116:117], off, off offset:16
	v_mov_b32_e32 v115, 0
	ds_load_b64 v[118:119], v115 offset:448
	s_wait_loadcnt_dscnt 0x0
	v_pk_mul_f32 v[120:121], v[118:119], v[116:117] op_sel:[1,1] op_sel_hi:[0,1]
	s_delay_alu instid0(VALU_DEP_1) | instskip(SKIP_1) | instid1(VALU_DEP_2)
	v_pk_fma_f32 v[122:123], v[118:119], v[116:117], v[120:121] op_sel_hi:[1,0,1]
	v_pk_fma_f32 v[116:117], v[118:119], v[116:117], v[120:121] neg_lo:[0,0,1] neg_hi:[0,0,1]
	v_mov_b32_e32 v117, v123
	s_delay_alu instid0(VALU_DEP_1)
	v_pk_add_f32 v[112:113], v[112:113], v[116:117]
.LBB117_558:
	s_or_b32 exec_lo, exec_lo, s4
.LBB117_559:
	s_delay_alu instid0(SALU_CYCLE_1) | instskip(SKIP_4) | instid1(VALU_DEP_1)
	s_or_b32 exec_lo, exec_lo, s3
	v_mov_b32_e32 v115, 0
	ds_load_b64 v[116:117], v115 offset:24
	s_wait_dscnt 0x0
	v_pk_mul_f32 v[118:119], v[112:113], v[116:117] op_sel:[1,1] op_sel_hi:[0,1]
	v_pk_fma_f32 v[120:121], v[112:113], v[116:117], v[118:119] op_sel_hi:[1,0,1]
	v_pk_fma_f32 v[112:113], v[112:113], v[116:117], v[118:119] neg_lo:[0,0,1] neg_hi:[0,0,1]
	s_delay_alu instid0(VALU_DEP_2)
	v_mov_b32_e32 v113, v121
	scratch_store_b64 off, v[112:113], off offset:24
.LBB117_560:
	s_wait_xcnt 0x0
	s_or_b32 exec_lo, exec_lo, s2
	scratch_load_b64 v[112:113], off, off offset:32
	s_mov_b32 s0, exec_lo
	s_wait_loadcnt 0x0
	ds_store_b64 v1, v[112:113]
	s_wait_storecnt_dscnt 0x0
	s_barrier_signal -1
	s_barrier_wait -1
	s_wait_xcnt 0x0
	v_cmpx_gt_u32_e32 4, v0
	s_cbranch_execz .LBB117_570
; %bb.561:
	v_cmp_ne_u32_e32 vcc_lo, 1, v114
	s_cbranch_vccnz .LBB117_563
; %bb.562:
	scratch_load_b64 v[112:113], v59, off
	ds_load_b64 v[116:117], v1
	s_wait_loadcnt_dscnt 0x0
	v_pk_mul_f32 v[118:119], v[116:117], v[112:113] op_sel:[1,1] op_sel_hi:[0,1]
	s_delay_alu instid0(VALU_DEP_1) | instskip(SKIP_1) | instid1(VALU_DEP_2)
	v_pk_fma_f32 v[120:121], v[116:117], v[112:113], v[118:119] op_sel_hi:[1,0,1]
	v_pk_fma_f32 v[112:113], v[116:117], v[112:113], v[118:119] neg_lo:[0,0,1] neg_hi:[0,0,1]
	v_mov_b32_e32 v113, v121
	s_cbranch_execz .LBB117_564
	s_branch .LBB117_565
.LBB117_563:
                                        ; implicit-def: $vgpr112_vgpr113
.LBB117_564:
	ds_load_b64 v[112:113], v1
.LBB117_565:
	s_mov_b32 s2, exec_lo
	v_cmpx_ne_u32_e32 3, v0
	s_cbranch_execz .LBB117_569
; %bb.566:
	v_add_nc_u32_e32 v115, 0x1b8, v58
	v_add3_u32 v116, 0, v58, 8
	v_mov_b32_e32 v117, v0
	s_mov_b32 s3, 0
.LBB117_567:                            ; =>This Inner Loop Header: Depth=1
	scratch_load_b64 v[118:119], v116, off
	ds_load_b64 v[120:121], v115
	s_wait_xcnt 0x0
	v_dual_add_nc_u32 v115, 8, v115 :: v_dual_add_nc_u32 v116, 8, v116
	s_wait_loadcnt_dscnt 0x0
	v_pk_mul_f32 v[122:123], v[120:121], v[118:119] op_sel:[1,1] op_sel_hi:[0,1]
	s_delay_alu instid0(VALU_DEP_1) | instskip(SKIP_2) | instid1(VALU_DEP_3)
	v_pk_fma_f32 v[124:125], v[120:121], v[118:119], v[122:123] op_sel_hi:[1,0,1]
	v_add_nc_u32_e32 v117, 1, v117
	v_pk_fma_f32 v[118:119], v[120:121], v[118:119], v[122:123] neg_lo:[0,0,1] neg_hi:[0,0,1]
	v_mov_b32_e32 v119, v125
	s_delay_alu instid0(VALU_DEP_3) | instskip(NEXT) | instid1(VALU_DEP_2)
	v_cmp_lt_u32_e32 vcc_lo, 2, v117
	v_pk_add_f32 v[112:113], v[112:113], v[118:119]
	s_or_b32 s3, vcc_lo, s3
	s_delay_alu instid0(SALU_CYCLE_1)
	s_and_not1_b32 exec_lo, exec_lo, s3
	s_cbranch_execnz .LBB117_567
; %bb.568:
	s_or_b32 exec_lo, exec_lo, s3
.LBB117_569:
	s_delay_alu instid0(SALU_CYCLE_1) | instskip(SKIP_4) | instid1(VALU_DEP_1)
	s_or_b32 exec_lo, exec_lo, s2
	v_mov_b32_e32 v115, 0
	ds_load_b64 v[116:117], v115 offset:32
	s_wait_dscnt 0x0
	v_pk_mul_f32 v[118:119], v[112:113], v[116:117] op_sel:[1,1] op_sel_hi:[0,1]
	v_pk_fma_f32 v[120:121], v[112:113], v[116:117], v[118:119] op_sel_hi:[1,0,1]
	v_pk_fma_f32 v[112:113], v[112:113], v[116:117], v[118:119] neg_lo:[0,0,1] neg_hi:[0,0,1]
	s_delay_alu instid0(VALU_DEP_2)
	v_mov_b32_e32 v113, v121
	scratch_store_b64 off, v[112:113], off offset:32
.LBB117_570:
	s_wait_xcnt 0x0
	s_or_b32 exec_lo, exec_lo, s0
	scratch_load_b64 v[112:113], off, off offset:40
	s_mov_b32 s0, exec_lo
	s_wait_loadcnt 0x0
	ds_store_b64 v1, v[112:113]
	s_wait_storecnt_dscnt 0x0
	s_barrier_signal -1
	s_barrier_wait -1
	s_wait_xcnt 0x0
	v_cmpx_gt_u32_e32 5, v0
	s_cbranch_execz .LBB117_580
; %bb.571:
	v_cmp_ne_u32_e32 vcc_lo, 1, v114
	s_cbranch_vccnz .LBB117_573
; %bb.572:
	scratch_load_b64 v[112:113], v59, off
	ds_load_b64 v[116:117], v1
	s_wait_loadcnt_dscnt 0x0
	v_pk_mul_f32 v[118:119], v[116:117], v[112:113] op_sel:[1,1] op_sel_hi:[0,1]
	s_delay_alu instid0(VALU_DEP_1) | instskip(SKIP_1) | instid1(VALU_DEP_2)
	v_pk_fma_f32 v[120:121], v[116:117], v[112:113], v[118:119] op_sel_hi:[1,0,1]
	v_pk_fma_f32 v[112:113], v[116:117], v[112:113], v[118:119] neg_lo:[0,0,1] neg_hi:[0,0,1]
	v_mov_b32_e32 v113, v121
	s_cbranch_execz .LBB117_574
	s_branch .LBB117_575
.LBB117_573:
                                        ; implicit-def: $vgpr112_vgpr113
.LBB117_574:
	ds_load_b64 v[112:113], v1
.LBB117_575:
	s_mov_b32 s2, exec_lo
	v_cmpx_ne_u32_e32 4, v0
	s_cbranch_execz .LBB117_579
; %bb.576:
	v_add_nc_u32_e32 v115, 0x1b8, v58
	v_add3_u32 v116, 0, v58, 8
	v_mov_b32_e32 v117, v0
	s_mov_b32 s3, 0
.LBB117_577:                            ; =>This Inner Loop Header: Depth=1
	scratch_load_b64 v[118:119], v116, off
	ds_load_b64 v[120:121], v115
	s_wait_xcnt 0x0
	v_dual_add_nc_u32 v115, 8, v115 :: v_dual_add_nc_u32 v116, 8, v116
	s_wait_loadcnt_dscnt 0x0
	v_pk_mul_f32 v[122:123], v[120:121], v[118:119] op_sel:[1,1] op_sel_hi:[0,1]
	s_delay_alu instid0(VALU_DEP_1) | instskip(SKIP_2) | instid1(VALU_DEP_3)
	v_pk_fma_f32 v[124:125], v[120:121], v[118:119], v[122:123] op_sel_hi:[1,0,1]
	v_add_nc_u32_e32 v117, 1, v117
	v_pk_fma_f32 v[118:119], v[120:121], v[118:119], v[122:123] neg_lo:[0,0,1] neg_hi:[0,0,1]
	v_mov_b32_e32 v119, v125
	s_delay_alu instid0(VALU_DEP_3) | instskip(NEXT) | instid1(VALU_DEP_2)
	v_cmp_lt_u32_e32 vcc_lo, 3, v117
	v_pk_add_f32 v[112:113], v[112:113], v[118:119]
	s_or_b32 s3, vcc_lo, s3
	s_delay_alu instid0(SALU_CYCLE_1)
	s_and_not1_b32 exec_lo, exec_lo, s3
	s_cbranch_execnz .LBB117_577
; %bb.578:
	s_or_b32 exec_lo, exec_lo, s3
.LBB117_579:
	s_delay_alu instid0(SALU_CYCLE_1) | instskip(SKIP_4) | instid1(VALU_DEP_1)
	s_or_b32 exec_lo, exec_lo, s2
	v_mov_b32_e32 v115, 0
	ds_load_b64 v[116:117], v115 offset:40
	s_wait_dscnt 0x0
	v_pk_mul_f32 v[118:119], v[112:113], v[116:117] op_sel:[1,1] op_sel_hi:[0,1]
	v_pk_fma_f32 v[120:121], v[112:113], v[116:117], v[118:119] op_sel_hi:[1,0,1]
	v_pk_fma_f32 v[112:113], v[112:113], v[116:117], v[118:119] neg_lo:[0,0,1] neg_hi:[0,0,1]
	s_delay_alu instid0(VALU_DEP_2)
	v_mov_b32_e32 v113, v121
	scratch_store_b64 off, v[112:113], off offset:40
.LBB117_580:
	s_wait_xcnt 0x0
	s_or_b32 exec_lo, exec_lo, s0
	scratch_load_b64 v[112:113], off, off offset:48
	s_mov_b32 s0, exec_lo
	s_wait_loadcnt 0x0
	ds_store_b64 v1, v[112:113]
	s_wait_storecnt_dscnt 0x0
	s_barrier_signal -1
	s_barrier_wait -1
	s_wait_xcnt 0x0
	v_cmpx_gt_u32_e32 6, v0
	s_cbranch_execz .LBB117_590
; %bb.581:
	v_cmp_ne_u32_e32 vcc_lo, 1, v114
	s_cbranch_vccnz .LBB117_583
; %bb.582:
	scratch_load_b64 v[112:113], v59, off
	ds_load_b64 v[116:117], v1
	s_wait_loadcnt_dscnt 0x0
	v_pk_mul_f32 v[118:119], v[116:117], v[112:113] op_sel:[1,1] op_sel_hi:[0,1]
	s_delay_alu instid0(VALU_DEP_1) | instskip(SKIP_1) | instid1(VALU_DEP_2)
	v_pk_fma_f32 v[120:121], v[116:117], v[112:113], v[118:119] op_sel_hi:[1,0,1]
	v_pk_fma_f32 v[112:113], v[116:117], v[112:113], v[118:119] neg_lo:[0,0,1] neg_hi:[0,0,1]
	v_mov_b32_e32 v113, v121
	s_cbranch_execz .LBB117_584
	s_branch .LBB117_585
.LBB117_583:
                                        ; implicit-def: $vgpr112_vgpr113
.LBB117_584:
	ds_load_b64 v[112:113], v1
.LBB117_585:
	s_mov_b32 s2, exec_lo
	v_cmpx_ne_u32_e32 5, v0
	s_cbranch_execz .LBB117_589
; %bb.586:
	v_add_nc_u32_e32 v115, 0x1b8, v58
	v_add3_u32 v116, 0, v58, 8
	v_mov_b32_e32 v117, v0
	s_mov_b32 s3, 0
.LBB117_587:                            ; =>This Inner Loop Header: Depth=1
	scratch_load_b64 v[118:119], v116, off
	ds_load_b64 v[120:121], v115
	s_wait_xcnt 0x0
	v_dual_add_nc_u32 v115, 8, v115 :: v_dual_add_nc_u32 v116, 8, v116
	s_wait_loadcnt_dscnt 0x0
	v_pk_mul_f32 v[122:123], v[120:121], v[118:119] op_sel:[1,1] op_sel_hi:[0,1]
	s_delay_alu instid0(VALU_DEP_1) | instskip(SKIP_2) | instid1(VALU_DEP_3)
	v_pk_fma_f32 v[124:125], v[120:121], v[118:119], v[122:123] op_sel_hi:[1,0,1]
	v_add_nc_u32_e32 v117, 1, v117
	v_pk_fma_f32 v[118:119], v[120:121], v[118:119], v[122:123] neg_lo:[0,0,1] neg_hi:[0,0,1]
	v_mov_b32_e32 v119, v125
	s_delay_alu instid0(VALU_DEP_3) | instskip(NEXT) | instid1(VALU_DEP_2)
	v_cmp_lt_u32_e32 vcc_lo, 4, v117
	v_pk_add_f32 v[112:113], v[112:113], v[118:119]
	s_or_b32 s3, vcc_lo, s3
	s_delay_alu instid0(SALU_CYCLE_1)
	s_and_not1_b32 exec_lo, exec_lo, s3
	s_cbranch_execnz .LBB117_587
; %bb.588:
	s_or_b32 exec_lo, exec_lo, s3
.LBB117_589:
	s_delay_alu instid0(SALU_CYCLE_1) | instskip(SKIP_4) | instid1(VALU_DEP_1)
	s_or_b32 exec_lo, exec_lo, s2
	v_mov_b32_e32 v115, 0
	ds_load_b64 v[116:117], v115 offset:48
	s_wait_dscnt 0x0
	v_pk_mul_f32 v[118:119], v[112:113], v[116:117] op_sel:[1,1] op_sel_hi:[0,1]
	v_pk_fma_f32 v[120:121], v[112:113], v[116:117], v[118:119] op_sel_hi:[1,0,1]
	v_pk_fma_f32 v[112:113], v[112:113], v[116:117], v[118:119] neg_lo:[0,0,1] neg_hi:[0,0,1]
	s_delay_alu instid0(VALU_DEP_2)
	v_mov_b32_e32 v113, v121
	scratch_store_b64 off, v[112:113], off offset:48
.LBB117_590:
	s_wait_xcnt 0x0
	s_or_b32 exec_lo, exec_lo, s0
	scratch_load_b64 v[112:113], off, off offset:56
	s_mov_b32 s0, exec_lo
	s_wait_loadcnt 0x0
	ds_store_b64 v1, v[112:113]
	s_wait_storecnt_dscnt 0x0
	s_barrier_signal -1
	s_barrier_wait -1
	s_wait_xcnt 0x0
	v_cmpx_gt_u32_e32 7, v0
	s_cbranch_execz .LBB117_600
; %bb.591:
	v_cmp_ne_u32_e32 vcc_lo, 1, v114
	s_cbranch_vccnz .LBB117_593
; %bb.592:
	scratch_load_b64 v[112:113], v59, off
	ds_load_b64 v[116:117], v1
	s_wait_loadcnt_dscnt 0x0
	v_pk_mul_f32 v[118:119], v[116:117], v[112:113] op_sel:[1,1] op_sel_hi:[0,1]
	s_delay_alu instid0(VALU_DEP_1) | instskip(SKIP_1) | instid1(VALU_DEP_2)
	v_pk_fma_f32 v[120:121], v[116:117], v[112:113], v[118:119] op_sel_hi:[1,0,1]
	v_pk_fma_f32 v[112:113], v[116:117], v[112:113], v[118:119] neg_lo:[0,0,1] neg_hi:[0,0,1]
	v_mov_b32_e32 v113, v121
	s_cbranch_execz .LBB117_594
	s_branch .LBB117_595
.LBB117_593:
                                        ; implicit-def: $vgpr112_vgpr113
.LBB117_594:
	ds_load_b64 v[112:113], v1
.LBB117_595:
	s_mov_b32 s2, exec_lo
	v_cmpx_ne_u32_e32 6, v0
	s_cbranch_execz .LBB117_599
; %bb.596:
	v_add_nc_u32_e32 v115, 0x1b8, v58
	v_add3_u32 v116, 0, v58, 8
	v_mov_b32_e32 v117, v0
	s_mov_b32 s3, 0
.LBB117_597:                            ; =>This Inner Loop Header: Depth=1
	scratch_load_b64 v[118:119], v116, off
	ds_load_b64 v[120:121], v115
	s_wait_xcnt 0x0
	v_dual_add_nc_u32 v115, 8, v115 :: v_dual_add_nc_u32 v116, 8, v116
	s_wait_loadcnt_dscnt 0x0
	v_pk_mul_f32 v[122:123], v[120:121], v[118:119] op_sel:[1,1] op_sel_hi:[0,1]
	s_delay_alu instid0(VALU_DEP_1) | instskip(SKIP_2) | instid1(VALU_DEP_3)
	v_pk_fma_f32 v[124:125], v[120:121], v[118:119], v[122:123] op_sel_hi:[1,0,1]
	v_add_nc_u32_e32 v117, 1, v117
	v_pk_fma_f32 v[118:119], v[120:121], v[118:119], v[122:123] neg_lo:[0,0,1] neg_hi:[0,0,1]
	v_mov_b32_e32 v119, v125
	s_delay_alu instid0(VALU_DEP_3) | instskip(NEXT) | instid1(VALU_DEP_2)
	v_cmp_lt_u32_e32 vcc_lo, 5, v117
	v_pk_add_f32 v[112:113], v[112:113], v[118:119]
	s_or_b32 s3, vcc_lo, s3
	s_delay_alu instid0(SALU_CYCLE_1)
	s_and_not1_b32 exec_lo, exec_lo, s3
	s_cbranch_execnz .LBB117_597
; %bb.598:
	s_or_b32 exec_lo, exec_lo, s3
.LBB117_599:
	s_delay_alu instid0(SALU_CYCLE_1) | instskip(SKIP_4) | instid1(VALU_DEP_1)
	s_or_b32 exec_lo, exec_lo, s2
	v_mov_b32_e32 v115, 0
	ds_load_b64 v[116:117], v115 offset:56
	s_wait_dscnt 0x0
	v_pk_mul_f32 v[118:119], v[112:113], v[116:117] op_sel:[1,1] op_sel_hi:[0,1]
	v_pk_fma_f32 v[120:121], v[112:113], v[116:117], v[118:119] op_sel_hi:[1,0,1]
	v_pk_fma_f32 v[112:113], v[112:113], v[116:117], v[118:119] neg_lo:[0,0,1] neg_hi:[0,0,1]
	s_delay_alu instid0(VALU_DEP_2)
	v_mov_b32_e32 v113, v121
	scratch_store_b64 off, v[112:113], off offset:56
.LBB117_600:
	s_wait_xcnt 0x0
	s_or_b32 exec_lo, exec_lo, s0
	scratch_load_b64 v[112:113], off, off offset:64
	s_mov_b32 s0, exec_lo
	s_wait_loadcnt 0x0
	ds_store_b64 v1, v[112:113]
	s_wait_storecnt_dscnt 0x0
	s_barrier_signal -1
	s_barrier_wait -1
	s_wait_xcnt 0x0
	v_cmpx_gt_u32_e32 8, v0
	s_cbranch_execz .LBB117_610
; %bb.601:
	v_cmp_ne_u32_e32 vcc_lo, 1, v114
	s_cbranch_vccnz .LBB117_603
; %bb.602:
	scratch_load_b64 v[112:113], v59, off
	ds_load_b64 v[116:117], v1
	s_wait_loadcnt_dscnt 0x0
	v_pk_mul_f32 v[118:119], v[116:117], v[112:113] op_sel:[1,1] op_sel_hi:[0,1]
	s_delay_alu instid0(VALU_DEP_1) | instskip(SKIP_1) | instid1(VALU_DEP_2)
	v_pk_fma_f32 v[120:121], v[116:117], v[112:113], v[118:119] op_sel_hi:[1,0,1]
	v_pk_fma_f32 v[112:113], v[116:117], v[112:113], v[118:119] neg_lo:[0,0,1] neg_hi:[0,0,1]
	v_mov_b32_e32 v113, v121
	s_cbranch_execz .LBB117_604
	s_branch .LBB117_605
.LBB117_603:
                                        ; implicit-def: $vgpr112_vgpr113
.LBB117_604:
	ds_load_b64 v[112:113], v1
.LBB117_605:
	s_mov_b32 s2, exec_lo
	v_cmpx_ne_u32_e32 7, v0
	s_cbranch_execz .LBB117_609
; %bb.606:
	v_add_nc_u32_e32 v115, 0x1b8, v58
	v_add3_u32 v116, 0, v58, 8
	v_mov_b32_e32 v117, v0
	s_mov_b32 s3, 0
.LBB117_607:                            ; =>This Inner Loop Header: Depth=1
	scratch_load_b64 v[118:119], v116, off
	ds_load_b64 v[120:121], v115
	s_wait_xcnt 0x0
	v_dual_add_nc_u32 v115, 8, v115 :: v_dual_add_nc_u32 v116, 8, v116
	s_wait_loadcnt_dscnt 0x0
	v_pk_mul_f32 v[122:123], v[120:121], v[118:119] op_sel:[1,1] op_sel_hi:[0,1]
	s_delay_alu instid0(VALU_DEP_1) | instskip(SKIP_2) | instid1(VALU_DEP_3)
	v_pk_fma_f32 v[124:125], v[120:121], v[118:119], v[122:123] op_sel_hi:[1,0,1]
	v_add_nc_u32_e32 v117, 1, v117
	v_pk_fma_f32 v[118:119], v[120:121], v[118:119], v[122:123] neg_lo:[0,0,1] neg_hi:[0,0,1]
	v_mov_b32_e32 v119, v125
	s_delay_alu instid0(VALU_DEP_3) | instskip(NEXT) | instid1(VALU_DEP_2)
	v_cmp_lt_u32_e32 vcc_lo, 6, v117
	v_pk_add_f32 v[112:113], v[112:113], v[118:119]
	s_or_b32 s3, vcc_lo, s3
	s_delay_alu instid0(SALU_CYCLE_1)
	s_and_not1_b32 exec_lo, exec_lo, s3
	s_cbranch_execnz .LBB117_607
; %bb.608:
	s_or_b32 exec_lo, exec_lo, s3
.LBB117_609:
	s_delay_alu instid0(SALU_CYCLE_1) | instskip(SKIP_4) | instid1(VALU_DEP_1)
	s_or_b32 exec_lo, exec_lo, s2
	v_mov_b32_e32 v115, 0
	ds_load_b64 v[116:117], v115 offset:64
	s_wait_dscnt 0x0
	v_pk_mul_f32 v[118:119], v[112:113], v[116:117] op_sel:[1,1] op_sel_hi:[0,1]
	v_pk_fma_f32 v[120:121], v[112:113], v[116:117], v[118:119] op_sel_hi:[1,0,1]
	v_pk_fma_f32 v[112:113], v[112:113], v[116:117], v[118:119] neg_lo:[0,0,1] neg_hi:[0,0,1]
	s_delay_alu instid0(VALU_DEP_2)
	v_mov_b32_e32 v113, v121
	scratch_store_b64 off, v[112:113], off offset:64
.LBB117_610:
	s_wait_xcnt 0x0
	s_or_b32 exec_lo, exec_lo, s0
	scratch_load_b64 v[112:113], off, off offset:72
	s_mov_b32 s0, exec_lo
	s_wait_loadcnt 0x0
	ds_store_b64 v1, v[112:113]
	s_wait_storecnt_dscnt 0x0
	s_barrier_signal -1
	s_barrier_wait -1
	s_wait_xcnt 0x0
	v_cmpx_gt_u32_e32 9, v0
	s_cbranch_execz .LBB117_620
; %bb.611:
	v_cmp_ne_u32_e32 vcc_lo, 1, v114
	s_cbranch_vccnz .LBB117_613
; %bb.612:
	scratch_load_b64 v[112:113], v59, off
	ds_load_b64 v[116:117], v1
	s_wait_loadcnt_dscnt 0x0
	v_pk_mul_f32 v[118:119], v[116:117], v[112:113] op_sel:[1,1] op_sel_hi:[0,1]
	s_delay_alu instid0(VALU_DEP_1) | instskip(SKIP_1) | instid1(VALU_DEP_2)
	v_pk_fma_f32 v[120:121], v[116:117], v[112:113], v[118:119] op_sel_hi:[1,0,1]
	v_pk_fma_f32 v[112:113], v[116:117], v[112:113], v[118:119] neg_lo:[0,0,1] neg_hi:[0,0,1]
	v_mov_b32_e32 v113, v121
	s_cbranch_execz .LBB117_614
	s_branch .LBB117_615
.LBB117_613:
                                        ; implicit-def: $vgpr112_vgpr113
.LBB117_614:
	ds_load_b64 v[112:113], v1
.LBB117_615:
	s_mov_b32 s2, exec_lo
	v_cmpx_ne_u32_e32 8, v0
	s_cbranch_execz .LBB117_619
; %bb.616:
	v_add_nc_u32_e32 v115, 0x1b8, v58
	v_add3_u32 v116, 0, v58, 8
	v_mov_b32_e32 v117, v0
	s_mov_b32 s3, 0
.LBB117_617:                            ; =>This Inner Loop Header: Depth=1
	scratch_load_b64 v[118:119], v116, off
	ds_load_b64 v[120:121], v115
	s_wait_xcnt 0x0
	v_dual_add_nc_u32 v115, 8, v115 :: v_dual_add_nc_u32 v116, 8, v116
	s_wait_loadcnt_dscnt 0x0
	v_pk_mul_f32 v[122:123], v[120:121], v[118:119] op_sel:[1,1] op_sel_hi:[0,1]
	s_delay_alu instid0(VALU_DEP_1) | instskip(SKIP_2) | instid1(VALU_DEP_3)
	v_pk_fma_f32 v[124:125], v[120:121], v[118:119], v[122:123] op_sel_hi:[1,0,1]
	v_add_nc_u32_e32 v117, 1, v117
	v_pk_fma_f32 v[118:119], v[120:121], v[118:119], v[122:123] neg_lo:[0,0,1] neg_hi:[0,0,1]
	v_mov_b32_e32 v119, v125
	s_delay_alu instid0(VALU_DEP_3) | instskip(NEXT) | instid1(VALU_DEP_2)
	v_cmp_lt_u32_e32 vcc_lo, 7, v117
	v_pk_add_f32 v[112:113], v[112:113], v[118:119]
	s_or_b32 s3, vcc_lo, s3
	s_delay_alu instid0(SALU_CYCLE_1)
	s_and_not1_b32 exec_lo, exec_lo, s3
	s_cbranch_execnz .LBB117_617
; %bb.618:
	s_or_b32 exec_lo, exec_lo, s3
.LBB117_619:
	s_delay_alu instid0(SALU_CYCLE_1) | instskip(SKIP_4) | instid1(VALU_DEP_1)
	s_or_b32 exec_lo, exec_lo, s2
	v_mov_b32_e32 v115, 0
	ds_load_b64 v[116:117], v115 offset:72
	s_wait_dscnt 0x0
	v_pk_mul_f32 v[118:119], v[112:113], v[116:117] op_sel:[1,1] op_sel_hi:[0,1]
	v_pk_fma_f32 v[120:121], v[112:113], v[116:117], v[118:119] op_sel_hi:[1,0,1]
	v_pk_fma_f32 v[112:113], v[112:113], v[116:117], v[118:119] neg_lo:[0,0,1] neg_hi:[0,0,1]
	s_delay_alu instid0(VALU_DEP_2)
	v_mov_b32_e32 v113, v121
	scratch_store_b64 off, v[112:113], off offset:72
.LBB117_620:
	s_wait_xcnt 0x0
	s_or_b32 exec_lo, exec_lo, s0
	scratch_load_b64 v[112:113], off, off offset:80
	s_mov_b32 s0, exec_lo
	s_wait_loadcnt 0x0
	ds_store_b64 v1, v[112:113]
	s_wait_storecnt_dscnt 0x0
	s_barrier_signal -1
	s_barrier_wait -1
	s_wait_xcnt 0x0
	v_cmpx_gt_u32_e32 10, v0
	s_cbranch_execz .LBB117_630
; %bb.621:
	v_cmp_ne_u32_e32 vcc_lo, 1, v114
	s_cbranch_vccnz .LBB117_623
; %bb.622:
	scratch_load_b64 v[112:113], v59, off
	ds_load_b64 v[116:117], v1
	s_wait_loadcnt_dscnt 0x0
	v_pk_mul_f32 v[118:119], v[116:117], v[112:113] op_sel:[1,1] op_sel_hi:[0,1]
	s_delay_alu instid0(VALU_DEP_1) | instskip(SKIP_1) | instid1(VALU_DEP_2)
	v_pk_fma_f32 v[120:121], v[116:117], v[112:113], v[118:119] op_sel_hi:[1,0,1]
	v_pk_fma_f32 v[112:113], v[116:117], v[112:113], v[118:119] neg_lo:[0,0,1] neg_hi:[0,0,1]
	v_mov_b32_e32 v113, v121
	s_cbranch_execz .LBB117_624
	s_branch .LBB117_625
.LBB117_623:
                                        ; implicit-def: $vgpr112_vgpr113
.LBB117_624:
	ds_load_b64 v[112:113], v1
.LBB117_625:
	s_mov_b32 s2, exec_lo
	v_cmpx_ne_u32_e32 9, v0
	s_cbranch_execz .LBB117_629
; %bb.626:
	v_add_nc_u32_e32 v115, 0x1b8, v58
	v_add3_u32 v116, 0, v58, 8
	v_mov_b32_e32 v117, v0
	s_mov_b32 s3, 0
.LBB117_627:                            ; =>This Inner Loop Header: Depth=1
	scratch_load_b64 v[118:119], v116, off
	ds_load_b64 v[120:121], v115
	s_wait_xcnt 0x0
	v_dual_add_nc_u32 v115, 8, v115 :: v_dual_add_nc_u32 v116, 8, v116
	s_wait_loadcnt_dscnt 0x0
	v_pk_mul_f32 v[122:123], v[120:121], v[118:119] op_sel:[1,1] op_sel_hi:[0,1]
	s_delay_alu instid0(VALU_DEP_1) | instskip(SKIP_2) | instid1(VALU_DEP_3)
	v_pk_fma_f32 v[124:125], v[120:121], v[118:119], v[122:123] op_sel_hi:[1,0,1]
	v_add_nc_u32_e32 v117, 1, v117
	v_pk_fma_f32 v[118:119], v[120:121], v[118:119], v[122:123] neg_lo:[0,0,1] neg_hi:[0,0,1]
	v_mov_b32_e32 v119, v125
	s_delay_alu instid0(VALU_DEP_3) | instskip(NEXT) | instid1(VALU_DEP_2)
	v_cmp_lt_u32_e32 vcc_lo, 8, v117
	v_pk_add_f32 v[112:113], v[112:113], v[118:119]
	s_or_b32 s3, vcc_lo, s3
	s_delay_alu instid0(SALU_CYCLE_1)
	s_and_not1_b32 exec_lo, exec_lo, s3
	s_cbranch_execnz .LBB117_627
; %bb.628:
	s_or_b32 exec_lo, exec_lo, s3
.LBB117_629:
	s_delay_alu instid0(SALU_CYCLE_1) | instskip(SKIP_4) | instid1(VALU_DEP_1)
	s_or_b32 exec_lo, exec_lo, s2
	v_mov_b32_e32 v115, 0
	ds_load_b64 v[116:117], v115 offset:80
	s_wait_dscnt 0x0
	v_pk_mul_f32 v[118:119], v[112:113], v[116:117] op_sel:[1,1] op_sel_hi:[0,1]
	v_pk_fma_f32 v[120:121], v[112:113], v[116:117], v[118:119] op_sel_hi:[1,0,1]
	v_pk_fma_f32 v[112:113], v[112:113], v[116:117], v[118:119] neg_lo:[0,0,1] neg_hi:[0,0,1]
	s_delay_alu instid0(VALU_DEP_2)
	v_mov_b32_e32 v113, v121
	scratch_store_b64 off, v[112:113], off offset:80
.LBB117_630:
	s_wait_xcnt 0x0
	s_or_b32 exec_lo, exec_lo, s0
	scratch_load_b64 v[112:113], off, off offset:88
	s_mov_b32 s0, exec_lo
	s_wait_loadcnt 0x0
	ds_store_b64 v1, v[112:113]
	s_wait_storecnt_dscnt 0x0
	s_barrier_signal -1
	s_barrier_wait -1
	s_wait_xcnt 0x0
	v_cmpx_gt_u32_e32 11, v0
	s_cbranch_execz .LBB117_640
; %bb.631:
	v_cmp_ne_u32_e32 vcc_lo, 1, v114
	s_cbranch_vccnz .LBB117_633
; %bb.632:
	scratch_load_b64 v[112:113], v59, off
	ds_load_b64 v[116:117], v1
	s_wait_loadcnt_dscnt 0x0
	v_pk_mul_f32 v[118:119], v[116:117], v[112:113] op_sel:[1,1] op_sel_hi:[0,1]
	s_delay_alu instid0(VALU_DEP_1) | instskip(SKIP_1) | instid1(VALU_DEP_2)
	v_pk_fma_f32 v[120:121], v[116:117], v[112:113], v[118:119] op_sel_hi:[1,0,1]
	v_pk_fma_f32 v[112:113], v[116:117], v[112:113], v[118:119] neg_lo:[0,0,1] neg_hi:[0,0,1]
	v_mov_b32_e32 v113, v121
	s_cbranch_execz .LBB117_634
	s_branch .LBB117_635
.LBB117_633:
                                        ; implicit-def: $vgpr112_vgpr113
.LBB117_634:
	ds_load_b64 v[112:113], v1
.LBB117_635:
	s_mov_b32 s2, exec_lo
	v_cmpx_ne_u32_e32 10, v0
	s_cbranch_execz .LBB117_639
; %bb.636:
	v_add_nc_u32_e32 v115, 0x1b8, v58
	v_add3_u32 v116, 0, v58, 8
	v_mov_b32_e32 v117, v0
	s_mov_b32 s3, 0
.LBB117_637:                            ; =>This Inner Loop Header: Depth=1
	scratch_load_b64 v[118:119], v116, off
	ds_load_b64 v[120:121], v115
	s_wait_xcnt 0x0
	v_dual_add_nc_u32 v115, 8, v115 :: v_dual_add_nc_u32 v116, 8, v116
	s_wait_loadcnt_dscnt 0x0
	v_pk_mul_f32 v[122:123], v[120:121], v[118:119] op_sel:[1,1] op_sel_hi:[0,1]
	s_delay_alu instid0(VALU_DEP_1) | instskip(SKIP_2) | instid1(VALU_DEP_3)
	v_pk_fma_f32 v[124:125], v[120:121], v[118:119], v[122:123] op_sel_hi:[1,0,1]
	v_add_nc_u32_e32 v117, 1, v117
	v_pk_fma_f32 v[118:119], v[120:121], v[118:119], v[122:123] neg_lo:[0,0,1] neg_hi:[0,0,1]
	v_mov_b32_e32 v119, v125
	s_delay_alu instid0(VALU_DEP_3) | instskip(NEXT) | instid1(VALU_DEP_2)
	v_cmp_lt_u32_e32 vcc_lo, 9, v117
	v_pk_add_f32 v[112:113], v[112:113], v[118:119]
	s_or_b32 s3, vcc_lo, s3
	s_delay_alu instid0(SALU_CYCLE_1)
	s_and_not1_b32 exec_lo, exec_lo, s3
	s_cbranch_execnz .LBB117_637
; %bb.638:
	s_or_b32 exec_lo, exec_lo, s3
.LBB117_639:
	s_delay_alu instid0(SALU_CYCLE_1) | instskip(SKIP_4) | instid1(VALU_DEP_1)
	s_or_b32 exec_lo, exec_lo, s2
	v_mov_b32_e32 v115, 0
	ds_load_b64 v[116:117], v115 offset:88
	s_wait_dscnt 0x0
	v_pk_mul_f32 v[118:119], v[112:113], v[116:117] op_sel:[1,1] op_sel_hi:[0,1]
	v_pk_fma_f32 v[120:121], v[112:113], v[116:117], v[118:119] op_sel_hi:[1,0,1]
	v_pk_fma_f32 v[112:113], v[112:113], v[116:117], v[118:119] neg_lo:[0,0,1] neg_hi:[0,0,1]
	s_delay_alu instid0(VALU_DEP_2)
	v_mov_b32_e32 v113, v121
	scratch_store_b64 off, v[112:113], off offset:88
.LBB117_640:
	s_wait_xcnt 0x0
	s_or_b32 exec_lo, exec_lo, s0
	scratch_load_b64 v[112:113], off, off offset:96
	s_mov_b32 s0, exec_lo
	s_wait_loadcnt 0x0
	ds_store_b64 v1, v[112:113]
	s_wait_storecnt_dscnt 0x0
	s_barrier_signal -1
	s_barrier_wait -1
	s_wait_xcnt 0x0
	v_cmpx_gt_u32_e32 12, v0
	s_cbranch_execz .LBB117_650
; %bb.641:
	v_cmp_ne_u32_e32 vcc_lo, 1, v114
	s_cbranch_vccnz .LBB117_643
; %bb.642:
	scratch_load_b64 v[112:113], v59, off
	ds_load_b64 v[116:117], v1
	s_wait_loadcnt_dscnt 0x0
	v_pk_mul_f32 v[118:119], v[116:117], v[112:113] op_sel:[1,1] op_sel_hi:[0,1]
	s_delay_alu instid0(VALU_DEP_1) | instskip(SKIP_1) | instid1(VALU_DEP_2)
	v_pk_fma_f32 v[120:121], v[116:117], v[112:113], v[118:119] op_sel_hi:[1,0,1]
	v_pk_fma_f32 v[112:113], v[116:117], v[112:113], v[118:119] neg_lo:[0,0,1] neg_hi:[0,0,1]
	v_mov_b32_e32 v113, v121
	s_cbranch_execz .LBB117_644
	s_branch .LBB117_645
.LBB117_643:
                                        ; implicit-def: $vgpr112_vgpr113
.LBB117_644:
	ds_load_b64 v[112:113], v1
.LBB117_645:
	s_mov_b32 s2, exec_lo
	v_cmpx_ne_u32_e32 11, v0
	s_cbranch_execz .LBB117_649
; %bb.646:
	v_add_nc_u32_e32 v115, 0x1b8, v58
	v_add3_u32 v116, 0, v58, 8
	v_mov_b32_e32 v117, v0
	s_mov_b32 s3, 0
.LBB117_647:                            ; =>This Inner Loop Header: Depth=1
	scratch_load_b64 v[118:119], v116, off
	ds_load_b64 v[120:121], v115
	s_wait_xcnt 0x0
	v_dual_add_nc_u32 v115, 8, v115 :: v_dual_add_nc_u32 v116, 8, v116
	s_wait_loadcnt_dscnt 0x0
	v_pk_mul_f32 v[122:123], v[120:121], v[118:119] op_sel:[1,1] op_sel_hi:[0,1]
	s_delay_alu instid0(VALU_DEP_1) | instskip(SKIP_2) | instid1(VALU_DEP_3)
	v_pk_fma_f32 v[124:125], v[120:121], v[118:119], v[122:123] op_sel_hi:[1,0,1]
	v_add_nc_u32_e32 v117, 1, v117
	v_pk_fma_f32 v[118:119], v[120:121], v[118:119], v[122:123] neg_lo:[0,0,1] neg_hi:[0,0,1]
	v_mov_b32_e32 v119, v125
	s_delay_alu instid0(VALU_DEP_3) | instskip(NEXT) | instid1(VALU_DEP_2)
	v_cmp_lt_u32_e32 vcc_lo, 10, v117
	v_pk_add_f32 v[112:113], v[112:113], v[118:119]
	s_or_b32 s3, vcc_lo, s3
	s_delay_alu instid0(SALU_CYCLE_1)
	s_and_not1_b32 exec_lo, exec_lo, s3
	s_cbranch_execnz .LBB117_647
; %bb.648:
	s_or_b32 exec_lo, exec_lo, s3
.LBB117_649:
	s_delay_alu instid0(SALU_CYCLE_1) | instskip(SKIP_4) | instid1(VALU_DEP_1)
	s_or_b32 exec_lo, exec_lo, s2
	v_mov_b32_e32 v115, 0
	ds_load_b64 v[116:117], v115 offset:96
	s_wait_dscnt 0x0
	v_pk_mul_f32 v[118:119], v[112:113], v[116:117] op_sel:[1,1] op_sel_hi:[0,1]
	v_pk_fma_f32 v[120:121], v[112:113], v[116:117], v[118:119] op_sel_hi:[1,0,1]
	v_pk_fma_f32 v[112:113], v[112:113], v[116:117], v[118:119] neg_lo:[0,0,1] neg_hi:[0,0,1]
	s_delay_alu instid0(VALU_DEP_2)
	v_mov_b32_e32 v113, v121
	scratch_store_b64 off, v[112:113], off offset:96
.LBB117_650:
	s_wait_xcnt 0x0
	s_or_b32 exec_lo, exec_lo, s0
	scratch_load_b64 v[112:113], off, off offset:104
	s_mov_b32 s0, exec_lo
	s_wait_loadcnt 0x0
	ds_store_b64 v1, v[112:113]
	s_wait_storecnt_dscnt 0x0
	s_barrier_signal -1
	s_barrier_wait -1
	s_wait_xcnt 0x0
	v_cmpx_gt_u32_e32 13, v0
	s_cbranch_execz .LBB117_660
; %bb.651:
	v_cmp_ne_u32_e32 vcc_lo, 1, v114
	s_cbranch_vccnz .LBB117_653
; %bb.652:
	scratch_load_b64 v[112:113], v59, off
	ds_load_b64 v[116:117], v1
	s_wait_loadcnt_dscnt 0x0
	v_pk_mul_f32 v[118:119], v[116:117], v[112:113] op_sel:[1,1] op_sel_hi:[0,1]
	s_delay_alu instid0(VALU_DEP_1) | instskip(SKIP_1) | instid1(VALU_DEP_2)
	v_pk_fma_f32 v[120:121], v[116:117], v[112:113], v[118:119] op_sel_hi:[1,0,1]
	v_pk_fma_f32 v[112:113], v[116:117], v[112:113], v[118:119] neg_lo:[0,0,1] neg_hi:[0,0,1]
	v_mov_b32_e32 v113, v121
	s_cbranch_execz .LBB117_654
	s_branch .LBB117_655
.LBB117_653:
                                        ; implicit-def: $vgpr112_vgpr113
.LBB117_654:
	ds_load_b64 v[112:113], v1
.LBB117_655:
	s_mov_b32 s2, exec_lo
	v_cmpx_ne_u32_e32 12, v0
	s_cbranch_execz .LBB117_659
; %bb.656:
	v_add_nc_u32_e32 v115, 0x1b8, v58
	v_add3_u32 v116, 0, v58, 8
	v_mov_b32_e32 v117, v0
	s_mov_b32 s3, 0
.LBB117_657:                            ; =>This Inner Loop Header: Depth=1
	scratch_load_b64 v[118:119], v116, off
	ds_load_b64 v[120:121], v115
	s_wait_xcnt 0x0
	v_dual_add_nc_u32 v115, 8, v115 :: v_dual_add_nc_u32 v116, 8, v116
	s_wait_loadcnt_dscnt 0x0
	v_pk_mul_f32 v[122:123], v[120:121], v[118:119] op_sel:[1,1] op_sel_hi:[0,1]
	s_delay_alu instid0(VALU_DEP_1) | instskip(SKIP_2) | instid1(VALU_DEP_3)
	v_pk_fma_f32 v[124:125], v[120:121], v[118:119], v[122:123] op_sel_hi:[1,0,1]
	v_add_nc_u32_e32 v117, 1, v117
	v_pk_fma_f32 v[118:119], v[120:121], v[118:119], v[122:123] neg_lo:[0,0,1] neg_hi:[0,0,1]
	v_mov_b32_e32 v119, v125
	s_delay_alu instid0(VALU_DEP_3) | instskip(NEXT) | instid1(VALU_DEP_2)
	v_cmp_lt_u32_e32 vcc_lo, 11, v117
	v_pk_add_f32 v[112:113], v[112:113], v[118:119]
	s_or_b32 s3, vcc_lo, s3
	s_delay_alu instid0(SALU_CYCLE_1)
	s_and_not1_b32 exec_lo, exec_lo, s3
	s_cbranch_execnz .LBB117_657
; %bb.658:
	s_or_b32 exec_lo, exec_lo, s3
.LBB117_659:
	s_delay_alu instid0(SALU_CYCLE_1) | instskip(SKIP_4) | instid1(VALU_DEP_1)
	s_or_b32 exec_lo, exec_lo, s2
	v_mov_b32_e32 v115, 0
	ds_load_b64 v[116:117], v115 offset:104
	s_wait_dscnt 0x0
	v_pk_mul_f32 v[118:119], v[112:113], v[116:117] op_sel:[1,1] op_sel_hi:[0,1]
	v_pk_fma_f32 v[120:121], v[112:113], v[116:117], v[118:119] op_sel_hi:[1,0,1]
	v_pk_fma_f32 v[112:113], v[112:113], v[116:117], v[118:119] neg_lo:[0,0,1] neg_hi:[0,0,1]
	s_delay_alu instid0(VALU_DEP_2)
	v_mov_b32_e32 v113, v121
	scratch_store_b64 off, v[112:113], off offset:104
.LBB117_660:
	s_wait_xcnt 0x0
	s_or_b32 exec_lo, exec_lo, s0
	scratch_load_b64 v[112:113], off, off offset:112
	s_mov_b32 s0, exec_lo
	s_wait_loadcnt 0x0
	ds_store_b64 v1, v[112:113]
	s_wait_storecnt_dscnt 0x0
	s_barrier_signal -1
	s_barrier_wait -1
	s_wait_xcnt 0x0
	v_cmpx_gt_u32_e32 14, v0
	s_cbranch_execz .LBB117_670
; %bb.661:
	v_cmp_ne_u32_e32 vcc_lo, 1, v114
	s_cbranch_vccnz .LBB117_663
; %bb.662:
	scratch_load_b64 v[112:113], v59, off
	ds_load_b64 v[116:117], v1
	s_wait_loadcnt_dscnt 0x0
	v_pk_mul_f32 v[118:119], v[116:117], v[112:113] op_sel:[1,1] op_sel_hi:[0,1]
	s_delay_alu instid0(VALU_DEP_1) | instskip(SKIP_1) | instid1(VALU_DEP_2)
	v_pk_fma_f32 v[120:121], v[116:117], v[112:113], v[118:119] op_sel_hi:[1,0,1]
	v_pk_fma_f32 v[112:113], v[116:117], v[112:113], v[118:119] neg_lo:[0,0,1] neg_hi:[0,0,1]
	v_mov_b32_e32 v113, v121
	s_cbranch_execz .LBB117_664
	s_branch .LBB117_665
.LBB117_663:
                                        ; implicit-def: $vgpr112_vgpr113
.LBB117_664:
	ds_load_b64 v[112:113], v1
.LBB117_665:
	s_mov_b32 s2, exec_lo
	v_cmpx_ne_u32_e32 13, v0
	s_cbranch_execz .LBB117_669
; %bb.666:
	v_add_nc_u32_e32 v115, 0x1b8, v58
	v_add3_u32 v116, 0, v58, 8
	v_mov_b32_e32 v117, v0
	s_mov_b32 s3, 0
.LBB117_667:                            ; =>This Inner Loop Header: Depth=1
	scratch_load_b64 v[118:119], v116, off
	ds_load_b64 v[120:121], v115
	s_wait_xcnt 0x0
	v_dual_add_nc_u32 v115, 8, v115 :: v_dual_add_nc_u32 v116, 8, v116
	s_wait_loadcnt_dscnt 0x0
	v_pk_mul_f32 v[122:123], v[120:121], v[118:119] op_sel:[1,1] op_sel_hi:[0,1]
	s_delay_alu instid0(VALU_DEP_1) | instskip(SKIP_2) | instid1(VALU_DEP_3)
	v_pk_fma_f32 v[124:125], v[120:121], v[118:119], v[122:123] op_sel_hi:[1,0,1]
	v_add_nc_u32_e32 v117, 1, v117
	v_pk_fma_f32 v[118:119], v[120:121], v[118:119], v[122:123] neg_lo:[0,0,1] neg_hi:[0,0,1]
	v_mov_b32_e32 v119, v125
	s_delay_alu instid0(VALU_DEP_3) | instskip(NEXT) | instid1(VALU_DEP_2)
	v_cmp_lt_u32_e32 vcc_lo, 12, v117
	v_pk_add_f32 v[112:113], v[112:113], v[118:119]
	s_or_b32 s3, vcc_lo, s3
	s_delay_alu instid0(SALU_CYCLE_1)
	s_and_not1_b32 exec_lo, exec_lo, s3
	s_cbranch_execnz .LBB117_667
; %bb.668:
	s_or_b32 exec_lo, exec_lo, s3
.LBB117_669:
	s_delay_alu instid0(SALU_CYCLE_1) | instskip(SKIP_4) | instid1(VALU_DEP_1)
	s_or_b32 exec_lo, exec_lo, s2
	v_mov_b32_e32 v115, 0
	ds_load_b64 v[116:117], v115 offset:112
	s_wait_dscnt 0x0
	v_pk_mul_f32 v[118:119], v[112:113], v[116:117] op_sel:[1,1] op_sel_hi:[0,1]
	v_pk_fma_f32 v[120:121], v[112:113], v[116:117], v[118:119] op_sel_hi:[1,0,1]
	v_pk_fma_f32 v[112:113], v[112:113], v[116:117], v[118:119] neg_lo:[0,0,1] neg_hi:[0,0,1]
	s_delay_alu instid0(VALU_DEP_2)
	v_mov_b32_e32 v113, v121
	scratch_store_b64 off, v[112:113], off offset:112
.LBB117_670:
	s_wait_xcnt 0x0
	s_or_b32 exec_lo, exec_lo, s0
	scratch_load_b64 v[112:113], off, off offset:120
	s_mov_b32 s0, exec_lo
	s_wait_loadcnt 0x0
	ds_store_b64 v1, v[112:113]
	s_wait_storecnt_dscnt 0x0
	s_barrier_signal -1
	s_barrier_wait -1
	s_wait_xcnt 0x0
	v_cmpx_gt_u32_e32 15, v0
	s_cbranch_execz .LBB117_680
; %bb.671:
	v_cmp_ne_u32_e32 vcc_lo, 1, v114
	s_cbranch_vccnz .LBB117_673
; %bb.672:
	scratch_load_b64 v[112:113], v59, off
	ds_load_b64 v[116:117], v1
	s_wait_loadcnt_dscnt 0x0
	v_pk_mul_f32 v[118:119], v[116:117], v[112:113] op_sel:[1,1] op_sel_hi:[0,1]
	s_delay_alu instid0(VALU_DEP_1) | instskip(SKIP_1) | instid1(VALU_DEP_2)
	v_pk_fma_f32 v[120:121], v[116:117], v[112:113], v[118:119] op_sel_hi:[1,0,1]
	v_pk_fma_f32 v[112:113], v[116:117], v[112:113], v[118:119] neg_lo:[0,0,1] neg_hi:[0,0,1]
	v_mov_b32_e32 v113, v121
	s_cbranch_execz .LBB117_674
	s_branch .LBB117_675
.LBB117_673:
                                        ; implicit-def: $vgpr112_vgpr113
.LBB117_674:
	ds_load_b64 v[112:113], v1
.LBB117_675:
	s_mov_b32 s2, exec_lo
	v_cmpx_ne_u32_e32 14, v0
	s_cbranch_execz .LBB117_679
; %bb.676:
	v_add_nc_u32_e32 v115, 0x1b8, v58
	v_add3_u32 v116, 0, v58, 8
	v_mov_b32_e32 v117, v0
	s_mov_b32 s3, 0
.LBB117_677:                            ; =>This Inner Loop Header: Depth=1
	scratch_load_b64 v[118:119], v116, off
	ds_load_b64 v[120:121], v115
	s_wait_xcnt 0x0
	v_dual_add_nc_u32 v115, 8, v115 :: v_dual_add_nc_u32 v116, 8, v116
	s_wait_loadcnt_dscnt 0x0
	v_pk_mul_f32 v[122:123], v[120:121], v[118:119] op_sel:[1,1] op_sel_hi:[0,1]
	s_delay_alu instid0(VALU_DEP_1) | instskip(SKIP_2) | instid1(VALU_DEP_3)
	v_pk_fma_f32 v[124:125], v[120:121], v[118:119], v[122:123] op_sel_hi:[1,0,1]
	v_add_nc_u32_e32 v117, 1, v117
	v_pk_fma_f32 v[118:119], v[120:121], v[118:119], v[122:123] neg_lo:[0,0,1] neg_hi:[0,0,1]
	v_mov_b32_e32 v119, v125
	s_delay_alu instid0(VALU_DEP_3) | instskip(NEXT) | instid1(VALU_DEP_2)
	v_cmp_lt_u32_e32 vcc_lo, 13, v117
	v_pk_add_f32 v[112:113], v[112:113], v[118:119]
	s_or_b32 s3, vcc_lo, s3
	s_delay_alu instid0(SALU_CYCLE_1)
	s_and_not1_b32 exec_lo, exec_lo, s3
	s_cbranch_execnz .LBB117_677
; %bb.678:
	s_or_b32 exec_lo, exec_lo, s3
.LBB117_679:
	s_delay_alu instid0(SALU_CYCLE_1) | instskip(SKIP_4) | instid1(VALU_DEP_1)
	s_or_b32 exec_lo, exec_lo, s2
	v_mov_b32_e32 v115, 0
	ds_load_b64 v[116:117], v115 offset:120
	s_wait_dscnt 0x0
	v_pk_mul_f32 v[118:119], v[112:113], v[116:117] op_sel:[1,1] op_sel_hi:[0,1]
	v_pk_fma_f32 v[120:121], v[112:113], v[116:117], v[118:119] op_sel_hi:[1,0,1]
	v_pk_fma_f32 v[112:113], v[112:113], v[116:117], v[118:119] neg_lo:[0,0,1] neg_hi:[0,0,1]
	s_delay_alu instid0(VALU_DEP_2)
	v_mov_b32_e32 v113, v121
	scratch_store_b64 off, v[112:113], off offset:120
.LBB117_680:
	s_wait_xcnt 0x0
	s_or_b32 exec_lo, exec_lo, s0
	scratch_load_b64 v[112:113], off, off offset:128
	s_mov_b32 s0, exec_lo
	s_wait_loadcnt 0x0
	ds_store_b64 v1, v[112:113]
	s_wait_storecnt_dscnt 0x0
	s_barrier_signal -1
	s_barrier_wait -1
	s_wait_xcnt 0x0
	v_cmpx_gt_u32_e32 16, v0
	s_cbranch_execz .LBB117_690
; %bb.681:
	v_cmp_ne_u32_e32 vcc_lo, 1, v114
	s_cbranch_vccnz .LBB117_683
; %bb.682:
	scratch_load_b64 v[112:113], v59, off
	ds_load_b64 v[116:117], v1
	s_wait_loadcnt_dscnt 0x0
	v_pk_mul_f32 v[118:119], v[116:117], v[112:113] op_sel:[1,1] op_sel_hi:[0,1]
	s_delay_alu instid0(VALU_DEP_1) | instskip(SKIP_1) | instid1(VALU_DEP_2)
	v_pk_fma_f32 v[120:121], v[116:117], v[112:113], v[118:119] op_sel_hi:[1,0,1]
	v_pk_fma_f32 v[112:113], v[116:117], v[112:113], v[118:119] neg_lo:[0,0,1] neg_hi:[0,0,1]
	v_mov_b32_e32 v113, v121
	s_cbranch_execz .LBB117_684
	s_branch .LBB117_685
.LBB117_683:
                                        ; implicit-def: $vgpr112_vgpr113
.LBB117_684:
	ds_load_b64 v[112:113], v1
.LBB117_685:
	s_mov_b32 s2, exec_lo
	v_cmpx_ne_u32_e32 15, v0
	s_cbranch_execz .LBB117_689
; %bb.686:
	v_add_nc_u32_e32 v115, 0x1b8, v58
	v_add3_u32 v116, 0, v58, 8
	v_mov_b32_e32 v117, v0
	s_mov_b32 s3, 0
.LBB117_687:                            ; =>This Inner Loop Header: Depth=1
	scratch_load_b64 v[118:119], v116, off
	ds_load_b64 v[120:121], v115
	s_wait_xcnt 0x0
	v_dual_add_nc_u32 v115, 8, v115 :: v_dual_add_nc_u32 v116, 8, v116
	s_wait_loadcnt_dscnt 0x0
	v_pk_mul_f32 v[122:123], v[120:121], v[118:119] op_sel:[1,1] op_sel_hi:[0,1]
	s_delay_alu instid0(VALU_DEP_1) | instskip(SKIP_2) | instid1(VALU_DEP_3)
	v_pk_fma_f32 v[124:125], v[120:121], v[118:119], v[122:123] op_sel_hi:[1,0,1]
	v_add_nc_u32_e32 v117, 1, v117
	v_pk_fma_f32 v[118:119], v[120:121], v[118:119], v[122:123] neg_lo:[0,0,1] neg_hi:[0,0,1]
	v_mov_b32_e32 v119, v125
	s_delay_alu instid0(VALU_DEP_3) | instskip(NEXT) | instid1(VALU_DEP_2)
	v_cmp_lt_u32_e32 vcc_lo, 14, v117
	v_pk_add_f32 v[112:113], v[112:113], v[118:119]
	s_or_b32 s3, vcc_lo, s3
	s_delay_alu instid0(SALU_CYCLE_1)
	s_and_not1_b32 exec_lo, exec_lo, s3
	s_cbranch_execnz .LBB117_687
; %bb.688:
	s_or_b32 exec_lo, exec_lo, s3
.LBB117_689:
	s_delay_alu instid0(SALU_CYCLE_1) | instskip(SKIP_4) | instid1(VALU_DEP_1)
	s_or_b32 exec_lo, exec_lo, s2
	v_mov_b32_e32 v115, 0
	ds_load_b64 v[116:117], v115 offset:128
	s_wait_dscnt 0x0
	v_pk_mul_f32 v[118:119], v[112:113], v[116:117] op_sel:[1,1] op_sel_hi:[0,1]
	v_pk_fma_f32 v[120:121], v[112:113], v[116:117], v[118:119] op_sel_hi:[1,0,1]
	v_pk_fma_f32 v[112:113], v[112:113], v[116:117], v[118:119] neg_lo:[0,0,1] neg_hi:[0,0,1]
	s_delay_alu instid0(VALU_DEP_2)
	v_mov_b32_e32 v113, v121
	scratch_store_b64 off, v[112:113], off offset:128
.LBB117_690:
	s_wait_xcnt 0x0
	s_or_b32 exec_lo, exec_lo, s0
	scratch_load_b64 v[112:113], off, off offset:136
	s_mov_b32 s0, exec_lo
	s_wait_loadcnt 0x0
	ds_store_b64 v1, v[112:113]
	s_wait_storecnt_dscnt 0x0
	s_barrier_signal -1
	s_barrier_wait -1
	s_wait_xcnt 0x0
	v_cmpx_gt_u32_e32 17, v0
	s_cbranch_execz .LBB117_700
; %bb.691:
	v_cmp_ne_u32_e32 vcc_lo, 1, v114
	s_cbranch_vccnz .LBB117_693
; %bb.692:
	scratch_load_b64 v[112:113], v59, off
	ds_load_b64 v[116:117], v1
	s_wait_loadcnt_dscnt 0x0
	v_pk_mul_f32 v[118:119], v[116:117], v[112:113] op_sel:[1,1] op_sel_hi:[0,1]
	s_delay_alu instid0(VALU_DEP_1) | instskip(SKIP_1) | instid1(VALU_DEP_2)
	v_pk_fma_f32 v[120:121], v[116:117], v[112:113], v[118:119] op_sel_hi:[1,0,1]
	v_pk_fma_f32 v[112:113], v[116:117], v[112:113], v[118:119] neg_lo:[0,0,1] neg_hi:[0,0,1]
	v_mov_b32_e32 v113, v121
	s_cbranch_execz .LBB117_694
	s_branch .LBB117_695
.LBB117_693:
                                        ; implicit-def: $vgpr112_vgpr113
.LBB117_694:
	ds_load_b64 v[112:113], v1
.LBB117_695:
	s_mov_b32 s2, exec_lo
	v_cmpx_ne_u32_e32 16, v0
	s_cbranch_execz .LBB117_699
; %bb.696:
	v_add_nc_u32_e32 v115, 0x1b8, v58
	v_add3_u32 v116, 0, v58, 8
	v_mov_b32_e32 v117, v0
	s_mov_b32 s3, 0
.LBB117_697:                            ; =>This Inner Loop Header: Depth=1
	scratch_load_b64 v[118:119], v116, off
	ds_load_b64 v[120:121], v115
	s_wait_xcnt 0x0
	v_dual_add_nc_u32 v115, 8, v115 :: v_dual_add_nc_u32 v116, 8, v116
	s_wait_loadcnt_dscnt 0x0
	v_pk_mul_f32 v[122:123], v[120:121], v[118:119] op_sel:[1,1] op_sel_hi:[0,1]
	s_delay_alu instid0(VALU_DEP_1) | instskip(SKIP_2) | instid1(VALU_DEP_3)
	v_pk_fma_f32 v[124:125], v[120:121], v[118:119], v[122:123] op_sel_hi:[1,0,1]
	v_add_nc_u32_e32 v117, 1, v117
	v_pk_fma_f32 v[118:119], v[120:121], v[118:119], v[122:123] neg_lo:[0,0,1] neg_hi:[0,0,1]
	v_mov_b32_e32 v119, v125
	s_delay_alu instid0(VALU_DEP_3) | instskip(NEXT) | instid1(VALU_DEP_2)
	v_cmp_lt_u32_e32 vcc_lo, 15, v117
	v_pk_add_f32 v[112:113], v[112:113], v[118:119]
	s_or_b32 s3, vcc_lo, s3
	s_delay_alu instid0(SALU_CYCLE_1)
	s_and_not1_b32 exec_lo, exec_lo, s3
	s_cbranch_execnz .LBB117_697
; %bb.698:
	s_or_b32 exec_lo, exec_lo, s3
.LBB117_699:
	s_delay_alu instid0(SALU_CYCLE_1) | instskip(SKIP_4) | instid1(VALU_DEP_1)
	s_or_b32 exec_lo, exec_lo, s2
	v_mov_b32_e32 v115, 0
	ds_load_b64 v[116:117], v115 offset:136
	s_wait_dscnt 0x0
	v_pk_mul_f32 v[118:119], v[112:113], v[116:117] op_sel:[1,1] op_sel_hi:[0,1]
	v_pk_fma_f32 v[120:121], v[112:113], v[116:117], v[118:119] op_sel_hi:[1,0,1]
	v_pk_fma_f32 v[112:113], v[112:113], v[116:117], v[118:119] neg_lo:[0,0,1] neg_hi:[0,0,1]
	s_delay_alu instid0(VALU_DEP_2)
	v_mov_b32_e32 v113, v121
	scratch_store_b64 off, v[112:113], off offset:136
.LBB117_700:
	s_wait_xcnt 0x0
	s_or_b32 exec_lo, exec_lo, s0
	scratch_load_b64 v[112:113], off, off offset:144
	s_mov_b32 s0, exec_lo
	s_wait_loadcnt 0x0
	ds_store_b64 v1, v[112:113]
	s_wait_storecnt_dscnt 0x0
	s_barrier_signal -1
	s_barrier_wait -1
	s_wait_xcnt 0x0
	v_cmpx_gt_u32_e32 18, v0
	s_cbranch_execz .LBB117_710
; %bb.701:
	v_cmp_ne_u32_e32 vcc_lo, 1, v114
	s_cbranch_vccnz .LBB117_703
; %bb.702:
	scratch_load_b64 v[112:113], v59, off
	ds_load_b64 v[116:117], v1
	s_wait_loadcnt_dscnt 0x0
	v_pk_mul_f32 v[118:119], v[116:117], v[112:113] op_sel:[1,1] op_sel_hi:[0,1]
	s_delay_alu instid0(VALU_DEP_1) | instskip(SKIP_1) | instid1(VALU_DEP_2)
	v_pk_fma_f32 v[120:121], v[116:117], v[112:113], v[118:119] op_sel_hi:[1,0,1]
	v_pk_fma_f32 v[112:113], v[116:117], v[112:113], v[118:119] neg_lo:[0,0,1] neg_hi:[0,0,1]
	v_mov_b32_e32 v113, v121
	s_cbranch_execz .LBB117_704
	s_branch .LBB117_705
.LBB117_703:
                                        ; implicit-def: $vgpr112_vgpr113
.LBB117_704:
	ds_load_b64 v[112:113], v1
.LBB117_705:
	s_mov_b32 s2, exec_lo
	v_cmpx_ne_u32_e32 17, v0
	s_cbranch_execz .LBB117_709
; %bb.706:
	v_add_nc_u32_e32 v115, 0x1b8, v58
	v_add3_u32 v116, 0, v58, 8
	v_mov_b32_e32 v117, v0
	s_mov_b32 s3, 0
.LBB117_707:                            ; =>This Inner Loop Header: Depth=1
	scratch_load_b64 v[118:119], v116, off
	ds_load_b64 v[120:121], v115
	s_wait_xcnt 0x0
	v_dual_add_nc_u32 v115, 8, v115 :: v_dual_add_nc_u32 v116, 8, v116
	s_wait_loadcnt_dscnt 0x0
	v_pk_mul_f32 v[122:123], v[120:121], v[118:119] op_sel:[1,1] op_sel_hi:[0,1]
	s_delay_alu instid0(VALU_DEP_1) | instskip(SKIP_2) | instid1(VALU_DEP_3)
	v_pk_fma_f32 v[124:125], v[120:121], v[118:119], v[122:123] op_sel_hi:[1,0,1]
	v_add_nc_u32_e32 v117, 1, v117
	v_pk_fma_f32 v[118:119], v[120:121], v[118:119], v[122:123] neg_lo:[0,0,1] neg_hi:[0,0,1]
	v_mov_b32_e32 v119, v125
	s_delay_alu instid0(VALU_DEP_3) | instskip(NEXT) | instid1(VALU_DEP_2)
	v_cmp_lt_u32_e32 vcc_lo, 16, v117
	v_pk_add_f32 v[112:113], v[112:113], v[118:119]
	s_or_b32 s3, vcc_lo, s3
	s_delay_alu instid0(SALU_CYCLE_1)
	s_and_not1_b32 exec_lo, exec_lo, s3
	s_cbranch_execnz .LBB117_707
; %bb.708:
	s_or_b32 exec_lo, exec_lo, s3
.LBB117_709:
	s_delay_alu instid0(SALU_CYCLE_1) | instskip(SKIP_4) | instid1(VALU_DEP_1)
	s_or_b32 exec_lo, exec_lo, s2
	v_mov_b32_e32 v115, 0
	ds_load_b64 v[116:117], v115 offset:144
	s_wait_dscnt 0x0
	v_pk_mul_f32 v[118:119], v[112:113], v[116:117] op_sel:[1,1] op_sel_hi:[0,1]
	v_pk_fma_f32 v[120:121], v[112:113], v[116:117], v[118:119] op_sel_hi:[1,0,1]
	v_pk_fma_f32 v[112:113], v[112:113], v[116:117], v[118:119] neg_lo:[0,0,1] neg_hi:[0,0,1]
	s_delay_alu instid0(VALU_DEP_2)
	v_mov_b32_e32 v113, v121
	scratch_store_b64 off, v[112:113], off offset:144
.LBB117_710:
	s_wait_xcnt 0x0
	s_or_b32 exec_lo, exec_lo, s0
	scratch_load_b64 v[112:113], off, off offset:152
	s_mov_b32 s0, exec_lo
	s_wait_loadcnt 0x0
	ds_store_b64 v1, v[112:113]
	s_wait_storecnt_dscnt 0x0
	s_barrier_signal -1
	s_barrier_wait -1
	s_wait_xcnt 0x0
	v_cmpx_gt_u32_e32 19, v0
	s_cbranch_execz .LBB117_720
; %bb.711:
	v_cmp_ne_u32_e32 vcc_lo, 1, v114
	s_cbranch_vccnz .LBB117_713
; %bb.712:
	scratch_load_b64 v[112:113], v59, off
	ds_load_b64 v[116:117], v1
	s_wait_loadcnt_dscnt 0x0
	v_pk_mul_f32 v[118:119], v[116:117], v[112:113] op_sel:[1,1] op_sel_hi:[0,1]
	s_delay_alu instid0(VALU_DEP_1) | instskip(SKIP_1) | instid1(VALU_DEP_2)
	v_pk_fma_f32 v[120:121], v[116:117], v[112:113], v[118:119] op_sel_hi:[1,0,1]
	v_pk_fma_f32 v[112:113], v[116:117], v[112:113], v[118:119] neg_lo:[0,0,1] neg_hi:[0,0,1]
	v_mov_b32_e32 v113, v121
	s_cbranch_execz .LBB117_714
	s_branch .LBB117_715
.LBB117_713:
                                        ; implicit-def: $vgpr112_vgpr113
.LBB117_714:
	ds_load_b64 v[112:113], v1
.LBB117_715:
	s_mov_b32 s2, exec_lo
	v_cmpx_ne_u32_e32 18, v0
	s_cbranch_execz .LBB117_719
; %bb.716:
	v_add_nc_u32_e32 v115, 0x1b8, v58
	v_add3_u32 v116, 0, v58, 8
	v_mov_b32_e32 v117, v0
	s_mov_b32 s3, 0
.LBB117_717:                            ; =>This Inner Loop Header: Depth=1
	scratch_load_b64 v[118:119], v116, off
	ds_load_b64 v[120:121], v115
	s_wait_xcnt 0x0
	v_dual_add_nc_u32 v115, 8, v115 :: v_dual_add_nc_u32 v116, 8, v116
	s_wait_loadcnt_dscnt 0x0
	v_pk_mul_f32 v[122:123], v[120:121], v[118:119] op_sel:[1,1] op_sel_hi:[0,1]
	s_delay_alu instid0(VALU_DEP_1) | instskip(SKIP_2) | instid1(VALU_DEP_3)
	v_pk_fma_f32 v[124:125], v[120:121], v[118:119], v[122:123] op_sel_hi:[1,0,1]
	v_add_nc_u32_e32 v117, 1, v117
	v_pk_fma_f32 v[118:119], v[120:121], v[118:119], v[122:123] neg_lo:[0,0,1] neg_hi:[0,0,1]
	v_mov_b32_e32 v119, v125
	s_delay_alu instid0(VALU_DEP_3) | instskip(NEXT) | instid1(VALU_DEP_2)
	v_cmp_lt_u32_e32 vcc_lo, 17, v117
	v_pk_add_f32 v[112:113], v[112:113], v[118:119]
	s_or_b32 s3, vcc_lo, s3
	s_delay_alu instid0(SALU_CYCLE_1)
	s_and_not1_b32 exec_lo, exec_lo, s3
	s_cbranch_execnz .LBB117_717
; %bb.718:
	s_or_b32 exec_lo, exec_lo, s3
.LBB117_719:
	s_delay_alu instid0(SALU_CYCLE_1) | instskip(SKIP_4) | instid1(VALU_DEP_1)
	s_or_b32 exec_lo, exec_lo, s2
	v_mov_b32_e32 v115, 0
	ds_load_b64 v[116:117], v115 offset:152
	s_wait_dscnt 0x0
	v_pk_mul_f32 v[118:119], v[112:113], v[116:117] op_sel:[1,1] op_sel_hi:[0,1]
	v_pk_fma_f32 v[120:121], v[112:113], v[116:117], v[118:119] op_sel_hi:[1,0,1]
	v_pk_fma_f32 v[112:113], v[112:113], v[116:117], v[118:119] neg_lo:[0,0,1] neg_hi:[0,0,1]
	s_delay_alu instid0(VALU_DEP_2)
	v_mov_b32_e32 v113, v121
	scratch_store_b64 off, v[112:113], off offset:152
.LBB117_720:
	s_wait_xcnt 0x0
	s_or_b32 exec_lo, exec_lo, s0
	scratch_load_b64 v[112:113], off, off offset:160
	s_mov_b32 s0, exec_lo
	s_wait_loadcnt 0x0
	ds_store_b64 v1, v[112:113]
	s_wait_storecnt_dscnt 0x0
	s_barrier_signal -1
	s_barrier_wait -1
	s_wait_xcnt 0x0
	v_cmpx_gt_u32_e32 20, v0
	s_cbranch_execz .LBB117_730
; %bb.721:
	v_cmp_ne_u32_e32 vcc_lo, 1, v114
	s_cbranch_vccnz .LBB117_723
; %bb.722:
	scratch_load_b64 v[112:113], v59, off
	ds_load_b64 v[116:117], v1
	s_wait_loadcnt_dscnt 0x0
	v_pk_mul_f32 v[118:119], v[116:117], v[112:113] op_sel:[1,1] op_sel_hi:[0,1]
	s_delay_alu instid0(VALU_DEP_1) | instskip(SKIP_1) | instid1(VALU_DEP_2)
	v_pk_fma_f32 v[120:121], v[116:117], v[112:113], v[118:119] op_sel_hi:[1,0,1]
	v_pk_fma_f32 v[112:113], v[116:117], v[112:113], v[118:119] neg_lo:[0,0,1] neg_hi:[0,0,1]
	v_mov_b32_e32 v113, v121
	s_cbranch_execz .LBB117_724
	s_branch .LBB117_725
.LBB117_723:
                                        ; implicit-def: $vgpr112_vgpr113
.LBB117_724:
	ds_load_b64 v[112:113], v1
.LBB117_725:
	s_mov_b32 s2, exec_lo
	v_cmpx_ne_u32_e32 19, v0
	s_cbranch_execz .LBB117_729
; %bb.726:
	v_add_nc_u32_e32 v115, 0x1b8, v58
	v_add3_u32 v116, 0, v58, 8
	v_mov_b32_e32 v117, v0
	s_mov_b32 s3, 0
.LBB117_727:                            ; =>This Inner Loop Header: Depth=1
	scratch_load_b64 v[118:119], v116, off
	ds_load_b64 v[120:121], v115
	s_wait_xcnt 0x0
	v_dual_add_nc_u32 v115, 8, v115 :: v_dual_add_nc_u32 v116, 8, v116
	s_wait_loadcnt_dscnt 0x0
	v_pk_mul_f32 v[122:123], v[120:121], v[118:119] op_sel:[1,1] op_sel_hi:[0,1]
	s_delay_alu instid0(VALU_DEP_1) | instskip(SKIP_2) | instid1(VALU_DEP_3)
	v_pk_fma_f32 v[124:125], v[120:121], v[118:119], v[122:123] op_sel_hi:[1,0,1]
	v_add_nc_u32_e32 v117, 1, v117
	v_pk_fma_f32 v[118:119], v[120:121], v[118:119], v[122:123] neg_lo:[0,0,1] neg_hi:[0,0,1]
	v_mov_b32_e32 v119, v125
	s_delay_alu instid0(VALU_DEP_3) | instskip(NEXT) | instid1(VALU_DEP_2)
	v_cmp_lt_u32_e32 vcc_lo, 18, v117
	v_pk_add_f32 v[112:113], v[112:113], v[118:119]
	s_or_b32 s3, vcc_lo, s3
	s_delay_alu instid0(SALU_CYCLE_1)
	s_and_not1_b32 exec_lo, exec_lo, s3
	s_cbranch_execnz .LBB117_727
; %bb.728:
	s_or_b32 exec_lo, exec_lo, s3
.LBB117_729:
	s_delay_alu instid0(SALU_CYCLE_1) | instskip(SKIP_4) | instid1(VALU_DEP_1)
	s_or_b32 exec_lo, exec_lo, s2
	v_mov_b32_e32 v115, 0
	ds_load_b64 v[116:117], v115 offset:160
	s_wait_dscnt 0x0
	v_pk_mul_f32 v[118:119], v[112:113], v[116:117] op_sel:[1,1] op_sel_hi:[0,1]
	v_pk_fma_f32 v[120:121], v[112:113], v[116:117], v[118:119] op_sel_hi:[1,0,1]
	v_pk_fma_f32 v[112:113], v[112:113], v[116:117], v[118:119] neg_lo:[0,0,1] neg_hi:[0,0,1]
	s_delay_alu instid0(VALU_DEP_2)
	v_mov_b32_e32 v113, v121
	scratch_store_b64 off, v[112:113], off offset:160
.LBB117_730:
	s_wait_xcnt 0x0
	s_or_b32 exec_lo, exec_lo, s0
	scratch_load_b64 v[112:113], off, off offset:168
	s_mov_b32 s0, exec_lo
	s_wait_loadcnt 0x0
	ds_store_b64 v1, v[112:113]
	s_wait_storecnt_dscnt 0x0
	s_barrier_signal -1
	s_barrier_wait -1
	s_wait_xcnt 0x0
	v_cmpx_gt_u32_e32 21, v0
	s_cbranch_execz .LBB117_740
; %bb.731:
	v_cmp_ne_u32_e32 vcc_lo, 1, v114
	s_cbranch_vccnz .LBB117_733
; %bb.732:
	scratch_load_b64 v[112:113], v59, off
	ds_load_b64 v[116:117], v1
	s_wait_loadcnt_dscnt 0x0
	v_pk_mul_f32 v[118:119], v[116:117], v[112:113] op_sel:[1,1] op_sel_hi:[0,1]
	s_delay_alu instid0(VALU_DEP_1) | instskip(SKIP_1) | instid1(VALU_DEP_2)
	v_pk_fma_f32 v[120:121], v[116:117], v[112:113], v[118:119] op_sel_hi:[1,0,1]
	v_pk_fma_f32 v[112:113], v[116:117], v[112:113], v[118:119] neg_lo:[0,0,1] neg_hi:[0,0,1]
	v_mov_b32_e32 v113, v121
	s_cbranch_execz .LBB117_734
	s_branch .LBB117_735
.LBB117_733:
                                        ; implicit-def: $vgpr112_vgpr113
.LBB117_734:
	ds_load_b64 v[112:113], v1
.LBB117_735:
	s_mov_b32 s2, exec_lo
	v_cmpx_ne_u32_e32 20, v0
	s_cbranch_execz .LBB117_739
; %bb.736:
	v_add_nc_u32_e32 v115, 0x1b8, v58
	v_add3_u32 v116, 0, v58, 8
	v_mov_b32_e32 v117, v0
	s_mov_b32 s3, 0
.LBB117_737:                            ; =>This Inner Loop Header: Depth=1
	scratch_load_b64 v[118:119], v116, off
	ds_load_b64 v[120:121], v115
	s_wait_xcnt 0x0
	v_dual_add_nc_u32 v115, 8, v115 :: v_dual_add_nc_u32 v116, 8, v116
	s_wait_loadcnt_dscnt 0x0
	v_pk_mul_f32 v[122:123], v[120:121], v[118:119] op_sel:[1,1] op_sel_hi:[0,1]
	s_delay_alu instid0(VALU_DEP_1) | instskip(SKIP_2) | instid1(VALU_DEP_3)
	v_pk_fma_f32 v[124:125], v[120:121], v[118:119], v[122:123] op_sel_hi:[1,0,1]
	v_add_nc_u32_e32 v117, 1, v117
	v_pk_fma_f32 v[118:119], v[120:121], v[118:119], v[122:123] neg_lo:[0,0,1] neg_hi:[0,0,1]
	v_mov_b32_e32 v119, v125
	s_delay_alu instid0(VALU_DEP_3) | instskip(NEXT) | instid1(VALU_DEP_2)
	v_cmp_lt_u32_e32 vcc_lo, 19, v117
	v_pk_add_f32 v[112:113], v[112:113], v[118:119]
	s_or_b32 s3, vcc_lo, s3
	s_delay_alu instid0(SALU_CYCLE_1)
	s_and_not1_b32 exec_lo, exec_lo, s3
	s_cbranch_execnz .LBB117_737
; %bb.738:
	s_or_b32 exec_lo, exec_lo, s3
.LBB117_739:
	s_delay_alu instid0(SALU_CYCLE_1) | instskip(SKIP_4) | instid1(VALU_DEP_1)
	s_or_b32 exec_lo, exec_lo, s2
	v_mov_b32_e32 v115, 0
	ds_load_b64 v[116:117], v115 offset:168
	s_wait_dscnt 0x0
	v_pk_mul_f32 v[118:119], v[112:113], v[116:117] op_sel:[1,1] op_sel_hi:[0,1]
	v_pk_fma_f32 v[120:121], v[112:113], v[116:117], v[118:119] op_sel_hi:[1,0,1]
	v_pk_fma_f32 v[112:113], v[112:113], v[116:117], v[118:119] neg_lo:[0,0,1] neg_hi:[0,0,1]
	s_delay_alu instid0(VALU_DEP_2)
	v_mov_b32_e32 v113, v121
	scratch_store_b64 off, v[112:113], off offset:168
.LBB117_740:
	s_wait_xcnt 0x0
	s_or_b32 exec_lo, exec_lo, s0
	scratch_load_b64 v[112:113], off, off offset:176
	s_mov_b32 s0, exec_lo
	s_wait_loadcnt 0x0
	ds_store_b64 v1, v[112:113]
	s_wait_storecnt_dscnt 0x0
	s_barrier_signal -1
	s_barrier_wait -1
	s_wait_xcnt 0x0
	v_cmpx_gt_u32_e32 22, v0
	s_cbranch_execz .LBB117_750
; %bb.741:
	v_cmp_ne_u32_e32 vcc_lo, 1, v114
	s_cbranch_vccnz .LBB117_743
; %bb.742:
	scratch_load_b64 v[112:113], v59, off
	ds_load_b64 v[116:117], v1
	s_wait_loadcnt_dscnt 0x0
	v_pk_mul_f32 v[118:119], v[116:117], v[112:113] op_sel:[1,1] op_sel_hi:[0,1]
	s_delay_alu instid0(VALU_DEP_1) | instskip(SKIP_1) | instid1(VALU_DEP_2)
	v_pk_fma_f32 v[120:121], v[116:117], v[112:113], v[118:119] op_sel_hi:[1,0,1]
	v_pk_fma_f32 v[112:113], v[116:117], v[112:113], v[118:119] neg_lo:[0,0,1] neg_hi:[0,0,1]
	v_mov_b32_e32 v113, v121
	s_cbranch_execz .LBB117_744
	s_branch .LBB117_745
.LBB117_743:
                                        ; implicit-def: $vgpr112_vgpr113
.LBB117_744:
	ds_load_b64 v[112:113], v1
.LBB117_745:
	s_mov_b32 s2, exec_lo
	v_cmpx_ne_u32_e32 21, v0
	s_cbranch_execz .LBB117_749
; %bb.746:
	v_add_nc_u32_e32 v115, 0x1b8, v58
	v_add3_u32 v116, 0, v58, 8
	v_mov_b32_e32 v117, v0
	s_mov_b32 s3, 0
.LBB117_747:                            ; =>This Inner Loop Header: Depth=1
	scratch_load_b64 v[118:119], v116, off
	ds_load_b64 v[120:121], v115
	s_wait_xcnt 0x0
	v_dual_add_nc_u32 v115, 8, v115 :: v_dual_add_nc_u32 v116, 8, v116
	s_wait_loadcnt_dscnt 0x0
	v_pk_mul_f32 v[122:123], v[120:121], v[118:119] op_sel:[1,1] op_sel_hi:[0,1]
	s_delay_alu instid0(VALU_DEP_1) | instskip(SKIP_2) | instid1(VALU_DEP_3)
	v_pk_fma_f32 v[124:125], v[120:121], v[118:119], v[122:123] op_sel_hi:[1,0,1]
	v_add_nc_u32_e32 v117, 1, v117
	v_pk_fma_f32 v[118:119], v[120:121], v[118:119], v[122:123] neg_lo:[0,0,1] neg_hi:[0,0,1]
	v_mov_b32_e32 v119, v125
	s_delay_alu instid0(VALU_DEP_3) | instskip(NEXT) | instid1(VALU_DEP_2)
	v_cmp_lt_u32_e32 vcc_lo, 20, v117
	v_pk_add_f32 v[112:113], v[112:113], v[118:119]
	s_or_b32 s3, vcc_lo, s3
	s_delay_alu instid0(SALU_CYCLE_1)
	s_and_not1_b32 exec_lo, exec_lo, s3
	s_cbranch_execnz .LBB117_747
; %bb.748:
	s_or_b32 exec_lo, exec_lo, s3
.LBB117_749:
	s_delay_alu instid0(SALU_CYCLE_1) | instskip(SKIP_4) | instid1(VALU_DEP_1)
	s_or_b32 exec_lo, exec_lo, s2
	v_mov_b32_e32 v115, 0
	ds_load_b64 v[116:117], v115 offset:176
	s_wait_dscnt 0x0
	v_pk_mul_f32 v[118:119], v[112:113], v[116:117] op_sel:[1,1] op_sel_hi:[0,1]
	v_pk_fma_f32 v[120:121], v[112:113], v[116:117], v[118:119] op_sel_hi:[1,0,1]
	v_pk_fma_f32 v[112:113], v[112:113], v[116:117], v[118:119] neg_lo:[0,0,1] neg_hi:[0,0,1]
	s_delay_alu instid0(VALU_DEP_2)
	v_mov_b32_e32 v113, v121
	scratch_store_b64 off, v[112:113], off offset:176
.LBB117_750:
	s_wait_xcnt 0x0
	s_or_b32 exec_lo, exec_lo, s0
	scratch_load_b64 v[112:113], off, off offset:184
	s_mov_b32 s0, exec_lo
	s_wait_loadcnt 0x0
	ds_store_b64 v1, v[112:113]
	s_wait_storecnt_dscnt 0x0
	s_barrier_signal -1
	s_barrier_wait -1
	s_wait_xcnt 0x0
	v_cmpx_gt_u32_e32 23, v0
	s_cbranch_execz .LBB117_760
; %bb.751:
	v_cmp_ne_u32_e32 vcc_lo, 1, v114
	s_cbranch_vccnz .LBB117_753
; %bb.752:
	scratch_load_b64 v[112:113], v59, off
	ds_load_b64 v[116:117], v1
	s_wait_loadcnt_dscnt 0x0
	v_pk_mul_f32 v[118:119], v[116:117], v[112:113] op_sel:[1,1] op_sel_hi:[0,1]
	s_delay_alu instid0(VALU_DEP_1) | instskip(SKIP_1) | instid1(VALU_DEP_2)
	v_pk_fma_f32 v[120:121], v[116:117], v[112:113], v[118:119] op_sel_hi:[1,0,1]
	v_pk_fma_f32 v[112:113], v[116:117], v[112:113], v[118:119] neg_lo:[0,0,1] neg_hi:[0,0,1]
	v_mov_b32_e32 v113, v121
	s_cbranch_execz .LBB117_754
	s_branch .LBB117_755
.LBB117_753:
                                        ; implicit-def: $vgpr112_vgpr113
.LBB117_754:
	ds_load_b64 v[112:113], v1
.LBB117_755:
	s_mov_b32 s2, exec_lo
	v_cmpx_ne_u32_e32 22, v0
	s_cbranch_execz .LBB117_759
; %bb.756:
	v_add_nc_u32_e32 v115, 0x1b8, v58
	v_add3_u32 v116, 0, v58, 8
	v_mov_b32_e32 v117, v0
	s_mov_b32 s3, 0
.LBB117_757:                            ; =>This Inner Loop Header: Depth=1
	scratch_load_b64 v[118:119], v116, off
	ds_load_b64 v[120:121], v115
	s_wait_xcnt 0x0
	v_dual_add_nc_u32 v115, 8, v115 :: v_dual_add_nc_u32 v116, 8, v116
	s_wait_loadcnt_dscnt 0x0
	v_pk_mul_f32 v[122:123], v[120:121], v[118:119] op_sel:[1,1] op_sel_hi:[0,1]
	s_delay_alu instid0(VALU_DEP_1) | instskip(SKIP_2) | instid1(VALU_DEP_3)
	v_pk_fma_f32 v[124:125], v[120:121], v[118:119], v[122:123] op_sel_hi:[1,0,1]
	v_add_nc_u32_e32 v117, 1, v117
	v_pk_fma_f32 v[118:119], v[120:121], v[118:119], v[122:123] neg_lo:[0,0,1] neg_hi:[0,0,1]
	v_mov_b32_e32 v119, v125
	s_delay_alu instid0(VALU_DEP_3) | instskip(NEXT) | instid1(VALU_DEP_2)
	v_cmp_lt_u32_e32 vcc_lo, 21, v117
	v_pk_add_f32 v[112:113], v[112:113], v[118:119]
	s_or_b32 s3, vcc_lo, s3
	s_delay_alu instid0(SALU_CYCLE_1)
	s_and_not1_b32 exec_lo, exec_lo, s3
	s_cbranch_execnz .LBB117_757
; %bb.758:
	s_or_b32 exec_lo, exec_lo, s3
.LBB117_759:
	s_delay_alu instid0(SALU_CYCLE_1) | instskip(SKIP_4) | instid1(VALU_DEP_1)
	s_or_b32 exec_lo, exec_lo, s2
	v_mov_b32_e32 v115, 0
	ds_load_b64 v[116:117], v115 offset:184
	s_wait_dscnt 0x0
	v_pk_mul_f32 v[118:119], v[112:113], v[116:117] op_sel:[1,1] op_sel_hi:[0,1]
	v_pk_fma_f32 v[120:121], v[112:113], v[116:117], v[118:119] op_sel_hi:[1,0,1]
	v_pk_fma_f32 v[112:113], v[112:113], v[116:117], v[118:119] neg_lo:[0,0,1] neg_hi:[0,0,1]
	s_delay_alu instid0(VALU_DEP_2)
	v_mov_b32_e32 v113, v121
	scratch_store_b64 off, v[112:113], off offset:184
.LBB117_760:
	s_wait_xcnt 0x0
	s_or_b32 exec_lo, exec_lo, s0
	scratch_load_b64 v[112:113], off, off offset:192
	s_mov_b32 s0, exec_lo
	s_wait_loadcnt 0x0
	ds_store_b64 v1, v[112:113]
	s_wait_storecnt_dscnt 0x0
	s_barrier_signal -1
	s_barrier_wait -1
	s_wait_xcnt 0x0
	v_cmpx_gt_u32_e32 24, v0
	s_cbranch_execz .LBB117_770
; %bb.761:
	v_cmp_ne_u32_e32 vcc_lo, 1, v114
	s_cbranch_vccnz .LBB117_763
; %bb.762:
	scratch_load_b64 v[112:113], v59, off
	ds_load_b64 v[116:117], v1
	s_wait_loadcnt_dscnt 0x0
	v_pk_mul_f32 v[118:119], v[116:117], v[112:113] op_sel:[1,1] op_sel_hi:[0,1]
	s_delay_alu instid0(VALU_DEP_1) | instskip(SKIP_1) | instid1(VALU_DEP_2)
	v_pk_fma_f32 v[120:121], v[116:117], v[112:113], v[118:119] op_sel_hi:[1,0,1]
	v_pk_fma_f32 v[112:113], v[116:117], v[112:113], v[118:119] neg_lo:[0,0,1] neg_hi:[0,0,1]
	v_mov_b32_e32 v113, v121
	s_cbranch_execz .LBB117_764
	s_branch .LBB117_765
.LBB117_763:
                                        ; implicit-def: $vgpr112_vgpr113
.LBB117_764:
	ds_load_b64 v[112:113], v1
.LBB117_765:
	s_mov_b32 s2, exec_lo
	v_cmpx_ne_u32_e32 23, v0
	s_cbranch_execz .LBB117_769
; %bb.766:
	v_add_nc_u32_e32 v115, 0x1b8, v58
	v_add3_u32 v116, 0, v58, 8
	v_mov_b32_e32 v117, v0
	s_mov_b32 s3, 0
.LBB117_767:                            ; =>This Inner Loop Header: Depth=1
	scratch_load_b64 v[118:119], v116, off
	ds_load_b64 v[120:121], v115
	s_wait_xcnt 0x0
	v_dual_add_nc_u32 v115, 8, v115 :: v_dual_add_nc_u32 v116, 8, v116
	s_wait_loadcnt_dscnt 0x0
	v_pk_mul_f32 v[122:123], v[120:121], v[118:119] op_sel:[1,1] op_sel_hi:[0,1]
	s_delay_alu instid0(VALU_DEP_1) | instskip(SKIP_2) | instid1(VALU_DEP_3)
	v_pk_fma_f32 v[124:125], v[120:121], v[118:119], v[122:123] op_sel_hi:[1,0,1]
	v_add_nc_u32_e32 v117, 1, v117
	v_pk_fma_f32 v[118:119], v[120:121], v[118:119], v[122:123] neg_lo:[0,0,1] neg_hi:[0,0,1]
	v_mov_b32_e32 v119, v125
	s_delay_alu instid0(VALU_DEP_3) | instskip(NEXT) | instid1(VALU_DEP_2)
	v_cmp_lt_u32_e32 vcc_lo, 22, v117
	v_pk_add_f32 v[112:113], v[112:113], v[118:119]
	s_or_b32 s3, vcc_lo, s3
	s_delay_alu instid0(SALU_CYCLE_1)
	s_and_not1_b32 exec_lo, exec_lo, s3
	s_cbranch_execnz .LBB117_767
; %bb.768:
	s_or_b32 exec_lo, exec_lo, s3
.LBB117_769:
	s_delay_alu instid0(SALU_CYCLE_1) | instskip(SKIP_4) | instid1(VALU_DEP_1)
	s_or_b32 exec_lo, exec_lo, s2
	v_mov_b32_e32 v115, 0
	ds_load_b64 v[116:117], v115 offset:192
	s_wait_dscnt 0x0
	v_pk_mul_f32 v[118:119], v[112:113], v[116:117] op_sel:[1,1] op_sel_hi:[0,1]
	v_pk_fma_f32 v[120:121], v[112:113], v[116:117], v[118:119] op_sel_hi:[1,0,1]
	v_pk_fma_f32 v[112:113], v[112:113], v[116:117], v[118:119] neg_lo:[0,0,1] neg_hi:[0,0,1]
	s_delay_alu instid0(VALU_DEP_2)
	v_mov_b32_e32 v113, v121
	scratch_store_b64 off, v[112:113], off offset:192
.LBB117_770:
	s_wait_xcnt 0x0
	s_or_b32 exec_lo, exec_lo, s0
	scratch_load_b64 v[112:113], off, off offset:200
	s_mov_b32 s0, exec_lo
	s_wait_loadcnt 0x0
	ds_store_b64 v1, v[112:113]
	s_wait_storecnt_dscnt 0x0
	s_barrier_signal -1
	s_barrier_wait -1
	s_wait_xcnt 0x0
	v_cmpx_gt_u32_e32 25, v0
	s_cbranch_execz .LBB117_780
; %bb.771:
	v_cmp_ne_u32_e32 vcc_lo, 1, v114
	s_cbranch_vccnz .LBB117_773
; %bb.772:
	scratch_load_b64 v[112:113], v59, off
	ds_load_b64 v[116:117], v1
	s_wait_loadcnt_dscnt 0x0
	v_pk_mul_f32 v[118:119], v[116:117], v[112:113] op_sel:[1,1] op_sel_hi:[0,1]
	s_delay_alu instid0(VALU_DEP_1) | instskip(SKIP_1) | instid1(VALU_DEP_2)
	v_pk_fma_f32 v[120:121], v[116:117], v[112:113], v[118:119] op_sel_hi:[1,0,1]
	v_pk_fma_f32 v[112:113], v[116:117], v[112:113], v[118:119] neg_lo:[0,0,1] neg_hi:[0,0,1]
	v_mov_b32_e32 v113, v121
	s_cbranch_execz .LBB117_774
	s_branch .LBB117_775
.LBB117_773:
                                        ; implicit-def: $vgpr112_vgpr113
.LBB117_774:
	ds_load_b64 v[112:113], v1
.LBB117_775:
	s_mov_b32 s2, exec_lo
	v_cmpx_ne_u32_e32 24, v0
	s_cbranch_execz .LBB117_779
; %bb.776:
	v_add_nc_u32_e32 v115, 0x1b8, v58
	v_add3_u32 v116, 0, v58, 8
	v_mov_b32_e32 v117, v0
	s_mov_b32 s3, 0
.LBB117_777:                            ; =>This Inner Loop Header: Depth=1
	scratch_load_b64 v[118:119], v116, off
	ds_load_b64 v[120:121], v115
	s_wait_xcnt 0x0
	v_dual_add_nc_u32 v115, 8, v115 :: v_dual_add_nc_u32 v116, 8, v116
	s_wait_loadcnt_dscnt 0x0
	v_pk_mul_f32 v[122:123], v[120:121], v[118:119] op_sel:[1,1] op_sel_hi:[0,1]
	s_delay_alu instid0(VALU_DEP_1) | instskip(SKIP_2) | instid1(VALU_DEP_3)
	v_pk_fma_f32 v[124:125], v[120:121], v[118:119], v[122:123] op_sel_hi:[1,0,1]
	v_add_nc_u32_e32 v117, 1, v117
	v_pk_fma_f32 v[118:119], v[120:121], v[118:119], v[122:123] neg_lo:[0,0,1] neg_hi:[0,0,1]
	v_mov_b32_e32 v119, v125
	s_delay_alu instid0(VALU_DEP_3) | instskip(NEXT) | instid1(VALU_DEP_2)
	v_cmp_lt_u32_e32 vcc_lo, 23, v117
	v_pk_add_f32 v[112:113], v[112:113], v[118:119]
	s_or_b32 s3, vcc_lo, s3
	s_delay_alu instid0(SALU_CYCLE_1)
	s_and_not1_b32 exec_lo, exec_lo, s3
	s_cbranch_execnz .LBB117_777
; %bb.778:
	s_or_b32 exec_lo, exec_lo, s3
.LBB117_779:
	s_delay_alu instid0(SALU_CYCLE_1) | instskip(SKIP_4) | instid1(VALU_DEP_1)
	s_or_b32 exec_lo, exec_lo, s2
	v_mov_b32_e32 v115, 0
	ds_load_b64 v[116:117], v115 offset:200
	s_wait_dscnt 0x0
	v_pk_mul_f32 v[118:119], v[112:113], v[116:117] op_sel:[1,1] op_sel_hi:[0,1]
	v_pk_fma_f32 v[120:121], v[112:113], v[116:117], v[118:119] op_sel_hi:[1,0,1]
	v_pk_fma_f32 v[112:113], v[112:113], v[116:117], v[118:119] neg_lo:[0,0,1] neg_hi:[0,0,1]
	s_delay_alu instid0(VALU_DEP_2)
	v_mov_b32_e32 v113, v121
	scratch_store_b64 off, v[112:113], off offset:200
.LBB117_780:
	s_wait_xcnt 0x0
	s_or_b32 exec_lo, exec_lo, s0
	scratch_load_b64 v[112:113], off, off offset:208
	s_mov_b32 s0, exec_lo
	s_wait_loadcnt 0x0
	ds_store_b64 v1, v[112:113]
	s_wait_storecnt_dscnt 0x0
	s_barrier_signal -1
	s_barrier_wait -1
	s_wait_xcnt 0x0
	v_cmpx_gt_u32_e32 26, v0
	s_cbranch_execz .LBB117_790
; %bb.781:
	v_cmp_ne_u32_e32 vcc_lo, 1, v114
	s_cbranch_vccnz .LBB117_783
; %bb.782:
	scratch_load_b64 v[112:113], v59, off
	ds_load_b64 v[116:117], v1
	s_wait_loadcnt_dscnt 0x0
	v_pk_mul_f32 v[118:119], v[116:117], v[112:113] op_sel:[1,1] op_sel_hi:[0,1]
	s_delay_alu instid0(VALU_DEP_1) | instskip(SKIP_1) | instid1(VALU_DEP_2)
	v_pk_fma_f32 v[120:121], v[116:117], v[112:113], v[118:119] op_sel_hi:[1,0,1]
	v_pk_fma_f32 v[112:113], v[116:117], v[112:113], v[118:119] neg_lo:[0,0,1] neg_hi:[0,0,1]
	v_mov_b32_e32 v113, v121
	s_cbranch_execz .LBB117_784
	s_branch .LBB117_785
.LBB117_783:
                                        ; implicit-def: $vgpr112_vgpr113
.LBB117_784:
	ds_load_b64 v[112:113], v1
.LBB117_785:
	s_mov_b32 s2, exec_lo
	v_cmpx_ne_u32_e32 25, v0
	s_cbranch_execz .LBB117_789
; %bb.786:
	v_add_nc_u32_e32 v115, 0x1b8, v58
	v_add3_u32 v116, 0, v58, 8
	v_mov_b32_e32 v117, v0
	s_mov_b32 s3, 0
.LBB117_787:                            ; =>This Inner Loop Header: Depth=1
	scratch_load_b64 v[118:119], v116, off
	ds_load_b64 v[120:121], v115
	s_wait_xcnt 0x0
	v_dual_add_nc_u32 v115, 8, v115 :: v_dual_add_nc_u32 v116, 8, v116
	s_wait_loadcnt_dscnt 0x0
	v_pk_mul_f32 v[122:123], v[120:121], v[118:119] op_sel:[1,1] op_sel_hi:[0,1]
	s_delay_alu instid0(VALU_DEP_1) | instskip(SKIP_2) | instid1(VALU_DEP_3)
	v_pk_fma_f32 v[124:125], v[120:121], v[118:119], v[122:123] op_sel_hi:[1,0,1]
	v_add_nc_u32_e32 v117, 1, v117
	v_pk_fma_f32 v[118:119], v[120:121], v[118:119], v[122:123] neg_lo:[0,0,1] neg_hi:[0,0,1]
	v_mov_b32_e32 v119, v125
	s_delay_alu instid0(VALU_DEP_3) | instskip(NEXT) | instid1(VALU_DEP_2)
	v_cmp_lt_u32_e32 vcc_lo, 24, v117
	v_pk_add_f32 v[112:113], v[112:113], v[118:119]
	s_or_b32 s3, vcc_lo, s3
	s_delay_alu instid0(SALU_CYCLE_1)
	s_and_not1_b32 exec_lo, exec_lo, s3
	s_cbranch_execnz .LBB117_787
; %bb.788:
	s_or_b32 exec_lo, exec_lo, s3
.LBB117_789:
	s_delay_alu instid0(SALU_CYCLE_1) | instskip(SKIP_4) | instid1(VALU_DEP_1)
	s_or_b32 exec_lo, exec_lo, s2
	v_mov_b32_e32 v115, 0
	ds_load_b64 v[116:117], v115 offset:208
	s_wait_dscnt 0x0
	v_pk_mul_f32 v[118:119], v[112:113], v[116:117] op_sel:[1,1] op_sel_hi:[0,1]
	v_pk_fma_f32 v[120:121], v[112:113], v[116:117], v[118:119] op_sel_hi:[1,0,1]
	v_pk_fma_f32 v[112:113], v[112:113], v[116:117], v[118:119] neg_lo:[0,0,1] neg_hi:[0,0,1]
	s_delay_alu instid0(VALU_DEP_2)
	v_mov_b32_e32 v113, v121
	scratch_store_b64 off, v[112:113], off offset:208
.LBB117_790:
	s_wait_xcnt 0x0
	s_or_b32 exec_lo, exec_lo, s0
	scratch_load_b64 v[112:113], off, off offset:216
	s_mov_b32 s0, exec_lo
	s_wait_loadcnt 0x0
	ds_store_b64 v1, v[112:113]
	s_wait_storecnt_dscnt 0x0
	s_barrier_signal -1
	s_barrier_wait -1
	s_wait_xcnt 0x0
	v_cmpx_gt_u32_e32 27, v0
	s_cbranch_execz .LBB117_800
; %bb.791:
	v_cmp_ne_u32_e32 vcc_lo, 1, v114
	s_cbranch_vccnz .LBB117_793
; %bb.792:
	scratch_load_b64 v[112:113], v59, off
	ds_load_b64 v[116:117], v1
	s_wait_loadcnt_dscnt 0x0
	v_pk_mul_f32 v[118:119], v[116:117], v[112:113] op_sel:[1,1] op_sel_hi:[0,1]
	s_delay_alu instid0(VALU_DEP_1) | instskip(SKIP_1) | instid1(VALU_DEP_2)
	v_pk_fma_f32 v[120:121], v[116:117], v[112:113], v[118:119] op_sel_hi:[1,0,1]
	v_pk_fma_f32 v[112:113], v[116:117], v[112:113], v[118:119] neg_lo:[0,0,1] neg_hi:[0,0,1]
	v_mov_b32_e32 v113, v121
	s_cbranch_execz .LBB117_794
	s_branch .LBB117_795
.LBB117_793:
                                        ; implicit-def: $vgpr112_vgpr113
.LBB117_794:
	ds_load_b64 v[112:113], v1
.LBB117_795:
	s_mov_b32 s2, exec_lo
	v_cmpx_ne_u32_e32 26, v0
	s_cbranch_execz .LBB117_799
; %bb.796:
	v_add_nc_u32_e32 v115, 0x1b8, v58
	v_add3_u32 v116, 0, v58, 8
	v_mov_b32_e32 v117, v0
	s_mov_b32 s3, 0
.LBB117_797:                            ; =>This Inner Loop Header: Depth=1
	scratch_load_b64 v[118:119], v116, off
	ds_load_b64 v[120:121], v115
	s_wait_xcnt 0x0
	v_dual_add_nc_u32 v115, 8, v115 :: v_dual_add_nc_u32 v116, 8, v116
	s_wait_loadcnt_dscnt 0x0
	v_pk_mul_f32 v[122:123], v[120:121], v[118:119] op_sel:[1,1] op_sel_hi:[0,1]
	s_delay_alu instid0(VALU_DEP_1) | instskip(SKIP_2) | instid1(VALU_DEP_3)
	v_pk_fma_f32 v[124:125], v[120:121], v[118:119], v[122:123] op_sel_hi:[1,0,1]
	v_add_nc_u32_e32 v117, 1, v117
	v_pk_fma_f32 v[118:119], v[120:121], v[118:119], v[122:123] neg_lo:[0,0,1] neg_hi:[0,0,1]
	v_mov_b32_e32 v119, v125
	s_delay_alu instid0(VALU_DEP_3) | instskip(NEXT) | instid1(VALU_DEP_2)
	v_cmp_lt_u32_e32 vcc_lo, 25, v117
	v_pk_add_f32 v[112:113], v[112:113], v[118:119]
	s_or_b32 s3, vcc_lo, s3
	s_delay_alu instid0(SALU_CYCLE_1)
	s_and_not1_b32 exec_lo, exec_lo, s3
	s_cbranch_execnz .LBB117_797
; %bb.798:
	s_or_b32 exec_lo, exec_lo, s3
.LBB117_799:
	s_delay_alu instid0(SALU_CYCLE_1) | instskip(SKIP_4) | instid1(VALU_DEP_1)
	s_or_b32 exec_lo, exec_lo, s2
	v_mov_b32_e32 v115, 0
	ds_load_b64 v[116:117], v115 offset:216
	s_wait_dscnt 0x0
	v_pk_mul_f32 v[118:119], v[112:113], v[116:117] op_sel:[1,1] op_sel_hi:[0,1]
	v_pk_fma_f32 v[120:121], v[112:113], v[116:117], v[118:119] op_sel_hi:[1,0,1]
	v_pk_fma_f32 v[112:113], v[112:113], v[116:117], v[118:119] neg_lo:[0,0,1] neg_hi:[0,0,1]
	s_delay_alu instid0(VALU_DEP_2)
	v_mov_b32_e32 v113, v121
	scratch_store_b64 off, v[112:113], off offset:216
.LBB117_800:
	s_wait_xcnt 0x0
	s_or_b32 exec_lo, exec_lo, s0
	scratch_load_b64 v[112:113], off, off offset:224
	s_mov_b32 s0, exec_lo
	s_wait_loadcnt 0x0
	ds_store_b64 v1, v[112:113]
	s_wait_storecnt_dscnt 0x0
	s_barrier_signal -1
	s_barrier_wait -1
	s_wait_xcnt 0x0
	v_cmpx_gt_u32_e32 28, v0
	s_cbranch_execz .LBB117_810
; %bb.801:
	v_cmp_ne_u32_e32 vcc_lo, 1, v114
	s_cbranch_vccnz .LBB117_803
; %bb.802:
	scratch_load_b64 v[112:113], v59, off
	ds_load_b64 v[116:117], v1
	s_wait_loadcnt_dscnt 0x0
	v_pk_mul_f32 v[118:119], v[116:117], v[112:113] op_sel:[1,1] op_sel_hi:[0,1]
	s_delay_alu instid0(VALU_DEP_1) | instskip(SKIP_1) | instid1(VALU_DEP_2)
	v_pk_fma_f32 v[120:121], v[116:117], v[112:113], v[118:119] op_sel_hi:[1,0,1]
	v_pk_fma_f32 v[112:113], v[116:117], v[112:113], v[118:119] neg_lo:[0,0,1] neg_hi:[0,0,1]
	v_mov_b32_e32 v113, v121
	s_cbranch_execz .LBB117_804
	s_branch .LBB117_805
.LBB117_803:
                                        ; implicit-def: $vgpr112_vgpr113
.LBB117_804:
	ds_load_b64 v[112:113], v1
.LBB117_805:
	s_mov_b32 s2, exec_lo
	v_cmpx_ne_u32_e32 27, v0
	s_cbranch_execz .LBB117_809
; %bb.806:
	v_add_nc_u32_e32 v115, 0x1b8, v58
	v_add3_u32 v116, 0, v58, 8
	v_mov_b32_e32 v117, v0
	s_mov_b32 s3, 0
.LBB117_807:                            ; =>This Inner Loop Header: Depth=1
	scratch_load_b64 v[118:119], v116, off
	ds_load_b64 v[120:121], v115
	s_wait_xcnt 0x0
	v_dual_add_nc_u32 v115, 8, v115 :: v_dual_add_nc_u32 v116, 8, v116
	s_wait_loadcnt_dscnt 0x0
	v_pk_mul_f32 v[122:123], v[120:121], v[118:119] op_sel:[1,1] op_sel_hi:[0,1]
	s_delay_alu instid0(VALU_DEP_1) | instskip(SKIP_2) | instid1(VALU_DEP_3)
	v_pk_fma_f32 v[124:125], v[120:121], v[118:119], v[122:123] op_sel_hi:[1,0,1]
	v_add_nc_u32_e32 v117, 1, v117
	v_pk_fma_f32 v[118:119], v[120:121], v[118:119], v[122:123] neg_lo:[0,0,1] neg_hi:[0,0,1]
	v_mov_b32_e32 v119, v125
	s_delay_alu instid0(VALU_DEP_3) | instskip(NEXT) | instid1(VALU_DEP_2)
	v_cmp_lt_u32_e32 vcc_lo, 26, v117
	v_pk_add_f32 v[112:113], v[112:113], v[118:119]
	s_or_b32 s3, vcc_lo, s3
	s_delay_alu instid0(SALU_CYCLE_1)
	s_and_not1_b32 exec_lo, exec_lo, s3
	s_cbranch_execnz .LBB117_807
; %bb.808:
	s_or_b32 exec_lo, exec_lo, s3
.LBB117_809:
	s_delay_alu instid0(SALU_CYCLE_1) | instskip(SKIP_4) | instid1(VALU_DEP_1)
	s_or_b32 exec_lo, exec_lo, s2
	v_mov_b32_e32 v115, 0
	ds_load_b64 v[116:117], v115 offset:224
	s_wait_dscnt 0x0
	v_pk_mul_f32 v[118:119], v[112:113], v[116:117] op_sel:[1,1] op_sel_hi:[0,1]
	v_pk_fma_f32 v[120:121], v[112:113], v[116:117], v[118:119] op_sel_hi:[1,0,1]
	v_pk_fma_f32 v[112:113], v[112:113], v[116:117], v[118:119] neg_lo:[0,0,1] neg_hi:[0,0,1]
	s_delay_alu instid0(VALU_DEP_2)
	v_mov_b32_e32 v113, v121
	scratch_store_b64 off, v[112:113], off offset:224
.LBB117_810:
	s_wait_xcnt 0x0
	s_or_b32 exec_lo, exec_lo, s0
	scratch_load_b64 v[112:113], off, off offset:232
	s_mov_b32 s0, exec_lo
	s_wait_loadcnt 0x0
	ds_store_b64 v1, v[112:113]
	s_wait_storecnt_dscnt 0x0
	s_barrier_signal -1
	s_barrier_wait -1
	s_wait_xcnt 0x0
	v_cmpx_gt_u32_e32 29, v0
	s_cbranch_execz .LBB117_820
; %bb.811:
	v_cmp_ne_u32_e32 vcc_lo, 1, v114
	s_cbranch_vccnz .LBB117_813
; %bb.812:
	scratch_load_b64 v[112:113], v59, off
	ds_load_b64 v[116:117], v1
	s_wait_loadcnt_dscnt 0x0
	v_pk_mul_f32 v[118:119], v[116:117], v[112:113] op_sel:[1,1] op_sel_hi:[0,1]
	s_delay_alu instid0(VALU_DEP_1) | instskip(SKIP_1) | instid1(VALU_DEP_2)
	v_pk_fma_f32 v[120:121], v[116:117], v[112:113], v[118:119] op_sel_hi:[1,0,1]
	v_pk_fma_f32 v[112:113], v[116:117], v[112:113], v[118:119] neg_lo:[0,0,1] neg_hi:[0,0,1]
	v_mov_b32_e32 v113, v121
	s_cbranch_execz .LBB117_814
	s_branch .LBB117_815
.LBB117_813:
                                        ; implicit-def: $vgpr112_vgpr113
.LBB117_814:
	ds_load_b64 v[112:113], v1
.LBB117_815:
	s_mov_b32 s2, exec_lo
	v_cmpx_ne_u32_e32 28, v0
	s_cbranch_execz .LBB117_819
; %bb.816:
	v_add_nc_u32_e32 v115, 0x1b8, v58
	v_add3_u32 v116, 0, v58, 8
	v_mov_b32_e32 v117, v0
	s_mov_b32 s3, 0
.LBB117_817:                            ; =>This Inner Loop Header: Depth=1
	scratch_load_b64 v[118:119], v116, off
	ds_load_b64 v[120:121], v115
	s_wait_xcnt 0x0
	v_dual_add_nc_u32 v115, 8, v115 :: v_dual_add_nc_u32 v116, 8, v116
	s_wait_loadcnt_dscnt 0x0
	v_pk_mul_f32 v[122:123], v[120:121], v[118:119] op_sel:[1,1] op_sel_hi:[0,1]
	s_delay_alu instid0(VALU_DEP_1) | instskip(SKIP_2) | instid1(VALU_DEP_3)
	v_pk_fma_f32 v[124:125], v[120:121], v[118:119], v[122:123] op_sel_hi:[1,0,1]
	v_add_nc_u32_e32 v117, 1, v117
	v_pk_fma_f32 v[118:119], v[120:121], v[118:119], v[122:123] neg_lo:[0,0,1] neg_hi:[0,0,1]
	v_mov_b32_e32 v119, v125
	s_delay_alu instid0(VALU_DEP_3) | instskip(NEXT) | instid1(VALU_DEP_2)
	v_cmp_lt_u32_e32 vcc_lo, 27, v117
	v_pk_add_f32 v[112:113], v[112:113], v[118:119]
	s_or_b32 s3, vcc_lo, s3
	s_delay_alu instid0(SALU_CYCLE_1)
	s_and_not1_b32 exec_lo, exec_lo, s3
	s_cbranch_execnz .LBB117_817
; %bb.818:
	s_or_b32 exec_lo, exec_lo, s3
.LBB117_819:
	s_delay_alu instid0(SALU_CYCLE_1) | instskip(SKIP_4) | instid1(VALU_DEP_1)
	s_or_b32 exec_lo, exec_lo, s2
	v_mov_b32_e32 v115, 0
	ds_load_b64 v[116:117], v115 offset:232
	s_wait_dscnt 0x0
	v_pk_mul_f32 v[118:119], v[112:113], v[116:117] op_sel:[1,1] op_sel_hi:[0,1]
	v_pk_fma_f32 v[120:121], v[112:113], v[116:117], v[118:119] op_sel_hi:[1,0,1]
	v_pk_fma_f32 v[112:113], v[112:113], v[116:117], v[118:119] neg_lo:[0,0,1] neg_hi:[0,0,1]
	s_delay_alu instid0(VALU_DEP_2)
	v_mov_b32_e32 v113, v121
	scratch_store_b64 off, v[112:113], off offset:232
.LBB117_820:
	s_wait_xcnt 0x0
	s_or_b32 exec_lo, exec_lo, s0
	scratch_load_b64 v[112:113], off, off offset:240
	s_mov_b32 s0, exec_lo
	s_wait_loadcnt 0x0
	ds_store_b64 v1, v[112:113]
	s_wait_storecnt_dscnt 0x0
	s_barrier_signal -1
	s_barrier_wait -1
	s_wait_xcnt 0x0
	v_cmpx_gt_u32_e32 30, v0
	s_cbranch_execz .LBB117_830
; %bb.821:
	v_cmp_ne_u32_e32 vcc_lo, 1, v114
	s_cbranch_vccnz .LBB117_823
; %bb.822:
	scratch_load_b64 v[112:113], v59, off
	ds_load_b64 v[116:117], v1
	s_wait_loadcnt_dscnt 0x0
	v_pk_mul_f32 v[118:119], v[116:117], v[112:113] op_sel:[1,1] op_sel_hi:[0,1]
	s_delay_alu instid0(VALU_DEP_1) | instskip(SKIP_1) | instid1(VALU_DEP_2)
	v_pk_fma_f32 v[120:121], v[116:117], v[112:113], v[118:119] op_sel_hi:[1,0,1]
	v_pk_fma_f32 v[112:113], v[116:117], v[112:113], v[118:119] neg_lo:[0,0,1] neg_hi:[0,0,1]
	v_mov_b32_e32 v113, v121
	s_cbranch_execz .LBB117_824
	s_branch .LBB117_825
.LBB117_823:
                                        ; implicit-def: $vgpr112_vgpr113
.LBB117_824:
	ds_load_b64 v[112:113], v1
.LBB117_825:
	s_mov_b32 s2, exec_lo
	v_cmpx_ne_u32_e32 29, v0
	s_cbranch_execz .LBB117_829
; %bb.826:
	v_add_nc_u32_e32 v115, 0x1b8, v58
	v_add3_u32 v116, 0, v58, 8
	v_mov_b32_e32 v117, v0
	s_mov_b32 s3, 0
.LBB117_827:                            ; =>This Inner Loop Header: Depth=1
	scratch_load_b64 v[118:119], v116, off
	ds_load_b64 v[120:121], v115
	s_wait_xcnt 0x0
	v_dual_add_nc_u32 v115, 8, v115 :: v_dual_add_nc_u32 v116, 8, v116
	s_wait_loadcnt_dscnt 0x0
	v_pk_mul_f32 v[122:123], v[120:121], v[118:119] op_sel:[1,1] op_sel_hi:[0,1]
	s_delay_alu instid0(VALU_DEP_1) | instskip(SKIP_2) | instid1(VALU_DEP_3)
	v_pk_fma_f32 v[124:125], v[120:121], v[118:119], v[122:123] op_sel_hi:[1,0,1]
	v_add_nc_u32_e32 v117, 1, v117
	v_pk_fma_f32 v[118:119], v[120:121], v[118:119], v[122:123] neg_lo:[0,0,1] neg_hi:[0,0,1]
	v_mov_b32_e32 v119, v125
	s_delay_alu instid0(VALU_DEP_3) | instskip(NEXT) | instid1(VALU_DEP_2)
	v_cmp_lt_u32_e32 vcc_lo, 28, v117
	v_pk_add_f32 v[112:113], v[112:113], v[118:119]
	s_or_b32 s3, vcc_lo, s3
	s_delay_alu instid0(SALU_CYCLE_1)
	s_and_not1_b32 exec_lo, exec_lo, s3
	s_cbranch_execnz .LBB117_827
; %bb.828:
	s_or_b32 exec_lo, exec_lo, s3
.LBB117_829:
	s_delay_alu instid0(SALU_CYCLE_1) | instskip(SKIP_4) | instid1(VALU_DEP_1)
	s_or_b32 exec_lo, exec_lo, s2
	v_mov_b32_e32 v115, 0
	ds_load_b64 v[116:117], v115 offset:240
	s_wait_dscnt 0x0
	v_pk_mul_f32 v[118:119], v[112:113], v[116:117] op_sel:[1,1] op_sel_hi:[0,1]
	v_pk_fma_f32 v[120:121], v[112:113], v[116:117], v[118:119] op_sel_hi:[1,0,1]
	v_pk_fma_f32 v[112:113], v[112:113], v[116:117], v[118:119] neg_lo:[0,0,1] neg_hi:[0,0,1]
	s_delay_alu instid0(VALU_DEP_2)
	v_mov_b32_e32 v113, v121
	scratch_store_b64 off, v[112:113], off offset:240
.LBB117_830:
	s_wait_xcnt 0x0
	s_or_b32 exec_lo, exec_lo, s0
	scratch_load_b64 v[112:113], off, off offset:248
	s_mov_b32 s0, exec_lo
	s_wait_loadcnt 0x0
	ds_store_b64 v1, v[112:113]
	s_wait_storecnt_dscnt 0x0
	s_barrier_signal -1
	s_barrier_wait -1
	s_wait_xcnt 0x0
	v_cmpx_gt_u32_e32 31, v0
	s_cbranch_execz .LBB117_840
; %bb.831:
	v_cmp_ne_u32_e32 vcc_lo, 1, v114
	s_cbranch_vccnz .LBB117_833
; %bb.832:
	scratch_load_b64 v[112:113], v59, off
	ds_load_b64 v[116:117], v1
	s_wait_loadcnt_dscnt 0x0
	v_pk_mul_f32 v[118:119], v[116:117], v[112:113] op_sel:[1,1] op_sel_hi:[0,1]
	s_delay_alu instid0(VALU_DEP_1) | instskip(SKIP_1) | instid1(VALU_DEP_2)
	v_pk_fma_f32 v[120:121], v[116:117], v[112:113], v[118:119] op_sel_hi:[1,0,1]
	v_pk_fma_f32 v[112:113], v[116:117], v[112:113], v[118:119] neg_lo:[0,0,1] neg_hi:[0,0,1]
	v_mov_b32_e32 v113, v121
	s_cbranch_execz .LBB117_834
	s_branch .LBB117_835
.LBB117_833:
                                        ; implicit-def: $vgpr112_vgpr113
.LBB117_834:
	ds_load_b64 v[112:113], v1
.LBB117_835:
	s_mov_b32 s2, exec_lo
	v_cmpx_ne_u32_e32 30, v0
	s_cbranch_execz .LBB117_839
; %bb.836:
	v_add_nc_u32_e32 v115, 0x1b8, v58
	v_add3_u32 v116, 0, v58, 8
	v_mov_b32_e32 v117, v0
	s_mov_b32 s3, 0
.LBB117_837:                            ; =>This Inner Loop Header: Depth=1
	scratch_load_b64 v[118:119], v116, off
	ds_load_b64 v[120:121], v115
	s_wait_xcnt 0x0
	v_dual_add_nc_u32 v115, 8, v115 :: v_dual_add_nc_u32 v116, 8, v116
	s_wait_loadcnt_dscnt 0x0
	v_pk_mul_f32 v[122:123], v[120:121], v[118:119] op_sel:[1,1] op_sel_hi:[0,1]
	s_delay_alu instid0(VALU_DEP_1) | instskip(SKIP_2) | instid1(VALU_DEP_3)
	v_pk_fma_f32 v[124:125], v[120:121], v[118:119], v[122:123] op_sel_hi:[1,0,1]
	v_add_nc_u32_e32 v117, 1, v117
	v_pk_fma_f32 v[118:119], v[120:121], v[118:119], v[122:123] neg_lo:[0,0,1] neg_hi:[0,0,1]
	v_mov_b32_e32 v119, v125
	s_delay_alu instid0(VALU_DEP_3) | instskip(NEXT) | instid1(VALU_DEP_2)
	v_cmp_lt_u32_e32 vcc_lo, 29, v117
	v_pk_add_f32 v[112:113], v[112:113], v[118:119]
	s_or_b32 s3, vcc_lo, s3
	s_delay_alu instid0(SALU_CYCLE_1)
	s_and_not1_b32 exec_lo, exec_lo, s3
	s_cbranch_execnz .LBB117_837
; %bb.838:
	s_or_b32 exec_lo, exec_lo, s3
.LBB117_839:
	s_delay_alu instid0(SALU_CYCLE_1) | instskip(SKIP_4) | instid1(VALU_DEP_1)
	s_or_b32 exec_lo, exec_lo, s2
	v_mov_b32_e32 v115, 0
	ds_load_b64 v[116:117], v115 offset:248
	s_wait_dscnt 0x0
	v_pk_mul_f32 v[118:119], v[112:113], v[116:117] op_sel:[1,1] op_sel_hi:[0,1]
	v_pk_fma_f32 v[120:121], v[112:113], v[116:117], v[118:119] op_sel_hi:[1,0,1]
	v_pk_fma_f32 v[112:113], v[112:113], v[116:117], v[118:119] neg_lo:[0,0,1] neg_hi:[0,0,1]
	s_delay_alu instid0(VALU_DEP_2)
	v_mov_b32_e32 v113, v121
	scratch_store_b64 off, v[112:113], off offset:248
.LBB117_840:
	s_wait_xcnt 0x0
	s_or_b32 exec_lo, exec_lo, s0
	scratch_load_b64 v[112:113], off, off offset:256
	s_mov_b32 s0, exec_lo
	s_wait_loadcnt 0x0
	ds_store_b64 v1, v[112:113]
	s_wait_storecnt_dscnt 0x0
	s_barrier_signal -1
	s_barrier_wait -1
	s_wait_xcnt 0x0
	v_cmpx_gt_u32_e32 32, v0
	s_cbranch_execz .LBB117_850
; %bb.841:
	v_cmp_ne_u32_e32 vcc_lo, 1, v114
	s_cbranch_vccnz .LBB117_843
; %bb.842:
	scratch_load_b64 v[112:113], v59, off
	ds_load_b64 v[116:117], v1
	s_wait_loadcnt_dscnt 0x0
	v_pk_mul_f32 v[118:119], v[116:117], v[112:113] op_sel:[1,1] op_sel_hi:[0,1]
	s_delay_alu instid0(VALU_DEP_1) | instskip(SKIP_1) | instid1(VALU_DEP_2)
	v_pk_fma_f32 v[120:121], v[116:117], v[112:113], v[118:119] op_sel_hi:[1,0,1]
	v_pk_fma_f32 v[112:113], v[116:117], v[112:113], v[118:119] neg_lo:[0,0,1] neg_hi:[0,0,1]
	v_mov_b32_e32 v113, v121
	s_cbranch_execz .LBB117_844
	s_branch .LBB117_845
.LBB117_843:
                                        ; implicit-def: $vgpr112_vgpr113
.LBB117_844:
	ds_load_b64 v[112:113], v1
.LBB117_845:
	s_mov_b32 s2, exec_lo
	v_cmpx_ne_u32_e32 31, v0
	s_cbranch_execz .LBB117_849
; %bb.846:
	v_add_nc_u32_e32 v115, 0x1b8, v58
	v_add3_u32 v116, 0, v58, 8
	v_mov_b32_e32 v117, v0
	s_mov_b32 s3, 0
.LBB117_847:                            ; =>This Inner Loop Header: Depth=1
	scratch_load_b64 v[118:119], v116, off
	ds_load_b64 v[120:121], v115
	s_wait_xcnt 0x0
	v_dual_add_nc_u32 v115, 8, v115 :: v_dual_add_nc_u32 v116, 8, v116
	s_wait_loadcnt_dscnt 0x0
	v_pk_mul_f32 v[122:123], v[120:121], v[118:119] op_sel:[1,1] op_sel_hi:[0,1]
	s_delay_alu instid0(VALU_DEP_1) | instskip(SKIP_2) | instid1(VALU_DEP_3)
	v_pk_fma_f32 v[124:125], v[120:121], v[118:119], v[122:123] op_sel_hi:[1,0,1]
	v_add_nc_u32_e32 v117, 1, v117
	v_pk_fma_f32 v[118:119], v[120:121], v[118:119], v[122:123] neg_lo:[0,0,1] neg_hi:[0,0,1]
	v_mov_b32_e32 v119, v125
	s_delay_alu instid0(VALU_DEP_3) | instskip(NEXT) | instid1(VALU_DEP_2)
	v_cmp_lt_u32_e32 vcc_lo, 30, v117
	v_pk_add_f32 v[112:113], v[112:113], v[118:119]
	s_or_b32 s3, vcc_lo, s3
	s_delay_alu instid0(SALU_CYCLE_1)
	s_and_not1_b32 exec_lo, exec_lo, s3
	s_cbranch_execnz .LBB117_847
; %bb.848:
	s_or_b32 exec_lo, exec_lo, s3
.LBB117_849:
	s_delay_alu instid0(SALU_CYCLE_1) | instskip(SKIP_4) | instid1(VALU_DEP_1)
	s_or_b32 exec_lo, exec_lo, s2
	v_mov_b32_e32 v115, 0
	ds_load_b64 v[116:117], v115 offset:256
	s_wait_dscnt 0x0
	v_pk_mul_f32 v[118:119], v[112:113], v[116:117] op_sel:[1,1] op_sel_hi:[0,1]
	v_pk_fma_f32 v[120:121], v[112:113], v[116:117], v[118:119] op_sel_hi:[1,0,1]
	v_pk_fma_f32 v[112:113], v[112:113], v[116:117], v[118:119] neg_lo:[0,0,1] neg_hi:[0,0,1]
	s_delay_alu instid0(VALU_DEP_2)
	v_mov_b32_e32 v113, v121
	scratch_store_b64 off, v[112:113], off offset:256
.LBB117_850:
	s_wait_xcnt 0x0
	s_or_b32 exec_lo, exec_lo, s0
	scratch_load_b64 v[112:113], off, off offset:264
	s_mov_b32 s0, exec_lo
	s_wait_loadcnt 0x0
	ds_store_b64 v1, v[112:113]
	s_wait_storecnt_dscnt 0x0
	s_barrier_signal -1
	s_barrier_wait -1
	s_wait_xcnt 0x0
	v_cmpx_gt_u32_e32 33, v0
	s_cbranch_execz .LBB117_860
; %bb.851:
	v_cmp_ne_u32_e32 vcc_lo, 1, v114
	s_cbranch_vccnz .LBB117_853
; %bb.852:
	scratch_load_b64 v[112:113], v59, off
	ds_load_b64 v[116:117], v1
	s_wait_loadcnt_dscnt 0x0
	v_pk_mul_f32 v[118:119], v[116:117], v[112:113] op_sel:[1,1] op_sel_hi:[0,1]
	s_delay_alu instid0(VALU_DEP_1) | instskip(SKIP_1) | instid1(VALU_DEP_2)
	v_pk_fma_f32 v[120:121], v[116:117], v[112:113], v[118:119] op_sel_hi:[1,0,1]
	v_pk_fma_f32 v[112:113], v[116:117], v[112:113], v[118:119] neg_lo:[0,0,1] neg_hi:[0,0,1]
	v_mov_b32_e32 v113, v121
	s_cbranch_execz .LBB117_854
	s_branch .LBB117_855
.LBB117_853:
                                        ; implicit-def: $vgpr112_vgpr113
.LBB117_854:
	ds_load_b64 v[112:113], v1
.LBB117_855:
	s_mov_b32 s2, exec_lo
	v_cmpx_ne_u32_e32 32, v0
	s_cbranch_execz .LBB117_859
; %bb.856:
	v_add_nc_u32_e32 v115, 0x1b8, v58
	v_add3_u32 v116, 0, v58, 8
	v_mov_b32_e32 v117, v0
	s_mov_b32 s3, 0
.LBB117_857:                            ; =>This Inner Loop Header: Depth=1
	scratch_load_b64 v[118:119], v116, off
	ds_load_b64 v[120:121], v115
	s_wait_xcnt 0x0
	v_dual_add_nc_u32 v115, 8, v115 :: v_dual_add_nc_u32 v116, 8, v116
	s_wait_loadcnt_dscnt 0x0
	v_pk_mul_f32 v[122:123], v[120:121], v[118:119] op_sel:[1,1] op_sel_hi:[0,1]
	s_delay_alu instid0(VALU_DEP_1) | instskip(SKIP_2) | instid1(VALU_DEP_3)
	v_pk_fma_f32 v[124:125], v[120:121], v[118:119], v[122:123] op_sel_hi:[1,0,1]
	v_add_nc_u32_e32 v117, 1, v117
	v_pk_fma_f32 v[118:119], v[120:121], v[118:119], v[122:123] neg_lo:[0,0,1] neg_hi:[0,0,1]
	v_mov_b32_e32 v119, v125
	s_delay_alu instid0(VALU_DEP_3) | instskip(NEXT) | instid1(VALU_DEP_2)
	v_cmp_lt_u32_e32 vcc_lo, 31, v117
	v_pk_add_f32 v[112:113], v[112:113], v[118:119]
	s_or_b32 s3, vcc_lo, s3
	s_delay_alu instid0(SALU_CYCLE_1)
	s_and_not1_b32 exec_lo, exec_lo, s3
	s_cbranch_execnz .LBB117_857
; %bb.858:
	s_or_b32 exec_lo, exec_lo, s3
.LBB117_859:
	s_delay_alu instid0(SALU_CYCLE_1) | instskip(SKIP_4) | instid1(VALU_DEP_1)
	s_or_b32 exec_lo, exec_lo, s2
	v_mov_b32_e32 v115, 0
	ds_load_b64 v[116:117], v115 offset:264
	s_wait_dscnt 0x0
	v_pk_mul_f32 v[118:119], v[112:113], v[116:117] op_sel:[1,1] op_sel_hi:[0,1]
	v_pk_fma_f32 v[120:121], v[112:113], v[116:117], v[118:119] op_sel_hi:[1,0,1]
	v_pk_fma_f32 v[112:113], v[112:113], v[116:117], v[118:119] neg_lo:[0,0,1] neg_hi:[0,0,1]
	s_delay_alu instid0(VALU_DEP_2)
	v_mov_b32_e32 v113, v121
	scratch_store_b64 off, v[112:113], off offset:264
.LBB117_860:
	s_wait_xcnt 0x0
	s_or_b32 exec_lo, exec_lo, s0
	scratch_load_b64 v[112:113], off, off offset:272
	s_mov_b32 s0, exec_lo
	s_wait_loadcnt 0x0
	ds_store_b64 v1, v[112:113]
	s_wait_storecnt_dscnt 0x0
	s_barrier_signal -1
	s_barrier_wait -1
	s_wait_xcnt 0x0
	v_cmpx_gt_u32_e32 34, v0
	s_cbranch_execz .LBB117_870
; %bb.861:
	v_cmp_ne_u32_e32 vcc_lo, 1, v114
	s_cbranch_vccnz .LBB117_863
; %bb.862:
	scratch_load_b64 v[112:113], v59, off
	ds_load_b64 v[116:117], v1
	s_wait_loadcnt_dscnt 0x0
	v_pk_mul_f32 v[118:119], v[116:117], v[112:113] op_sel:[1,1] op_sel_hi:[0,1]
	s_delay_alu instid0(VALU_DEP_1) | instskip(SKIP_1) | instid1(VALU_DEP_2)
	v_pk_fma_f32 v[120:121], v[116:117], v[112:113], v[118:119] op_sel_hi:[1,0,1]
	v_pk_fma_f32 v[112:113], v[116:117], v[112:113], v[118:119] neg_lo:[0,0,1] neg_hi:[0,0,1]
	v_mov_b32_e32 v113, v121
	s_cbranch_execz .LBB117_864
	s_branch .LBB117_865
.LBB117_863:
                                        ; implicit-def: $vgpr112_vgpr113
.LBB117_864:
	ds_load_b64 v[112:113], v1
.LBB117_865:
	s_mov_b32 s2, exec_lo
	v_cmpx_ne_u32_e32 33, v0
	s_cbranch_execz .LBB117_869
; %bb.866:
	v_add_nc_u32_e32 v115, 0x1b8, v58
	v_add3_u32 v116, 0, v58, 8
	v_mov_b32_e32 v117, v0
	s_mov_b32 s3, 0
.LBB117_867:                            ; =>This Inner Loop Header: Depth=1
	scratch_load_b64 v[118:119], v116, off
	ds_load_b64 v[120:121], v115
	s_wait_xcnt 0x0
	v_dual_add_nc_u32 v115, 8, v115 :: v_dual_add_nc_u32 v116, 8, v116
	s_wait_loadcnt_dscnt 0x0
	v_pk_mul_f32 v[122:123], v[120:121], v[118:119] op_sel:[1,1] op_sel_hi:[0,1]
	s_delay_alu instid0(VALU_DEP_1) | instskip(SKIP_2) | instid1(VALU_DEP_3)
	v_pk_fma_f32 v[124:125], v[120:121], v[118:119], v[122:123] op_sel_hi:[1,0,1]
	v_add_nc_u32_e32 v117, 1, v117
	v_pk_fma_f32 v[118:119], v[120:121], v[118:119], v[122:123] neg_lo:[0,0,1] neg_hi:[0,0,1]
	v_mov_b32_e32 v119, v125
	s_delay_alu instid0(VALU_DEP_3) | instskip(NEXT) | instid1(VALU_DEP_2)
	v_cmp_lt_u32_e32 vcc_lo, 32, v117
	v_pk_add_f32 v[112:113], v[112:113], v[118:119]
	s_or_b32 s3, vcc_lo, s3
	s_delay_alu instid0(SALU_CYCLE_1)
	s_and_not1_b32 exec_lo, exec_lo, s3
	s_cbranch_execnz .LBB117_867
; %bb.868:
	s_or_b32 exec_lo, exec_lo, s3
.LBB117_869:
	s_delay_alu instid0(SALU_CYCLE_1) | instskip(SKIP_4) | instid1(VALU_DEP_1)
	s_or_b32 exec_lo, exec_lo, s2
	v_mov_b32_e32 v115, 0
	ds_load_b64 v[116:117], v115 offset:272
	s_wait_dscnt 0x0
	v_pk_mul_f32 v[118:119], v[112:113], v[116:117] op_sel:[1,1] op_sel_hi:[0,1]
	v_pk_fma_f32 v[120:121], v[112:113], v[116:117], v[118:119] op_sel_hi:[1,0,1]
	v_pk_fma_f32 v[112:113], v[112:113], v[116:117], v[118:119] neg_lo:[0,0,1] neg_hi:[0,0,1]
	s_delay_alu instid0(VALU_DEP_2)
	v_mov_b32_e32 v113, v121
	scratch_store_b64 off, v[112:113], off offset:272
.LBB117_870:
	s_wait_xcnt 0x0
	s_or_b32 exec_lo, exec_lo, s0
	scratch_load_b64 v[112:113], off, off offset:280
	s_mov_b32 s0, exec_lo
	s_wait_loadcnt 0x0
	ds_store_b64 v1, v[112:113]
	s_wait_storecnt_dscnt 0x0
	s_barrier_signal -1
	s_barrier_wait -1
	s_wait_xcnt 0x0
	v_cmpx_gt_u32_e32 35, v0
	s_cbranch_execz .LBB117_880
; %bb.871:
	v_cmp_ne_u32_e32 vcc_lo, 1, v114
	s_cbranch_vccnz .LBB117_873
; %bb.872:
	scratch_load_b64 v[112:113], v59, off
	ds_load_b64 v[116:117], v1
	s_wait_loadcnt_dscnt 0x0
	v_pk_mul_f32 v[118:119], v[116:117], v[112:113] op_sel:[1,1] op_sel_hi:[0,1]
	s_delay_alu instid0(VALU_DEP_1) | instskip(SKIP_1) | instid1(VALU_DEP_2)
	v_pk_fma_f32 v[120:121], v[116:117], v[112:113], v[118:119] op_sel_hi:[1,0,1]
	v_pk_fma_f32 v[112:113], v[116:117], v[112:113], v[118:119] neg_lo:[0,0,1] neg_hi:[0,0,1]
	v_mov_b32_e32 v113, v121
	s_cbranch_execz .LBB117_874
	s_branch .LBB117_875
.LBB117_873:
                                        ; implicit-def: $vgpr112_vgpr113
.LBB117_874:
	ds_load_b64 v[112:113], v1
.LBB117_875:
	s_mov_b32 s2, exec_lo
	v_cmpx_ne_u32_e32 34, v0
	s_cbranch_execz .LBB117_879
; %bb.876:
	v_add_nc_u32_e32 v115, 0x1b8, v58
	v_add3_u32 v116, 0, v58, 8
	v_mov_b32_e32 v117, v0
	s_mov_b32 s3, 0
.LBB117_877:                            ; =>This Inner Loop Header: Depth=1
	scratch_load_b64 v[118:119], v116, off
	ds_load_b64 v[120:121], v115
	s_wait_xcnt 0x0
	v_dual_add_nc_u32 v115, 8, v115 :: v_dual_add_nc_u32 v116, 8, v116
	s_wait_loadcnt_dscnt 0x0
	v_pk_mul_f32 v[122:123], v[120:121], v[118:119] op_sel:[1,1] op_sel_hi:[0,1]
	s_delay_alu instid0(VALU_DEP_1) | instskip(SKIP_2) | instid1(VALU_DEP_3)
	v_pk_fma_f32 v[124:125], v[120:121], v[118:119], v[122:123] op_sel_hi:[1,0,1]
	v_add_nc_u32_e32 v117, 1, v117
	v_pk_fma_f32 v[118:119], v[120:121], v[118:119], v[122:123] neg_lo:[0,0,1] neg_hi:[0,0,1]
	v_mov_b32_e32 v119, v125
	s_delay_alu instid0(VALU_DEP_3) | instskip(NEXT) | instid1(VALU_DEP_2)
	v_cmp_lt_u32_e32 vcc_lo, 33, v117
	v_pk_add_f32 v[112:113], v[112:113], v[118:119]
	s_or_b32 s3, vcc_lo, s3
	s_delay_alu instid0(SALU_CYCLE_1)
	s_and_not1_b32 exec_lo, exec_lo, s3
	s_cbranch_execnz .LBB117_877
; %bb.878:
	s_or_b32 exec_lo, exec_lo, s3
.LBB117_879:
	s_delay_alu instid0(SALU_CYCLE_1) | instskip(SKIP_4) | instid1(VALU_DEP_1)
	s_or_b32 exec_lo, exec_lo, s2
	v_mov_b32_e32 v115, 0
	ds_load_b64 v[116:117], v115 offset:280
	s_wait_dscnt 0x0
	v_pk_mul_f32 v[118:119], v[112:113], v[116:117] op_sel:[1,1] op_sel_hi:[0,1]
	v_pk_fma_f32 v[120:121], v[112:113], v[116:117], v[118:119] op_sel_hi:[1,0,1]
	v_pk_fma_f32 v[112:113], v[112:113], v[116:117], v[118:119] neg_lo:[0,0,1] neg_hi:[0,0,1]
	s_delay_alu instid0(VALU_DEP_2)
	v_mov_b32_e32 v113, v121
	scratch_store_b64 off, v[112:113], off offset:280
.LBB117_880:
	s_wait_xcnt 0x0
	s_or_b32 exec_lo, exec_lo, s0
	scratch_load_b64 v[112:113], off, off offset:288
	s_mov_b32 s0, exec_lo
	s_wait_loadcnt 0x0
	ds_store_b64 v1, v[112:113]
	s_wait_storecnt_dscnt 0x0
	s_barrier_signal -1
	s_barrier_wait -1
	s_wait_xcnt 0x0
	v_cmpx_gt_u32_e32 36, v0
	s_cbranch_execz .LBB117_890
; %bb.881:
	v_cmp_ne_u32_e32 vcc_lo, 1, v114
	s_cbranch_vccnz .LBB117_883
; %bb.882:
	scratch_load_b64 v[112:113], v59, off
	ds_load_b64 v[116:117], v1
	s_wait_loadcnt_dscnt 0x0
	v_pk_mul_f32 v[118:119], v[116:117], v[112:113] op_sel:[1,1] op_sel_hi:[0,1]
	s_delay_alu instid0(VALU_DEP_1) | instskip(SKIP_1) | instid1(VALU_DEP_2)
	v_pk_fma_f32 v[120:121], v[116:117], v[112:113], v[118:119] op_sel_hi:[1,0,1]
	v_pk_fma_f32 v[112:113], v[116:117], v[112:113], v[118:119] neg_lo:[0,0,1] neg_hi:[0,0,1]
	v_mov_b32_e32 v113, v121
	s_cbranch_execz .LBB117_884
	s_branch .LBB117_885
.LBB117_883:
                                        ; implicit-def: $vgpr112_vgpr113
.LBB117_884:
	ds_load_b64 v[112:113], v1
.LBB117_885:
	s_mov_b32 s2, exec_lo
	v_cmpx_ne_u32_e32 35, v0
	s_cbranch_execz .LBB117_889
; %bb.886:
	v_add_nc_u32_e32 v115, 0x1b8, v58
	v_add3_u32 v116, 0, v58, 8
	v_mov_b32_e32 v117, v0
	s_mov_b32 s3, 0
.LBB117_887:                            ; =>This Inner Loop Header: Depth=1
	scratch_load_b64 v[118:119], v116, off
	ds_load_b64 v[120:121], v115
	s_wait_xcnt 0x0
	v_dual_add_nc_u32 v115, 8, v115 :: v_dual_add_nc_u32 v116, 8, v116
	s_wait_loadcnt_dscnt 0x0
	v_pk_mul_f32 v[122:123], v[120:121], v[118:119] op_sel:[1,1] op_sel_hi:[0,1]
	s_delay_alu instid0(VALU_DEP_1) | instskip(SKIP_2) | instid1(VALU_DEP_3)
	v_pk_fma_f32 v[124:125], v[120:121], v[118:119], v[122:123] op_sel_hi:[1,0,1]
	v_add_nc_u32_e32 v117, 1, v117
	v_pk_fma_f32 v[118:119], v[120:121], v[118:119], v[122:123] neg_lo:[0,0,1] neg_hi:[0,0,1]
	v_mov_b32_e32 v119, v125
	s_delay_alu instid0(VALU_DEP_3) | instskip(NEXT) | instid1(VALU_DEP_2)
	v_cmp_lt_u32_e32 vcc_lo, 34, v117
	v_pk_add_f32 v[112:113], v[112:113], v[118:119]
	s_or_b32 s3, vcc_lo, s3
	s_delay_alu instid0(SALU_CYCLE_1)
	s_and_not1_b32 exec_lo, exec_lo, s3
	s_cbranch_execnz .LBB117_887
; %bb.888:
	s_or_b32 exec_lo, exec_lo, s3
.LBB117_889:
	s_delay_alu instid0(SALU_CYCLE_1) | instskip(SKIP_4) | instid1(VALU_DEP_1)
	s_or_b32 exec_lo, exec_lo, s2
	v_mov_b32_e32 v115, 0
	ds_load_b64 v[116:117], v115 offset:288
	s_wait_dscnt 0x0
	v_pk_mul_f32 v[118:119], v[112:113], v[116:117] op_sel:[1,1] op_sel_hi:[0,1]
	v_pk_fma_f32 v[120:121], v[112:113], v[116:117], v[118:119] op_sel_hi:[1,0,1]
	v_pk_fma_f32 v[112:113], v[112:113], v[116:117], v[118:119] neg_lo:[0,0,1] neg_hi:[0,0,1]
	s_delay_alu instid0(VALU_DEP_2)
	v_mov_b32_e32 v113, v121
	scratch_store_b64 off, v[112:113], off offset:288
.LBB117_890:
	s_wait_xcnt 0x0
	s_or_b32 exec_lo, exec_lo, s0
	scratch_load_b64 v[112:113], off, off offset:296
	s_mov_b32 s0, exec_lo
	s_wait_loadcnt 0x0
	ds_store_b64 v1, v[112:113]
	s_wait_storecnt_dscnt 0x0
	s_barrier_signal -1
	s_barrier_wait -1
	s_wait_xcnt 0x0
	v_cmpx_gt_u32_e32 37, v0
	s_cbranch_execz .LBB117_900
; %bb.891:
	v_cmp_ne_u32_e32 vcc_lo, 1, v114
	s_cbranch_vccnz .LBB117_893
; %bb.892:
	scratch_load_b64 v[112:113], v59, off
	ds_load_b64 v[116:117], v1
	s_wait_loadcnt_dscnt 0x0
	v_pk_mul_f32 v[118:119], v[116:117], v[112:113] op_sel:[1,1] op_sel_hi:[0,1]
	s_delay_alu instid0(VALU_DEP_1) | instskip(SKIP_1) | instid1(VALU_DEP_2)
	v_pk_fma_f32 v[120:121], v[116:117], v[112:113], v[118:119] op_sel_hi:[1,0,1]
	v_pk_fma_f32 v[112:113], v[116:117], v[112:113], v[118:119] neg_lo:[0,0,1] neg_hi:[0,0,1]
	v_mov_b32_e32 v113, v121
	s_cbranch_execz .LBB117_894
	s_branch .LBB117_895
.LBB117_893:
                                        ; implicit-def: $vgpr112_vgpr113
.LBB117_894:
	ds_load_b64 v[112:113], v1
.LBB117_895:
	s_mov_b32 s2, exec_lo
	v_cmpx_ne_u32_e32 36, v0
	s_cbranch_execz .LBB117_899
; %bb.896:
	v_add_nc_u32_e32 v115, 0x1b8, v58
	v_add3_u32 v116, 0, v58, 8
	v_mov_b32_e32 v117, v0
	s_mov_b32 s3, 0
.LBB117_897:                            ; =>This Inner Loop Header: Depth=1
	scratch_load_b64 v[118:119], v116, off
	ds_load_b64 v[120:121], v115
	s_wait_xcnt 0x0
	v_dual_add_nc_u32 v115, 8, v115 :: v_dual_add_nc_u32 v116, 8, v116
	s_wait_loadcnt_dscnt 0x0
	v_pk_mul_f32 v[122:123], v[120:121], v[118:119] op_sel:[1,1] op_sel_hi:[0,1]
	s_delay_alu instid0(VALU_DEP_1) | instskip(SKIP_2) | instid1(VALU_DEP_3)
	v_pk_fma_f32 v[124:125], v[120:121], v[118:119], v[122:123] op_sel_hi:[1,0,1]
	v_add_nc_u32_e32 v117, 1, v117
	v_pk_fma_f32 v[118:119], v[120:121], v[118:119], v[122:123] neg_lo:[0,0,1] neg_hi:[0,0,1]
	v_mov_b32_e32 v119, v125
	s_delay_alu instid0(VALU_DEP_3) | instskip(NEXT) | instid1(VALU_DEP_2)
	v_cmp_lt_u32_e32 vcc_lo, 35, v117
	v_pk_add_f32 v[112:113], v[112:113], v[118:119]
	s_or_b32 s3, vcc_lo, s3
	s_delay_alu instid0(SALU_CYCLE_1)
	s_and_not1_b32 exec_lo, exec_lo, s3
	s_cbranch_execnz .LBB117_897
; %bb.898:
	s_or_b32 exec_lo, exec_lo, s3
.LBB117_899:
	s_delay_alu instid0(SALU_CYCLE_1) | instskip(SKIP_4) | instid1(VALU_DEP_1)
	s_or_b32 exec_lo, exec_lo, s2
	v_mov_b32_e32 v115, 0
	ds_load_b64 v[116:117], v115 offset:296
	s_wait_dscnt 0x0
	v_pk_mul_f32 v[118:119], v[112:113], v[116:117] op_sel:[1,1] op_sel_hi:[0,1]
	v_pk_fma_f32 v[120:121], v[112:113], v[116:117], v[118:119] op_sel_hi:[1,0,1]
	v_pk_fma_f32 v[112:113], v[112:113], v[116:117], v[118:119] neg_lo:[0,0,1] neg_hi:[0,0,1]
	s_delay_alu instid0(VALU_DEP_2)
	v_mov_b32_e32 v113, v121
	scratch_store_b64 off, v[112:113], off offset:296
.LBB117_900:
	s_wait_xcnt 0x0
	s_or_b32 exec_lo, exec_lo, s0
	scratch_load_b64 v[112:113], off, off offset:304
	s_mov_b32 s0, exec_lo
	s_wait_loadcnt 0x0
	ds_store_b64 v1, v[112:113]
	s_wait_storecnt_dscnt 0x0
	s_barrier_signal -1
	s_barrier_wait -1
	s_wait_xcnt 0x0
	v_cmpx_gt_u32_e32 38, v0
	s_cbranch_execz .LBB117_910
; %bb.901:
	v_cmp_ne_u32_e32 vcc_lo, 1, v114
	s_cbranch_vccnz .LBB117_903
; %bb.902:
	scratch_load_b64 v[112:113], v59, off
	ds_load_b64 v[116:117], v1
	s_wait_loadcnt_dscnt 0x0
	v_pk_mul_f32 v[118:119], v[116:117], v[112:113] op_sel:[1,1] op_sel_hi:[0,1]
	s_delay_alu instid0(VALU_DEP_1) | instskip(SKIP_1) | instid1(VALU_DEP_2)
	v_pk_fma_f32 v[120:121], v[116:117], v[112:113], v[118:119] op_sel_hi:[1,0,1]
	v_pk_fma_f32 v[112:113], v[116:117], v[112:113], v[118:119] neg_lo:[0,0,1] neg_hi:[0,0,1]
	v_mov_b32_e32 v113, v121
	s_cbranch_execz .LBB117_904
	s_branch .LBB117_905
.LBB117_903:
                                        ; implicit-def: $vgpr112_vgpr113
.LBB117_904:
	ds_load_b64 v[112:113], v1
.LBB117_905:
	s_mov_b32 s2, exec_lo
	v_cmpx_ne_u32_e32 37, v0
	s_cbranch_execz .LBB117_909
; %bb.906:
	v_add_nc_u32_e32 v115, 0x1b8, v58
	v_add3_u32 v116, 0, v58, 8
	v_mov_b32_e32 v117, v0
	s_mov_b32 s3, 0
.LBB117_907:                            ; =>This Inner Loop Header: Depth=1
	scratch_load_b64 v[118:119], v116, off
	ds_load_b64 v[120:121], v115
	s_wait_xcnt 0x0
	v_dual_add_nc_u32 v115, 8, v115 :: v_dual_add_nc_u32 v116, 8, v116
	s_wait_loadcnt_dscnt 0x0
	v_pk_mul_f32 v[122:123], v[120:121], v[118:119] op_sel:[1,1] op_sel_hi:[0,1]
	s_delay_alu instid0(VALU_DEP_1) | instskip(SKIP_2) | instid1(VALU_DEP_3)
	v_pk_fma_f32 v[124:125], v[120:121], v[118:119], v[122:123] op_sel_hi:[1,0,1]
	v_add_nc_u32_e32 v117, 1, v117
	v_pk_fma_f32 v[118:119], v[120:121], v[118:119], v[122:123] neg_lo:[0,0,1] neg_hi:[0,0,1]
	v_mov_b32_e32 v119, v125
	s_delay_alu instid0(VALU_DEP_3) | instskip(NEXT) | instid1(VALU_DEP_2)
	v_cmp_lt_u32_e32 vcc_lo, 36, v117
	v_pk_add_f32 v[112:113], v[112:113], v[118:119]
	s_or_b32 s3, vcc_lo, s3
	s_delay_alu instid0(SALU_CYCLE_1)
	s_and_not1_b32 exec_lo, exec_lo, s3
	s_cbranch_execnz .LBB117_907
; %bb.908:
	s_or_b32 exec_lo, exec_lo, s3
.LBB117_909:
	s_delay_alu instid0(SALU_CYCLE_1) | instskip(SKIP_4) | instid1(VALU_DEP_1)
	s_or_b32 exec_lo, exec_lo, s2
	v_mov_b32_e32 v115, 0
	ds_load_b64 v[116:117], v115 offset:304
	s_wait_dscnt 0x0
	v_pk_mul_f32 v[118:119], v[112:113], v[116:117] op_sel:[1,1] op_sel_hi:[0,1]
	v_pk_fma_f32 v[120:121], v[112:113], v[116:117], v[118:119] op_sel_hi:[1,0,1]
	v_pk_fma_f32 v[112:113], v[112:113], v[116:117], v[118:119] neg_lo:[0,0,1] neg_hi:[0,0,1]
	s_delay_alu instid0(VALU_DEP_2)
	v_mov_b32_e32 v113, v121
	scratch_store_b64 off, v[112:113], off offset:304
.LBB117_910:
	s_wait_xcnt 0x0
	s_or_b32 exec_lo, exec_lo, s0
	scratch_load_b64 v[112:113], off, off offset:312
	s_mov_b32 s0, exec_lo
	s_wait_loadcnt 0x0
	ds_store_b64 v1, v[112:113]
	s_wait_storecnt_dscnt 0x0
	s_barrier_signal -1
	s_barrier_wait -1
	s_wait_xcnt 0x0
	v_cmpx_gt_u32_e32 39, v0
	s_cbranch_execz .LBB117_920
; %bb.911:
	v_cmp_ne_u32_e32 vcc_lo, 1, v114
	s_cbranch_vccnz .LBB117_913
; %bb.912:
	scratch_load_b64 v[112:113], v59, off
	ds_load_b64 v[116:117], v1
	s_wait_loadcnt_dscnt 0x0
	v_pk_mul_f32 v[118:119], v[116:117], v[112:113] op_sel:[1,1] op_sel_hi:[0,1]
	s_delay_alu instid0(VALU_DEP_1) | instskip(SKIP_1) | instid1(VALU_DEP_2)
	v_pk_fma_f32 v[120:121], v[116:117], v[112:113], v[118:119] op_sel_hi:[1,0,1]
	v_pk_fma_f32 v[112:113], v[116:117], v[112:113], v[118:119] neg_lo:[0,0,1] neg_hi:[0,0,1]
	v_mov_b32_e32 v113, v121
	s_cbranch_execz .LBB117_914
	s_branch .LBB117_915
.LBB117_913:
                                        ; implicit-def: $vgpr112_vgpr113
.LBB117_914:
	ds_load_b64 v[112:113], v1
.LBB117_915:
	s_mov_b32 s2, exec_lo
	v_cmpx_ne_u32_e32 38, v0
	s_cbranch_execz .LBB117_919
; %bb.916:
	v_add_nc_u32_e32 v115, 0x1b8, v58
	v_add3_u32 v116, 0, v58, 8
	v_mov_b32_e32 v117, v0
	s_mov_b32 s3, 0
.LBB117_917:                            ; =>This Inner Loop Header: Depth=1
	scratch_load_b64 v[118:119], v116, off
	ds_load_b64 v[120:121], v115
	s_wait_xcnt 0x0
	v_dual_add_nc_u32 v115, 8, v115 :: v_dual_add_nc_u32 v116, 8, v116
	s_wait_loadcnt_dscnt 0x0
	v_pk_mul_f32 v[122:123], v[120:121], v[118:119] op_sel:[1,1] op_sel_hi:[0,1]
	s_delay_alu instid0(VALU_DEP_1) | instskip(SKIP_2) | instid1(VALU_DEP_3)
	v_pk_fma_f32 v[124:125], v[120:121], v[118:119], v[122:123] op_sel_hi:[1,0,1]
	v_add_nc_u32_e32 v117, 1, v117
	v_pk_fma_f32 v[118:119], v[120:121], v[118:119], v[122:123] neg_lo:[0,0,1] neg_hi:[0,0,1]
	v_mov_b32_e32 v119, v125
	s_delay_alu instid0(VALU_DEP_3) | instskip(NEXT) | instid1(VALU_DEP_2)
	v_cmp_lt_u32_e32 vcc_lo, 37, v117
	v_pk_add_f32 v[112:113], v[112:113], v[118:119]
	s_or_b32 s3, vcc_lo, s3
	s_delay_alu instid0(SALU_CYCLE_1)
	s_and_not1_b32 exec_lo, exec_lo, s3
	s_cbranch_execnz .LBB117_917
; %bb.918:
	s_or_b32 exec_lo, exec_lo, s3
.LBB117_919:
	s_delay_alu instid0(SALU_CYCLE_1) | instskip(SKIP_4) | instid1(VALU_DEP_1)
	s_or_b32 exec_lo, exec_lo, s2
	v_mov_b32_e32 v115, 0
	ds_load_b64 v[116:117], v115 offset:312
	s_wait_dscnt 0x0
	v_pk_mul_f32 v[118:119], v[112:113], v[116:117] op_sel:[1,1] op_sel_hi:[0,1]
	v_pk_fma_f32 v[120:121], v[112:113], v[116:117], v[118:119] op_sel_hi:[1,0,1]
	v_pk_fma_f32 v[112:113], v[112:113], v[116:117], v[118:119] neg_lo:[0,0,1] neg_hi:[0,0,1]
	s_delay_alu instid0(VALU_DEP_2)
	v_mov_b32_e32 v113, v121
	scratch_store_b64 off, v[112:113], off offset:312
.LBB117_920:
	s_wait_xcnt 0x0
	s_or_b32 exec_lo, exec_lo, s0
	scratch_load_b64 v[112:113], off, off offset:320
	s_mov_b32 s0, exec_lo
	s_wait_loadcnt 0x0
	ds_store_b64 v1, v[112:113]
	s_wait_storecnt_dscnt 0x0
	s_barrier_signal -1
	s_barrier_wait -1
	s_wait_xcnt 0x0
	v_cmpx_gt_u32_e32 40, v0
	s_cbranch_execz .LBB117_930
; %bb.921:
	v_cmp_ne_u32_e32 vcc_lo, 1, v114
	s_cbranch_vccnz .LBB117_923
; %bb.922:
	scratch_load_b64 v[112:113], v59, off
	ds_load_b64 v[116:117], v1
	s_wait_loadcnt_dscnt 0x0
	v_pk_mul_f32 v[118:119], v[116:117], v[112:113] op_sel:[1,1] op_sel_hi:[0,1]
	s_delay_alu instid0(VALU_DEP_1) | instskip(SKIP_1) | instid1(VALU_DEP_2)
	v_pk_fma_f32 v[120:121], v[116:117], v[112:113], v[118:119] op_sel_hi:[1,0,1]
	v_pk_fma_f32 v[112:113], v[116:117], v[112:113], v[118:119] neg_lo:[0,0,1] neg_hi:[0,0,1]
	v_mov_b32_e32 v113, v121
	s_cbranch_execz .LBB117_924
	s_branch .LBB117_925
.LBB117_923:
                                        ; implicit-def: $vgpr112_vgpr113
.LBB117_924:
	ds_load_b64 v[112:113], v1
.LBB117_925:
	s_mov_b32 s2, exec_lo
	v_cmpx_ne_u32_e32 39, v0
	s_cbranch_execz .LBB117_929
; %bb.926:
	v_add_nc_u32_e32 v115, 0x1b8, v58
	v_add3_u32 v116, 0, v58, 8
	v_mov_b32_e32 v117, v0
	s_mov_b32 s3, 0
.LBB117_927:                            ; =>This Inner Loop Header: Depth=1
	scratch_load_b64 v[118:119], v116, off
	ds_load_b64 v[120:121], v115
	s_wait_xcnt 0x0
	v_dual_add_nc_u32 v115, 8, v115 :: v_dual_add_nc_u32 v116, 8, v116
	s_wait_loadcnt_dscnt 0x0
	v_pk_mul_f32 v[122:123], v[120:121], v[118:119] op_sel:[1,1] op_sel_hi:[0,1]
	s_delay_alu instid0(VALU_DEP_1) | instskip(SKIP_2) | instid1(VALU_DEP_3)
	v_pk_fma_f32 v[124:125], v[120:121], v[118:119], v[122:123] op_sel_hi:[1,0,1]
	v_add_nc_u32_e32 v117, 1, v117
	v_pk_fma_f32 v[118:119], v[120:121], v[118:119], v[122:123] neg_lo:[0,0,1] neg_hi:[0,0,1]
	v_mov_b32_e32 v119, v125
	s_delay_alu instid0(VALU_DEP_3) | instskip(NEXT) | instid1(VALU_DEP_2)
	v_cmp_lt_u32_e32 vcc_lo, 38, v117
	v_pk_add_f32 v[112:113], v[112:113], v[118:119]
	s_or_b32 s3, vcc_lo, s3
	s_delay_alu instid0(SALU_CYCLE_1)
	s_and_not1_b32 exec_lo, exec_lo, s3
	s_cbranch_execnz .LBB117_927
; %bb.928:
	s_or_b32 exec_lo, exec_lo, s3
.LBB117_929:
	s_delay_alu instid0(SALU_CYCLE_1) | instskip(SKIP_4) | instid1(VALU_DEP_1)
	s_or_b32 exec_lo, exec_lo, s2
	v_mov_b32_e32 v115, 0
	ds_load_b64 v[116:117], v115 offset:320
	s_wait_dscnt 0x0
	v_pk_mul_f32 v[118:119], v[112:113], v[116:117] op_sel:[1,1] op_sel_hi:[0,1]
	v_pk_fma_f32 v[120:121], v[112:113], v[116:117], v[118:119] op_sel_hi:[1,0,1]
	v_pk_fma_f32 v[112:113], v[112:113], v[116:117], v[118:119] neg_lo:[0,0,1] neg_hi:[0,0,1]
	s_delay_alu instid0(VALU_DEP_2)
	v_mov_b32_e32 v113, v121
	scratch_store_b64 off, v[112:113], off offset:320
.LBB117_930:
	s_wait_xcnt 0x0
	s_or_b32 exec_lo, exec_lo, s0
	scratch_load_b64 v[112:113], off, off offset:328
	s_mov_b32 s0, exec_lo
	s_wait_loadcnt 0x0
	ds_store_b64 v1, v[112:113]
	s_wait_storecnt_dscnt 0x0
	s_barrier_signal -1
	s_barrier_wait -1
	s_wait_xcnt 0x0
	v_cmpx_gt_u32_e32 41, v0
	s_cbranch_execz .LBB117_940
; %bb.931:
	v_cmp_ne_u32_e32 vcc_lo, 1, v114
	s_cbranch_vccnz .LBB117_933
; %bb.932:
	scratch_load_b64 v[112:113], v59, off
	ds_load_b64 v[116:117], v1
	s_wait_loadcnt_dscnt 0x0
	v_pk_mul_f32 v[118:119], v[116:117], v[112:113] op_sel:[1,1] op_sel_hi:[0,1]
	s_delay_alu instid0(VALU_DEP_1) | instskip(SKIP_1) | instid1(VALU_DEP_2)
	v_pk_fma_f32 v[120:121], v[116:117], v[112:113], v[118:119] op_sel_hi:[1,0,1]
	v_pk_fma_f32 v[112:113], v[116:117], v[112:113], v[118:119] neg_lo:[0,0,1] neg_hi:[0,0,1]
	v_mov_b32_e32 v113, v121
	s_cbranch_execz .LBB117_934
	s_branch .LBB117_935
.LBB117_933:
                                        ; implicit-def: $vgpr112_vgpr113
.LBB117_934:
	ds_load_b64 v[112:113], v1
.LBB117_935:
	s_mov_b32 s2, exec_lo
	v_cmpx_ne_u32_e32 40, v0
	s_cbranch_execz .LBB117_939
; %bb.936:
	v_add_nc_u32_e32 v115, 0x1b8, v58
	v_add3_u32 v116, 0, v58, 8
	v_mov_b32_e32 v117, v0
	s_mov_b32 s3, 0
.LBB117_937:                            ; =>This Inner Loop Header: Depth=1
	scratch_load_b64 v[118:119], v116, off
	ds_load_b64 v[120:121], v115
	s_wait_xcnt 0x0
	v_dual_add_nc_u32 v115, 8, v115 :: v_dual_add_nc_u32 v116, 8, v116
	s_wait_loadcnt_dscnt 0x0
	v_pk_mul_f32 v[122:123], v[120:121], v[118:119] op_sel:[1,1] op_sel_hi:[0,1]
	s_delay_alu instid0(VALU_DEP_1) | instskip(SKIP_2) | instid1(VALU_DEP_3)
	v_pk_fma_f32 v[124:125], v[120:121], v[118:119], v[122:123] op_sel_hi:[1,0,1]
	v_add_nc_u32_e32 v117, 1, v117
	v_pk_fma_f32 v[118:119], v[120:121], v[118:119], v[122:123] neg_lo:[0,0,1] neg_hi:[0,0,1]
	v_mov_b32_e32 v119, v125
	s_delay_alu instid0(VALU_DEP_3) | instskip(NEXT) | instid1(VALU_DEP_2)
	v_cmp_lt_u32_e32 vcc_lo, 39, v117
	v_pk_add_f32 v[112:113], v[112:113], v[118:119]
	s_or_b32 s3, vcc_lo, s3
	s_delay_alu instid0(SALU_CYCLE_1)
	s_and_not1_b32 exec_lo, exec_lo, s3
	s_cbranch_execnz .LBB117_937
; %bb.938:
	s_or_b32 exec_lo, exec_lo, s3
.LBB117_939:
	s_delay_alu instid0(SALU_CYCLE_1) | instskip(SKIP_4) | instid1(VALU_DEP_1)
	s_or_b32 exec_lo, exec_lo, s2
	v_mov_b32_e32 v115, 0
	ds_load_b64 v[116:117], v115 offset:328
	s_wait_dscnt 0x0
	v_pk_mul_f32 v[118:119], v[112:113], v[116:117] op_sel:[1,1] op_sel_hi:[0,1]
	v_pk_fma_f32 v[120:121], v[112:113], v[116:117], v[118:119] op_sel_hi:[1,0,1]
	v_pk_fma_f32 v[112:113], v[112:113], v[116:117], v[118:119] neg_lo:[0,0,1] neg_hi:[0,0,1]
	s_delay_alu instid0(VALU_DEP_2)
	v_mov_b32_e32 v113, v121
	scratch_store_b64 off, v[112:113], off offset:328
.LBB117_940:
	s_wait_xcnt 0x0
	s_or_b32 exec_lo, exec_lo, s0
	scratch_load_b64 v[112:113], off, off offset:336
	s_mov_b32 s0, exec_lo
	s_wait_loadcnt 0x0
	ds_store_b64 v1, v[112:113]
	s_wait_storecnt_dscnt 0x0
	s_barrier_signal -1
	s_barrier_wait -1
	s_wait_xcnt 0x0
	v_cmpx_gt_u32_e32 42, v0
	s_cbranch_execz .LBB117_950
; %bb.941:
	v_cmp_ne_u32_e32 vcc_lo, 1, v114
	s_cbranch_vccnz .LBB117_943
; %bb.942:
	scratch_load_b64 v[112:113], v59, off
	ds_load_b64 v[116:117], v1
	s_wait_loadcnt_dscnt 0x0
	v_pk_mul_f32 v[118:119], v[116:117], v[112:113] op_sel:[1,1] op_sel_hi:[0,1]
	s_delay_alu instid0(VALU_DEP_1) | instskip(SKIP_1) | instid1(VALU_DEP_2)
	v_pk_fma_f32 v[120:121], v[116:117], v[112:113], v[118:119] op_sel_hi:[1,0,1]
	v_pk_fma_f32 v[112:113], v[116:117], v[112:113], v[118:119] neg_lo:[0,0,1] neg_hi:[0,0,1]
	v_mov_b32_e32 v113, v121
	s_cbranch_execz .LBB117_944
	s_branch .LBB117_945
.LBB117_943:
                                        ; implicit-def: $vgpr112_vgpr113
.LBB117_944:
	ds_load_b64 v[112:113], v1
.LBB117_945:
	s_mov_b32 s2, exec_lo
	v_cmpx_ne_u32_e32 41, v0
	s_cbranch_execz .LBB117_949
; %bb.946:
	v_add_nc_u32_e32 v115, 0x1b8, v58
	v_add3_u32 v116, 0, v58, 8
	v_mov_b32_e32 v117, v0
	s_mov_b32 s3, 0
.LBB117_947:                            ; =>This Inner Loop Header: Depth=1
	scratch_load_b64 v[118:119], v116, off
	ds_load_b64 v[120:121], v115
	s_wait_xcnt 0x0
	v_dual_add_nc_u32 v115, 8, v115 :: v_dual_add_nc_u32 v116, 8, v116
	s_wait_loadcnt_dscnt 0x0
	v_pk_mul_f32 v[122:123], v[120:121], v[118:119] op_sel:[1,1] op_sel_hi:[0,1]
	s_delay_alu instid0(VALU_DEP_1) | instskip(SKIP_2) | instid1(VALU_DEP_3)
	v_pk_fma_f32 v[124:125], v[120:121], v[118:119], v[122:123] op_sel_hi:[1,0,1]
	v_add_nc_u32_e32 v117, 1, v117
	v_pk_fma_f32 v[118:119], v[120:121], v[118:119], v[122:123] neg_lo:[0,0,1] neg_hi:[0,0,1]
	v_mov_b32_e32 v119, v125
	s_delay_alu instid0(VALU_DEP_3) | instskip(NEXT) | instid1(VALU_DEP_2)
	v_cmp_lt_u32_e32 vcc_lo, 40, v117
	v_pk_add_f32 v[112:113], v[112:113], v[118:119]
	s_or_b32 s3, vcc_lo, s3
	s_delay_alu instid0(SALU_CYCLE_1)
	s_and_not1_b32 exec_lo, exec_lo, s3
	s_cbranch_execnz .LBB117_947
; %bb.948:
	s_or_b32 exec_lo, exec_lo, s3
.LBB117_949:
	s_delay_alu instid0(SALU_CYCLE_1) | instskip(SKIP_4) | instid1(VALU_DEP_1)
	s_or_b32 exec_lo, exec_lo, s2
	v_mov_b32_e32 v115, 0
	ds_load_b64 v[116:117], v115 offset:336
	s_wait_dscnt 0x0
	v_pk_mul_f32 v[118:119], v[112:113], v[116:117] op_sel:[1,1] op_sel_hi:[0,1]
	v_pk_fma_f32 v[120:121], v[112:113], v[116:117], v[118:119] op_sel_hi:[1,0,1]
	v_pk_fma_f32 v[112:113], v[112:113], v[116:117], v[118:119] neg_lo:[0,0,1] neg_hi:[0,0,1]
	s_delay_alu instid0(VALU_DEP_2)
	v_mov_b32_e32 v113, v121
	scratch_store_b64 off, v[112:113], off offset:336
.LBB117_950:
	s_wait_xcnt 0x0
	s_or_b32 exec_lo, exec_lo, s0
	scratch_load_b64 v[112:113], off, off offset:344
	s_mov_b32 s0, exec_lo
	s_wait_loadcnt 0x0
	ds_store_b64 v1, v[112:113]
	s_wait_storecnt_dscnt 0x0
	s_barrier_signal -1
	s_barrier_wait -1
	s_wait_xcnt 0x0
	v_cmpx_gt_u32_e32 43, v0
	s_cbranch_execz .LBB117_960
; %bb.951:
	v_cmp_ne_u32_e32 vcc_lo, 1, v114
	s_cbranch_vccnz .LBB117_953
; %bb.952:
	scratch_load_b64 v[112:113], v59, off
	ds_load_b64 v[116:117], v1
	s_wait_loadcnt_dscnt 0x0
	v_pk_mul_f32 v[118:119], v[116:117], v[112:113] op_sel:[1,1] op_sel_hi:[0,1]
	s_delay_alu instid0(VALU_DEP_1) | instskip(SKIP_1) | instid1(VALU_DEP_2)
	v_pk_fma_f32 v[120:121], v[116:117], v[112:113], v[118:119] op_sel_hi:[1,0,1]
	v_pk_fma_f32 v[112:113], v[116:117], v[112:113], v[118:119] neg_lo:[0,0,1] neg_hi:[0,0,1]
	v_mov_b32_e32 v113, v121
	s_cbranch_execz .LBB117_954
	s_branch .LBB117_955
.LBB117_953:
                                        ; implicit-def: $vgpr112_vgpr113
.LBB117_954:
	ds_load_b64 v[112:113], v1
.LBB117_955:
	s_mov_b32 s2, exec_lo
	v_cmpx_ne_u32_e32 42, v0
	s_cbranch_execz .LBB117_959
; %bb.956:
	v_add_nc_u32_e32 v115, 0x1b8, v58
	v_add3_u32 v116, 0, v58, 8
	v_mov_b32_e32 v117, v0
	s_mov_b32 s3, 0
.LBB117_957:                            ; =>This Inner Loop Header: Depth=1
	scratch_load_b64 v[118:119], v116, off
	ds_load_b64 v[120:121], v115
	s_wait_xcnt 0x0
	v_dual_add_nc_u32 v115, 8, v115 :: v_dual_add_nc_u32 v116, 8, v116
	s_wait_loadcnt_dscnt 0x0
	v_pk_mul_f32 v[122:123], v[120:121], v[118:119] op_sel:[1,1] op_sel_hi:[0,1]
	s_delay_alu instid0(VALU_DEP_1) | instskip(SKIP_2) | instid1(VALU_DEP_3)
	v_pk_fma_f32 v[124:125], v[120:121], v[118:119], v[122:123] op_sel_hi:[1,0,1]
	v_add_nc_u32_e32 v117, 1, v117
	v_pk_fma_f32 v[118:119], v[120:121], v[118:119], v[122:123] neg_lo:[0,0,1] neg_hi:[0,0,1]
	v_mov_b32_e32 v119, v125
	s_delay_alu instid0(VALU_DEP_3) | instskip(NEXT) | instid1(VALU_DEP_2)
	v_cmp_lt_u32_e32 vcc_lo, 41, v117
	v_pk_add_f32 v[112:113], v[112:113], v[118:119]
	s_or_b32 s3, vcc_lo, s3
	s_delay_alu instid0(SALU_CYCLE_1)
	s_and_not1_b32 exec_lo, exec_lo, s3
	s_cbranch_execnz .LBB117_957
; %bb.958:
	s_or_b32 exec_lo, exec_lo, s3
.LBB117_959:
	s_delay_alu instid0(SALU_CYCLE_1) | instskip(SKIP_4) | instid1(VALU_DEP_1)
	s_or_b32 exec_lo, exec_lo, s2
	v_mov_b32_e32 v115, 0
	ds_load_b64 v[116:117], v115 offset:344
	s_wait_dscnt 0x0
	v_pk_mul_f32 v[118:119], v[112:113], v[116:117] op_sel:[1,1] op_sel_hi:[0,1]
	v_pk_fma_f32 v[120:121], v[112:113], v[116:117], v[118:119] op_sel_hi:[1,0,1]
	v_pk_fma_f32 v[112:113], v[112:113], v[116:117], v[118:119] neg_lo:[0,0,1] neg_hi:[0,0,1]
	s_delay_alu instid0(VALU_DEP_2)
	v_mov_b32_e32 v113, v121
	scratch_store_b64 off, v[112:113], off offset:344
.LBB117_960:
	s_wait_xcnt 0x0
	s_or_b32 exec_lo, exec_lo, s0
	scratch_load_b64 v[112:113], off, off offset:352
	s_mov_b32 s0, exec_lo
	s_wait_loadcnt 0x0
	ds_store_b64 v1, v[112:113]
	s_wait_storecnt_dscnt 0x0
	s_barrier_signal -1
	s_barrier_wait -1
	s_wait_xcnt 0x0
	v_cmpx_gt_u32_e32 44, v0
	s_cbranch_execz .LBB117_970
; %bb.961:
	v_cmp_ne_u32_e32 vcc_lo, 1, v114
	s_cbranch_vccnz .LBB117_963
; %bb.962:
	scratch_load_b64 v[112:113], v59, off
	ds_load_b64 v[116:117], v1
	s_wait_loadcnt_dscnt 0x0
	v_pk_mul_f32 v[118:119], v[116:117], v[112:113] op_sel:[1,1] op_sel_hi:[0,1]
	s_delay_alu instid0(VALU_DEP_1) | instskip(SKIP_1) | instid1(VALU_DEP_2)
	v_pk_fma_f32 v[120:121], v[116:117], v[112:113], v[118:119] op_sel_hi:[1,0,1]
	v_pk_fma_f32 v[112:113], v[116:117], v[112:113], v[118:119] neg_lo:[0,0,1] neg_hi:[0,0,1]
	v_mov_b32_e32 v113, v121
	s_cbranch_execz .LBB117_964
	s_branch .LBB117_965
.LBB117_963:
                                        ; implicit-def: $vgpr112_vgpr113
.LBB117_964:
	ds_load_b64 v[112:113], v1
.LBB117_965:
	s_mov_b32 s2, exec_lo
	v_cmpx_ne_u32_e32 43, v0
	s_cbranch_execz .LBB117_969
; %bb.966:
	v_add_nc_u32_e32 v115, 0x1b8, v58
	v_add3_u32 v116, 0, v58, 8
	v_mov_b32_e32 v117, v0
	s_mov_b32 s3, 0
.LBB117_967:                            ; =>This Inner Loop Header: Depth=1
	scratch_load_b64 v[118:119], v116, off
	ds_load_b64 v[120:121], v115
	s_wait_xcnt 0x0
	v_dual_add_nc_u32 v115, 8, v115 :: v_dual_add_nc_u32 v116, 8, v116
	s_wait_loadcnt_dscnt 0x0
	v_pk_mul_f32 v[122:123], v[120:121], v[118:119] op_sel:[1,1] op_sel_hi:[0,1]
	s_delay_alu instid0(VALU_DEP_1) | instskip(SKIP_2) | instid1(VALU_DEP_3)
	v_pk_fma_f32 v[124:125], v[120:121], v[118:119], v[122:123] op_sel_hi:[1,0,1]
	v_add_nc_u32_e32 v117, 1, v117
	v_pk_fma_f32 v[118:119], v[120:121], v[118:119], v[122:123] neg_lo:[0,0,1] neg_hi:[0,0,1]
	v_mov_b32_e32 v119, v125
	s_delay_alu instid0(VALU_DEP_3) | instskip(NEXT) | instid1(VALU_DEP_2)
	v_cmp_lt_u32_e32 vcc_lo, 42, v117
	v_pk_add_f32 v[112:113], v[112:113], v[118:119]
	s_or_b32 s3, vcc_lo, s3
	s_delay_alu instid0(SALU_CYCLE_1)
	s_and_not1_b32 exec_lo, exec_lo, s3
	s_cbranch_execnz .LBB117_967
; %bb.968:
	s_or_b32 exec_lo, exec_lo, s3
.LBB117_969:
	s_delay_alu instid0(SALU_CYCLE_1) | instskip(SKIP_4) | instid1(VALU_DEP_1)
	s_or_b32 exec_lo, exec_lo, s2
	v_mov_b32_e32 v115, 0
	ds_load_b64 v[116:117], v115 offset:352
	s_wait_dscnt 0x0
	v_pk_mul_f32 v[118:119], v[112:113], v[116:117] op_sel:[1,1] op_sel_hi:[0,1]
	v_pk_fma_f32 v[120:121], v[112:113], v[116:117], v[118:119] op_sel_hi:[1,0,1]
	v_pk_fma_f32 v[112:113], v[112:113], v[116:117], v[118:119] neg_lo:[0,0,1] neg_hi:[0,0,1]
	s_delay_alu instid0(VALU_DEP_2)
	v_mov_b32_e32 v113, v121
	scratch_store_b64 off, v[112:113], off offset:352
.LBB117_970:
	s_wait_xcnt 0x0
	s_or_b32 exec_lo, exec_lo, s0
	scratch_load_b64 v[112:113], off, off offset:360
	s_mov_b32 s0, exec_lo
	s_wait_loadcnt 0x0
	ds_store_b64 v1, v[112:113]
	s_wait_storecnt_dscnt 0x0
	s_barrier_signal -1
	s_barrier_wait -1
	s_wait_xcnt 0x0
	v_cmpx_gt_u32_e32 45, v0
	s_cbranch_execz .LBB117_980
; %bb.971:
	v_cmp_ne_u32_e32 vcc_lo, 1, v114
	s_cbranch_vccnz .LBB117_973
; %bb.972:
	scratch_load_b64 v[112:113], v59, off
	ds_load_b64 v[116:117], v1
	s_wait_loadcnt_dscnt 0x0
	v_pk_mul_f32 v[118:119], v[116:117], v[112:113] op_sel:[1,1] op_sel_hi:[0,1]
	s_delay_alu instid0(VALU_DEP_1) | instskip(SKIP_1) | instid1(VALU_DEP_2)
	v_pk_fma_f32 v[120:121], v[116:117], v[112:113], v[118:119] op_sel_hi:[1,0,1]
	v_pk_fma_f32 v[112:113], v[116:117], v[112:113], v[118:119] neg_lo:[0,0,1] neg_hi:[0,0,1]
	v_mov_b32_e32 v113, v121
	s_cbranch_execz .LBB117_974
	s_branch .LBB117_975
.LBB117_973:
                                        ; implicit-def: $vgpr112_vgpr113
.LBB117_974:
	ds_load_b64 v[112:113], v1
.LBB117_975:
	s_mov_b32 s2, exec_lo
	v_cmpx_ne_u32_e32 44, v0
	s_cbranch_execz .LBB117_979
; %bb.976:
	v_add_nc_u32_e32 v115, 0x1b8, v58
	v_add3_u32 v116, 0, v58, 8
	v_mov_b32_e32 v117, v0
	s_mov_b32 s3, 0
.LBB117_977:                            ; =>This Inner Loop Header: Depth=1
	scratch_load_b64 v[118:119], v116, off
	ds_load_b64 v[120:121], v115
	s_wait_xcnt 0x0
	v_dual_add_nc_u32 v115, 8, v115 :: v_dual_add_nc_u32 v116, 8, v116
	s_wait_loadcnt_dscnt 0x0
	v_pk_mul_f32 v[122:123], v[120:121], v[118:119] op_sel:[1,1] op_sel_hi:[0,1]
	s_delay_alu instid0(VALU_DEP_1) | instskip(SKIP_2) | instid1(VALU_DEP_3)
	v_pk_fma_f32 v[124:125], v[120:121], v[118:119], v[122:123] op_sel_hi:[1,0,1]
	v_add_nc_u32_e32 v117, 1, v117
	v_pk_fma_f32 v[118:119], v[120:121], v[118:119], v[122:123] neg_lo:[0,0,1] neg_hi:[0,0,1]
	v_mov_b32_e32 v119, v125
	s_delay_alu instid0(VALU_DEP_3) | instskip(NEXT) | instid1(VALU_DEP_2)
	v_cmp_lt_u32_e32 vcc_lo, 43, v117
	v_pk_add_f32 v[112:113], v[112:113], v[118:119]
	s_or_b32 s3, vcc_lo, s3
	s_delay_alu instid0(SALU_CYCLE_1)
	s_and_not1_b32 exec_lo, exec_lo, s3
	s_cbranch_execnz .LBB117_977
; %bb.978:
	s_or_b32 exec_lo, exec_lo, s3
.LBB117_979:
	s_delay_alu instid0(SALU_CYCLE_1) | instskip(SKIP_4) | instid1(VALU_DEP_1)
	s_or_b32 exec_lo, exec_lo, s2
	v_mov_b32_e32 v115, 0
	ds_load_b64 v[116:117], v115 offset:360
	s_wait_dscnt 0x0
	v_pk_mul_f32 v[118:119], v[112:113], v[116:117] op_sel:[1,1] op_sel_hi:[0,1]
	v_pk_fma_f32 v[120:121], v[112:113], v[116:117], v[118:119] op_sel_hi:[1,0,1]
	v_pk_fma_f32 v[112:113], v[112:113], v[116:117], v[118:119] neg_lo:[0,0,1] neg_hi:[0,0,1]
	s_delay_alu instid0(VALU_DEP_2)
	v_mov_b32_e32 v113, v121
	scratch_store_b64 off, v[112:113], off offset:360
.LBB117_980:
	s_wait_xcnt 0x0
	s_or_b32 exec_lo, exec_lo, s0
	scratch_load_b64 v[112:113], off, off offset:368
	s_mov_b32 s0, exec_lo
	s_wait_loadcnt 0x0
	ds_store_b64 v1, v[112:113]
	s_wait_storecnt_dscnt 0x0
	s_barrier_signal -1
	s_barrier_wait -1
	s_wait_xcnt 0x0
	v_cmpx_gt_u32_e32 46, v0
	s_cbranch_execz .LBB117_990
; %bb.981:
	v_cmp_ne_u32_e32 vcc_lo, 1, v114
	s_cbranch_vccnz .LBB117_983
; %bb.982:
	scratch_load_b64 v[112:113], v59, off
	ds_load_b64 v[116:117], v1
	s_wait_loadcnt_dscnt 0x0
	v_pk_mul_f32 v[118:119], v[116:117], v[112:113] op_sel:[1,1] op_sel_hi:[0,1]
	s_delay_alu instid0(VALU_DEP_1) | instskip(SKIP_1) | instid1(VALU_DEP_2)
	v_pk_fma_f32 v[120:121], v[116:117], v[112:113], v[118:119] op_sel_hi:[1,0,1]
	v_pk_fma_f32 v[112:113], v[116:117], v[112:113], v[118:119] neg_lo:[0,0,1] neg_hi:[0,0,1]
	v_mov_b32_e32 v113, v121
	s_cbranch_execz .LBB117_984
	s_branch .LBB117_985
.LBB117_983:
                                        ; implicit-def: $vgpr112_vgpr113
.LBB117_984:
	ds_load_b64 v[112:113], v1
.LBB117_985:
	s_mov_b32 s2, exec_lo
	v_cmpx_ne_u32_e32 45, v0
	s_cbranch_execz .LBB117_989
; %bb.986:
	v_add_nc_u32_e32 v115, 0x1b8, v58
	v_add3_u32 v116, 0, v58, 8
	v_mov_b32_e32 v117, v0
	s_mov_b32 s3, 0
.LBB117_987:                            ; =>This Inner Loop Header: Depth=1
	scratch_load_b64 v[118:119], v116, off
	ds_load_b64 v[120:121], v115
	s_wait_xcnt 0x0
	v_dual_add_nc_u32 v115, 8, v115 :: v_dual_add_nc_u32 v116, 8, v116
	s_wait_loadcnt_dscnt 0x0
	v_pk_mul_f32 v[122:123], v[120:121], v[118:119] op_sel:[1,1] op_sel_hi:[0,1]
	s_delay_alu instid0(VALU_DEP_1) | instskip(SKIP_2) | instid1(VALU_DEP_3)
	v_pk_fma_f32 v[124:125], v[120:121], v[118:119], v[122:123] op_sel_hi:[1,0,1]
	v_add_nc_u32_e32 v117, 1, v117
	v_pk_fma_f32 v[118:119], v[120:121], v[118:119], v[122:123] neg_lo:[0,0,1] neg_hi:[0,0,1]
	v_mov_b32_e32 v119, v125
	s_delay_alu instid0(VALU_DEP_3) | instskip(NEXT) | instid1(VALU_DEP_2)
	v_cmp_lt_u32_e32 vcc_lo, 44, v117
	v_pk_add_f32 v[112:113], v[112:113], v[118:119]
	s_or_b32 s3, vcc_lo, s3
	s_delay_alu instid0(SALU_CYCLE_1)
	s_and_not1_b32 exec_lo, exec_lo, s3
	s_cbranch_execnz .LBB117_987
; %bb.988:
	s_or_b32 exec_lo, exec_lo, s3
.LBB117_989:
	s_delay_alu instid0(SALU_CYCLE_1) | instskip(SKIP_4) | instid1(VALU_DEP_1)
	s_or_b32 exec_lo, exec_lo, s2
	v_mov_b32_e32 v115, 0
	ds_load_b64 v[116:117], v115 offset:368
	s_wait_dscnt 0x0
	v_pk_mul_f32 v[118:119], v[112:113], v[116:117] op_sel:[1,1] op_sel_hi:[0,1]
	v_pk_fma_f32 v[120:121], v[112:113], v[116:117], v[118:119] op_sel_hi:[1,0,1]
	v_pk_fma_f32 v[112:113], v[112:113], v[116:117], v[118:119] neg_lo:[0,0,1] neg_hi:[0,0,1]
	s_delay_alu instid0(VALU_DEP_2)
	v_mov_b32_e32 v113, v121
	scratch_store_b64 off, v[112:113], off offset:368
.LBB117_990:
	s_wait_xcnt 0x0
	s_or_b32 exec_lo, exec_lo, s0
	scratch_load_b64 v[112:113], off, off offset:376
	s_mov_b32 s0, exec_lo
	s_wait_loadcnt 0x0
	ds_store_b64 v1, v[112:113]
	s_wait_storecnt_dscnt 0x0
	s_barrier_signal -1
	s_barrier_wait -1
	s_wait_xcnt 0x0
	v_cmpx_gt_u32_e32 47, v0
	s_cbranch_execz .LBB117_1000
; %bb.991:
	v_cmp_ne_u32_e32 vcc_lo, 1, v114
	s_cbranch_vccnz .LBB117_993
; %bb.992:
	scratch_load_b64 v[112:113], v59, off
	ds_load_b64 v[116:117], v1
	s_wait_loadcnt_dscnt 0x0
	v_pk_mul_f32 v[118:119], v[116:117], v[112:113] op_sel:[1,1] op_sel_hi:[0,1]
	s_delay_alu instid0(VALU_DEP_1) | instskip(SKIP_1) | instid1(VALU_DEP_2)
	v_pk_fma_f32 v[120:121], v[116:117], v[112:113], v[118:119] op_sel_hi:[1,0,1]
	v_pk_fma_f32 v[112:113], v[116:117], v[112:113], v[118:119] neg_lo:[0,0,1] neg_hi:[0,0,1]
	v_mov_b32_e32 v113, v121
	s_cbranch_execz .LBB117_994
	s_branch .LBB117_995
.LBB117_993:
                                        ; implicit-def: $vgpr112_vgpr113
.LBB117_994:
	ds_load_b64 v[112:113], v1
.LBB117_995:
	s_mov_b32 s2, exec_lo
	v_cmpx_ne_u32_e32 46, v0
	s_cbranch_execz .LBB117_999
; %bb.996:
	v_add_nc_u32_e32 v115, 0x1b8, v58
	v_add3_u32 v116, 0, v58, 8
	v_mov_b32_e32 v117, v0
	s_mov_b32 s3, 0
.LBB117_997:                            ; =>This Inner Loop Header: Depth=1
	scratch_load_b64 v[118:119], v116, off
	ds_load_b64 v[120:121], v115
	s_wait_xcnt 0x0
	v_dual_add_nc_u32 v115, 8, v115 :: v_dual_add_nc_u32 v116, 8, v116
	s_wait_loadcnt_dscnt 0x0
	v_pk_mul_f32 v[122:123], v[120:121], v[118:119] op_sel:[1,1] op_sel_hi:[0,1]
	s_delay_alu instid0(VALU_DEP_1) | instskip(SKIP_2) | instid1(VALU_DEP_3)
	v_pk_fma_f32 v[124:125], v[120:121], v[118:119], v[122:123] op_sel_hi:[1,0,1]
	v_add_nc_u32_e32 v117, 1, v117
	v_pk_fma_f32 v[118:119], v[120:121], v[118:119], v[122:123] neg_lo:[0,0,1] neg_hi:[0,0,1]
	v_mov_b32_e32 v119, v125
	s_delay_alu instid0(VALU_DEP_3) | instskip(NEXT) | instid1(VALU_DEP_2)
	v_cmp_lt_u32_e32 vcc_lo, 45, v117
	v_pk_add_f32 v[112:113], v[112:113], v[118:119]
	s_or_b32 s3, vcc_lo, s3
	s_delay_alu instid0(SALU_CYCLE_1)
	s_and_not1_b32 exec_lo, exec_lo, s3
	s_cbranch_execnz .LBB117_997
; %bb.998:
	s_or_b32 exec_lo, exec_lo, s3
.LBB117_999:
	s_delay_alu instid0(SALU_CYCLE_1) | instskip(SKIP_4) | instid1(VALU_DEP_1)
	s_or_b32 exec_lo, exec_lo, s2
	v_mov_b32_e32 v115, 0
	ds_load_b64 v[116:117], v115 offset:376
	s_wait_dscnt 0x0
	v_pk_mul_f32 v[118:119], v[112:113], v[116:117] op_sel:[1,1] op_sel_hi:[0,1]
	v_pk_fma_f32 v[120:121], v[112:113], v[116:117], v[118:119] op_sel_hi:[1,0,1]
	v_pk_fma_f32 v[112:113], v[112:113], v[116:117], v[118:119] neg_lo:[0,0,1] neg_hi:[0,0,1]
	s_delay_alu instid0(VALU_DEP_2)
	v_mov_b32_e32 v113, v121
	scratch_store_b64 off, v[112:113], off offset:376
.LBB117_1000:
	s_wait_xcnt 0x0
	s_or_b32 exec_lo, exec_lo, s0
	scratch_load_b64 v[112:113], off, off offset:384
	s_mov_b32 s0, exec_lo
	s_wait_loadcnt 0x0
	ds_store_b64 v1, v[112:113]
	s_wait_storecnt_dscnt 0x0
	s_barrier_signal -1
	s_barrier_wait -1
	s_wait_xcnt 0x0
	v_cmpx_gt_u32_e32 48, v0
	s_cbranch_execz .LBB117_1010
; %bb.1001:
	v_cmp_ne_u32_e32 vcc_lo, 1, v114
	s_cbranch_vccnz .LBB117_1003
; %bb.1002:
	scratch_load_b64 v[112:113], v59, off
	ds_load_b64 v[116:117], v1
	s_wait_loadcnt_dscnt 0x0
	v_pk_mul_f32 v[118:119], v[116:117], v[112:113] op_sel:[1,1] op_sel_hi:[0,1]
	s_delay_alu instid0(VALU_DEP_1) | instskip(SKIP_1) | instid1(VALU_DEP_2)
	v_pk_fma_f32 v[120:121], v[116:117], v[112:113], v[118:119] op_sel_hi:[1,0,1]
	v_pk_fma_f32 v[112:113], v[116:117], v[112:113], v[118:119] neg_lo:[0,0,1] neg_hi:[0,0,1]
	v_mov_b32_e32 v113, v121
	s_cbranch_execz .LBB117_1004
	s_branch .LBB117_1005
.LBB117_1003:
                                        ; implicit-def: $vgpr112_vgpr113
.LBB117_1004:
	ds_load_b64 v[112:113], v1
.LBB117_1005:
	s_mov_b32 s2, exec_lo
	v_cmpx_ne_u32_e32 47, v0
	s_cbranch_execz .LBB117_1009
; %bb.1006:
	v_add_nc_u32_e32 v115, 0x1b8, v58
	v_add3_u32 v116, 0, v58, 8
	v_mov_b32_e32 v117, v0
	s_mov_b32 s3, 0
.LBB117_1007:                           ; =>This Inner Loop Header: Depth=1
	scratch_load_b64 v[118:119], v116, off
	ds_load_b64 v[120:121], v115
	s_wait_xcnt 0x0
	v_dual_add_nc_u32 v115, 8, v115 :: v_dual_add_nc_u32 v116, 8, v116
	s_wait_loadcnt_dscnt 0x0
	v_pk_mul_f32 v[122:123], v[120:121], v[118:119] op_sel:[1,1] op_sel_hi:[0,1]
	s_delay_alu instid0(VALU_DEP_1) | instskip(SKIP_2) | instid1(VALU_DEP_3)
	v_pk_fma_f32 v[124:125], v[120:121], v[118:119], v[122:123] op_sel_hi:[1,0,1]
	v_add_nc_u32_e32 v117, 1, v117
	v_pk_fma_f32 v[118:119], v[120:121], v[118:119], v[122:123] neg_lo:[0,0,1] neg_hi:[0,0,1]
	v_mov_b32_e32 v119, v125
	s_delay_alu instid0(VALU_DEP_3) | instskip(NEXT) | instid1(VALU_DEP_2)
	v_cmp_lt_u32_e32 vcc_lo, 46, v117
	v_pk_add_f32 v[112:113], v[112:113], v[118:119]
	s_or_b32 s3, vcc_lo, s3
	s_delay_alu instid0(SALU_CYCLE_1)
	s_and_not1_b32 exec_lo, exec_lo, s3
	s_cbranch_execnz .LBB117_1007
; %bb.1008:
	s_or_b32 exec_lo, exec_lo, s3
.LBB117_1009:
	s_delay_alu instid0(SALU_CYCLE_1) | instskip(SKIP_4) | instid1(VALU_DEP_1)
	s_or_b32 exec_lo, exec_lo, s2
	v_mov_b32_e32 v115, 0
	ds_load_b64 v[116:117], v115 offset:384
	s_wait_dscnt 0x0
	v_pk_mul_f32 v[118:119], v[112:113], v[116:117] op_sel:[1,1] op_sel_hi:[0,1]
	v_pk_fma_f32 v[120:121], v[112:113], v[116:117], v[118:119] op_sel_hi:[1,0,1]
	v_pk_fma_f32 v[112:113], v[112:113], v[116:117], v[118:119] neg_lo:[0,0,1] neg_hi:[0,0,1]
	s_delay_alu instid0(VALU_DEP_2)
	v_mov_b32_e32 v113, v121
	scratch_store_b64 off, v[112:113], off offset:384
.LBB117_1010:
	s_wait_xcnt 0x0
	s_or_b32 exec_lo, exec_lo, s0
	scratch_load_b64 v[112:113], off, off offset:392
	s_mov_b32 s0, exec_lo
	s_wait_loadcnt 0x0
	ds_store_b64 v1, v[112:113]
	s_wait_storecnt_dscnt 0x0
	s_barrier_signal -1
	s_barrier_wait -1
	s_wait_xcnt 0x0
	v_cmpx_gt_u32_e32 49, v0
	s_cbranch_execz .LBB117_1020
; %bb.1011:
	v_cmp_ne_u32_e32 vcc_lo, 1, v114
	s_cbranch_vccnz .LBB117_1013
; %bb.1012:
	scratch_load_b64 v[112:113], v59, off
	ds_load_b64 v[116:117], v1
	s_wait_loadcnt_dscnt 0x0
	v_pk_mul_f32 v[118:119], v[116:117], v[112:113] op_sel:[1,1] op_sel_hi:[0,1]
	s_delay_alu instid0(VALU_DEP_1) | instskip(SKIP_1) | instid1(VALU_DEP_2)
	v_pk_fma_f32 v[120:121], v[116:117], v[112:113], v[118:119] op_sel_hi:[1,0,1]
	v_pk_fma_f32 v[112:113], v[116:117], v[112:113], v[118:119] neg_lo:[0,0,1] neg_hi:[0,0,1]
	v_mov_b32_e32 v113, v121
	s_cbranch_execz .LBB117_1014
	s_branch .LBB117_1015
.LBB117_1013:
                                        ; implicit-def: $vgpr112_vgpr113
.LBB117_1014:
	ds_load_b64 v[112:113], v1
.LBB117_1015:
	s_mov_b32 s2, exec_lo
	v_cmpx_ne_u32_e32 48, v0
	s_cbranch_execz .LBB117_1019
; %bb.1016:
	v_add_nc_u32_e32 v115, 0x1b8, v58
	v_add3_u32 v116, 0, v58, 8
	v_mov_b32_e32 v117, v0
	s_mov_b32 s3, 0
.LBB117_1017:                           ; =>This Inner Loop Header: Depth=1
	scratch_load_b64 v[118:119], v116, off
	ds_load_b64 v[120:121], v115
	s_wait_xcnt 0x0
	v_dual_add_nc_u32 v115, 8, v115 :: v_dual_add_nc_u32 v116, 8, v116
	s_wait_loadcnt_dscnt 0x0
	v_pk_mul_f32 v[122:123], v[120:121], v[118:119] op_sel:[1,1] op_sel_hi:[0,1]
	s_delay_alu instid0(VALU_DEP_1) | instskip(SKIP_2) | instid1(VALU_DEP_3)
	v_pk_fma_f32 v[124:125], v[120:121], v[118:119], v[122:123] op_sel_hi:[1,0,1]
	v_add_nc_u32_e32 v117, 1, v117
	v_pk_fma_f32 v[118:119], v[120:121], v[118:119], v[122:123] neg_lo:[0,0,1] neg_hi:[0,0,1]
	v_mov_b32_e32 v119, v125
	s_delay_alu instid0(VALU_DEP_3) | instskip(NEXT) | instid1(VALU_DEP_2)
	v_cmp_lt_u32_e32 vcc_lo, 47, v117
	v_pk_add_f32 v[112:113], v[112:113], v[118:119]
	s_or_b32 s3, vcc_lo, s3
	s_delay_alu instid0(SALU_CYCLE_1)
	s_and_not1_b32 exec_lo, exec_lo, s3
	s_cbranch_execnz .LBB117_1017
; %bb.1018:
	s_or_b32 exec_lo, exec_lo, s3
.LBB117_1019:
	s_delay_alu instid0(SALU_CYCLE_1) | instskip(SKIP_4) | instid1(VALU_DEP_1)
	s_or_b32 exec_lo, exec_lo, s2
	v_mov_b32_e32 v115, 0
	ds_load_b64 v[116:117], v115 offset:392
	s_wait_dscnt 0x0
	v_pk_mul_f32 v[118:119], v[112:113], v[116:117] op_sel:[1,1] op_sel_hi:[0,1]
	v_pk_fma_f32 v[120:121], v[112:113], v[116:117], v[118:119] op_sel_hi:[1,0,1]
	v_pk_fma_f32 v[112:113], v[112:113], v[116:117], v[118:119] neg_lo:[0,0,1] neg_hi:[0,0,1]
	s_delay_alu instid0(VALU_DEP_2)
	v_mov_b32_e32 v113, v121
	scratch_store_b64 off, v[112:113], off offset:392
.LBB117_1020:
	s_wait_xcnt 0x0
	s_or_b32 exec_lo, exec_lo, s0
	scratch_load_b64 v[112:113], off, off offset:400
	s_mov_b32 s0, exec_lo
	s_wait_loadcnt 0x0
	ds_store_b64 v1, v[112:113]
	s_wait_storecnt_dscnt 0x0
	s_barrier_signal -1
	s_barrier_wait -1
	s_wait_xcnt 0x0
	v_cmpx_gt_u32_e32 50, v0
	s_cbranch_execz .LBB117_1030
; %bb.1021:
	v_cmp_ne_u32_e32 vcc_lo, 1, v114
	s_cbranch_vccnz .LBB117_1023
; %bb.1022:
	scratch_load_b64 v[112:113], v59, off
	ds_load_b64 v[116:117], v1
	s_wait_loadcnt_dscnt 0x0
	v_pk_mul_f32 v[118:119], v[116:117], v[112:113] op_sel:[1,1] op_sel_hi:[0,1]
	s_delay_alu instid0(VALU_DEP_1) | instskip(SKIP_1) | instid1(VALU_DEP_2)
	v_pk_fma_f32 v[120:121], v[116:117], v[112:113], v[118:119] op_sel_hi:[1,0,1]
	v_pk_fma_f32 v[112:113], v[116:117], v[112:113], v[118:119] neg_lo:[0,0,1] neg_hi:[0,0,1]
	v_mov_b32_e32 v113, v121
	s_cbranch_execz .LBB117_1024
	s_branch .LBB117_1025
.LBB117_1023:
                                        ; implicit-def: $vgpr112_vgpr113
.LBB117_1024:
	ds_load_b64 v[112:113], v1
.LBB117_1025:
	s_mov_b32 s2, exec_lo
	v_cmpx_ne_u32_e32 49, v0
	s_cbranch_execz .LBB117_1029
; %bb.1026:
	v_add_nc_u32_e32 v115, 0x1b8, v58
	v_add3_u32 v116, 0, v58, 8
	v_mov_b32_e32 v117, v0
	s_mov_b32 s3, 0
.LBB117_1027:                           ; =>This Inner Loop Header: Depth=1
	scratch_load_b64 v[118:119], v116, off
	ds_load_b64 v[120:121], v115
	s_wait_xcnt 0x0
	v_dual_add_nc_u32 v115, 8, v115 :: v_dual_add_nc_u32 v116, 8, v116
	s_wait_loadcnt_dscnt 0x0
	v_pk_mul_f32 v[122:123], v[120:121], v[118:119] op_sel:[1,1] op_sel_hi:[0,1]
	s_delay_alu instid0(VALU_DEP_1) | instskip(SKIP_2) | instid1(VALU_DEP_3)
	v_pk_fma_f32 v[124:125], v[120:121], v[118:119], v[122:123] op_sel_hi:[1,0,1]
	v_add_nc_u32_e32 v117, 1, v117
	v_pk_fma_f32 v[118:119], v[120:121], v[118:119], v[122:123] neg_lo:[0,0,1] neg_hi:[0,0,1]
	v_mov_b32_e32 v119, v125
	s_delay_alu instid0(VALU_DEP_3) | instskip(NEXT) | instid1(VALU_DEP_2)
	v_cmp_lt_u32_e32 vcc_lo, 48, v117
	v_pk_add_f32 v[112:113], v[112:113], v[118:119]
	s_or_b32 s3, vcc_lo, s3
	s_delay_alu instid0(SALU_CYCLE_1)
	s_and_not1_b32 exec_lo, exec_lo, s3
	s_cbranch_execnz .LBB117_1027
; %bb.1028:
	s_or_b32 exec_lo, exec_lo, s3
.LBB117_1029:
	s_delay_alu instid0(SALU_CYCLE_1) | instskip(SKIP_4) | instid1(VALU_DEP_1)
	s_or_b32 exec_lo, exec_lo, s2
	v_mov_b32_e32 v115, 0
	ds_load_b64 v[116:117], v115 offset:400
	s_wait_dscnt 0x0
	v_pk_mul_f32 v[118:119], v[112:113], v[116:117] op_sel:[1,1] op_sel_hi:[0,1]
	v_pk_fma_f32 v[120:121], v[112:113], v[116:117], v[118:119] op_sel_hi:[1,0,1]
	v_pk_fma_f32 v[112:113], v[112:113], v[116:117], v[118:119] neg_lo:[0,0,1] neg_hi:[0,0,1]
	s_delay_alu instid0(VALU_DEP_2)
	v_mov_b32_e32 v113, v121
	scratch_store_b64 off, v[112:113], off offset:400
.LBB117_1030:
	s_wait_xcnt 0x0
	s_or_b32 exec_lo, exec_lo, s0
	scratch_load_b64 v[112:113], off, off offset:408
	s_mov_b32 s0, exec_lo
	s_wait_loadcnt 0x0
	ds_store_b64 v1, v[112:113]
	s_wait_storecnt_dscnt 0x0
	s_barrier_signal -1
	s_barrier_wait -1
	s_wait_xcnt 0x0
	v_cmpx_gt_u32_e32 51, v0
	s_cbranch_execz .LBB117_1040
; %bb.1031:
	v_cmp_ne_u32_e32 vcc_lo, 1, v114
	s_cbranch_vccnz .LBB117_1033
; %bb.1032:
	scratch_load_b64 v[112:113], v59, off
	ds_load_b64 v[116:117], v1
	s_wait_loadcnt_dscnt 0x0
	v_pk_mul_f32 v[118:119], v[116:117], v[112:113] op_sel:[1,1] op_sel_hi:[0,1]
	s_delay_alu instid0(VALU_DEP_1) | instskip(SKIP_1) | instid1(VALU_DEP_2)
	v_pk_fma_f32 v[120:121], v[116:117], v[112:113], v[118:119] op_sel_hi:[1,0,1]
	v_pk_fma_f32 v[112:113], v[116:117], v[112:113], v[118:119] neg_lo:[0,0,1] neg_hi:[0,0,1]
	v_mov_b32_e32 v113, v121
	s_cbranch_execz .LBB117_1034
	s_branch .LBB117_1035
.LBB117_1033:
                                        ; implicit-def: $vgpr112_vgpr113
.LBB117_1034:
	ds_load_b64 v[112:113], v1
.LBB117_1035:
	s_mov_b32 s2, exec_lo
	v_cmpx_ne_u32_e32 50, v0
	s_cbranch_execz .LBB117_1039
; %bb.1036:
	v_add_nc_u32_e32 v115, 0x1b8, v58
	v_add3_u32 v116, 0, v58, 8
	v_mov_b32_e32 v117, v0
	s_mov_b32 s3, 0
.LBB117_1037:                           ; =>This Inner Loop Header: Depth=1
	scratch_load_b64 v[118:119], v116, off
	ds_load_b64 v[120:121], v115
	s_wait_xcnt 0x0
	v_dual_add_nc_u32 v115, 8, v115 :: v_dual_add_nc_u32 v116, 8, v116
	s_wait_loadcnt_dscnt 0x0
	v_pk_mul_f32 v[122:123], v[120:121], v[118:119] op_sel:[1,1] op_sel_hi:[0,1]
	s_delay_alu instid0(VALU_DEP_1) | instskip(SKIP_2) | instid1(VALU_DEP_3)
	v_pk_fma_f32 v[124:125], v[120:121], v[118:119], v[122:123] op_sel_hi:[1,0,1]
	v_add_nc_u32_e32 v117, 1, v117
	v_pk_fma_f32 v[118:119], v[120:121], v[118:119], v[122:123] neg_lo:[0,0,1] neg_hi:[0,0,1]
	v_mov_b32_e32 v119, v125
	s_delay_alu instid0(VALU_DEP_3) | instskip(NEXT) | instid1(VALU_DEP_2)
	v_cmp_lt_u32_e32 vcc_lo, 49, v117
	v_pk_add_f32 v[112:113], v[112:113], v[118:119]
	s_or_b32 s3, vcc_lo, s3
	s_delay_alu instid0(SALU_CYCLE_1)
	s_and_not1_b32 exec_lo, exec_lo, s3
	s_cbranch_execnz .LBB117_1037
; %bb.1038:
	s_or_b32 exec_lo, exec_lo, s3
.LBB117_1039:
	s_delay_alu instid0(SALU_CYCLE_1) | instskip(SKIP_4) | instid1(VALU_DEP_1)
	s_or_b32 exec_lo, exec_lo, s2
	v_mov_b32_e32 v115, 0
	ds_load_b64 v[116:117], v115 offset:408
	s_wait_dscnt 0x0
	v_pk_mul_f32 v[118:119], v[112:113], v[116:117] op_sel:[1,1] op_sel_hi:[0,1]
	v_pk_fma_f32 v[120:121], v[112:113], v[116:117], v[118:119] op_sel_hi:[1,0,1]
	v_pk_fma_f32 v[112:113], v[112:113], v[116:117], v[118:119] neg_lo:[0,0,1] neg_hi:[0,0,1]
	s_delay_alu instid0(VALU_DEP_2)
	v_mov_b32_e32 v113, v121
	scratch_store_b64 off, v[112:113], off offset:408
.LBB117_1040:
	s_wait_xcnt 0x0
	s_or_b32 exec_lo, exec_lo, s0
	scratch_load_b64 v[112:113], off, off offset:416
	v_cmp_gt_u32_e64 s0, 52, v0
	s_wait_loadcnt 0x0
	ds_store_b64 v1, v[112:113]
	s_wait_storecnt_dscnt 0x0
	s_barrier_signal -1
	s_barrier_wait -1
	s_wait_xcnt 0x0
	s_and_saveexec_b32 s2, s0
	s_cbranch_execz .LBB117_1050
; %bb.1041:
	v_cmp_ne_u32_e32 vcc_lo, 1, v114
	s_cbranch_vccnz .LBB117_1043
; %bb.1042:
	scratch_load_b64 v[112:113], v59, off
	ds_load_b64 v[116:117], v1
	s_wait_loadcnt_dscnt 0x0
	v_pk_mul_f32 v[118:119], v[116:117], v[112:113] op_sel:[1,1] op_sel_hi:[0,1]
	s_delay_alu instid0(VALU_DEP_1) | instskip(SKIP_1) | instid1(VALU_DEP_2)
	v_pk_fma_f32 v[120:121], v[116:117], v[112:113], v[118:119] op_sel_hi:[1,0,1]
	v_pk_fma_f32 v[112:113], v[116:117], v[112:113], v[118:119] neg_lo:[0,0,1] neg_hi:[0,0,1]
	v_mov_b32_e32 v113, v121
	s_cbranch_execz .LBB117_1044
	s_branch .LBB117_1045
.LBB117_1043:
                                        ; implicit-def: $vgpr112_vgpr113
.LBB117_1044:
	ds_load_b64 v[112:113], v1
.LBB117_1045:
	s_mov_b32 s3, exec_lo
	v_cmpx_ne_u32_e32 51, v0
	s_cbranch_execz .LBB117_1049
; %bb.1046:
	v_add_nc_u32_e32 v115, 0x1b8, v58
	v_add3_u32 v116, 0, v58, 8
	v_mov_b32_e32 v117, v0
	s_mov_b32 s4, 0
.LBB117_1047:                           ; =>This Inner Loop Header: Depth=1
	scratch_load_b64 v[118:119], v116, off
	ds_load_b64 v[120:121], v115
	s_wait_xcnt 0x0
	v_dual_add_nc_u32 v115, 8, v115 :: v_dual_add_nc_u32 v116, 8, v116
	s_wait_loadcnt_dscnt 0x0
	v_pk_mul_f32 v[122:123], v[120:121], v[118:119] op_sel:[1,1] op_sel_hi:[0,1]
	s_delay_alu instid0(VALU_DEP_1) | instskip(SKIP_2) | instid1(VALU_DEP_3)
	v_pk_fma_f32 v[124:125], v[120:121], v[118:119], v[122:123] op_sel_hi:[1,0,1]
	v_add_nc_u32_e32 v117, 1, v117
	v_pk_fma_f32 v[118:119], v[120:121], v[118:119], v[122:123] neg_lo:[0,0,1] neg_hi:[0,0,1]
	v_mov_b32_e32 v119, v125
	s_delay_alu instid0(VALU_DEP_3) | instskip(NEXT) | instid1(VALU_DEP_2)
	v_cmp_lt_u32_e32 vcc_lo, 50, v117
	v_pk_add_f32 v[112:113], v[112:113], v[118:119]
	s_or_b32 s4, vcc_lo, s4
	s_delay_alu instid0(SALU_CYCLE_1)
	s_and_not1_b32 exec_lo, exec_lo, s4
	s_cbranch_execnz .LBB117_1047
; %bb.1048:
	s_or_b32 exec_lo, exec_lo, s4
.LBB117_1049:
	s_delay_alu instid0(SALU_CYCLE_1) | instskip(SKIP_4) | instid1(VALU_DEP_1)
	s_or_b32 exec_lo, exec_lo, s3
	v_mov_b32_e32 v115, 0
	ds_load_b64 v[116:117], v115 offset:416
	s_wait_dscnt 0x0
	v_pk_mul_f32 v[118:119], v[112:113], v[116:117] op_sel:[1,1] op_sel_hi:[0,1]
	v_pk_fma_f32 v[120:121], v[112:113], v[116:117], v[118:119] op_sel_hi:[1,0,1]
	v_pk_fma_f32 v[112:113], v[112:113], v[116:117], v[118:119] neg_lo:[0,0,1] neg_hi:[0,0,1]
	s_delay_alu instid0(VALU_DEP_2)
	v_mov_b32_e32 v113, v121
	scratch_store_b64 off, v[112:113], off offset:416
.LBB117_1050:
	s_wait_xcnt 0x0
	s_or_b32 exec_lo, exec_lo, s2
	scratch_load_b64 v[112:113], off, off offset:424
	s_mov_b32 s2, exec_lo
                                        ; implicit-def: $vgpr160
                                        ; implicit-def: $sgpr5
	s_wait_loadcnt 0x0
	ds_store_b64 v1, v[112:113]
	s_wait_storecnt_dscnt 0x0
	s_barrier_signal -1
	s_barrier_wait -1
	s_wait_xcnt 0x0
	v_cmpx_ne_u32_e32 53, v0
	s_cbranch_execz .LBB117_1060
; %bb.1051:
	v_cmp_ne_u32_e32 vcc_lo, 1, v114
	s_cbranch_vccnz .LBB117_1053
; %bb.1052:
	scratch_load_b64 v[114:115], v59, off
	ds_load_b64 v[116:117], v1
	s_wait_loadcnt_dscnt 0x0
	v_dual_mul_f32 v59, v117, v115 :: v_dual_mul_f32 v113, v116, v115
	s_delay_alu instid0(VALU_DEP_1)
	v_dual_fma_f32 v112, v116, v114, -v59 :: v_dual_fmac_f32 v113, v117, v114
	s_cbranch_execz .LBB117_1054
	s_branch .LBB117_1055
.LBB117_1053:
                                        ; implicit-def: $vgpr113
.LBB117_1054:
	ds_load_b64 v[112:113], v1
.LBB117_1055:
	s_and_saveexec_b32 s3, s0
	s_cbranch_execz .LBB117_1059
; %bb.1056:
	v_add_nc_u32_e32 v1, 0x1b8, v58
	v_add3_u32 v58, 0, v58, 8
	s_mov_b32 s0, 0
.LBB117_1057:                           ; =>This Inner Loop Header: Depth=1
	scratch_load_b64 v[114:115], v58, off
	ds_load_b64 v[116:117], v1
	s_wait_loadcnt_dscnt 0x0
	v_dual_add_nc_u32 v1, 8, v1 :: v_dual_mul_f32 v59, v117, v115
	v_dual_mul_f32 v115, v116, v115 :: v_dual_add_nc_u32 v0, 1, v0
	s_delay_alu instid0(VALU_DEP_2) | instskip(NEXT) | instid1(VALU_DEP_2)
	v_fma_f32 v59, v116, v114, -v59
	v_fmac_f32_e32 v115, v117, v114
	s_delay_alu instid0(VALU_DEP_3) | instskip(NEXT) | instid1(VALU_DEP_3)
	v_cmp_lt_u32_e32 vcc_lo, 51, v0
	v_dual_add_nc_u32 v58, 8, v58 :: v_dual_add_f32 v112, v112, v59
	s_delay_alu instid0(VALU_DEP_3) | instskip(SKIP_1) | instid1(SALU_CYCLE_1)
	v_add_f32_e32 v113, v113, v115
	s_or_b32 s0, vcc_lo, s0
	s_and_not1_b32 exec_lo, exec_lo, s0
	s_cbranch_execnz .LBB117_1057
; %bb.1058:
	s_or_b32 exec_lo, exec_lo, s0
.LBB117_1059:
	s_delay_alu instid0(SALU_CYCLE_1)
	s_or_b32 exec_lo, exec_lo, s3
	v_mov_b32_e32 v0, 0
	s_movk_i32 s5, 0x1ac
	s_or_b32 s1, s1, exec_lo
	ds_load_b64 v[0:1], v0 offset:424
	s_wait_dscnt 0x0
	v_dual_mul_f32 v58, v113, v1 :: v_dual_mul_f32 v160, v112, v1
	s_delay_alu instid0(VALU_DEP_1)
	v_dual_fma_f32 v1, v112, v0, -v58 :: v_dual_fmac_f32 v160, v113, v0
	scratch_store_b32 off, v1, off offset:424
.LBB117_1060:
	s_wait_xcnt 0x0
	s_or_b32 exec_lo, exec_lo, s2
.LBB117_1061:
	v_lshl_add_u64 v[158:159], v[6:7], 3, s[6:7]
	v_lshl_add_u64 v[156:157], v[8:9], 3, s[6:7]
	;; [unrolled: 1-line block ×52, first 2 shown]
	s_and_saveexec_b32 s0, s1
	s_cbranch_execz .LBB117_1063
; %bb.1062:
	scratch_store_b32 off, v160, s5
.LBB117_1063:
	s_wait_xcnt 0x0
	s_or_b32 exec_lo, exec_lo, s0
	scratch_load_b64 v[60:61], off, off
	s_wait_loadcnt 0x0
	flat_store_b64 v[2:3], v[60:61]
	scratch_load_b64 v[2:3], off, off offset:8
	s_wait_loadcnt 0x0
	flat_store_b64 v[4:5], v[2:3]
	scratch_load_b64 v[2:3], off, off offset:16
	;; [unrolled: 3-line block ×53, first 2 shown]
	s_wait_loadcnt 0x0
	flat_store_b64 v[0:1], v[2:3]
.LBB117_1064:
	s_sendmsg sendmsg(MSG_DEALLOC_VGPRS)
	s_endpgm
	.section	.rodata,"a",@progbits
	.p2align	6, 0x0
	.amdhsa_kernel _ZN9rocsolver6v33100L18trti2_kernel_smallILi54E19rocblas_complex_numIfEPKPS3_EEv13rocblas_fill_17rocblas_diagonal_T1_iil
		.amdhsa_group_segment_fixed_size 864
		.amdhsa_private_segment_fixed_size 448
		.amdhsa_kernarg_size 32
		.amdhsa_user_sgpr_count 2
		.amdhsa_user_sgpr_dispatch_ptr 0
		.amdhsa_user_sgpr_queue_ptr 0
		.amdhsa_user_sgpr_kernarg_segment_ptr 1
		.amdhsa_user_sgpr_dispatch_id 0
		.amdhsa_user_sgpr_kernarg_preload_length 0
		.amdhsa_user_sgpr_kernarg_preload_offset 0
		.amdhsa_user_sgpr_private_segment_size 0
		.amdhsa_wavefront_size32 1
		.amdhsa_uses_dynamic_stack 0
		.amdhsa_enable_private_segment 1
		.amdhsa_system_sgpr_workgroup_id_x 1
		.amdhsa_system_sgpr_workgroup_id_y 0
		.amdhsa_system_sgpr_workgroup_id_z 0
		.amdhsa_system_sgpr_workgroup_info 0
		.amdhsa_system_vgpr_workitem_id 0
		.amdhsa_next_free_vgpr 161
		.amdhsa_next_free_sgpr 60
		.amdhsa_named_barrier_count 0
		.amdhsa_reserve_vcc 1
		.amdhsa_float_round_mode_32 0
		.amdhsa_float_round_mode_16_64 0
		.amdhsa_float_denorm_mode_32 3
		.amdhsa_float_denorm_mode_16_64 3
		.amdhsa_fp16_overflow 0
		.amdhsa_memory_ordered 1
		.amdhsa_forward_progress 1
		.amdhsa_inst_pref_size 255
		.amdhsa_round_robin_scheduling 0
		.amdhsa_exception_fp_ieee_invalid_op 0
		.amdhsa_exception_fp_denorm_src 0
		.amdhsa_exception_fp_ieee_div_zero 0
		.amdhsa_exception_fp_ieee_overflow 0
		.amdhsa_exception_fp_ieee_underflow 0
		.amdhsa_exception_fp_ieee_inexact 0
		.amdhsa_exception_int_div_zero 0
	.end_amdhsa_kernel
	.section	.text._ZN9rocsolver6v33100L18trti2_kernel_smallILi54E19rocblas_complex_numIfEPKPS3_EEv13rocblas_fill_17rocblas_diagonal_T1_iil,"axG",@progbits,_ZN9rocsolver6v33100L18trti2_kernel_smallILi54E19rocblas_complex_numIfEPKPS3_EEv13rocblas_fill_17rocblas_diagonal_T1_iil,comdat
.Lfunc_end117:
	.size	_ZN9rocsolver6v33100L18trti2_kernel_smallILi54E19rocblas_complex_numIfEPKPS3_EEv13rocblas_fill_17rocblas_diagonal_T1_iil, .Lfunc_end117-_ZN9rocsolver6v33100L18trti2_kernel_smallILi54E19rocblas_complex_numIfEPKPS3_EEv13rocblas_fill_17rocblas_diagonal_T1_iil
                                        ; -- End function
	.set _ZN9rocsolver6v33100L18trti2_kernel_smallILi54E19rocblas_complex_numIfEPKPS3_EEv13rocblas_fill_17rocblas_diagonal_T1_iil.num_vgpr, 161
	.set _ZN9rocsolver6v33100L18trti2_kernel_smallILi54E19rocblas_complex_numIfEPKPS3_EEv13rocblas_fill_17rocblas_diagonal_T1_iil.num_agpr, 0
	.set _ZN9rocsolver6v33100L18trti2_kernel_smallILi54E19rocblas_complex_numIfEPKPS3_EEv13rocblas_fill_17rocblas_diagonal_T1_iil.numbered_sgpr, 60
	.set _ZN9rocsolver6v33100L18trti2_kernel_smallILi54E19rocblas_complex_numIfEPKPS3_EEv13rocblas_fill_17rocblas_diagonal_T1_iil.num_named_barrier, 0
	.set _ZN9rocsolver6v33100L18trti2_kernel_smallILi54E19rocblas_complex_numIfEPKPS3_EEv13rocblas_fill_17rocblas_diagonal_T1_iil.private_seg_size, 448
	.set _ZN9rocsolver6v33100L18trti2_kernel_smallILi54E19rocblas_complex_numIfEPKPS3_EEv13rocblas_fill_17rocblas_diagonal_T1_iil.uses_vcc, 1
	.set _ZN9rocsolver6v33100L18trti2_kernel_smallILi54E19rocblas_complex_numIfEPKPS3_EEv13rocblas_fill_17rocblas_diagonal_T1_iil.uses_flat_scratch, 0
	.set _ZN9rocsolver6v33100L18trti2_kernel_smallILi54E19rocblas_complex_numIfEPKPS3_EEv13rocblas_fill_17rocblas_diagonal_T1_iil.has_dyn_sized_stack, 0
	.set _ZN9rocsolver6v33100L18trti2_kernel_smallILi54E19rocblas_complex_numIfEPKPS3_EEv13rocblas_fill_17rocblas_diagonal_T1_iil.has_recursion, 0
	.set _ZN9rocsolver6v33100L18trti2_kernel_smallILi54E19rocblas_complex_numIfEPKPS3_EEv13rocblas_fill_17rocblas_diagonal_T1_iil.has_indirect_call, 0
	.section	.AMDGPU.csdata,"",@progbits
; Kernel info:
; codeLenInByte = 41728
; TotalNumSgprs: 62
; NumVgprs: 161
; ScratchSize: 448
; MemoryBound: 0
; FloatMode: 240
; IeeeMode: 1
; LDSByteSize: 864 bytes/workgroup (compile time only)
; SGPRBlocks: 0
; VGPRBlocks: 10
; NumSGPRsForWavesPerEU: 62
; NumVGPRsForWavesPerEU: 161
; NamedBarCnt: 0
; Occupancy: 5
; WaveLimiterHint : 1
; COMPUTE_PGM_RSRC2:SCRATCH_EN: 1
; COMPUTE_PGM_RSRC2:USER_SGPR: 2
; COMPUTE_PGM_RSRC2:TRAP_HANDLER: 0
; COMPUTE_PGM_RSRC2:TGID_X_EN: 1
; COMPUTE_PGM_RSRC2:TGID_Y_EN: 0
; COMPUTE_PGM_RSRC2:TGID_Z_EN: 0
; COMPUTE_PGM_RSRC2:TIDIG_COMP_CNT: 0
	.section	.text._ZN9rocsolver6v33100L18trti2_kernel_smallILi55E19rocblas_complex_numIfEPKPS3_EEv13rocblas_fill_17rocblas_diagonal_T1_iil,"axG",@progbits,_ZN9rocsolver6v33100L18trti2_kernel_smallILi55E19rocblas_complex_numIfEPKPS3_EEv13rocblas_fill_17rocblas_diagonal_T1_iil,comdat
	.globl	_ZN9rocsolver6v33100L18trti2_kernel_smallILi55E19rocblas_complex_numIfEPKPS3_EEv13rocblas_fill_17rocblas_diagonal_T1_iil ; -- Begin function _ZN9rocsolver6v33100L18trti2_kernel_smallILi55E19rocblas_complex_numIfEPKPS3_EEv13rocblas_fill_17rocblas_diagonal_T1_iil
	.p2align	8
	.type	_ZN9rocsolver6v33100L18trti2_kernel_smallILi55E19rocblas_complex_numIfEPKPS3_EEv13rocblas_fill_17rocblas_diagonal_T1_iil,@function
_ZN9rocsolver6v33100L18trti2_kernel_smallILi55E19rocblas_complex_numIfEPKPS3_EEv13rocblas_fill_17rocblas_diagonal_T1_iil: ; @_ZN9rocsolver6v33100L18trti2_kernel_smallILi55E19rocblas_complex_numIfEPKPS3_EEv13rocblas_fill_17rocblas_diagonal_T1_iil
; %bb.0:
	s_mov_b32 s2, exec_lo
	v_cmpx_gt_u32_e32 55, v0
	s_cbranch_execz .LBB118_1084
; %bb.1:
	s_clause 0x1
	s_load_b64 s[8:9], s[0:1], 0x10
	s_load_b128 s[4:7], s[0:1], 0x0
	s_wait_xcnt 0x0
	s_bfe_u32 s0, ttmp6, 0x4000c
	s_and_b32 s1, ttmp6, 15
	s_add_co_i32 s0, s0, 1
	s_getreg_b32 s2, hwreg(HW_REG_IB_STS2, 6, 4)
	s_mul_i32 s0, ttmp9, s0
	v_dual_mov_b32 v59, 0 :: v_dual_lshlrev_b32 v58, 3, v0
	s_add_co_i32 s0, s1, s0
	s_wait_kmcnt 0x0
	s_ashr_i32 s1, s8, 31
	s_cmp_eq_u32 s2, 0
	s_cselect_b32 s2, ttmp9, s0
	s_mov_b32 s0, s8
	s_ashr_i32 s3, s2, 31
	s_lshl_b64 s[0:1], s[0:1], 3
	s_lshl_b64 s[2:3], s[2:3], 3
	s_delay_alu instid0(SALU_CYCLE_1)
	s_add_nc_u64 s[2:3], s[6:7], s[2:3]
	s_load_b64 s[2:3], s[2:3], 0x0
	s_wait_kmcnt 0x0
	s_add_nc_u64 s[2:3], s[2:3], s[0:1]
	s_mov_b32 s0, s9
	flat_load_b64 v[6:7], v0, s[2:3] scale_offset
	v_add_nc_u64_e32 v[2:3], s[2:3], v[58:59]
	s_ashr_i32 s1, s9, 31
	s_cmp_lg_u32 s5, 0x84
	s_cselect_b32 s5, -1, 0
	s_delay_alu instid0(SALU_CYCLE_1) | instskip(NEXT) | instid1(VALU_DEP_1)
	s_and_b32 vcc_lo, exec_lo, s5
	v_lshl_add_u64 v[4:5], s[0:1], 3, v[2:3]
	s_mov_b32 s0, -1
	s_wait_loadcnt_dscnt 0x0
	scratch_store_b64 off, v[6:7], off
	flat_load_b64 v[8:9], v[4:5]
	s_wait_xcnt 0x1
	v_add3_u32 v6, s9, s9, v0
	s_wait_loadcnt_dscnt 0x0
	scratch_store_b64 off, v[8:9], off offset:8
	flat_load_b64 v[10:11], v6, s[2:3] scale_offset
	s_wait_xcnt 0x1
	v_add_nc_u32_e32 v8, s9, v6
	s_wait_loadcnt_dscnt 0x0
	scratch_store_b64 off, v[10:11], off offset:16
	flat_load_b64 v[12:13], v8, s[2:3] scale_offset
	s_wait_xcnt 0x1
	v_add_nc_u32_e32 v10, s9, v8
	;; [unrolled: 5-line block ×52, first 2 shown]
	s_wait_loadcnt_dscnt 0x0
	scratch_store_b64 off, v[114:115], off offset:424
	flat_load_b64 v[114:115], v112, s[2:3] scale_offset
	s_wait_loadcnt_dscnt 0x0
	scratch_store_b64 off, v[114:115], off offset:432
	s_cbranch_vccz .LBB118_7
; %bb.2:
	scratch_load_b64 v[114:115], v0, off scale_offset
                                        ; implicit-def: $vgpr119
                                        ; implicit-def: $vgpr116
	s_wait_loadcnt 0x0
	v_cmp_ngt_f32_e64 s0, |v114|, |v115|
	s_wait_xcnt 0x0
	s_and_saveexec_b32 s1, s0
	s_delay_alu instid0(SALU_CYCLE_1)
	s_xor_b32 s0, exec_lo, s1
	s_cbranch_execz .LBB118_4
; %bb.3:
	v_div_scale_f32 v1, null, v115, v115, v114
	v_div_scale_f32 v11, vcc_lo, v114, v115, v114
	s_delay_alu instid0(VALU_DEP_2) | instskip(SKIP_1) | instid1(TRANS32_DEP_1)
	v_rcp_f32_e32 v7, v1
	v_nop
	v_fma_f32 v9, -v1, v7, 1.0
	s_delay_alu instid0(VALU_DEP_1) | instskip(NEXT) | instid1(VALU_DEP_1)
	v_fmac_f32_e32 v7, v9, v7
	v_mul_f32_e32 v9, v11, v7
	s_delay_alu instid0(VALU_DEP_1) | instskip(NEXT) | instid1(VALU_DEP_1)
	v_fma_f32 v13, -v1, v9, v11
	v_fmac_f32_e32 v9, v13, v7
	s_delay_alu instid0(VALU_DEP_1) | instskip(NEXT) | instid1(VALU_DEP_1)
	v_fma_f32 v1, -v1, v9, v11
	v_div_fmas_f32 v1, v1, v7, v9
	s_delay_alu instid0(VALU_DEP_1) | instskip(NEXT) | instid1(VALU_DEP_1)
	v_div_fixup_f32 v1, v1, v115, v114
	v_fmac_f32_e32 v115, v114, v1
	s_delay_alu instid0(VALU_DEP_1) | instskip(NEXT) | instid1(VALU_DEP_1)
	v_div_scale_f32 v7, null, v115, v115, -1.0
	v_rcp_f32_e32 v9, v7
	v_nop
	s_delay_alu instid0(TRANS32_DEP_1) | instskip(NEXT) | instid1(VALU_DEP_1)
	v_fma_f32 v11, -v7, v9, 1.0
	v_fmac_f32_e32 v9, v11, v9
	v_div_scale_f32 v11, vcc_lo, -1.0, v115, -1.0
	s_delay_alu instid0(VALU_DEP_1) | instskip(NEXT) | instid1(VALU_DEP_1)
	v_mul_f32_e32 v13, v11, v9
	v_fma_f32 v15, -v7, v13, v11
	s_delay_alu instid0(VALU_DEP_1) | instskip(NEXT) | instid1(VALU_DEP_1)
	v_fmac_f32_e32 v13, v15, v9
	v_fma_f32 v7, -v7, v13, v11
	s_delay_alu instid0(VALU_DEP_1) | instskip(NEXT) | instid1(VALU_DEP_1)
	v_div_fmas_f32 v7, v7, v9, v13
	v_div_fixup_f32 v119, v7, v115, -1.0
                                        ; implicit-def: $vgpr114_vgpr115
	s_delay_alu instid0(VALU_DEP_1) | instskip(NEXT) | instid1(VALU_DEP_1)
	v_mul_f32_e32 v116, v1, v119
	v_xor_b32_e32 v118, 0x80000000, v116
.LBB118_4:
	s_or_saveexec_b32 s0, s0
	v_lshl_add_u32 v1, v0, 3, 0
	s_xor_b32 exec_lo, exec_lo, s0
	s_cbranch_execz .LBB118_6
; %bb.5:
	v_div_scale_f32 v7, null, v114, v114, v115
	v_div_scale_f32 v13, vcc_lo, v115, v114, v115
	s_delay_alu instid0(VALU_DEP_2) | instskip(SKIP_1) | instid1(TRANS32_DEP_1)
	v_rcp_f32_e32 v9, v7
	v_nop
	v_fma_f32 v11, -v7, v9, 1.0
	s_delay_alu instid0(VALU_DEP_1) | instskip(NEXT) | instid1(VALU_DEP_1)
	v_fmac_f32_e32 v9, v11, v9
	v_mul_f32_e32 v11, v13, v9
	s_delay_alu instid0(VALU_DEP_1) | instskip(NEXT) | instid1(VALU_DEP_1)
	v_fma_f32 v15, -v7, v11, v13
	v_fmac_f32_e32 v11, v15, v9
	s_delay_alu instid0(VALU_DEP_1) | instskip(NEXT) | instid1(VALU_DEP_1)
	v_fma_f32 v7, -v7, v11, v13
	v_div_fmas_f32 v7, v7, v9, v11
	s_delay_alu instid0(VALU_DEP_1) | instskip(NEXT) | instid1(VALU_DEP_1)
	v_div_fixup_f32 v7, v7, v114, v115
	v_fmac_f32_e32 v114, v115, v7
	s_delay_alu instid0(VALU_DEP_1) | instskip(SKIP_1) | instid1(VALU_DEP_2)
	v_div_scale_f32 v9, null, v114, v114, 1.0
	v_div_scale_f32 v15, vcc_lo, 1.0, v114, 1.0
	v_rcp_f32_e32 v11, v9
	v_nop
	s_delay_alu instid0(TRANS32_DEP_1) | instskip(NEXT) | instid1(VALU_DEP_1)
	v_fma_f32 v13, -v9, v11, 1.0
	v_fmac_f32_e32 v11, v13, v11
	s_delay_alu instid0(VALU_DEP_1) | instskip(NEXT) | instid1(VALU_DEP_1)
	v_mul_f32_e32 v13, v15, v11
	v_fma_f32 v17, -v9, v13, v15
	s_delay_alu instid0(VALU_DEP_1) | instskip(NEXT) | instid1(VALU_DEP_1)
	v_fmac_f32_e32 v13, v17, v11
	v_fma_f32 v9, -v9, v13, v15
	s_delay_alu instid0(VALU_DEP_1) | instskip(NEXT) | instid1(VALU_DEP_1)
	v_div_fmas_f32 v9, v9, v11, v13
	v_div_fixup_f32 v118, v9, v114, 1.0
	s_delay_alu instid0(VALU_DEP_1)
	v_xor_b32_e32 v116, 0x80000000, v118
	v_mul_f32_e64 v119, v7, -v118
.LBB118_6:
	s_or_b32 exec_lo, exec_lo, s0
	s_delay_alu instid0(VALU_DEP_1)
	v_xor_b32_e32 v117, 0x80000000, v119
	s_mov_b32 s0, 0
	scratch_store_b64 v1, v[118:119], off
	ds_store_b64 v58, v[116:117]
.LBB118_7:
	s_and_b32 vcc_lo, exec_lo, s0
	s_cbranch_vccz .LBB118_9
; %bb.8:
	s_mov_b64 s[0:1], 0xbf800000
	s_wait_xcnt 0x0
	v_mov_b64_e32 v[114:115], s[0:1]
	ds_store_b64 v58, v[114:115]
.LBB118_9:
	v_dual_ashrrev_i32 v7, 31, v6 :: v_dual_ashrrev_i32 v9, 31, v8
	v_dual_ashrrev_i32 v11, 31, v10 :: v_dual_ashrrev_i32 v13, 31, v12
	;; [unrolled: 1-line block ×26, first 2 shown]
	v_dual_ashrrev_i32 v113, 31, v112 :: v_dual_mov_b32 v59, v58
	s_wait_xcnt 0x0
	v_add_nc_u32_e32 v1, 0x1c0, v58
	s_cmp_eq_u32 s4, 0x79
	s_cbranch_scc1 .LBB118_13
; %bb.10:
	scratch_load_b64 v[114:115], off, off offset:424
	v_cmp_eq_u32_e64 s0, 54, v0
	s_movk_i32 s1, 0x48
	s_movk_i32 s14, 0x50
	;; [unrolled: 1-line block ×44, first 2 shown]
	s_wait_loadcnt 0x0
	ds_store_b64 v1, v[114:115]
	s_wait_storecnt_dscnt 0x0
	s_barrier_signal -1
	s_barrier_wait -1
	s_wait_xcnt 0x0
	s_and_saveexec_b32 s4, s0
	s_cbranch_execz .LBB118_17
; %bb.11:
	s_and_b32 vcc_lo, exec_lo, s5
	s_cbranch_vccz .LBB118_14
; %bb.12:
	scratch_load_b64 v[114:115], v59, off
	ds_load_b64 v[116:117], v1
	s_wait_loadcnt_dscnt 0x0
	v_pk_mul_f32 v[118:119], v[116:117], v[114:115] op_sel:[1,1] op_sel_hi:[0,1]
	v_pk_mul_f32 v[120:121], v[116:117], v[114:115] op_sel_hi:[1,0]
	s_delay_alu instid0(VALU_DEP_2) | instskip(NEXT) | instid1(VALU_DEP_2)
	v_pk_fma_f32 v[114:115], v[116:117], v[114:115], v[118:119] op_sel_hi:[1,0,1]
	v_sub_f32_e32 v114, v120, v118
	s_cbranch_execz .LBB118_15
	s_branch .LBB118_16
.LBB118_13:
	s_mov_b32 s1, 0
                                        ; implicit-def: $vgpr164
                                        ; implicit-def: $sgpr7
	s_cbranch_execnz .LBB118_546
	s_branch .LBB118_1081
.LBB118_14:
                                        ; implicit-def: $vgpr115
.LBB118_15:
	ds_load_b64 v[114:115], v1
.LBB118_16:
	s_wait_dscnt 0x0
	v_dual_mov_b32 v116, 0 :: v_dual_mov_b32 v118, v115
	v_mov_b32_e32 v119, v114
	ds_load_b64 v[116:117], v116 offset:424
	s_wait_dscnt 0x0
	v_pk_mul_f32 v[118:119], v[118:119], v[116:117] op_sel:[0,1]
	s_delay_alu instid0(VALU_DEP_1) | instskip(SKIP_1) | instid1(VALU_DEP_2)
	v_pk_fma_f32 v[120:121], v[114:115], v[116:117], v[118:119] op_sel_hi:[1,0,1]
	v_pk_fma_f32 v[114:115], v[114:115], v[116:117], v[118:119] neg_lo:[0,0,1] neg_hi:[0,0,1]
	v_mov_b32_e32 v115, v121
	scratch_store_b64 off, v[114:115], off offset:424
.LBB118_17:
	s_wait_xcnt 0x0
	s_or_b32 exec_lo, exec_lo, s4
	scratch_load_b64 v[114:115], off, off offset:416
	s_mov_b32 s13, s1
	v_cmp_lt_u32_e64 s1, 52, v0
	s_or_b32 s4, 0, 8
	s_mov_b32 s6, 16
	s_mov_b32 s7, 24
	s_mov_b32 s8, 32
	s_mov_b32 s9, 40
	s_mov_b32 s10, 48
	s_mov_b32 s11, 56
	s_mov_b32 s12, 64
	s_wait_loadcnt 0x0
	ds_store_b64 v1, v[114:115]
	s_wait_storecnt_dscnt 0x0
	s_barrier_signal -1
	s_barrier_wait -1
	s_wait_xcnt 0x0
	s_and_saveexec_b32 s58, s1
	s_cbranch_execz .LBB118_25
; %bb.18:
	s_and_not1_b32 vcc_lo, exec_lo, s5
	s_cbranch_vccnz .LBB118_20
; %bb.19:
	scratch_load_b64 v[114:115], v59, off
	ds_load_b64 v[116:117], v1
	s_wait_loadcnt_dscnt 0x0
	v_pk_mul_f32 v[118:119], v[116:117], v[114:115] op_sel:[1,1] op_sel_hi:[0,1]
	s_delay_alu instid0(VALU_DEP_1) | instskip(SKIP_1) | instid1(VALU_DEP_2)
	v_pk_fma_f32 v[120:121], v[116:117], v[114:115], v[118:119] op_sel_hi:[1,0,1]
	v_pk_fma_f32 v[114:115], v[116:117], v[114:115], v[118:119] neg_lo:[0,0,1] neg_hi:[0,0,1]
	v_mov_b32_e32 v115, v121
	s_cbranch_execz .LBB118_21
	s_branch .LBB118_22
.LBB118_20:
                                        ; implicit-def: $vgpr114_vgpr115
.LBB118_21:
	ds_load_b64 v[114:115], v1
.LBB118_22:
	s_and_saveexec_b32 s59, s0
	s_cbranch_execz .LBB118_24
; %bb.23:
	scratch_load_b64 v[116:117], off, off offset:424
	v_mov_b32_e32 v118, 0
	ds_load_b64 v[118:119], v118 offset:872
	s_wait_loadcnt_dscnt 0x0
	v_pk_mul_f32 v[120:121], v[118:119], v[116:117] op_sel:[1,1] op_sel_hi:[0,1]
	s_delay_alu instid0(VALU_DEP_1) | instskip(SKIP_1) | instid1(VALU_DEP_2)
	v_pk_fma_f32 v[122:123], v[118:119], v[116:117], v[120:121] op_sel_hi:[1,0,1]
	v_pk_fma_f32 v[116:117], v[118:119], v[116:117], v[120:121] neg_lo:[0,0,1] neg_hi:[0,0,1]
	v_mov_b32_e32 v117, v123
	s_delay_alu instid0(VALU_DEP_1)
	v_pk_add_f32 v[114:115], v[114:115], v[116:117]
.LBB118_24:
	s_or_b32 exec_lo, exec_lo, s59
	v_mov_b32_e32 v116, 0
	ds_load_b64 v[116:117], v116 offset:416
	s_wait_dscnt 0x0
	v_pk_mul_f32 v[118:119], v[114:115], v[116:117] op_sel:[1,1] op_sel_hi:[0,1]
	s_delay_alu instid0(VALU_DEP_1) | instskip(SKIP_1) | instid1(VALU_DEP_2)
	v_pk_fma_f32 v[120:121], v[114:115], v[116:117], v[118:119] op_sel_hi:[1,0,1]
	v_pk_fma_f32 v[114:115], v[114:115], v[116:117], v[118:119] neg_lo:[0,0,1] neg_hi:[0,0,1]
	v_mov_b32_e32 v115, v121
	scratch_store_b64 off, v[114:115], off offset:416
.LBB118_25:
	s_wait_xcnt 0x0
	s_or_b32 exec_lo, exec_lo, s58
	scratch_load_b64 v[114:115], off, off offset:408
	v_cmp_lt_u32_e64 s0, 51, v0
	s_wait_loadcnt 0x0
	ds_store_b64 v1, v[114:115]
	s_wait_storecnt_dscnt 0x0
	s_barrier_signal -1
	s_barrier_wait -1
	s_wait_xcnt 0x0
	s_and_saveexec_b32 s58, s0
	s_cbranch_execz .LBB118_35
; %bb.26:
	s_and_not1_b32 vcc_lo, exec_lo, s5
	s_cbranch_vccnz .LBB118_28
; %bb.27:
	scratch_load_b64 v[114:115], v59, off
	ds_load_b64 v[116:117], v1
	s_wait_loadcnt_dscnt 0x0
	v_pk_mul_f32 v[118:119], v[116:117], v[114:115] op_sel:[1,1] op_sel_hi:[0,1]
	s_delay_alu instid0(VALU_DEP_1) | instskip(SKIP_1) | instid1(VALU_DEP_2)
	v_pk_fma_f32 v[120:121], v[116:117], v[114:115], v[118:119] op_sel_hi:[1,0,1]
	v_pk_fma_f32 v[114:115], v[116:117], v[114:115], v[118:119] neg_lo:[0,0,1] neg_hi:[0,0,1]
	v_mov_b32_e32 v115, v121
	s_cbranch_execz .LBB118_29
	s_branch .LBB118_30
.LBB118_28:
                                        ; implicit-def: $vgpr114_vgpr115
.LBB118_29:
	ds_load_b64 v[114:115], v1
.LBB118_30:
	s_and_saveexec_b32 s59, s1
	s_cbranch_execz .LBB118_34
; %bb.31:
	v_subrev_nc_u32_e32 v116, 52, v0
	s_movk_i32 s60, 0x360
	s_mov_b32 s1, 0
.LBB118_32:                             ; =>This Inner Loop Header: Depth=1
	scratch_load_b64 v[118:119], off, s57
	v_dual_mov_b32 v117, s60 :: v_dual_add_nc_u32 v116, -1, v116
	s_add_co_i32 s60, s60, 8
	s_wait_xcnt 0x0
	s_add_co_i32 s57, s57, 8
	ds_load_b64 v[120:121], v117
	v_cmp_eq_u32_e32 vcc_lo, 0, v116
	s_or_b32 s1, vcc_lo, s1
	s_wait_loadcnt_dscnt 0x0
	v_pk_mul_f32 v[122:123], v[120:121], v[118:119] op_sel:[1,1] op_sel_hi:[0,1]
	s_delay_alu instid0(VALU_DEP_1) | instskip(SKIP_1) | instid1(VALU_DEP_2)
	v_pk_fma_f32 v[124:125], v[120:121], v[118:119], v[122:123] op_sel_hi:[1,0,1]
	v_pk_fma_f32 v[118:119], v[120:121], v[118:119], v[122:123] neg_lo:[0,0,1] neg_hi:[0,0,1]
	v_mov_b32_e32 v119, v125
	s_delay_alu instid0(VALU_DEP_1)
	v_pk_add_f32 v[114:115], v[114:115], v[118:119]
	s_and_not1_b32 exec_lo, exec_lo, s1
	s_cbranch_execnz .LBB118_32
; %bb.33:
	s_or_b32 exec_lo, exec_lo, s1
.LBB118_34:
	s_delay_alu instid0(SALU_CYCLE_1) | instskip(SKIP_4) | instid1(VALU_DEP_1)
	s_or_b32 exec_lo, exec_lo, s59
	v_mov_b32_e32 v116, 0
	ds_load_b64 v[116:117], v116 offset:408
	s_wait_dscnt 0x0
	v_pk_mul_f32 v[118:119], v[114:115], v[116:117] op_sel:[1,1] op_sel_hi:[0,1]
	v_pk_fma_f32 v[120:121], v[114:115], v[116:117], v[118:119] op_sel_hi:[1,0,1]
	v_pk_fma_f32 v[114:115], v[114:115], v[116:117], v[118:119] neg_lo:[0,0,1] neg_hi:[0,0,1]
	s_delay_alu instid0(VALU_DEP_2)
	v_mov_b32_e32 v115, v121
	scratch_store_b64 off, v[114:115], off offset:408
.LBB118_35:
	s_wait_xcnt 0x0
	s_or_b32 exec_lo, exec_lo, s58
	scratch_load_b64 v[114:115], off, off offset:400
	v_cmp_lt_u32_e64 s1, 50, v0
	s_wait_loadcnt 0x0
	ds_store_b64 v1, v[114:115]
	s_wait_storecnt_dscnt 0x0
	s_barrier_signal -1
	s_barrier_wait -1
	s_wait_xcnt 0x0
	s_and_saveexec_b32 s57, s1
	s_cbranch_execz .LBB118_45
; %bb.36:
	s_and_not1_b32 vcc_lo, exec_lo, s5
	s_cbranch_vccnz .LBB118_38
; %bb.37:
	scratch_load_b64 v[114:115], v59, off
	ds_load_b64 v[116:117], v1
	s_wait_loadcnt_dscnt 0x0
	v_pk_mul_f32 v[118:119], v[116:117], v[114:115] op_sel:[1,1] op_sel_hi:[0,1]
	s_delay_alu instid0(VALU_DEP_1) | instskip(SKIP_1) | instid1(VALU_DEP_2)
	v_pk_fma_f32 v[120:121], v[116:117], v[114:115], v[118:119] op_sel_hi:[1,0,1]
	v_pk_fma_f32 v[114:115], v[116:117], v[114:115], v[118:119] neg_lo:[0,0,1] neg_hi:[0,0,1]
	v_mov_b32_e32 v115, v121
	s_cbranch_execz .LBB118_39
	s_branch .LBB118_40
.LBB118_38:
                                        ; implicit-def: $vgpr114_vgpr115
.LBB118_39:
	ds_load_b64 v[114:115], v1
.LBB118_40:
	s_and_saveexec_b32 s58, s0
	s_cbranch_execz .LBB118_44
; %bb.41:
	v_subrev_nc_u32_e32 v116, 51, v0
	s_movk_i32 s59, 0x358
	s_mov_b32 s0, 0
.LBB118_42:                             ; =>This Inner Loop Header: Depth=1
	scratch_load_b64 v[118:119], off, s56
	v_dual_mov_b32 v117, s59 :: v_dual_add_nc_u32 v116, -1, v116
	s_add_co_i32 s59, s59, 8
	s_wait_xcnt 0x0
	s_add_co_i32 s56, s56, 8
	ds_load_b64 v[120:121], v117
	v_cmp_eq_u32_e32 vcc_lo, 0, v116
	s_or_b32 s0, vcc_lo, s0
	s_wait_loadcnt_dscnt 0x0
	v_pk_mul_f32 v[122:123], v[120:121], v[118:119] op_sel:[1,1] op_sel_hi:[0,1]
	s_delay_alu instid0(VALU_DEP_1) | instskip(SKIP_1) | instid1(VALU_DEP_2)
	v_pk_fma_f32 v[124:125], v[120:121], v[118:119], v[122:123] op_sel_hi:[1,0,1]
	v_pk_fma_f32 v[118:119], v[120:121], v[118:119], v[122:123] neg_lo:[0,0,1] neg_hi:[0,0,1]
	v_mov_b32_e32 v119, v125
	s_delay_alu instid0(VALU_DEP_1)
	v_pk_add_f32 v[114:115], v[114:115], v[118:119]
	s_and_not1_b32 exec_lo, exec_lo, s0
	s_cbranch_execnz .LBB118_42
; %bb.43:
	s_or_b32 exec_lo, exec_lo, s0
.LBB118_44:
	s_delay_alu instid0(SALU_CYCLE_1) | instskip(SKIP_4) | instid1(VALU_DEP_1)
	s_or_b32 exec_lo, exec_lo, s58
	v_mov_b32_e32 v116, 0
	ds_load_b64 v[116:117], v116 offset:400
	s_wait_dscnt 0x0
	v_pk_mul_f32 v[118:119], v[114:115], v[116:117] op_sel:[1,1] op_sel_hi:[0,1]
	v_pk_fma_f32 v[120:121], v[114:115], v[116:117], v[118:119] op_sel_hi:[1,0,1]
	v_pk_fma_f32 v[114:115], v[114:115], v[116:117], v[118:119] neg_lo:[0,0,1] neg_hi:[0,0,1]
	s_delay_alu instid0(VALU_DEP_2)
	v_mov_b32_e32 v115, v121
	scratch_store_b64 off, v[114:115], off offset:400
.LBB118_45:
	s_wait_xcnt 0x0
	s_or_b32 exec_lo, exec_lo, s57
	scratch_load_b64 v[114:115], off, off offset:392
	v_cmp_lt_u32_e64 s0, 49, v0
	s_wait_loadcnt 0x0
	ds_store_b64 v1, v[114:115]
	s_wait_storecnt_dscnt 0x0
	s_barrier_signal -1
	s_barrier_wait -1
	s_wait_xcnt 0x0
	s_and_saveexec_b32 s56, s0
	s_cbranch_execz .LBB118_55
; %bb.46:
	s_and_not1_b32 vcc_lo, exec_lo, s5
	s_cbranch_vccnz .LBB118_48
; %bb.47:
	scratch_load_b64 v[114:115], v59, off
	ds_load_b64 v[116:117], v1
	s_wait_loadcnt_dscnt 0x0
	v_pk_mul_f32 v[118:119], v[116:117], v[114:115] op_sel:[1,1] op_sel_hi:[0,1]
	s_delay_alu instid0(VALU_DEP_1) | instskip(SKIP_1) | instid1(VALU_DEP_2)
	v_pk_fma_f32 v[120:121], v[116:117], v[114:115], v[118:119] op_sel_hi:[1,0,1]
	v_pk_fma_f32 v[114:115], v[116:117], v[114:115], v[118:119] neg_lo:[0,0,1] neg_hi:[0,0,1]
	v_mov_b32_e32 v115, v121
	s_cbranch_execz .LBB118_49
	s_branch .LBB118_50
.LBB118_48:
                                        ; implicit-def: $vgpr114_vgpr115
.LBB118_49:
	ds_load_b64 v[114:115], v1
.LBB118_50:
	s_and_saveexec_b32 s57, s1
	s_cbranch_execz .LBB118_54
; %bb.51:
	v_subrev_nc_u32_e32 v116, 50, v0
	s_movk_i32 s58, 0x350
	s_mov_b32 s1, 0
.LBB118_52:                             ; =>This Inner Loop Header: Depth=1
	scratch_load_b64 v[118:119], off, s55
	v_dual_mov_b32 v117, s58 :: v_dual_add_nc_u32 v116, -1, v116
	s_add_co_i32 s58, s58, 8
	s_wait_xcnt 0x0
	s_add_co_i32 s55, s55, 8
	ds_load_b64 v[120:121], v117
	v_cmp_eq_u32_e32 vcc_lo, 0, v116
	s_or_b32 s1, vcc_lo, s1
	s_wait_loadcnt_dscnt 0x0
	v_pk_mul_f32 v[122:123], v[120:121], v[118:119] op_sel:[1,1] op_sel_hi:[0,1]
	s_delay_alu instid0(VALU_DEP_1) | instskip(SKIP_1) | instid1(VALU_DEP_2)
	v_pk_fma_f32 v[124:125], v[120:121], v[118:119], v[122:123] op_sel_hi:[1,0,1]
	v_pk_fma_f32 v[118:119], v[120:121], v[118:119], v[122:123] neg_lo:[0,0,1] neg_hi:[0,0,1]
	v_mov_b32_e32 v119, v125
	s_delay_alu instid0(VALU_DEP_1)
	v_pk_add_f32 v[114:115], v[114:115], v[118:119]
	s_and_not1_b32 exec_lo, exec_lo, s1
	s_cbranch_execnz .LBB118_52
; %bb.53:
	s_or_b32 exec_lo, exec_lo, s1
.LBB118_54:
	s_delay_alu instid0(SALU_CYCLE_1) | instskip(SKIP_4) | instid1(VALU_DEP_1)
	s_or_b32 exec_lo, exec_lo, s57
	v_mov_b32_e32 v116, 0
	ds_load_b64 v[116:117], v116 offset:392
	s_wait_dscnt 0x0
	v_pk_mul_f32 v[118:119], v[114:115], v[116:117] op_sel:[1,1] op_sel_hi:[0,1]
	v_pk_fma_f32 v[120:121], v[114:115], v[116:117], v[118:119] op_sel_hi:[1,0,1]
	v_pk_fma_f32 v[114:115], v[114:115], v[116:117], v[118:119] neg_lo:[0,0,1] neg_hi:[0,0,1]
	s_delay_alu instid0(VALU_DEP_2)
	v_mov_b32_e32 v115, v121
	scratch_store_b64 off, v[114:115], off offset:392
.LBB118_55:
	s_wait_xcnt 0x0
	s_or_b32 exec_lo, exec_lo, s56
	scratch_load_b64 v[114:115], off, off offset:384
	v_cmp_lt_u32_e64 s1, 48, v0
	s_wait_loadcnt 0x0
	ds_store_b64 v1, v[114:115]
	s_wait_storecnt_dscnt 0x0
	s_barrier_signal -1
	s_barrier_wait -1
	s_wait_xcnt 0x0
	s_and_saveexec_b32 s55, s1
	s_cbranch_execz .LBB118_65
; %bb.56:
	s_and_not1_b32 vcc_lo, exec_lo, s5
	s_cbranch_vccnz .LBB118_58
; %bb.57:
	scratch_load_b64 v[114:115], v59, off
	ds_load_b64 v[116:117], v1
	s_wait_loadcnt_dscnt 0x0
	v_pk_mul_f32 v[118:119], v[116:117], v[114:115] op_sel:[1,1] op_sel_hi:[0,1]
	s_delay_alu instid0(VALU_DEP_1) | instskip(SKIP_1) | instid1(VALU_DEP_2)
	v_pk_fma_f32 v[120:121], v[116:117], v[114:115], v[118:119] op_sel_hi:[1,0,1]
	v_pk_fma_f32 v[114:115], v[116:117], v[114:115], v[118:119] neg_lo:[0,0,1] neg_hi:[0,0,1]
	v_mov_b32_e32 v115, v121
	s_cbranch_execz .LBB118_59
	s_branch .LBB118_60
.LBB118_58:
                                        ; implicit-def: $vgpr114_vgpr115
.LBB118_59:
	ds_load_b64 v[114:115], v1
.LBB118_60:
	s_and_saveexec_b32 s56, s0
	s_cbranch_execz .LBB118_64
; %bb.61:
	v_subrev_nc_u32_e32 v116, 49, v0
	s_movk_i32 s57, 0x348
	s_mov_b32 s0, 0
.LBB118_62:                             ; =>This Inner Loop Header: Depth=1
	scratch_load_b64 v[118:119], off, s54
	v_dual_mov_b32 v117, s57 :: v_dual_add_nc_u32 v116, -1, v116
	s_add_co_i32 s57, s57, 8
	s_wait_xcnt 0x0
	s_add_co_i32 s54, s54, 8
	ds_load_b64 v[120:121], v117
	v_cmp_eq_u32_e32 vcc_lo, 0, v116
	s_or_b32 s0, vcc_lo, s0
	s_wait_loadcnt_dscnt 0x0
	v_pk_mul_f32 v[122:123], v[120:121], v[118:119] op_sel:[1,1] op_sel_hi:[0,1]
	s_delay_alu instid0(VALU_DEP_1) | instskip(SKIP_1) | instid1(VALU_DEP_2)
	v_pk_fma_f32 v[124:125], v[120:121], v[118:119], v[122:123] op_sel_hi:[1,0,1]
	v_pk_fma_f32 v[118:119], v[120:121], v[118:119], v[122:123] neg_lo:[0,0,1] neg_hi:[0,0,1]
	v_mov_b32_e32 v119, v125
	s_delay_alu instid0(VALU_DEP_1)
	v_pk_add_f32 v[114:115], v[114:115], v[118:119]
	s_and_not1_b32 exec_lo, exec_lo, s0
	s_cbranch_execnz .LBB118_62
; %bb.63:
	s_or_b32 exec_lo, exec_lo, s0
.LBB118_64:
	s_delay_alu instid0(SALU_CYCLE_1) | instskip(SKIP_4) | instid1(VALU_DEP_1)
	s_or_b32 exec_lo, exec_lo, s56
	v_mov_b32_e32 v116, 0
	ds_load_b64 v[116:117], v116 offset:384
	s_wait_dscnt 0x0
	v_pk_mul_f32 v[118:119], v[114:115], v[116:117] op_sel:[1,1] op_sel_hi:[0,1]
	v_pk_fma_f32 v[120:121], v[114:115], v[116:117], v[118:119] op_sel_hi:[1,0,1]
	v_pk_fma_f32 v[114:115], v[114:115], v[116:117], v[118:119] neg_lo:[0,0,1] neg_hi:[0,0,1]
	s_delay_alu instid0(VALU_DEP_2)
	v_mov_b32_e32 v115, v121
	scratch_store_b64 off, v[114:115], off offset:384
.LBB118_65:
	s_wait_xcnt 0x0
	s_or_b32 exec_lo, exec_lo, s55
	scratch_load_b64 v[114:115], off, off offset:376
	v_cmp_lt_u32_e64 s0, 47, v0
	s_wait_loadcnt 0x0
	ds_store_b64 v1, v[114:115]
	s_wait_storecnt_dscnt 0x0
	s_barrier_signal -1
	s_barrier_wait -1
	s_wait_xcnt 0x0
	s_and_saveexec_b32 s54, s0
	s_cbranch_execz .LBB118_75
; %bb.66:
	s_and_not1_b32 vcc_lo, exec_lo, s5
	s_cbranch_vccnz .LBB118_68
; %bb.67:
	scratch_load_b64 v[114:115], v59, off
	ds_load_b64 v[116:117], v1
	s_wait_loadcnt_dscnt 0x0
	v_pk_mul_f32 v[118:119], v[116:117], v[114:115] op_sel:[1,1] op_sel_hi:[0,1]
	s_delay_alu instid0(VALU_DEP_1) | instskip(SKIP_1) | instid1(VALU_DEP_2)
	v_pk_fma_f32 v[120:121], v[116:117], v[114:115], v[118:119] op_sel_hi:[1,0,1]
	v_pk_fma_f32 v[114:115], v[116:117], v[114:115], v[118:119] neg_lo:[0,0,1] neg_hi:[0,0,1]
	v_mov_b32_e32 v115, v121
	s_cbranch_execz .LBB118_69
	s_branch .LBB118_70
.LBB118_68:
                                        ; implicit-def: $vgpr114_vgpr115
.LBB118_69:
	ds_load_b64 v[114:115], v1
.LBB118_70:
	s_and_saveexec_b32 s55, s1
	s_cbranch_execz .LBB118_74
; %bb.71:
	v_subrev_nc_u32_e32 v116, 48, v0
	s_movk_i32 s56, 0x340
	s_mov_b32 s1, 0
.LBB118_72:                             ; =>This Inner Loop Header: Depth=1
	scratch_load_b64 v[118:119], off, s53
	v_dual_mov_b32 v117, s56 :: v_dual_add_nc_u32 v116, -1, v116
	s_add_co_i32 s56, s56, 8
	s_wait_xcnt 0x0
	s_add_co_i32 s53, s53, 8
	ds_load_b64 v[120:121], v117
	v_cmp_eq_u32_e32 vcc_lo, 0, v116
	s_or_b32 s1, vcc_lo, s1
	s_wait_loadcnt_dscnt 0x0
	v_pk_mul_f32 v[122:123], v[120:121], v[118:119] op_sel:[1,1] op_sel_hi:[0,1]
	s_delay_alu instid0(VALU_DEP_1) | instskip(SKIP_1) | instid1(VALU_DEP_2)
	v_pk_fma_f32 v[124:125], v[120:121], v[118:119], v[122:123] op_sel_hi:[1,0,1]
	v_pk_fma_f32 v[118:119], v[120:121], v[118:119], v[122:123] neg_lo:[0,0,1] neg_hi:[0,0,1]
	v_mov_b32_e32 v119, v125
	s_delay_alu instid0(VALU_DEP_1)
	v_pk_add_f32 v[114:115], v[114:115], v[118:119]
	s_and_not1_b32 exec_lo, exec_lo, s1
	s_cbranch_execnz .LBB118_72
; %bb.73:
	s_or_b32 exec_lo, exec_lo, s1
.LBB118_74:
	s_delay_alu instid0(SALU_CYCLE_1) | instskip(SKIP_4) | instid1(VALU_DEP_1)
	s_or_b32 exec_lo, exec_lo, s55
	v_mov_b32_e32 v116, 0
	ds_load_b64 v[116:117], v116 offset:376
	s_wait_dscnt 0x0
	v_pk_mul_f32 v[118:119], v[114:115], v[116:117] op_sel:[1,1] op_sel_hi:[0,1]
	v_pk_fma_f32 v[120:121], v[114:115], v[116:117], v[118:119] op_sel_hi:[1,0,1]
	v_pk_fma_f32 v[114:115], v[114:115], v[116:117], v[118:119] neg_lo:[0,0,1] neg_hi:[0,0,1]
	s_delay_alu instid0(VALU_DEP_2)
	v_mov_b32_e32 v115, v121
	scratch_store_b64 off, v[114:115], off offset:376
.LBB118_75:
	s_wait_xcnt 0x0
	s_or_b32 exec_lo, exec_lo, s54
	scratch_load_b64 v[114:115], off, off offset:368
	v_cmp_lt_u32_e64 s1, 46, v0
	s_wait_loadcnt 0x0
	ds_store_b64 v1, v[114:115]
	s_wait_storecnt_dscnt 0x0
	s_barrier_signal -1
	s_barrier_wait -1
	s_wait_xcnt 0x0
	s_and_saveexec_b32 s53, s1
	s_cbranch_execz .LBB118_85
; %bb.76:
	s_and_not1_b32 vcc_lo, exec_lo, s5
	s_cbranch_vccnz .LBB118_78
; %bb.77:
	scratch_load_b64 v[114:115], v59, off
	ds_load_b64 v[116:117], v1
	s_wait_loadcnt_dscnt 0x0
	v_pk_mul_f32 v[118:119], v[116:117], v[114:115] op_sel:[1,1] op_sel_hi:[0,1]
	s_delay_alu instid0(VALU_DEP_1) | instskip(SKIP_1) | instid1(VALU_DEP_2)
	v_pk_fma_f32 v[120:121], v[116:117], v[114:115], v[118:119] op_sel_hi:[1,0,1]
	v_pk_fma_f32 v[114:115], v[116:117], v[114:115], v[118:119] neg_lo:[0,0,1] neg_hi:[0,0,1]
	v_mov_b32_e32 v115, v121
	s_cbranch_execz .LBB118_79
	s_branch .LBB118_80
.LBB118_78:
                                        ; implicit-def: $vgpr114_vgpr115
.LBB118_79:
	ds_load_b64 v[114:115], v1
.LBB118_80:
	s_and_saveexec_b32 s54, s0
	s_cbranch_execz .LBB118_84
; %bb.81:
	v_subrev_nc_u32_e32 v116, 47, v0
	s_movk_i32 s55, 0x338
	s_mov_b32 s0, 0
.LBB118_82:                             ; =>This Inner Loop Header: Depth=1
	scratch_load_b64 v[118:119], off, s52
	v_dual_mov_b32 v117, s55 :: v_dual_add_nc_u32 v116, -1, v116
	s_add_co_i32 s55, s55, 8
	s_wait_xcnt 0x0
	s_add_co_i32 s52, s52, 8
	ds_load_b64 v[120:121], v117
	v_cmp_eq_u32_e32 vcc_lo, 0, v116
	s_or_b32 s0, vcc_lo, s0
	s_wait_loadcnt_dscnt 0x0
	v_pk_mul_f32 v[122:123], v[120:121], v[118:119] op_sel:[1,1] op_sel_hi:[0,1]
	s_delay_alu instid0(VALU_DEP_1) | instskip(SKIP_1) | instid1(VALU_DEP_2)
	v_pk_fma_f32 v[124:125], v[120:121], v[118:119], v[122:123] op_sel_hi:[1,0,1]
	v_pk_fma_f32 v[118:119], v[120:121], v[118:119], v[122:123] neg_lo:[0,0,1] neg_hi:[0,0,1]
	v_mov_b32_e32 v119, v125
	s_delay_alu instid0(VALU_DEP_1)
	v_pk_add_f32 v[114:115], v[114:115], v[118:119]
	s_and_not1_b32 exec_lo, exec_lo, s0
	s_cbranch_execnz .LBB118_82
; %bb.83:
	s_or_b32 exec_lo, exec_lo, s0
.LBB118_84:
	s_delay_alu instid0(SALU_CYCLE_1) | instskip(SKIP_4) | instid1(VALU_DEP_1)
	s_or_b32 exec_lo, exec_lo, s54
	v_mov_b32_e32 v116, 0
	ds_load_b64 v[116:117], v116 offset:368
	s_wait_dscnt 0x0
	v_pk_mul_f32 v[118:119], v[114:115], v[116:117] op_sel:[1,1] op_sel_hi:[0,1]
	v_pk_fma_f32 v[120:121], v[114:115], v[116:117], v[118:119] op_sel_hi:[1,0,1]
	v_pk_fma_f32 v[114:115], v[114:115], v[116:117], v[118:119] neg_lo:[0,0,1] neg_hi:[0,0,1]
	s_delay_alu instid0(VALU_DEP_2)
	v_mov_b32_e32 v115, v121
	scratch_store_b64 off, v[114:115], off offset:368
.LBB118_85:
	s_wait_xcnt 0x0
	s_or_b32 exec_lo, exec_lo, s53
	scratch_load_b64 v[114:115], off, off offset:360
	v_cmp_lt_u32_e64 s0, 45, v0
	s_wait_loadcnt 0x0
	ds_store_b64 v1, v[114:115]
	s_wait_storecnt_dscnt 0x0
	s_barrier_signal -1
	s_barrier_wait -1
	s_wait_xcnt 0x0
	s_and_saveexec_b32 s52, s0
	s_cbranch_execz .LBB118_95
; %bb.86:
	s_and_not1_b32 vcc_lo, exec_lo, s5
	s_cbranch_vccnz .LBB118_88
; %bb.87:
	scratch_load_b64 v[114:115], v59, off
	ds_load_b64 v[116:117], v1
	s_wait_loadcnt_dscnt 0x0
	v_pk_mul_f32 v[118:119], v[116:117], v[114:115] op_sel:[1,1] op_sel_hi:[0,1]
	s_delay_alu instid0(VALU_DEP_1) | instskip(SKIP_1) | instid1(VALU_DEP_2)
	v_pk_fma_f32 v[120:121], v[116:117], v[114:115], v[118:119] op_sel_hi:[1,0,1]
	v_pk_fma_f32 v[114:115], v[116:117], v[114:115], v[118:119] neg_lo:[0,0,1] neg_hi:[0,0,1]
	v_mov_b32_e32 v115, v121
	s_cbranch_execz .LBB118_89
	s_branch .LBB118_90
.LBB118_88:
                                        ; implicit-def: $vgpr114_vgpr115
.LBB118_89:
	ds_load_b64 v[114:115], v1
.LBB118_90:
	s_and_saveexec_b32 s53, s1
	s_cbranch_execz .LBB118_94
; %bb.91:
	v_subrev_nc_u32_e32 v116, 46, v0
	s_movk_i32 s54, 0x330
	s_mov_b32 s1, 0
.LBB118_92:                             ; =>This Inner Loop Header: Depth=1
	scratch_load_b64 v[118:119], off, s51
	v_dual_mov_b32 v117, s54 :: v_dual_add_nc_u32 v116, -1, v116
	s_add_co_i32 s54, s54, 8
	s_wait_xcnt 0x0
	s_add_co_i32 s51, s51, 8
	ds_load_b64 v[120:121], v117
	v_cmp_eq_u32_e32 vcc_lo, 0, v116
	s_or_b32 s1, vcc_lo, s1
	s_wait_loadcnt_dscnt 0x0
	v_pk_mul_f32 v[122:123], v[120:121], v[118:119] op_sel:[1,1] op_sel_hi:[0,1]
	s_delay_alu instid0(VALU_DEP_1) | instskip(SKIP_1) | instid1(VALU_DEP_2)
	v_pk_fma_f32 v[124:125], v[120:121], v[118:119], v[122:123] op_sel_hi:[1,0,1]
	v_pk_fma_f32 v[118:119], v[120:121], v[118:119], v[122:123] neg_lo:[0,0,1] neg_hi:[0,0,1]
	v_mov_b32_e32 v119, v125
	s_delay_alu instid0(VALU_DEP_1)
	v_pk_add_f32 v[114:115], v[114:115], v[118:119]
	s_and_not1_b32 exec_lo, exec_lo, s1
	s_cbranch_execnz .LBB118_92
; %bb.93:
	s_or_b32 exec_lo, exec_lo, s1
.LBB118_94:
	s_delay_alu instid0(SALU_CYCLE_1) | instskip(SKIP_4) | instid1(VALU_DEP_1)
	s_or_b32 exec_lo, exec_lo, s53
	v_mov_b32_e32 v116, 0
	ds_load_b64 v[116:117], v116 offset:360
	s_wait_dscnt 0x0
	v_pk_mul_f32 v[118:119], v[114:115], v[116:117] op_sel:[1,1] op_sel_hi:[0,1]
	v_pk_fma_f32 v[120:121], v[114:115], v[116:117], v[118:119] op_sel_hi:[1,0,1]
	v_pk_fma_f32 v[114:115], v[114:115], v[116:117], v[118:119] neg_lo:[0,0,1] neg_hi:[0,0,1]
	s_delay_alu instid0(VALU_DEP_2)
	v_mov_b32_e32 v115, v121
	scratch_store_b64 off, v[114:115], off offset:360
.LBB118_95:
	s_wait_xcnt 0x0
	s_or_b32 exec_lo, exec_lo, s52
	scratch_load_b64 v[114:115], off, off offset:352
	v_cmp_lt_u32_e64 s1, 44, v0
	s_wait_loadcnt 0x0
	ds_store_b64 v1, v[114:115]
	s_wait_storecnt_dscnt 0x0
	s_barrier_signal -1
	s_barrier_wait -1
	s_wait_xcnt 0x0
	s_and_saveexec_b32 s51, s1
	s_cbranch_execz .LBB118_105
; %bb.96:
	s_and_not1_b32 vcc_lo, exec_lo, s5
	s_cbranch_vccnz .LBB118_98
; %bb.97:
	scratch_load_b64 v[114:115], v59, off
	ds_load_b64 v[116:117], v1
	s_wait_loadcnt_dscnt 0x0
	v_pk_mul_f32 v[118:119], v[116:117], v[114:115] op_sel:[1,1] op_sel_hi:[0,1]
	s_delay_alu instid0(VALU_DEP_1) | instskip(SKIP_1) | instid1(VALU_DEP_2)
	v_pk_fma_f32 v[120:121], v[116:117], v[114:115], v[118:119] op_sel_hi:[1,0,1]
	v_pk_fma_f32 v[114:115], v[116:117], v[114:115], v[118:119] neg_lo:[0,0,1] neg_hi:[0,0,1]
	v_mov_b32_e32 v115, v121
	s_cbranch_execz .LBB118_99
	s_branch .LBB118_100
.LBB118_98:
                                        ; implicit-def: $vgpr114_vgpr115
.LBB118_99:
	ds_load_b64 v[114:115], v1
.LBB118_100:
	s_and_saveexec_b32 s52, s0
	s_cbranch_execz .LBB118_104
; %bb.101:
	v_subrev_nc_u32_e32 v116, 45, v0
	s_movk_i32 s53, 0x328
	s_mov_b32 s0, 0
.LBB118_102:                            ; =>This Inner Loop Header: Depth=1
	scratch_load_b64 v[118:119], off, s50
	v_dual_mov_b32 v117, s53 :: v_dual_add_nc_u32 v116, -1, v116
	s_add_co_i32 s53, s53, 8
	s_wait_xcnt 0x0
	s_add_co_i32 s50, s50, 8
	ds_load_b64 v[120:121], v117
	v_cmp_eq_u32_e32 vcc_lo, 0, v116
	s_or_b32 s0, vcc_lo, s0
	s_wait_loadcnt_dscnt 0x0
	v_pk_mul_f32 v[122:123], v[120:121], v[118:119] op_sel:[1,1] op_sel_hi:[0,1]
	s_delay_alu instid0(VALU_DEP_1) | instskip(SKIP_1) | instid1(VALU_DEP_2)
	v_pk_fma_f32 v[124:125], v[120:121], v[118:119], v[122:123] op_sel_hi:[1,0,1]
	v_pk_fma_f32 v[118:119], v[120:121], v[118:119], v[122:123] neg_lo:[0,0,1] neg_hi:[0,0,1]
	v_mov_b32_e32 v119, v125
	s_delay_alu instid0(VALU_DEP_1)
	v_pk_add_f32 v[114:115], v[114:115], v[118:119]
	s_and_not1_b32 exec_lo, exec_lo, s0
	s_cbranch_execnz .LBB118_102
; %bb.103:
	s_or_b32 exec_lo, exec_lo, s0
.LBB118_104:
	s_delay_alu instid0(SALU_CYCLE_1) | instskip(SKIP_4) | instid1(VALU_DEP_1)
	s_or_b32 exec_lo, exec_lo, s52
	v_mov_b32_e32 v116, 0
	ds_load_b64 v[116:117], v116 offset:352
	s_wait_dscnt 0x0
	v_pk_mul_f32 v[118:119], v[114:115], v[116:117] op_sel:[1,1] op_sel_hi:[0,1]
	v_pk_fma_f32 v[120:121], v[114:115], v[116:117], v[118:119] op_sel_hi:[1,0,1]
	v_pk_fma_f32 v[114:115], v[114:115], v[116:117], v[118:119] neg_lo:[0,0,1] neg_hi:[0,0,1]
	s_delay_alu instid0(VALU_DEP_2)
	v_mov_b32_e32 v115, v121
	scratch_store_b64 off, v[114:115], off offset:352
.LBB118_105:
	s_wait_xcnt 0x0
	s_or_b32 exec_lo, exec_lo, s51
	scratch_load_b64 v[114:115], off, off offset:344
	v_cmp_lt_u32_e64 s0, 43, v0
	s_wait_loadcnt 0x0
	ds_store_b64 v1, v[114:115]
	s_wait_storecnt_dscnt 0x0
	s_barrier_signal -1
	s_barrier_wait -1
	s_wait_xcnt 0x0
	s_and_saveexec_b32 s50, s0
	s_cbranch_execz .LBB118_115
; %bb.106:
	s_and_not1_b32 vcc_lo, exec_lo, s5
	s_cbranch_vccnz .LBB118_108
; %bb.107:
	scratch_load_b64 v[114:115], v59, off
	ds_load_b64 v[116:117], v1
	s_wait_loadcnt_dscnt 0x0
	v_pk_mul_f32 v[118:119], v[116:117], v[114:115] op_sel:[1,1] op_sel_hi:[0,1]
	s_delay_alu instid0(VALU_DEP_1) | instskip(SKIP_1) | instid1(VALU_DEP_2)
	v_pk_fma_f32 v[120:121], v[116:117], v[114:115], v[118:119] op_sel_hi:[1,0,1]
	v_pk_fma_f32 v[114:115], v[116:117], v[114:115], v[118:119] neg_lo:[0,0,1] neg_hi:[0,0,1]
	v_mov_b32_e32 v115, v121
	s_cbranch_execz .LBB118_109
	s_branch .LBB118_110
.LBB118_108:
                                        ; implicit-def: $vgpr114_vgpr115
.LBB118_109:
	ds_load_b64 v[114:115], v1
.LBB118_110:
	s_and_saveexec_b32 s51, s1
	s_cbranch_execz .LBB118_114
; %bb.111:
	v_subrev_nc_u32_e32 v116, 44, v0
	s_movk_i32 s52, 0x320
	s_mov_b32 s1, 0
.LBB118_112:                            ; =>This Inner Loop Header: Depth=1
	scratch_load_b64 v[118:119], off, s49
	v_dual_mov_b32 v117, s52 :: v_dual_add_nc_u32 v116, -1, v116
	s_add_co_i32 s52, s52, 8
	s_wait_xcnt 0x0
	s_add_co_i32 s49, s49, 8
	ds_load_b64 v[120:121], v117
	v_cmp_eq_u32_e32 vcc_lo, 0, v116
	s_or_b32 s1, vcc_lo, s1
	s_wait_loadcnt_dscnt 0x0
	v_pk_mul_f32 v[122:123], v[120:121], v[118:119] op_sel:[1,1] op_sel_hi:[0,1]
	s_delay_alu instid0(VALU_DEP_1) | instskip(SKIP_1) | instid1(VALU_DEP_2)
	v_pk_fma_f32 v[124:125], v[120:121], v[118:119], v[122:123] op_sel_hi:[1,0,1]
	v_pk_fma_f32 v[118:119], v[120:121], v[118:119], v[122:123] neg_lo:[0,0,1] neg_hi:[0,0,1]
	v_mov_b32_e32 v119, v125
	s_delay_alu instid0(VALU_DEP_1)
	v_pk_add_f32 v[114:115], v[114:115], v[118:119]
	s_and_not1_b32 exec_lo, exec_lo, s1
	s_cbranch_execnz .LBB118_112
; %bb.113:
	s_or_b32 exec_lo, exec_lo, s1
.LBB118_114:
	s_delay_alu instid0(SALU_CYCLE_1) | instskip(SKIP_4) | instid1(VALU_DEP_1)
	s_or_b32 exec_lo, exec_lo, s51
	v_mov_b32_e32 v116, 0
	ds_load_b64 v[116:117], v116 offset:344
	s_wait_dscnt 0x0
	v_pk_mul_f32 v[118:119], v[114:115], v[116:117] op_sel:[1,1] op_sel_hi:[0,1]
	v_pk_fma_f32 v[120:121], v[114:115], v[116:117], v[118:119] op_sel_hi:[1,0,1]
	v_pk_fma_f32 v[114:115], v[114:115], v[116:117], v[118:119] neg_lo:[0,0,1] neg_hi:[0,0,1]
	s_delay_alu instid0(VALU_DEP_2)
	v_mov_b32_e32 v115, v121
	scratch_store_b64 off, v[114:115], off offset:344
.LBB118_115:
	s_wait_xcnt 0x0
	s_or_b32 exec_lo, exec_lo, s50
	scratch_load_b64 v[114:115], off, off offset:336
	v_cmp_lt_u32_e64 s1, 42, v0
	s_wait_loadcnt 0x0
	ds_store_b64 v1, v[114:115]
	s_wait_storecnt_dscnt 0x0
	s_barrier_signal -1
	s_barrier_wait -1
	s_wait_xcnt 0x0
	s_and_saveexec_b32 s49, s1
	s_cbranch_execz .LBB118_125
; %bb.116:
	s_and_not1_b32 vcc_lo, exec_lo, s5
	s_cbranch_vccnz .LBB118_118
; %bb.117:
	scratch_load_b64 v[114:115], v59, off
	ds_load_b64 v[116:117], v1
	s_wait_loadcnt_dscnt 0x0
	v_pk_mul_f32 v[118:119], v[116:117], v[114:115] op_sel:[1,1] op_sel_hi:[0,1]
	s_delay_alu instid0(VALU_DEP_1) | instskip(SKIP_1) | instid1(VALU_DEP_2)
	v_pk_fma_f32 v[120:121], v[116:117], v[114:115], v[118:119] op_sel_hi:[1,0,1]
	v_pk_fma_f32 v[114:115], v[116:117], v[114:115], v[118:119] neg_lo:[0,0,1] neg_hi:[0,0,1]
	v_mov_b32_e32 v115, v121
	s_cbranch_execz .LBB118_119
	s_branch .LBB118_120
.LBB118_118:
                                        ; implicit-def: $vgpr114_vgpr115
.LBB118_119:
	ds_load_b64 v[114:115], v1
.LBB118_120:
	s_and_saveexec_b32 s50, s0
	s_cbranch_execz .LBB118_124
; %bb.121:
	v_subrev_nc_u32_e32 v116, 43, v0
	s_movk_i32 s51, 0x318
	s_mov_b32 s0, 0
.LBB118_122:                            ; =>This Inner Loop Header: Depth=1
	scratch_load_b64 v[118:119], off, s48
	v_dual_mov_b32 v117, s51 :: v_dual_add_nc_u32 v116, -1, v116
	s_add_co_i32 s51, s51, 8
	s_wait_xcnt 0x0
	s_add_co_i32 s48, s48, 8
	ds_load_b64 v[120:121], v117
	v_cmp_eq_u32_e32 vcc_lo, 0, v116
	s_or_b32 s0, vcc_lo, s0
	s_wait_loadcnt_dscnt 0x0
	v_pk_mul_f32 v[122:123], v[120:121], v[118:119] op_sel:[1,1] op_sel_hi:[0,1]
	s_delay_alu instid0(VALU_DEP_1) | instskip(SKIP_1) | instid1(VALU_DEP_2)
	v_pk_fma_f32 v[124:125], v[120:121], v[118:119], v[122:123] op_sel_hi:[1,0,1]
	v_pk_fma_f32 v[118:119], v[120:121], v[118:119], v[122:123] neg_lo:[0,0,1] neg_hi:[0,0,1]
	v_mov_b32_e32 v119, v125
	s_delay_alu instid0(VALU_DEP_1)
	v_pk_add_f32 v[114:115], v[114:115], v[118:119]
	s_and_not1_b32 exec_lo, exec_lo, s0
	s_cbranch_execnz .LBB118_122
; %bb.123:
	s_or_b32 exec_lo, exec_lo, s0
.LBB118_124:
	s_delay_alu instid0(SALU_CYCLE_1) | instskip(SKIP_4) | instid1(VALU_DEP_1)
	s_or_b32 exec_lo, exec_lo, s50
	v_mov_b32_e32 v116, 0
	ds_load_b64 v[116:117], v116 offset:336
	s_wait_dscnt 0x0
	v_pk_mul_f32 v[118:119], v[114:115], v[116:117] op_sel:[1,1] op_sel_hi:[0,1]
	v_pk_fma_f32 v[120:121], v[114:115], v[116:117], v[118:119] op_sel_hi:[1,0,1]
	v_pk_fma_f32 v[114:115], v[114:115], v[116:117], v[118:119] neg_lo:[0,0,1] neg_hi:[0,0,1]
	s_delay_alu instid0(VALU_DEP_2)
	v_mov_b32_e32 v115, v121
	scratch_store_b64 off, v[114:115], off offset:336
.LBB118_125:
	s_wait_xcnt 0x0
	s_or_b32 exec_lo, exec_lo, s49
	scratch_load_b64 v[114:115], off, off offset:328
	v_cmp_lt_u32_e64 s0, 41, v0
	s_wait_loadcnt 0x0
	ds_store_b64 v1, v[114:115]
	s_wait_storecnt_dscnt 0x0
	s_barrier_signal -1
	s_barrier_wait -1
	s_wait_xcnt 0x0
	s_and_saveexec_b32 s48, s0
	s_cbranch_execz .LBB118_135
; %bb.126:
	s_and_not1_b32 vcc_lo, exec_lo, s5
	s_cbranch_vccnz .LBB118_128
; %bb.127:
	scratch_load_b64 v[114:115], v59, off
	ds_load_b64 v[116:117], v1
	s_wait_loadcnt_dscnt 0x0
	v_pk_mul_f32 v[118:119], v[116:117], v[114:115] op_sel:[1,1] op_sel_hi:[0,1]
	s_delay_alu instid0(VALU_DEP_1) | instskip(SKIP_1) | instid1(VALU_DEP_2)
	v_pk_fma_f32 v[120:121], v[116:117], v[114:115], v[118:119] op_sel_hi:[1,0,1]
	v_pk_fma_f32 v[114:115], v[116:117], v[114:115], v[118:119] neg_lo:[0,0,1] neg_hi:[0,0,1]
	v_mov_b32_e32 v115, v121
	s_cbranch_execz .LBB118_129
	s_branch .LBB118_130
.LBB118_128:
                                        ; implicit-def: $vgpr114_vgpr115
.LBB118_129:
	ds_load_b64 v[114:115], v1
.LBB118_130:
	s_and_saveexec_b32 s49, s1
	s_cbranch_execz .LBB118_134
; %bb.131:
	v_subrev_nc_u32_e32 v116, 42, v0
	s_movk_i32 s50, 0x310
	s_mov_b32 s1, 0
.LBB118_132:                            ; =>This Inner Loop Header: Depth=1
	scratch_load_b64 v[118:119], off, s47
	v_dual_mov_b32 v117, s50 :: v_dual_add_nc_u32 v116, -1, v116
	s_add_co_i32 s50, s50, 8
	s_wait_xcnt 0x0
	s_add_co_i32 s47, s47, 8
	ds_load_b64 v[120:121], v117
	v_cmp_eq_u32_e32 vcc_lo, 0, v116
	s_or_b32 s1, vcc_lo, s1
	s_wait_loadcnt_dscnt 0x0
	v_pk_mul_f32 v[122:123], v[120:121], v[118:119] op_sel:[1,1] op_sel_hi:[0,1]
	s_delay_alu instid0(VALU_DEP_1) | instskip(SKIP_1) | instid1(VALU_DEP_2)
	v_pk_fma_f32 v[124:125], v[120:121], v[118:119], v[122:123] op_sel_hi:[1,0,1]
	v_pk_fma_f32 v[118:119], v[120:121], v[118:119], v[122:123] neg_lo:[0,0,1] neg_hi:[0,0,1]
	v_mov_b32_e32 v119, v125
	s_delay_alu instid0(VALU_DEP_1)
	v_pk_add_f32 v[114:115], v[114:115], v[118:119]
	s_and_not1_b32 exec_lo, exec_lo, s1
	s_cbranch_execnz .LBB118_132
; %bb.133:
	s_or_b32 exec_lo, exec_lo, s1
.LBB118_134:
	s_delay_alu instid0(SALU_CYCLE_1) | instskip(SKIP_4) | instid1(VALU_DEP_1)
	s_or_b32 exec_lo, exec_lo, s49
	v_mov_b32_e32 v116, 0
	ds_load_b64 v[116:117], v116 offset:328
	s_wait_dscnt 0x0
	v_pk_mul_f32 v[118:119], v[114:115], v[116:117] op_sel:[1,1] op_sel_hi:[0,1]
	v_pk_fma_f32 v[120:121], v[114:115], v[116:117], v[118:119] op_sel_hi:[1,0,1]
	v_pk_fma_f32 v[114:115], v[114:115], v[116:117], v[118:119] neg_lo:[0,0,1] neg_hi:[0,0,1]
	s_delay_alu instid0(VALU_DEP_2)
	v_mov_b32_e32 v115, v121
	scratch_store_b64 off, v[114:115], off offset:328
.LBB118_135:
	s_wait_xcnt 0x0
	s_or_b32 exec_lo, exec_lo, s48
	scratch_load_b64 v[114:115], off, off offset:320
	v_cmp_lt_u32_e64 s1, 40, v0
	s_wait_loadcnt 0x0
	ds_store_b64 v1, v[114:115]
	s_wait_storecnt_dscnt 0x0
	s_barrier_signal -1
	s_barrier_wait -1
	s_wait_xcnt 0x0
	s_and_saveexec_b32 s47, s1
	s_cbranch_execz .LBB118_145
; %bb.136:
	s_and_not1_b32 vcc_lo, exec_lo, s5
	s_cbranch_vccnz .LBB118_138
; %bb.137:
	scratch_load_b64 v[114:115], v59, off
	ds_load_b64 v[116:117], v1
	s_wait_loadcnt_dscnt 0x0
	v_pk_mul_f32 v[118:119], v[116:117], v[114:115] op_sel:[1,1] op_sel_hi:[0,1]
	s_delay_alu instid0(VALU_DEP_1) | instskip(SKIP_1) | instid1(VALU_DEP_2)
	v_pk_fma_f32 v[120:121], v[116:117], v[114:115], v[118:119] op_sel_hi:[1,0,1]
	v_pk_fma_f32 v[114:115], v[116:117], v[114:115], v[118:119] neg_lo:[0,0,1] neg_hi:[0,0,1]
	v_mov_b32_e32 v115, v121
	s_cbranch_execz .LBB118_139
	s_branch .LBB118_140
.LBB118_138:
                                        ; implicit-def: $vgpr114_vgpr115
.LBB118_139:
	ds_load_b64 v[114:115], v1
.LBB118_140:
	s_and_saveexec_b32 s48, s0
	s_cbranch_execz .LBB118_144
; %bb.141:
	v_subrev_nc_u32_e32 v116, 41, v0
	s_movk_i32 s49, 0x308
	s_mov_b32 s0, 0
.LBB118_142:                            ; =>This Inner Loop Header: Depth=1
	scratch_load_b64 v[118:119], off, s46
	v_dual_mov_b32 v117, s49 :: v_dual_add_nc_u32 v116, -1, v116
	s_add_co_i32 s49, s49, 8
	s_wait_xcnt 0x0
	s_add_co_i32 s46, s46, 8
	ds_load_b64 v[120:121], v117
	v_cmp_eq_u32_e32 vcc_lo, 0, v116
	s_or_b32 s0, vcc_lo, s0
	s_wait_loadcnt_dscnt 0x0
	v_pk_mul_f32 v[122:123], v[120:121], v[118:119] op_sel:[1,1] op_sel_hi:[0,1]
	s_delay_alu instid0(VALU_DEP_1) | instskip(SKIP_1) | instid1(VALU_DEP_2)
	v_pk_fma_f32 v[124:125], v[120:121], v[118:119], v[122:123] op_sel_hi:[1,0,1]
	v_pk_fma_f32 v[118:119], v[120:121], v[118:119], v[122:123] neg_lo:[0,0,1] neg_hi:[0,0,1]
	v_mov_b32_e32 v119, v125
	s_delay_alu instid0(VALU_DEP_1)
	v_pk_add_f32 v[114:115], v[114:115], v[118:119]
	s_and_not1_b32 exec_lo, exec_lo, s0
	s_cbranch_execnz .LBB118_142
; %bb.143:
	s_or_b32 exec_lo, exec_lo, s0
.LBB118_144:
	s_delay_alu instid0(SALU_CYCLE_1) | instskip(SKIP_4) | instid1(VALU_DEP_1)
	s_or_b32 exec_lo, exec_lo, s48
	v_mov_b32_e32 v116, 0
	ds_load_b64 v[116:117], v116 offset:320
	s_wait_dscnt 0x0
	v_pk_mul_f32 v[118:119], v[114:115], v[116:117] op_sel:[1,1] op_sel_hi:[0,1]
	v_pk_fma_f32 v[120:121], v[114:115], v[116:117], v[118:119] op_sel_hi:[1,0,1]
	v_pk_fma_f32 v[114:115], v[114:115], v[116:117], v[118:119] neg_lo:[0,0,1] neg_hi:[0,0,1]
	s_delay_alu instid0(VALU_DEP_2)
	v_mov_b32_e32 v115, v121
	scratch_store_b64 off, v[114:115], off offset:320
.LBB118_145:
	s_wait_xcnt 0x0
	s_or_b32 exec_lo, exec_lo, s47
	scratch_load_b64 v[114:115], off, off offset:312
	v_cmp_lt_u32_e64 s0, 39, v0
	s_wait_loadcnt 0x0
	ds_store_b64 v1, v[114:115]
	s_wait_storecnt_dscnt 0x0
	s_barrier_signal -1
	s_barrier_wait -1
	s_wait_xcnt 0x0
	s_and_saveexec_b32 s46, s0
	s_cbranch_execz .LBB118_155
; %bb.146:
	s_and_not1_b32 vcc_lo, exec_lo, s5
	s_cbranch_vccnz .LBB118_148
; %bb.147:
	scratch_load_b64 v[114:115], v59, off
	ds_load_b64 v[116:117], v1
	s_wait_loadcnt_dscnt 0x0
	v_pk_mul_f32 v[118:119], v[116:117], v[114:115] op_sel:[1,1] op_sel_hi:[0,1]
	s_delay_alu instid0(VALU_DEP_1) | instskip(SKIP_1) | instid1(VALU_DEP_2)
	v_pk_fma_f32 v[120:121], v[116:117], v[114:115], v[118:119] op_sel_hi:[1,0,1]
	v_pk_fma_f32 v[114:115], v[116:117], v[114:115], v[118:119] neg_lo:[0,0,1] neg_hi:[0,0,1]
	v_mov_b32_e32 v115, v121
	s_cbranch_execz .LBB118_149
	s_branch .LBB118_150
.LBB118_148:
                                        ; implicit-def: $vgpr114_vgpr115
.LBB118_149:
	ds_load_b64 v[114:115], v1
.LBB118_150:
	s_and_saveexec_b32 s47, s1
	s_cbranch_execz .LBB118_154
; %bb.151:
	v_subrev_nc_u32_e32 v116, 40, v0
	s_movk_i32 s48, 0x300
	s_mov_b32 s1, 0
.LBB118_152:                            ; =>This Inner Loop Header: Depth=1
	scratch_load_b64 v[118:119], off, s45
	v_dual_mov_b32 v117, s48 :: v_dual_add_nc_u32 v116, -1, v116
	s_add_co_i32 s48, s48, 8
	s_wait_xcnt 0x0
	s_add_co_i32 s45, s45, 8
	ds_load_b64 v[120:121], v117
	v_cmp_eq_u32_e32 vcc_lo, 0, v116
	s_or_b32 s1, vcc_lo, s1
	s_wait_loadcnt_dscnt 0x0
	v_pk_mul_f32 v[122:123], v[120:121], v[118:119] op_sel:[1,1] op_sel_hi:[0,1]
	s_delay_alu instid0(VALU_DEP_1) | instskip(SKIP_1) | instid1(VALU_DEP_2)
	v_pk_fma_f32 v[124:125], v[120:121], v[118:119], v[122:123] op_sel_hi:[1,0,1]
	v_pk_fma_f32 v[118:119], v[120:121], v[118:119], v[122:123] neg_lo:[0,0,1] neg_hi:[0,0,1]
	v_mov_b32_e32 v119, v125
	s_delay_alu instid0(VALU_DEP_1)
	v_pk_add_f32 v[114:115], v[114:115], v[118:119]
	s_and_not1_b32 exec_lo, exec_lo, s1
	s_cbranch_execnz .LBB118_152
; %bb.153:
	s_or_b32 exec_lo, exec_lo, s1
.LBB118_154:
	s_delay_alu instid0(SALU_CYCLE_1) | instskip(SKIP_4) | instid1(VALU_DEP_1)
	s_or_b32 exec_lo, exec_lo, s47
	v_mov_b32_e32 v116, 0
	ds_load_b64 v[116:117], v116 offset:312
	s_wait_dscnt 0x0
	v_pk_mul_f32 v[118:119], v[114:115], v[116:117] op_sel:[1,1] op_sel_hi:[0,1]
	v_pk_fma_f32 v[120:121], v[114:115], v[116:117], v[118:119] op_sel_hi:[1,0,1]
	v_pk_fma_f32 v[114:115], v[114:115], v[116:117], v[118:119] neg_lo:[0,0,1] neg_hi:[0,0,1]
	s_delay_alu instid0(VALU_DEP_2)
	v_mov_b32_e32 v115, v121
	scratch_store_b64 off, v[114:115], off offset:312
.LBB118_155:
	s_wait_xcnt 0x0
	s_or_b32 exec_lo, exec_lo, s46
	scratch_load_b64 v[114:115], off, off offset:304
	v_cmp_lt_u32_e64 s1, 38, v0
	s_wait_loadcnt 0x0
	ds_store_b64 v1, v[114:115]
	s_wait_storecnt_dscnt 0x0
	s_barrier_signal -1
	s_barrier_wait -1
	s_wait_xcnt 0x0
	s_and_saveexec_b32 s45, s1
	s_cbranch_execz .LBB118_165
; %bb.156:
	s_and_not1_b32 vcc_lo, exec_lo, s5
	s_cbranch_vccnz .LBB118_158
; %bb.157:
	scratch_load_b64 v[114:115], v59, off
	ds_load_b64 v[116:117], v1
	s_wait_loadcnt_dscnt 0x0
	v_pk_mul_f32 v[118:119], v[116:117], v[114:115] op_sel:[1,1] op_sel_hi:[0,1]
	s_delay_alu instid0(VALU_DEP_1) | instskip(SKIP_1) | instid1(VALU_DEP_2)
	v_pk_fma_f32 v[120:121], v[116:117], v[114:115], v[118:119] op_sel_hi:[1,0,1]
	v_pk_fma_f32 v[114:115], v[116:117], v[114:115], v[118:119] neg_lo:[0,0,1] neg_hi:[0,0,1]
	v_mov_b32_e32 v115, v121
	s_cbranch_execz .LBB118_159
	s_branch .LBB118_160
.LBB118_158:
                                        ; implicit-def: $vgpr114_vgpr115
.LBB118_159:
	ds_load_b64 v[114:115], v1
.LBB118_160:
	s_and_saveexec_b32 s46, s0
	s_cbranch_execz .LBB118_164
; %bb.161:
	v_subrev_nc_u32_e32 v116, 39, v0
	s_movk_i32 s47, 0x2f8
	s_mov_b32 s0, 0
.LBB118_162:                            ; =>This Inner Loop Header: Depth=1
	scratch_load_b64 v[118:119], off, s44
	v_dual_mov_b32 v117, s47 :: v_dual_add_nc_u32 v116, -1, v116
	s_add_co_i32 s47, s47, 8
	s_wait_xcnt 0x0
	s_add_co_i32 s44, s44, 8
	ds_load_b64 v[120:121], v117
	v_cmp_eq_u32_e32 vcc_lo, 0, v116
	s_or_b32 s0, vcc_lo, s0
	s_wait_loadcnt_dscnt 0x0
	v_pk_mul_f32 v[122:123], v[120:121], v[118:119] op_sel:[1,1] op_sel_hi:[0,1]
	s_delay_alu instid0(VALU_DEP_1) | instskip(SKIP_1) | instid1(VALU_DEP_2)
	v_pk_fma_f32 v[124:125], v[120:121], v[118:119], v[122:123] op_sel_hi:[1,0,1]
	v_pk_fma_f32 v[118:119], v[120:121], v[118:119], v[122:123] neg_lo:[0,0,1] neg_hi:[0,0,1]
	v_mov_b32_e32 v119, v125
	s_delay_alu instid0(VALU_DEP_1)
	v_pk_add_f32 v[114:115], v[114:115], v[118:119]
	s_and_not1_b32 exec_lo, exec_lo, s0
	s_cbranch_execnz .LBB118_162
; %bb.163:
	s_or_b32 exec_lo, exec_lo, s0
.LBB118_164:
	s_delay_alu instid0(SALU_CYCLE_1) | instskip(SKIP_4) | instid1(VALU_DEP_1)
	s_or_b32 exec_lo, exec_lo, s46
	v_mov_b32_e32 v116, 0
	ds_load_b64 v[116:117], v116 offset:304
	s_wait_dscnt 0x0
	v_pk_mul_f32 v[118:119], v[114:115], v[116:117] op_sel:[1,1] op_sel_hi:[0,1]
	v_pk_fma_f32 v[120:121], v[114:115], v[116:117], v[118:119] op_sel_hi:[1,0,1]
	v_pk_fma_f32 v[114:115], v[114:115], v[116:117], v[118:119] neg_lo:[0,0,1] neg_hi:[0,0,1]
	s_delay_alu instid0(VALU_DEP_2)
	v_mov_b32_e32 v115, v121
	scratch_store_b64 off, v[114:115], off offset:304
.LBB118_165:
	s_wait_xcnt 0x0
	s_or_b32 exec_lo, exec_lo, s45
	scratch_load_b64 v[114:115], off, off offset:296
	v_cmp_lt_u32_e64 s0, 37, v0
	s_wait_loadcnt 0x0
	ds_store_b64 v1, v[114:115]
	s_wait_storecnt_dscnt 0x0
	s_barrier_signal -1
	s_barrier_wait -1
	s_wait_xcnt 0x0
	s_and_saveexec_b32 s44, s0
	s_cbranch_execz .LBB118_175
; %bb.166:
	s_and_not1_b32 vcc_lo, exec_lo, s5
	s_cbranch_vccnz .LBB118_168
; %bb.167:
	scratch_load_b64 v[114:115], v59, off
	ds_load_b64 v[116:117], v1
	s_wait_loadcnt_dscnt 0x0
	v_pk_mul_f32 v[118:119], v[116:117], v[114:115] op_sel:[1,1] op_sel_hi:[0,1]
	s_delay_alu instid0(VALU_DEP_1) | instskip(SKIP_1) | instid1(VALU_DEP_2)
	v_pk_fma_f32 v[120:121], v[116:117], v[114:115], v[118:119] op_sel_hi:[1,0,1]
	v_pk_fma_f32 v[114:115], v[116:117], v[114:115], v[118:119] neg_lo:[0,0,1] neg_hi:[0,0,1]
	v_mov_b32_e32 v115, v121
	s_cbranch_execz .LBB118_169
	s_branch .LBB118_170
.LBB118_168:
                                        ; implicit-def: $vgpr114_vgpr115
.LBB118_169:
	ds_load_b64 v[114:115], v1
.LBB118_170:
	s_and_saveexec_b32 s45, s1
	s_cbranch_execz .LBB118_174
; %bb.171:
	v_subrev_nc_u32_e32 v116, 38, v0
	s_movk_i32 s46, 0x2f0
	s_mov_b32 s1, 0
.LBB118_172:                            ; =>This Inner Loop Header: Depth=1
	scratch_load_b64 v[118:119], off, s43
	v_dual_mov_b32 v117, s46 :: v_dual_add_nc_u32 v116, -1, v116
	s_add_co_i32 s46, s46, 8
	s_wait_xcnt 0x0
	s_add_co_i32 s43, s43, 8
	ds_load_b64 v[120:121], v117
	v_cmp_eq_u32_e32 vcc_lo, 0, v116
	s_or_b32 s1, vcc_lo, s1
	s_wait_loadcnt_dscnt 0x0
	v_pk_mul_f32 v[122:123], v[120:121], v[118:119] op_sel:[1,1] op_sel_hi:[0,1]
	s_delay_alu instid0(VALU_DEP_1) | instskip(SKIP_1) | instid1(VALU_DEP_2)
	v_pk_fma_f32 v[124:125], v[120:121], v[118:119], v[122:123] op_sel_hi:[1,0,1]
	v_pk_fma_f32 v[118:119], v[120:121], v[118:119], v[122:123] neg_lo:[0,0,1] neg_hi:[0,0,1]
	v_mov_b32_e32 v119, v125
	s_delay_alu instid0(VALU_DEP_1)
	v_pk_add_f32 v[114:115], v[114:115], v[118:119]
	s_and_not1_b32 exec_lo, exec_lo, s1
	s_cbranch_execnz .LBB118_172
; %bb.173:
	s_or_b32 exec_lo, exec_lo, s1
.LBB118_174:
	s_delay_alu instid0(SALU_CYCLE_1) | instskip(SKIP_4) | instid1(VALU_DEP_1)
	s_or_b32 exec_lo, exec_lo, s45
	v_mov_b32_e32 v116, 0
	ds_load_b64 v[116:117], v116 offset:296
	s_wait_dscnt 0x0
	v_pk_mul_f32 v[118:119], v[114:115], v[116:117] op_sel:[1,1] op_sel_hi:[0,1]
	v_pk_fma_f32 v[120:121], v[114:115], v[116:117], v[118:119] op_sel_hi:[1,0,1]
	v_pk_fma_f32 v[114:115], v[114:115], v[116:117], v[118:119] neg_lo:[0,0,1] neg_hi:[0,0,1]
	s_delay_alu instid0(VALU_DEP_2)
	v_mov_b32_e32 v115, v121
	scratch_store_b64 off, v[114:115], off offset:296
.LBB118_175:
	s_wait_xcnt 0x0
	s_or_b32 exec_lo, exec_lo, s44
	scratch_load_b64 v[114:115], off, off offset:288
	v_cmp_lt_u32_e64 s1, 36, v0
	s_wait_loadcnt 0x0
	ds_store_b64 v1, v[114:115]
	s_wait_storecnt_dscnt 0x0
	s_barrier_signal -1
	s_barrier_wait -1
	s_wait_xcnt 0x0
	s_and_saveexec_b32 s43, s1
	s_cbranch_execz .LBB118_185
; %bb.176:
	s_and_not1_b32 vcc_lo, exec_lo, s5
	s_cbranch_vccnz .LBB118_178
; %bb.177:
	scratch_load_b64 v[114:115], v59, off
	ds_load_b64 v[116:117], v1
	s_wait_loadcnt_dscnt 0x0
	v_pk_mul_f32 v[118:119], v[116:117], v[114:115] op_sel:[1,1] op_sel_hi:[0,1]
	s_delay_alu instid0(VALU_DEP_1) | instskip(SKIP_1) | instid1(VALU_DEP_2)
	v_pk_fma_f32 v[120:121], v[116:117], v[114:115], v[118:119] op_sel_hi:[1,0,1]
	v_pk_fma_f32 v[114:115], v[116:117], v[114:115], v[118:119] neg_lo:[0,0,1] neg_hi:[0,0,1]
	v_mov_b32_e32 v115, v121
	s_cbranch_execz .LBB118_179
	s_branch .LBB118_180
.LBB118_178:
                                        ; implicit-def: $vgpr114_vgpr115
.LBB118_179:
	ds_load_b64 v[114:115], v1
.LBB118_180:
	s_and_saveexec_b32 s44, s0
	s_cbranch_execz .LBB118_184
; %bb.181:
	v_subrev_nc_u32_e32 v116, 37, v0
	s_movk_i32 s45, 0x2e8
	s_mov_b32 s0, 0
.LBB118_182:                            ; =>This Inner Loop Header: Depth=1
	scratch_load_b64 v[118:119], off, s42
	v_dual_mov_b32 v117, s45 :: v_dual_add_nc_u32 v116, -1, v116
	s_add_co_i32 s45, s45, 8
	s_wait_xcnt 0x0
	s_add_co_i32 s42, s42, 8
	ds_load_b64 v[120:121], v117
	v_cmp_eq_u32_e32 vcc_lo, 0, v116
	s_or_b32 s0, vcc_lo, s0
	s_wait_loadcnt_dscnt 0x0
	v_pk_mul_f32 v[122:123], v[120:121], v[118:119] op_sel:[1,1] op_sel_hi:[0,1]
	s_delay_alu instid0(VALU_DEP_1) | instskip(SKIP_1) | instid1(VALU_DEP_2)
	v_pk_fma_f32 v[124:125], v[120:121], v[118:119], v[122:123] op_sel_hi:[1,0,1]
	v_pk_fma_f32 v[118:119], v[120:121], v[118:119], v[122:123] neg_lo:[0,0,1] neg_hi:[0,0,1]
	v_mov_b32_e32 v119, v125
	s_delay_alu instid0(VALU_DEP_1)
	v_pk_add_f32 v[114:115], v[114:115], v[118:119]
	s_and_not1_b32 exec_lo, exec_lo, s0
	s_cbranch_execnz .LBB118_182
; %bb.183:
	s_or_b32 exec_lo, exec_lo, s0
.LBB118_184:
	s_delay_alu instid0(SALU_CYCLE_1) | instskip(SKIP_4) | instid1(VALU_DEP_1)
	s_or_b32 exec_lo, exec_lo, s44
	v_mov_b32_e32 v116, 0
	ds_load_b64 v[116:117], v116 offset:288
	s_wait_dscnt 0x0
	v_pk_mul_f32 v[118:119], v[114:115], v[116:117] op_sel:[1,1] op_sel_hi:[0,1]
	v_pk_fma_f32 v[120:121], v[114:115], v[116:117], v[118:119] op_sel_hi:[1,0,1]
	v_pk_fma_f32 v[114:115], v[114:115], v[116:117], v[118:119] neg_lo:[0,0,1] neg_hi:[0,0,1]
	s_delay_alu instid0(VALU_DEP_2)
	v_mov_b32_e32 v115, v121
	scratch_store_b64 off, v[114:115], off offset:288
.LBB118_185:
	s_wait_xcnt 0x0
	s_or_b32 exec_lo, exec_lo, s43
	scratch_load_b64 v[114:115], off, off offset:280
	v_cmp_lt_u32_e64 s0, 35, v0
	s_wait_loadcnt 0x0
	ds_store_b64 v1, v[114:115]
	s_wait_storecnt_dscnt 0x0
	s_barrier_signal -1
	s_barrier_wait -1
	s_wait_xcnt 0x0
	s_and_saveexec_b32 s42, s0
	s_cbranch_execz .LBB118_195
; %bb.186:
	s_and_not1_b32 vcc_lo, exec_lo, s5
	s_cbranch_vccnz .LBB118_188
; %bb.187:
	scratch_load_b64 v[114:115], v59, off
	ds_load_b64 v[116:117], v1
	s_wait_loadcnt_dscnt 0x0
	v_pk_mul_f32 v[118:119], v[116:117], v[114:115] op_sel:[1,1] op_sel_hi:[0,1]
	s_delay_alu instid0(VALU_DEP_1) | instskip(SKIP_1) | instid1(VALU_DEP_2)
	v_pk_fma_f32 v[120:121], v[116:117], v[114:115], v[118:119] op_sel_hi:[1,0,1]
	v_pk_fma_f32 v[114:115], v[116:117], v[114:115], v[118:119] neg_lo:[0,0,1] neg_hi:[0,0,1]
	v_mov_b32_e32 v115, v121
	s_cbranch_execz .LBB118_189
	s_branch .LBB118_190
.LBB118_188:
                                        ; implicit-def: $vgpr114_vgpr115
.LBB118_189:
	ds_load_b64 v[114:115], v1
.LBB118_190:
	s_and_saveexec_b32 s43, s1
	s_cbranch_execz .LBB118_194
; %bb.191:
	v_subrev_nc_u32_e32 v116, 36, v0
	s_movk_i32 s44, 0x2e0
	s_mov_b32 s1, 0
.LBB118_192:                            ; =>This Inner Loop Header: Depth=1
	scratch_load_b64 v[118:119], off, s41
	v_dual_mov_b32 v117, s44 :: v_dual_add_nc_u32 v116, -1, v116
	s_add_co_i32 s44, s44, 8
	s_wait_xcnt 0x0
	s_add_co_i32 s41, s41, 8
	ds_load_b64 v[120:121], v117
	v_cmp_eq_u32_e32 vcc_lo, 0, v116
	s_or_b32 s1, vcc_lo, s1
	s_wait_loadcnt_dscnt 0x0
	v_pk_mul_f32 v[122:123], v[120:121], v[118:119] op_sel:[1,1] op_sel_hi:[0,1]
	s_delay_alu instid0(VALU_DEP_1) | instskip(SKIP_1) | instid1(VALU_DEP_2)
	v_pk_fma_f32 v[124:125], v[120:121], v[118:119], v[122:123] op_sel_hi:[1,0,1]
	v_pk_fma_f32 v[118:119], v[120:121], v[118:119], v[122:123] neg_lo:[0,0,1] neg_hi:[0,0,1]
	v_mov_b32_e32 v119, v125
	s_delay_alu instid0(VALU_DEP_1)
	v_pk_add_f32 v[114:115], v[114:115], v[118:119]
	s_and_not1_b32 exec_lo, exec_lo, s1
	s_cbranch_execnz .LBB118_192
; %bb.193:
	s_or_b32 exec_lo, exec_lo, s1
.LBB118_194:
	s_delay_alu instid0(SALU_CYCLE_1) | instskip(SKIP_4) | instid1(VALU_DEP_1)
	s_or_b32 exec_lo, exec_lo, s43
	v_mov_b32_e32 v116, 0
	ds_load_b64 v[116:117], v116 offset:280
	s_wait_dscnt 0x0
	v_pk_mul_f32 v[118:119], v[114:115], v[116:117] op_sel:[1,1] op_sel_hi:[0,1]
	v_pk_fma_f32 v[120:121], v[114:115], v[116:117], v[118:119] op_sel_hi:[1,0,1]
	v_pk_fma_f32 v[114:115], v[114:115], v[116:117], v[118:119] neg_lo:[0,0,1] neg_hi:[0,0,1]
	s_delay_alu instid0(VALU_DEP_2)
	v_mov_b32_e32 v115, v121
	scratch_store_b64 off, v[114:115], off offset:280
.LBB118_195:
	s_wait_xcnt 0x0
	s_or_b32 exec_lo, exec_lo, s42
	scratch_load_b64 v[114:115], off, off offset:272
	v_cmp_lt_u32_e64 s1, 34, v0
	s_wait_loadcnt 0x0
	ds_store_b64 v1, v[114:115]
	s_wait_storecnt_dscnt 0x0
	s_barrier_signal -1
	s_barrier_wait -1
	s_wait_xcnt 0x0
	s_and_saveexec_b32 s41, s1
	s_cbranch_execz .LBB118_205
; %bb.196:
	s_and_not1_b32 vcc_lo, exec_lo, s5
	s_cbranch_vccnz .LBB118_198
; %bb.197:
	scratch_load_b64 v[114:115], v59, off
	ds_load_b64 v[116:117], v1
	s_wait_loadcnt_dscnt 0x0
	v_pk_mul_f32 v[118:119], v[116:117], v[114:115] op_sel:[1,1] op_sel_hi:[0,1]
	s_delay_alu instid0(VALU_DEP_1) | instskip(SKIP_1) | instid1(VALU_DEP_2)
	v_pk_fma_f32 v[120:121], v[116:117], v[114:115], v[118:119] op_sel_hi:[1,0,1]
	v_pk_fma_f32 v[114:115], v[116:117], v[114:115], v[118:119] neg_lo:[0,0,1] neg_hi:[0,0,1]
	v_mov_b32_e32 v115, v121
	s_cbranch_execz .LBB118_199
	s_branch .LBB118_200
.LBB118_198:
                                        ; implicit-def: $vgpr114_vgpr115
.LBB118_199:
	ds_load_b64 v[114:115], v1
.LBB118_200:
	s_and_saveexec_b32 s42, s0
	s_cbranch_execz .LBB118_204
; %bb.201:
	v_subrev_nc_u32_e32 v116, 35, v0
	s_movk_i32 s43, 0x2d8
	s_mov_b32 s0, 0
.LBB118_202:                            ; =>This Inner Loop Header: Depth=1
	scratch_load_b64 v[118:119], off, s40
	v_dual_mov_b32 v117, s43 :: v_dual_add_nc_u32 v116, -1, v116
	s_add_co_i32 s43, s43, 8
	s_wait_xcnt 0x0
	s_add_co_i32 s40, s40, 8
	ds_load_b64 v[120:121], v117
	v_cmp_eq_u32_e32 vcc_lo, 0, v116
	s_or_b32 s0, vcc_lo, s0
	s_wait_loadcnt_dscnt 0x0
	v_pk_mul_f32 v[122:123], v[120:121], v[118:119] op_sel:[1,1] op_sel_hi:[0,1]
	s_delay_alu instid0(VALU_DEP_1) | instskip(SKIP_1) | instid1(VALU_DEP_2)
	v_pk_fma_f32 v[124:125], v[120:121], v[118:119], v[122:123] op_sel_hi:[1,0,1]
	v_pk_fma_f32 v[118:119], v[120:121], v[118:119], v[122:123] neg_lo:[0,0,1] neg_hi:[0,0,1]
	v_mov_b32_e32 v119, v125
	s_delay_alu instid0(VALU_DEP_1)
	v_pk_add_f32 v[114:115], v[114:115], v[118:119]
	s_and_not1_b32 exec_lo, exec_lo, s0
	s_cbranch_execnz .LBB118_202
; %bb.203:
	s_or_b32 exec_lo, exec_lo, s0
.LBB118_204:
	s_delay_alu instid0(SALU_CYCLE_1) | instskip(SKIP_4) | instid1(VALU_DEP_1)
	s_or_b32 exec_lo, exec_lo, s42
	v_mov_b32_e32 v116, 0
	ds_load_b64 v[116:117], v116 offset:272
	s_wait_dscnt 0x0
	v_pk_mul_f32 v[118:119], v[114:115], v[116:117] op_sel:[1,1] op_sel_hi:[0,1]
	v_pk_fma_f32 v[120:121], v[114:115], v[116:117], v[118:119] op_sel_hi:[1,0,1]
	v_pk_fma_f32 v[114:115], v[114:115], v[116:117], v[118:119] neg_lo:[0,0,1] neg_hi:[0,0,1]
	s_delay_alu instid0(VALU_DEP_2)
	v_mov_b32_e32 v115, v121
	scratch_store_b64 off, v[114:115], off offset:272
.LBB118_205:
	s_wait_xcnt 0x0
	s_or_b32 exec_lo, exec_lo, s41
	scratch_load_b64 v[114:115], off, off offset:264
	v_cmp_lt_u32_e64 s0, 33, v0
	s_wait_loadcnt 0x0
	ds_store_b64 v1, v[114:115]
	s_wait_storecnt_dscnt 0x0
	s_barrier_signal -1
	s_barrier_wait -1
	s_wait_xcnt 0x0
	s_and_saveexec_b32 s40, s0
	s_cbranch_execz .LBB118_215
; %bb.206:
	s_and_not1_b32 vcc_lo, exec_lo, s5
	s_cbranch_vccnz .LBB118_208
; %bb.207:
	scratch_load_b64 v[114:115], v59, off
	ds_load_b64 v[116:117], v1
	s_wait_loadcnt_dscnt 0x0
	v_pk_mul_f32 v[118:119], v[116:117], v[114:115] op_sel:[1,1] op_sel_hi:[0,1]
	s_delay_alu instid0(VALU_DEP_1) | instskip(SKIP_1) | instid1(VALU_DEP_2)
	v_pk_fma_f32 v[120:121], v[116:117], v[114:115], v[118:119] op_sel_hi:[1,0,1]
	v_pk_fma_f32 v[114:115], v[116:117], v[114:115], v[118:119] neg_lo:[0,0,1] neg_hi:[0,0,1]
	v_mov_b32_e32 v115, v121
	s_cbranch_execz .LBB118_209
	s_branch .LBB118_210
.LBB118_208:
                                        ; implicit-def: $vgpr114_vgpr115
.LBB118_209:
	ds_load_b64 v[114:115], v1
.LBB118_210:
	s_and_saveexec_b32 s41, s1
	s_cbranch_execz .LBB118_214
; %bb.211:
	v_subrev_nc_u32_e32 v116, 34, v0
	s_movk_i32 s42, 0x2d0
	s_mov_b32 s1, 0
.LBB118_212:                            ; =>This Inner Loop Header: Depth=1
	scratch_load_b64 v[118:119], off, s39
	v_dual_mov_b32 v117, s42 :: v_dual_add_nc_u32 v116, -1, v116
	s_add_co_i32 s42, s42, 8
	s_wait_xcnt 0x0
	s_add_co_i32 s39, s39, 8
	ds_load_b64 v[120:121], v117
	v_cmp_eq_u32_e32 vcc_lo, 0, v116
	s_or_b32 s1, vcc_lo, s1
	s_wait_loadcnt_dscnt 0x0
	v_pk_mul_f32 v[122:123], v[120:121], v[118:119] op_sel:[1,1] op_sel_hi:[0,1]
	s_delay_alu instid0(VALU_DEP_1) | instskip(SKIP_1) | instid1(VALU_DEP_2)
	v_pk_fma_f32 v[124:125], v[120:121], v[118:119], v[122:123] op_sel_hi:[1,0,1]
	v_pk_fma_f32 v[118:119], v[120:121], v[118:119], v[122:123] neg_lo:[0,0,1] neg_hi:[0,0,1]
	v_mov_b32_e32 v119, v125
	s_delay_alu instid0(VALU_DEP_1)
	v_pk_add_f32 v[114:115], v[114:115], v[118:119]
	s_and_not1_b32 exec_lo, exec_lo, s1
	s_cbranch_execnz .LBB118_212
; %bb.213:
	s_or_b32 exec_lo, exec_lo, s1
.LBB118_214:
	s_delay_alu instid0(SALU_CYCLE_1) | instskip(SKIP_4) | instid1(VALU_DEP_1)
	s_or_b32 exec_lo, exec_lo, s41
	v_mov_b32_e32 v116, 0
	ds_load_b64 v[116:117], v116 offset:264
	s_wait_dscnt 0x0
	v_pk_mul_f32 v[118:119], v[114:115], v[116:117] op_sel:[1,1] op_sel_hi:[0,1]
	v_pk_fma_f32 v[120:121], v[114:115], v[116:117], v[118:119] op_sel_hi:[1,0,1]
	v_pk_fma_f32 v[114:115], v[114:115], v[116:117], v[118:119] neg_lo:[0,0,1] neg_hi:[0,0,1]
	s_delay_alu instid0(VALU_DEP_2)
	v_mov_b32_e32 v115, v121
	scratch_store_b64 off, v[114:115], off offset:264
.LBB118_215:
	s_wait_xcnt 0x0
	s_or_b32 exec_lo, exec_lo, s40
	scratch_load_b64 v[114:115], off, off offset:256
	v_cmp_lt_u32_e64 s1, 32, v0
	s_wait_loadcnt 0x0
	ds_store_b64 v1, v[114:115]
	s_wait_storecnt_dscnt 0x0
	s_barrier_signal -1
	s_barrier_wait -1
	s_wait_xcnt 0x0
	s_and_saveexec_b32 s39, s1
	s_cbranch_execz .LBB118_225
; %bb.216:
	s_and_not1_b32 vcc_lo, exec_lo, s5
	s_cbranch_vccnz .LBB118_218
; %bb.217:
	scratch_load_b64 v[114:115], v59, off
	ds_load_b64 v[116:117], v1
	s_wait_loadcnt_dscnt 0x0
	v_pk_mul_f32 v[118:119], v[116:117], v[114:115] op_sel:[1,1] op_sel_hi:[0,1]
	s_delay_alu instid0(VALU_DEP_1) | instskip(SKIP_1) | instid1(VALU_DEP_2)
	v_pk_fma_f32 v[120:121], v[116:117], v[114:115], v[118:119] op_sel_hi:[1,0,1]
	v_pk_fma_f32 v[114:115], v[116:117], v[114:115], v[118:119] neg_lo:[0,0,1] neg_hi:[0,0,1]
	v_mov_b32_e32 v115, v121
	s_cbranch_execz .LBB118_219
	s_branch .LBB118_220
.LBB118_218:
                                        ; implicit-def: $vgpr114_vgpr115
.LBB118_219:
	ds_load_b64 v[114:115], v1
.LBB118_220:
	s_and_saveexec_b32 s40, s0
	s_cbranch_execz .LBB118_224
; %bb.221:
	v_subrev_nc_u32_e32 v116, 33, v0
	s_movk_i32 s41, 0x2c8
	s_mov_b32 s0, 0
.LBB118_222:                            ; =>This Inner Loop Header: Depth=1
	scratch_load_b64 v[118:119], off, s38
	v_dual_mov_b32 v117, s41 :: v_dual_add_nc_u32 v116, -1, v116
	s_add_co_i32 s41, s41, 8
	s_wait_xcnt 0x0
	s_add_co_i32 s38, s38, 8
	ds_load_b64 v[120:121], v117
	v_cmp_eq_u32_e32 vcc_lo, 0, v116
	s_or_b32 s0, vcc_lo, s0
	s_wait_loadcnt_dscnt 0x0
	v_pk_mul_f32 v[122:123], v[120:121], v[118:119] op_sel:[1,1] op_sel_hi:[0,1]
	s_delay_alu instid0(VALU_DEP_1) | instskip(SKIP_1) | instid1(VALU_DEP_2)
	v_pk_fma_f32 v[124:125], v[120:121], v[118:119], v[122:123] op_sel_hi:[1,0,1]
	v_pk_fma_f32 v[118:119], v[120:121], v[118:119], v[122:123] neg_lo:[0,0,1] neg_hi:[0,0,1]
	v_mov_b32_e32 v119, v125
	s_delay_alu instid0(VALU_DEP_1)
	v_pk_add_f32 v[114:115], v[114:115], v[118:119]
	s_and_not1_b32 exec_lo, exec_lo, s0
	s_cbranch_execnz .LBB118_222
; %bb.223:
	s_or_b32 exec_lo, exec_lo, s0
.LBB118_224:
	s_delay_alu instid0(SALU_CYCLE_1) | instskip(SKIP_4) | instid1(VALU_DEP_1)
	s_or_b32 exec_lo, exec_lo, s40
	v_mov_b32_e32 v116, 0
	ds_load_b64 v[116:117], v116 offset:256
	s_wait_dscnt 0x0
	v_pk_mul_f32 v[118:119], v[114:115], v[116:117] op_sel:[1,1] op_sel_hi:[0,1]
	v_pk_fma_f32 v[120:121], v[114:115], v[116:117], v[118:119] op_sel_hi:[1,0,1]
	v_pk_fma_f32 v[114:115], v[114:115], v[116:117], v[118:119] neg_lo:[0,0,1] neg_hi:[0,0,1]
	s_delay_alu instid0(VALU_DEP_2)
	v_mov_b32_e32 v115, v121
	scratch_store_b64 off, v[114:115], off offset:256
.LBB118_225:
	s_wait_xcnt 0x0
	s_or_b32 exec_lo, exec_lo, s39
	scratch_load_b64 v[114:115], off, off offset:248
	v_cmp_lt_u32_e64 s0, 31, v0
	s_wait_loadcnt 0x0
	ds_store_b64 v1, v[114:115]
	s_wait_storecnt_dscnt 0x0
	s_barrier_signal -1
	s_barrier_wait -1
	s_wait_xcnt 0x0
	s_and_saveexec_b32 s38, s0
	s_cbranch_execz .LBB118_235
; %bb.226:
	s_and_not1_b32 vcc_lo, exec_lo, s5
	s_cbranch_vccnz .LBB118_228
; %bb.227:
	scratch_load_b64 v[114:115], v59, off
	ds_load_b64 v[116:117], v1
	s_wait_loadcnt_dscnt 0x0
	v_pk_mul_f32 v[118:119], v[116:117], v[114:115] op_sel:[1,1] op_sel_hi:[0,1]
	s_delay_alu instid0(VALU_DEP_1) | instskip(SKIP_1) | instid1(VALU_DEP_2)
	v_pk_fma_f32 v[120:121], v[116:117], v[114:115], v[118:119] op_sel_hi:[1,0,1]
	v_pk_fma_f32 v[114:115], v[116:117], v[114:115], v[118:119] neg_lo:[0,0,1] neg_hi:[0,0,1]
	v_mov_b32_e32 v115, v121
	s_cbranch_execz .LBB118_229
	s_branch .LBB118_230
.LBB118_228:
                                        ; implicit-def: $vgpr114_vgpr115
.LBB118_229:
	ds_load_b64 v[114:115], v1
.LBB118_230:
	s_and_saveexec_b32 s39, s1
	s_cbranch_execz .LBB118_234
; %bb.231:
	v_subrev_nc_u32_e32 v116, 32, v0
	s_movk_i32 s40, 0x2c0
	s_mov_b32 s1, 0
.LBB118_232:                            ; =>This Inner Loop Header: Depth=1
	scratch_load_b64 v[118:119], off, s37
	v_dual_mov_b32 v117, s40 :: v_dual_add_nc_u32 v116, -1, v116
	s_add_co_i32 s40, s40, 8
	s_wait_xcnt 0x0
	s_add_co_i32 s37, s37, 8
	ds_load_b64 v[120:121], v117
	v_cmp_eq_u32_e32 vcc_lo, 0, v116
	s_or_b32 s1, vcc_lo, s1
	s_wait_loadcnt_dscnt 0x0
	v_pk_mul_f32 v[122:123], v[120:121], v[118:119] op_sel:[1,1] op_sel_hi:[0,1]
	s_delay_alu instid0(VALU_DEP_1) | instskip(SKIP_1) | instid1(VALU_DEP_2)
	v_pk_fma_f32 v[124:125], v[120:121], v[118:119], v[122:123] op_sel_hi:[1,0,1]
	v_pk_fma_f32 v[118:119], v[120:121], v[118:119], v[122:123] neg_lo:[0,0,1] neg_hi:[0,0,1]
	v_mov_b32_e32 v119, v125
	s_delay_alu instid0(VALU_DEP_1)
	v_pk_add_f32 v[114:115], v[114:115], v[118:119]
	s_and_not1_b32 exec_lo, exec_lo, s1
	s_cbranch_execnz .LBB118_232
; %bb.233:
	s_or_b32 exec_lo, exec_lo, s1
.LBB118_234:
	s_delay_alu instid0(SALU_CYCLE_1) | instskip(SKIP_4) | instid1(VALU_DEP_1)
	s_or_b32 exec_lo, exec_lo, s39
	v_mov_b32_e32 v116, 0
	ds_load_b64 v[116:117], v116 offset:248
	s_wait_dscnt 0x0
	v_pk_mul_f32 v[118:119], v[114:115], v[116:117] op_sel:[1,1] op_sel_hi:[0,1]
	v_pk_fma_f32 v[120:121], v[114:115], v[116:117], v[118:119] op_sel_hi:[1,0,1]
	v_pk_fma_f32 v[114:115], v[114:115], v[116:117], v[118:119] neg_lo:[0,0,1] neg_hi:[0,0,1]
	s_delay_alu instid0(VALU_DEP_2)
	v_mov_b32_e32 v115, v121
	scratch_store_b64 off, v[114:115], off offset:248
.LBB118_235:
	s_wait_xcnt 0x0
	s_or_b32 exec_lo, exec_lo, s38
	scratch_load_b64 v[114:115], off, off offset:240
	v_cmp_lt_u32_e64 s1, 30, v0
	s_wait_loadcnt 0x0
	ds_store_b64 v1, v[114:115]
	s_wait_storecnt_dscnt 0x0
	s_barrier_signal -1
	s_barrier_wait -1
	s_wait_xcnt 0x0
	s_and_saveexec_b32 s37, s1
	s_cbranch_execz .LBB118_245
; %bb.236:
	s_and_not1_b32 vcc_lo, exec_lo, s5
	s_cbranch_vccnz .LBB118_238
; %bb.237:
	scratch_load_b64 v[114:115], v59, off
	ds_load_b64 v[116:117], v1
	s_wait_loadcnt_dscnt 0x0
	v_pk_mul_f32 v[118:119], v[116:117], v[114:115] op_sel:[1,1] op_sel_hi:[0,1]
	s_delay_alu instid0(VALU_DEP_1) | instskip(SKIP_1) | instid1(VALU_DEP_2)
	v_pk_fma_f32 v[120:121], v[116:117], v[114:115], v[118:119] op_sel_hi:[1,0,1]
	v_pk_fma_f32 v[114:115], v[116:117], v[114:115], v[118:119] neg_lo:[0,0,1] neg_hi:[0,0,1]
	v_mov_b32_e32 v115, v121
	s_cbranch_execz .LBB118_239
	s_branch .LBB118_240
.LBB118_238:
                                        ; implicit-def: $vgpr114_vgpr115
.LBB118_239:
	ds_load_b64 v[114:115], v1
.LBB118_240:
	s_and_saveexec_b32 s38, s0
	s_cbranch_execz .LBB118_244
; %bb.241:
	v_subrev_nc_u32_e32 v116, 31, v0
	s_movk_i32 s39, 0x2b8
	s_mov_b32 s0, 0
.LBB118_242:                            ; =>This Inner Loop Header: Depth=1
	scratch_load_b64 v[118:119], off, s36
	v_dual_mov_b32 v117, s39 :: v_dual_add_nc_u32 v116, -1, v116
	s_add_co_i32 s39, s39, 8
	s_wait_xcnt 0x0
	s_add_co_i32 s36, s36, 8
	ds_load_b64 v[120:121], v117
	v_cmp_eq_u32_e32 vcc_lo, 0, v116
	s_or_b32 s0, vcc_lo, s0
	s_wait_loadcnt_dscnt 0x0
	v_pk_mul_f32 v[122:123], v[120:121], v[118:119] op_sel:[1,1] op_sel_hi:[0,1]
	s_delay_alu instid0(VALU_DEP_1) | instskip(SKIP_1) | instid1(VALU_DEP_2)
	v_pk_fma_f32 v[124:125], v[120:121], v[118:119], v[122:123] op_sel_hi:[1,0,1]
	v_pk_fma_f32 v[118:119], v[120:121], v[118:119], v[122:123] neg_lo:[0,0,1] neg_hi:[0,0,1]
	v_mov_b32_e32 v119, v125
	s_delay_alu instid0(VALU_DEP_1)
	v_pk_add_f32 v[114:115], v[114:115], v[118:119]
	s_and_not1_b32 exec_lo, exec_lo, s0
	s_cbranch_execnz .LBB118_242
; %bb.243:
	s_or_b32 exec_lo, exec_lo, s0
.LBB118_244:
	s_delay_alu instid0(SALU_CYCLE_1) | instskip(SKIP_4) | instid1(VALU_DEP_1)
	s_or_b32 exec_lo, exec_lo, s38
	v_mov_b32_e32 v116, 0
	ds_load_b64 v[116:117], v116 offset:240
	s_wait_dscnt 0x0
	v_pk_mul_f32 v[118:119], v[114:115], v[116:117] op_sel:[1,1] op_sel_hi:[0,1]
	v_pk_fma_f32 v[120:121], v[114:115], v[116:117], v[118:119] op_sel_hi:[1,0,1]
	v_pk_fma_f32 v[114:115], v[114:115], v[116:117], v[118:119] neg_lo:[0,0,1] neg_hi:[0,0,1]
	s_delay_alu instid0(VALU_DEP_2)
	v_mov_b32_e32 v115, v121
	scratch_store_b64 off, v[114:115], off offset:240
.LBB118_245:
	s_wait_xcnt 0x0
	s_or_b32 exec_lo, exec_lo, s37
	scratch_load_b64 v[114:115], off, off offset:232
	v_cmp_lt_u32_e64 s0, 29, v0
	s_wait_loadcnt 0x0
	ds_store_b64 v1, v[114:115]
	s_wait_storecnt_dscnt 0x0
	s_barrier_signal -1
	s_barrier_wait -1
	s_wait_xcnt 0x0
	s_and_saveexec_b32 s36, s0
	s_cbranch_execz .LBB118_255
; %bb.246:
	s_and_not1_b32 vcc_lo, exec_lo, s5
	s_cbranch_vccnz .LBB118_248
; %bb.247:
	scratch_load_b64 v[114:115], v59, off
	ds_load_b64 v[116:117], v1
	s_wait_loadcnt_dscnt 0x0
	v_pk_mul_f32 v[118:119], v[116:117], v[114:115] op_sel:[1,1] op_sel_hi:[0,1]
	s_delay_alu instid0(VALU_DEP_1) | instskip(SKIP_1) | instid1(VALU_DEP_2)
	v_pk_fma_f32 v[120:121], v[116:117], v[114:115], v[118:119] op_sel_hi:[1,0,1]
	v_pk_fma_f32 v[114:115], v[116:117], v[114:115], v[118:119] neg_lo:[0,0,1] neg_hi:[0,0,1]
	v_mov_b32_e32 v115, v121
	s_cbranch_execz .LBB118_249
	s_branch .LBB118_250
.LBB118_248:
                                        ; implicit-def: $vgpr114_vgpr115
.LBB118_249:
	ds_load_b64 v[114:115], v1
.LBB118_250:
	s_and_saveexec_b32 s37, s1
	s_cbranch_execz .LBB118_254
; %bb.251:
	v_subrev_nc_u32_e32 v116, 30, v0
	s_movk_i32 s38, 0x2b0
	s_mov_b32 s1, 0
.LBB118_252:                            ; =>This Inner Loop Header: Depth=1
	scratch_load_b64 v[118:119], off, s35
	v_dual_mov_b32 v117, s38 :: v_dual_add_nc_u32 v116, -1, v116
	s_add_co_i32 s38, s38, 8
	s_wait_xcnt 0x0
	s_add_co_i32 s35, s35, 8
	ds_load_b64 v[120:121], v117
	v_cmp_eq_u32_e32 vcc_lo, 0, v116
	s_or_b32 s1, vcc_lo, s1
	s_wait_loadcnt_dscnt 0x0
	v_pk_mul_f32 v[122:123], v[120:121], v[118:119] op_sel:[1,1] op_sel_hi:[0,1]
	s_delay_alu instid0(VALU_DEP_1) | instskip(SKIP_1) | instid1(VALU_DEP_2)
	v_pk_fma_f32 v[124:125], v[120:121], v[118:119], v[122:123] op_sel_hi:[1,0,1]
	v_pk_fma_f32 v[118:119], v[120:121], v[118:119], v[122:123] neg_lo:[0,0,1] neg_hi:[0,0,1]
	v_mov_b32_e32 v119, v125
	s_delay_alu instid0(VALU_DEP_1)
	v_pk_add_f32 v[114:115], v[114:115], v[118:119]
	s_and_not1_b32 exec_lo, exec_lo, s1
	s_cbranch_execnz .LBB118_252
; %bb.253:
	s_or_b32 exec_lo, exec_lo, s1
.LBB118_254:
	s_delay_alu instid0(SALU_CYCLE_1) | instskip(SKIP_4) | instid1(VALU_DEP_1)
	s_or_b32 exec_lo, exec_lo, s37
	v_mov_b32_e32 v116, 0
	ds_load_b64 v[116:117], v116 offset:232
	s_wait_dscnt 0x0
	v_pk_mul_f32 v[118:119], v[114:115], v[116:117] op_sel:[1,1] op_sel_hi:[0,1]
	v_pk_fma_f32 v[120:121], v[114:115], v[116:117], v[118:119] op_sel_hi:[1,0,1]
	v_pk_fma_f32 v[114:115], v[114:115], v[116:117], v[118:119] neg_lo:[0,0,1] neg_hi:[0,0,1]
	s_delay_alu instid0(VALU_DEP_2)
	v_mov_b32_e32 v115, v121
	scratch_store_b64 off, v[114:115], off offset:232
.LBB118_255:
	s_wait_xcnt 0x0
	s_or_b32 exec_lo, exec_lo, s36
	scratch_load_b64 v[114:115], off, off offset:224
	v_cmp_lt_u32_e64 s1, 28, v0
	s_wait_loadcnt 0x0
	ds_store_b64 v1, v[114:115]
	s_wait_storecnt_dscnt 0x0
	s_barrier_signal -1
	s_barrier_wait -1
	s_wait_xcnt 0x0
	s_and_saveexec_b32 s35, s1
	s_cbranch_execz .LBB118_265
; %bb.256:
	s_and_not1_b32 vcc_lo, exec_lo, s5
	s_cbranch_vccnz .LBB118_258
; %bb.257:
	scratch_load_b64 v[114:115], v59, off
	ds_load_b64 v[116:117], v1
	s_wait_loadcnt_dscnt 0x0
	v_pk_mul_f32 v[118:119], v[116:117], v[114:115] op_sel:[1,1] op_sel_hi:[0,1]
	s_delay_alu instid0(VALU_DEP_1) | instskip(SKIP_1) | instid1(VALU_DEP_2)
	v_pk_fma_f32 v[120:121], v[116:117], v[114:115], v[118:119] op_sel_hi:[1,0,1]
	v_pk_fma_f32 v[114:115], v[116:117], v[114:115], v[118:119] neg_lo:[0,0,1] neg_hi:[0,0,1]
	v_mov_b32_e32 v115, v121
	s_cbranch_execz .LBB118_259
	s_branch .LBB118_260
.LBB118_258:
                                        ; implicit-def: $vgpr114_vgpr115
.LBB118_259:
	ds_load_b64 v[114:115], v1
.LBB118_260:
	s_and_saveexec_b32 s36, s0
	s_cbranch_execz .LBB118_264
; %bb.261:
	v_subrev_nc_u32_e32 v116, 29, v0
	s_movk_i32 s37, 0x2a8
	s_mov_b32 s0, 0
.LBB118_262:                            ; =>This Inner Loop Header: Depth=1
	scratch_load_b64 v[118:119], off, s34
	v_dual_mov_b32 v117, s37 :: v_dual_add_nc_u32 v116, -1, v116
	s_add_co_i32 s37, s37, 8
	s_wait_xcnt 0x0
	s_add_co_i32 s34, s34, 8
	ds_load_b64 v[120:121], v117
	v_cmp_eq_u32_e32 vcc_lo, 0, v116
	s_or_b32 s0, vcc_lo, s0
	s_wait_loadcnt_dscnt 0x0
	v_pk_mul_f32 v[122:123], v[120:121], v[118:119] op_sel:[1,1] op_sel_hi:[0,1]
	s_delay_alu instid0(VALU_DEP_1) | instskip(SKIP_1) | instid1(VALU_DEP_2)
	v_pk_fma_f32 v[124:125], v[120:121], v[118:119], v[122:123] op_sel_hi:[1,0,1]
	v_pk_fma_f32 v[118:119], v[120:121], v[118:119], v[122:123] neg_lo:[0,0,1] neg_hi:[0,0,1]
	v_mov_b32_e32 v119, v125
	s_delay_alu instid0(VALU_DEP_1)
	v_pk_add_f32 v[114:115], v[114:115], v[118:119]
	s_and_not1_b32 exec_lo, exec_lo, s0
	s_cbranch_execnz .LBB118_262
; %bb.263:
	s_or_b32 exec_lo, exec_lo, s0
.LBB118_264:
	s_delay_alu instid0(SALU_CYCLE_1) | instskip(SKIP_4) | instid1(VALU_DEP_1)
	s_or_b32 exec_lo, exec_lo, s36
	v_mov_b32_e32 v116, 0
	ds_load_b64 v[116:117], v116 offset:224
	s_wait_dscnt 0x0
	v_pk_mul_f32 v[118:119], v[114:115], v[116:117] op_sel:[1,1] op_sel_hi:[0,1]
	v_pk_fma_f32 v[120:121], v[114:115], v[116:117], v[118:119] op_sel_hi:[1,0,1]
	v_pk_fma_f32 v[114:115], v[114:115], v[116:117], v[118:119] neg_lo:[0,0,1] neg_hi:[0,0,1]
	s_delay_alu instid0(VALU_DEP_2)
	v_mov_b32_e32 v115, v121
	scratch_store_b64 off, v[114:115], off offset:224
.LBB118_265:
	s_wait_xcnt 0x0
	s_or_b32 exec_lo, exec_lo, s35
	scratch_load_b64 v[114:115], off, off offset:216
	v_cmp_lt_u32_e64 s0, 27, v0
	s_wait_loadcnt 0x0
	ds_store_b64 v1, v[114:115]
	s_wait_storecnt_dscnt 0x0
	s_barrier_signal -1
	s_barrier_wait -1
	s_wait_xcnt 0x0
	s_and_saveexec_b32 s34, s0
	s_cbranch_execz .LBB118_275
; %bb.266:
	s_and_not1_b32 vcc_lo, exec_lo, s5
	s_cbranch_vccnz .LBB118_268
; %bb.267:
	scratch_load_b64 v[114:115], v59, off
	ds_load_b64 v[116:117], v1
	s_wait_loadcnt_dscnt 0x0
	v_pk_mul_f32 v[118:119], v[116:117], v[114:115] op_sel:[1,1] op_sel_hi:[0,1]
	s_delay_alu instid0(VALU_DEP_1) | instskip(SKIP_1) | instid1(VALU_DEP_2)
	v_pk_fma_f32 v[120:121], v[116:117], v[114:115], v[118:119] op_sel_hi:[1,0,1]
	v_pk_fma_f32 v[114:115], v[116:117], v[114:115], v[118:119] neg_lo:[0,0,1] neg_hi:[0,0,1]
	v_mov_b32_e32 v115, v121
	s_cbranch_execz .LBB118_269
	s_branch .LBB118_270
.LBB118_268:
                                        ; implicit-def: $vgpr114_vgpr115
.LBB118_269:
	ds_load_b64 v[114:115], v1
.LBB118_270:
	s_and_saveexec_b32 s35, s1
	s_cbranch_execz .LBB118_274
; %bb.271:
	v_subrev_nc_u32_e32 v116, 28, v0
	s_movk_i32 s36, 0x2a0
	s_mov_b32 s1, 0
.LBB118_272:                            ; =>This Inner Loop Header: Depth=1
	scratch_load_b64 v[118:119], off, s33
	v_dual_mov_b32 v117, s36 :: v_dual_add_nc_u32 v116, -1, v116
	s_add_co_i32 s36, s36, 8
	s_wait_xcnt 0x0
	s_add_co_i32 s33, s33, 8
	ds_load_b64 v[120:121], v117
	v_cmp_eq_u32_e32 vcc_lo, 0, v116
	s_or_b32 s1, vcc_lo, s1
	s_wait_loadcnt_dscnt 0x0
	v_pk_mul_f32 v[122:123], v[120:121], v[118:119] op_sel:[1,1] op_sel_hi:[0,1]
	s_delay_alu instid0(VALU_DEP_1) | instskip(SKIP_1) | instid1(VALU_DEP_2)
	v_pk_fma_f32 v[124:125], v[120:121], v[118:119], v[122:123] op_sel_hi:[1,0,1]
	v_pk_fma_f32 v[118:119], v[120:121], v[118:119], v[122:123] neg_lo:[0,0,1] neg_hi:[0,0,1]
	v_mov_b32_e32 v119, v125
	s_delay_alu instid0(VALU_DEP_1)
	v_pk_add_f32 v[114:115], v[114:115], v[118:119]
	s_and_not1_b32 exec_lo, exec_lo, s1
	s_cbranch_execnz .LBB118_272
; %bb.273:
	s_or_b32 exec_lo, exec_lo, s1
.LBB118_274:
	s_delay_alu instid0(SALU_CYCLE_1) | instskip(SKIP_4) | instid1(VALU_DEP_1)
	s_or_b32 exec_lo, exec_lo, s35
	v_mov_b32_e32 v116, 0
	ds_load_b64 v[116:117], v116 offset:216
	s_wait_dscnt 0x0
	v_pk_mul_f32 v[118:119], v[114:115], v[116:117] op_sel:[1,1] op_sel_hi:[0,1]
	v_pk_fma_f32 v[120:121], v[114:115], v[116:117], v[118:119] op_sel_hi:[1,0,1]
	v_pk_fma_f32 v[114:115], v[114:115], v[116:117], v[118:119] neg_lo:[0,0,1] neg_hi:[0,0,1]
	s_delay_alu instid0(VALU_DEP_2)
	v_mov_b32_e32 v115, v121
	scratch_store_b64 off, v[114:115], off offset:216
.LBB118_275:
	s_wait_xcnt 0x0
	s_or_b32 exec_lo, exec_lo, s34
	scratch_load_b64 v[114:115], off, off offset:208
	v_cmp_lt_u32_e64 s1, 26, v0
	s_wait_loadcnt 0x0
	ds_store_b64 v1, v[114:115]
	s_wait_storecnt_dscnt 0x0
	s_barrier_signal -1
	s_barrier_wait -1
	s_wait_xcnt 0x0
	s_and_saveexec_b32 s33, s1
	s_cbranch_execz .LBB118_285
; %bb.276:
	s_and_not1_b32 vcc_lo, exec_lo, s5
	s_cbranch_vccnz .LBB118_278
; %bb.277:
	scratch_load_b64 v[114:115], v59, off
	ds_load_b64 v[116:117], v1
	s_wait_loadcnt_dscnt 0x0
	v_pk_mul_f32 v[118:119], v[116:117], v[114:115] op_sel:[1,1] op_sel_hi:[0,1]
	s_delay_alu instid0(VALU_DEP_1) | instskip(SKIP_1) | instid1(VALU_DEP_2)
	v_pk_fma_f32 v[120:121], v[116:117], v[114:115], v[118:119] op_sel_hi:[1,0,1]
	v_pk_fma_f32 v[114:115], v[116:117], v[114:115], v[118:119] neg_lo:[0,0,1] neg_hi:[0,0,1]
	v_mov_b32_e32 v115, v121
	s_cbranch_execz .LBB118_279
	s_branch .LBB118_280
.LBB118_278:
                                        ; implicit-def: $vgpr114_vgpr115
.LBB118_279:
	ds_load_b64 v[114:115], v1
.LBB118_280:
	s_and_saveexec_b32 s34, s0
	s_cbranch_execz .LBB118_284
; %bb.281:
	v_subrev_nc_u32_e32 v116, 27, v0
	s_movk_i32 s35, 0x298
	s_mov_b32 s0, 0
.LBB118_282:                            ; =>This Inner Loop Header: Depth=1
	scratch_load_b64 v[118:119], off, s31
	v_dual_mov_b32 v117, s35 :: v_dual_add_nc_u32 v116, -1, v116
	s_add_co_i32 s35, s35, 8
	s_wait_xcnt 0x0
	s_add_co_i32 s31, s31, 8
	ds_load_b64 v[120:121], v117
	v_cmp_eq_u32_e32 vcc_lo, 0, v116
	s_or_b32 s0, vcc_lo, s0
	s_wait_loadcnt_dscnt 0x0
	v_pk_mul_f32 v[122:123], v[120:121], v[118:119] op_sel:[1,1] op_sel_hi:[0,1]
	s_delay_alu instid0(VALU_DEP_1) | instskip(SKIP_1) | instid1(VALU_DEP_2)
	v_pk_fma_f32 v[124:125], v[120:121], v[118:119], v[122:123] op_sel_hi:[1,0,1]
	v_pk_fma_f32 v[118:119], v[120:121], v[118:119], v[122:123] neg_lo:[0,0,1] neg_hi:[0,0,1]
	v_mov_b32_e32 v119, v125
	s_delay_alu instid0(VALU_DEP_1)
	v_pk_add_f32 v[114:115], v[114:115], v[118:119]
	s_and_not1_b32 exec_lo, exec_lo, s0
	s_cbranch_execnz .LBB118_282
; %bb.283:
	s_or_b32 exec_lo, exec_lo, s0
.LBB118_284:
	s_delay_alu instid0(SALU_CYCLE_1) | instskip(SKIP_4) | instid1(VALU_DEP_1)
	s_or_b32 exec_lo, exec_lo, s34
	v_mov_b32_e32 v116, 0
	ds_load_b64 v[116:117], v116 offset:208
	s_wait_dscnt 0x0
	v_pk_mul_f32 v[118:119], v[114:115], v[116:117] op_sel:[1,1] op_sel_hi:[0,1]
	v_pk_fma_f32 v[120:121], v[114:115], v[116:117], v[118:119] op_sel_hi:[1,0,1]
	v_pk_fma_f32 v[114:115], v[114:115], v[116:117], v[118:119] neg_lo:[0,0,1] neg_hi:[0,0,1]
	s_delay_alu instid0(VALU_DEP_2)
	v_mov_b32_e32 v115, v121
	scratch_store_b64 off, v[114:115], off offset:208
.LBB118_285:
	s_wait_xcnt 0x0
	s_or_b32 exec_lo, exec_lo, s33
	scratch_load_b64 v[114:115], off, off offset:200
	v_cmp_lt_u32_e64 s0, 25, v0
	s_wait_loadcnt 0x0
	ds_store_b64 v1, v[114:115]
	s_wait_storecnt_dscnt 0x0
	s_barrier_signal -1
	s_barrier_wait -1
	s_wait_xcnt 0x0
	s_and_saveexec_b32 s31, s0
	s_cbranch_execz .LBB118_295
; %bb.286:
	s_and_not1_b32 vcc_lo, exec_lo, s5
	s_cbranch_vccnz .LBB118_288
; %bb.287:
	scratch_load_b64 v[114:115], v59, off
	ds_load_b64 v[116:117], v1
	s_wait_loadcnt_dscnt 0x0
	v_pk_mul_f32 v[118:119], v[116:117], v[114:115] op_sel:[1,1] op_sel_hi:[0,1]
	s_delay_alu instid0(VALU_DEP_1) | instskip(SKIP_1) | instid1(VALU_DEP_2)
	v_pk_fma_f32 v[120:121], v[116:117], v[114:115], v[118:119] op_sel_hi:[1,0,1]
	v_pk_fma_f32 v[114:115], v[116:117], v[114:115], v[118:119] neg_lo:[0,0,1] neg_hi:[0,0,1]
	v_mov_b32_e32 v115, v121
	s_cbranch_execz .LBB118_289
	s_branch .LBB118_290
.LBB118_288:
                                        ; implicit-def: $vgpr114_vgpr115
.LBB118_289:
	ds_load_b64 v[114:115], v1
.LBB118_290:
	s_and_saveexec_b32 s33, s1
	s_cbranch_execz .LBB118_294
; %bb.291:
	v_subrev_nc_u32_e32 v116, 26, v0
	s_movk_i32 s34, 0x290
	s_mov_b32 s1, 0
.LBB118_292:                            ; =>This Inner Loop Header: Depth=1
	scratch_load_b64 v[118:119], off, s30
	v_dual_mov_b32 v117, s34 :: v_dual_add_nc_u32 v116, -1, v116
	s_add_co_i32 s34, s34, 8
	s_wait_xcnt 0x0
	s_add_co_i32 s30, s30, 8
	ds_load_b64 v[120:121], v117
	v_cmp_eq_u32_e32 vcc_lo, 0, v116
	s_or_b32 s1, vcc_lo, s1
	s_wait_loadcnt_dscnt 0x0
	v_pk_mul_f32 v[122:123], v[120:121], v[118:119] op_sel:[1,1] op_sel_hi:[0,1]
	s_delay_alu instid0(VALU_DEP_1) | instskip(SKIP_1) | instid1(VALU_DEP_2)
	v_pk_fma_f32 v[124:125], v[120:121], v[118:119], v[122:123] op_sel_hi:[1,0,1]
	v_pk_fma_f32 v[118:119], v[120:121], v[118:119], v[122:123] neg_lo:[0,0,1] neg_hi:[0,0,1]
	v_mov_b32_e32 v119, v125
	s_delay_alu instid0(VALU_DEP_1)
	v_pk_add_f32 v[114:115], v[114:115], v[118:119]
	s_and_not1_b32 exec_lo, exec_lo, s1
	s_cbranch_execnz .LBB118_292
; %bb.293:
	s_or_b32 exec_lo, exec_lo, s1
.LBB118_294:
	s_delay_alu instid0(SALU_CYCLE_1) | instskip(SKIP_4) | instid1(VALU_DEP_1)
	s_or_b32 exec_lo, exec_lo, s33
	v_mov_b32_e32 v116, 0
	ds_load_b64 v[116:117], v116 offset:200
	s_wait_dscnt 0x0
	v_pk_mul_f32 v[118:119], v[114:115], v[116:117] op_sel:[1,1] op_sel_hi:[0,1]
	v_pk_fma_f32 v[120:121], v[114:115], v[116:117], v[118:119] op_sel_hi:[1,0,1]
	v_pk_fma_f32 v[114:115], v[114:115], v[116:117], v[118:119] neg_lo:[0,0,1] neg_hi:[0,0,1]
	s_delay_alu instid0(VALU_DEP_2)
	v_mov_b32_e32 v115, v121
	scratch_store_b64 off, v[114:115], off offset:200
.LBB118_295:
	s_wait_xcnt 0x0
	s_or_b32 exec_lo, exec_lo, s31
	scratch_load_b64 v[114:115], off, off offset:192
	v_cmp_lt_u32_e64 s1, 24, v0
	s_wait_loadcnt 0x0
	ds_store_b64 v1, v[114:115]
	s_wait_storecnt_dscnt 0x0
	s_barrier_signal -1
	s_barrier_wait -1
	s_wait_xcnt 0x0
	s_and_saveexec_b32 s30, s1
	s_cbranch_execz .LBB118_305
; %bb.296:
	s_and_not1_b32 vcc_lo, exec_lo, s5
	s_cbranch_vccnz .LBB118_298
; %bb.297:
	scratch_load_b64 v[114:115], v59, off
	ds_load_b64 v[116:117], v1
	s_wait_loadcnt_dscnt 0x0
	v_pk_mul_f32 v[118:119], v[116:117], v[114:115] op_sel:[1,1] op_sel_hi:[0,1]
	s_delay_alu instid0(VALU_DEP_1) | instskip(SKIP_1) | instid1(VALU_DEP_2)
	v_pk_fma_f32 v[120:121], v[116:117], v[114:115], v[118:119] op_sel_hi:[1,0,1]
	v_pk_fma_f32 v[114:115], v[116:117], v[114:115], v[118:119] neg_lo:[0,0,1] neg_hi:[0,0,1]
	v_mov_b32_e32 v115, v121
	s_cbranch_execz .LBB118_299
	s_branch .LBB118_300
.LBB118_298:
                                        ; implicit-def: $vgpr114_vgpr115
.LBB118_299:
	ds_load_b64 v[114:115], v1
.LBB118_300:
	s_and_saveexec_b32 s31, s0
	s_cbranch_execz .LBB118_304
; %bb.301:
	v_subrev_nc_u32_e32 v116, 25, v0
	s_movk_i32 s33, 0x288
	s_mov_b32 s0, 0
.LBB118_302:                            ; =>This Inner Loop Header: Depth=1
	scratch_load_b64 v[118:119], off, s29
	v_dual_mov_b32 v117, s33 :: v_dual_add_nc_u32 v116, -1, v116
	s_add_co_i32 s33, s33, 8
	s_wait_xcnt 0x0
	s_add_co_i32 s29, s29, 8
	ds_load_b64 v[120:121], v117
	v_cmp_eq_u32_e32 vcc_lo, 0, v116
	s_or_b32 s0, vcc_lo, s0
	s_wait_loadcnt_dscnt 0x0
	v_pk_mul_f32 v[122:123], v[120:121], v[118:119] op_sel:[1,1] op_sel_hi:[0,1]
	s_delay_alu instid0(VALU_DEP_1) | instskip(SKIP_1) | instid1(VALU_DEP_2)
	v_pk_fma_f32 v[124:125], v[120:121], v[118:119], v[122:123] op_sel_hi:[1,0,1]
	v_pk_fma_f32 v[118:119], v[120:121], v[118:119], v[122:123] neg_lo:[0,0,1] neg_hi:[0,0,1]
	v_mov_b32_e32 v119, v125
	s_delay_alu instid0(VALU_DEP_1)
	v_pk_add_f32 v[114:115], v[114:115], v[118:119]
	s_and_not1_b32 exec_lo, exec_lo, s0
	s_cbranch_execnz .LBB118_302
; %bb.303:
	s_or_b32 exec_lo, exec_lo, s0
.LBB118_304:
	s_delay_alu instid0(SALU_CYCLE_1) | instskip(SKIP_4) | instid1(VALU_DEP_1)
	s_or_b32 exec_lo, exec_lo, s31
	v_mov_b32_e32 v116, 0
	ds_load_b64 v[116:117], v116 offset:192
	s_wait_dscnt 0x0
	v_pk_mul_f32 v[118:119], v[114:115], v[116:117] op_sel:[1,1] op_sel_hi:[0,1]
	v_pk_fma_f32 v[120:121], v[114:115], v[116:117], v[118:119] op_sel_hi:[1,0,1]
	v_pk_fma_f32 v[114:115], v[114:115], v[116:117], v[118:119] neg_lo:[0,0,1] neg_hi:[0,0,1]
	s_delay_alu instid0(VALU_DEP_2)
	v_mov_b32_e32 v115, v121
	scratch_store_b64 off, v[114:115], off offset:192
.LBB118_305:
	s_wait_xcnt 0x0
	s_or_b32 exec_lo, exec_lo, s30
	scratch_load_b64 v[114:115], off, off offset:184
	v_cmp_lt_u32_e64 s0, 23, v0
	s_wait_loadcnt 0x0
	ds_store_b64 v1, v[114:115]
	s_wait_storecnt_dscnt 0x0
	s_barrier_signal -1
	s_barrier_wait -1
	s_wait_xcnt 0x0
	s_and_saveexec_b32 s29, s0
	s_cbranch_execz .LBB118_315
; %bb.306:
	s_and_not1_b32 vcc_lo, exec_lo, s5
	s_cbranch_vccnz .LBB118_308
; %bb.307:
	scratch_load_b64 v[114:115], v59, off
	ds_load_b64 v[116:117], v1
	s_wait_loadcnt_dscnt 0x0
	v_pk_mul_f32 v[118:119], v[116:117], v[114:115] op_sel:[1,1] op_sel_hi:[0,1]
	s_delay_alu instid0(VALU_DEP_1) | instskip(SKIP_1) | instid1(VALU_DEP_2)
	v_pk_fma_f32 v[120:121], v[116:117], v[114:115], v[118:119] op_sel_hi:[1,0,1]
	v_pk_fma_f32 v[114:115], v[116:117], v[114:115], v[118:119] neg_lo:[0,0,1] neg_hi:[0,0,1]
	v_mov_b32_e32 v115, v121
	s_cbranch_execz .LBB118_309
	s_branch .LBB118_310
.LBB118_308:
                                        ; implicit-def: $vgpr114_vgpr115
.LBB118_309:
	ds_load_b64 v[114:115], v1
.LBB118_310:
	s_and_saveexec_b32 s30, s1
	s_cbranch_execz .LBB118_314
; %bb.311:
	v_subrev_nc_u32_e32 v116, 24, v0
	s_movk_i32 s31, 0x280
	s_mov_b32 s1, 0
.LBB118_312:                            ; =>This Inner Loop Header: Depth=1
	scratch_load_b64 v[118:119], off, s28
	v_dual_mov_b32 v117, s31 :: v_dual_add_nc_u32 v116, -1, v116
	s_add_co_i32 s31, s31, 8
	s_wait_xcnt 0x0
	s_add_co_i32 s28, s28, 8
	ds_load_b64 v[120:121], v117
	v_cmp_eq_u32_e32 vcc_lo, 0, v116
	s_or_b32 s1, vcc_lo, s1
	s_wait_loadcnt_dscnt 0x0
	v_pk_mul_f32 v[122:123], v[120:121], v[118:119] op_sel:[1,1] op_sel_hi:[0,1]
	s_delay_alu instid0(VALU_DEP_1) | instskip(SKIP_1) | instid1(VALU_DEP_2)
	v_pk_fma_f32 v[124:125], v[120:121], v[118:119], v[122:123] op_sel_hi:[1,0,1]
	v_pk_fma_f32 v[118:119], v[120:121], v[118:119], v[122:123] neg_lo:[0,0,1] neg_hi:[0,0,1]
	v_mov_b32_e32 v119, v125
	s_delay_alu instid0(VALU_DEP_1)
	v_pk_add_f32 v[114:115], v[114:115], v[118:119]
	s_and_not1_b32 exec_lo, exec_lo, s1
	s_cbranch_execnz .LBB118_312
; %bb.313:
	s_or_b32 exec_lo, exec_lo, s1
.LBB118_314:
	s_delay_alu instid0(SALU_CYCLE_1) | instskip(SKIP_4) | instid1(VALU_DEP_1)
	s_or_b32 exec_lo, exec_lo, s30
	v_mov_b32_e32 v116, 0
	ds_load_b64 v[116:117], v116 offset:184
	s_wait_dscnt 0x0
	v_pk_mul_f32 v[118:119], v[114:115], v[116:117] op_sel:[1,1] op_sel_hi:[0,1]
	v_pk_fma_f32 v[120:121], v[114:115], v[116:117], v[118:119] op_sel_hi:[1,0,1]
	v_pk_fma_f32 v[114:115], v[114:115], v[116:117], v[118:119] neg_lo:[0,0,1] neg_hi:[0,0,1]
	s_delay_alu instid0(VALU_DEP_2)
	v_mov_b32_e32 v115, v121
	scratch_store_b64 off, v[114:115], off offset:184
.LBB118_315:
	s_wait_xcnt 0x0
	s_or_b32 exec_lo, exec_lo, s29
	scratch_load_b64 v[114:115], off, off offset:176
	v_cmp_lt_u32_e64 s1, 22, v0
	s_wait_loadcnt 0x0
	ds_store_b64 v1, v[114:115]
	s_wait_storecnt_dscnt 0x0
	s_barrier_signal -1
	s_barrier_wait -1
	s_wait_xcnt 0x0
	s_and_saveexec_b32 s28, s1
	s_cbranch_execz .LBB118_325
; %bb.316:
	s_and_not1_b32 vcc_lo, exec_lo, s5
	s_cbranch_vccnz .LBB118_318
; %bb.317:
	scratch_load_b64 v[114:115], v59, off
	ds_load_b64 v[116:117], v1
	s_wait_loadcnt_dscnt 0x0
	v_pk_mul_f32 v[118:119], v[116:117], v[114:115] op_sel:[1,1] op_sel_hi:[0,1]
	s_delay_alu instid0(VALU_DEP_1) | instskip(SKIP_1) | instid1(VALU_DEP_2)
	v_pk_fma_f32 v[120:121], v[116:117], v[114:115], v[118:119] op_sel_hi:[1,0,1]
	v_pk_fma_f32 v[114:115], v[116:117], v[114:115], v[118:119] neg_lo:[0,0,1] neg_hi:[0,0,1]
	v_mov_b32_e32 v115, v121
	s_cbranch_execz .LBB118_319
	s_branch .LBB118_320
.LBB118_318:
                                        ; implicit-def: $vgpr114_vgpr115
.LBB118_319:
	ds_load_b64 v[114:115], v1
.LBB118_320:
	s_and_saveexec_b32 s29, s0
	s_cbranch_execz .LBB118_324
; %bb.321:
	v_subrev_nc_u32_e32 v116, 23, v0
	s_movk_i32 s30, 0x278
	s_mov_b32 s0, 0
.LBB118_322:                            ; =>This Inner Loop Header: Depth=1
	scratch_load_b64 v[118:119], off, s27
	v_dual_mov_b32 v117, s30 :: v_dual_add_nc_u32 v116, -1, v116
	s_add_co_i32 s30, s30, 8
	s_wait_xcnt 0x0
	s_add_co_i32 s27, s27, 8
	ds_load_b64 v[120:121], v117
	v_cmp_eq_u32_e32 vcc_lo, 0, v116
	s_or_b32 s0, vcc_lo, s0
	s_wait_loadcnt_dscnt 0x0
	v_pk_mul_f32 v[122:123], v[120:121], v[118:119] op_sel:[1,1] op_sel_hi:[0,1]
	s_delay_alu instid0(VALU_DEP_1) | instskip(SKIP_1) | instid1(VALU_DEP_2)
	v_pk_fma_f32 v[124:125], v[120:121], v[118:119], v[122:123] op_sel_hi:[1,0,1]
	v_pk_fma_f32 v[118:119], v[120:121], v[118:119], v[122:123] neg_lo:[0,0,1] neg_hi:[0,0,1]
	v_mov_b32_e32 v119, v125
	s_delay_alu instid0(VALU_DEP_1)
	v_pk_add_f32 v[114:115], v[114:115], v[118:119]
	s_and_not1_b32 exec_lo, exec_lo, s0
	s_cbranch_execnz .LBB118_322
; %bb.323:
	s_or_b32 exec_lo, exec_lo, s0
.LBB118_324:
	s_delay_alu instid0(SALU_CYCLE_1) | instskip(SKIP_4) | instid1(VALU_DEP_1)
	s_or_b32 exec_lo, exec_lo, s29
	v_mov_b32_e32 v116, 0
	ds_load_b64 v[116:117], v116 offset:176
	s_wait_dscnt 0x0
	v_pk_mul_f32 v[118:119], v[114:115], v[116:117] op_sel:[1,1] op_sel_hi:[0,1]
	v_pk_fma_f32 v[120:121], v[114:115], v[116:117], v[118:119] op_sel_hi:[1,0,1]
	v_pk_fma_f32 v[114:115], v[114:115], v[116:117], v[118:119] neg_lo:[0,0,1] neg_hi:[0,0,1]
	s_delay_alu instid0(VALU_DEP_2)
	v_mov_b32_e32 v115, v121
	scratch_store_b64 off, v[114:115], off offset:176
.LBB118_325:
	s_wait_xcnt 0x0
	s_or_b32 exec_lo, exec_lo, s28
	scratch_load_b64 v[114:115], off, off offset:168
	v_cmp_lt_u32_e64 s0, 21, v0
	s_wait_loadcnt 0x0
	ds_store_b64 v1, v[114:115]
	s_wait_storecnt_dscnt 0x0
	s_barrier_signal -1
	s_barrier_wait -1
	s_wait_xcnt 0x0
	s_and_saveexec_b32 s27, s0
	s_cbranch_execz .LBB118_335
; %bb.326:
	s_and_not1_b32 vcc_lo, exec_lo, s5
	s_cbranch_vccnz .LBB118_328
; %bb.327:
	scratch_load_b64 v[114:115], v59, off
	ds_load_b64 v[116:117], v1
	s_wait_loadcnt_dscnt 0x0
	v_pk_mul_f32 v[118:119], v[116:117], v[114:115] op_sel:[1,1] op_sel_hi:[0,1]
	s_delay_alu instid0(VALU_DEP_1) | instskip(SKIP_1) | instid1(VALU_DEP_2)
	v_pk_fma_f32 v[120:121], v[116:117], v[114:115], v[118:119] op_sel_hi:[1,0,1]
	v_pk_fma_f32 v[114:115], v[116:117], v[114:115], v[118:119] neg_lo:[0,0,1] neg_hi:[0,0,1]
	v_mov_b32_e32 v115, v121
	s_cbranch_execz .LBB118_329
	s_branch .LBB118_330
.LBB118_328:
                                        ; implicit-def: $vgpr114_vgpr115
.LBB118_329:
	ds_load_b64 v[114:115], v1
.LBB118_330:
	s_and_saveexec_b32 s28, s1
	s_cbranch_execz .LBB118_334
; %bb.331:
	v_subrev_nc_u32_e32 v116, 22, v0
	s_movk_i32 s29, 0x270
	s_mov_b32 s1, 0
.LBB118_332:                            ; =>This Inner Loop Header: Depth=1
	scratch_load_b64 v[118:119], off, s26
	v_dual_mov_b32 v117, s29 :: v_dual_add_nc_u32 v116, -1, v116
	s_add_co_i32 s29, s29, 8
	s_wait_xcnt 0x0
	s_add_co_i32 s26, s26, 8
	ds_load_b64 v[120:121], v117
	v_cmp_eq_u32_e32 vcc_lo, 0, v116
	s_or_b32 s1, vcc_lo, s1
	s_wait_loadcnt_dscnt 0x0
	v_pk_mul_f32 v[122:123], v[120:121], v[118:119] op_sel:[1,1] op_sel_hi:[0,1]
	s_delay_alu instid0(VALU_DEP_1) | instskip(SKIP_1) | instid1(VALU_DEP_2)
	v_pk_fma_f32 v[124:125], v[120:121], v[118:119], v[122:123] op_sel_hi:[1,0,1]
	v_pk_fma_f32 v[118:119], v[120:121], v[118:119], v[122:123] neg_lo:[0,0,1] neg_hi:[0,0,1]
	v_mov_b32_e32 v119, v125
	s_delay_alu instid0(VALU_DEP_1)
	v_pk_add_f32 v[114:115], v[114:115], v[118:119]
	s_and_not1_b32 exec_lo, exec_lo, s1
	s_cbranch_execnz .LBB118_332
; %bb.333:
	s_or_b32 exec_lo, exec_lo, s1
.LBB118_334:
	s_delay_alu instid0(SALU_CYCLE_1) | instskip(SKIP_4) | instid1(VALU_DEP_1)
	s_or_b32 exec_lo, exec_lo, s28
	v_mov_b32_e32 v116, 0
	ds_load_b64 v[116:117], v116 offset:168
	s_wait_dscnt 0x0
	v_pk_mul_f32 v[118:119], v[114:115], v[116:117] op_sel:[1,1] op_sel_hi:[0,1]
	v_pk_fma_f32 v[120:121], v[114:115], v[116:117], v[118:119] op_sel_hi:[1,0,1]
	v_pk_fma_f32 v[114:115], v[114:115], v[116:117], v[118:119] neg_lo:[0,0,1] neg_hi:[0,0,1]
	s_delay_alu instid0(VALU_DEP_2)
	v_mov_b32_e32 v115, v121
	scratch_store_b64 off, v[114:115], off offset:168
.LBB118_335:
	s_wait_xcnt 0x0
	s_or_b32 exec_lo, exec_lo, s27
	scratch_load_b64 v[114:115], off, off offset:160
	v_cmp_lt_u32_e64 s1, 20, v0
	s_wait_loadcnt 0x0
	ds_store_b64 v1, v[114:115]
	s_wait_storecnt_dscnt 0x0
	s_barrier_signal -1
	s_barrier_wait -1
	s_wait_xcnt 0x0
	s_and_saveexec_b32 s26, s1
	s_cbranch_execz .LBB118_345
; %bb.336:
	s_and_not1_b32 vcc_lo, exec_lo, s5
	s_cbranch_vccnz .LBB118_338
; %bb.337:
	scratch_load_b64 v[114:115], v59, off
	ds_load_b64 v[116:117], v1
	s_wait_loadcnt_dscnt 0x0
	v_pk_mul_f32 v[118:119], v[116:117], v[114:115] op_sel:[1,1] op_sel_hi:[0,1]
	s_delay_alu instid0(VALU_DEP_1) | instskip(SKIP_1) | instid1(VALU_DEP_2)
	v_pk_fma_f32 v[120:121], v[116:117], v[114:115], v[118:119] op_sel_hi:[1,0,1]
	v_pk_fma_f32 v[114:115], v[116:117], v[114:115], v[118:119] neg_lo:[0,0,1] neg_hi:[0,0,1]
	v_mov_b32_e32 v115, v121
	s_cbranch_execz .LBB118_339
	s_branch .LBB118_340
.LBB118_338:
                                        ; implicit-def: $vgpr114_vgpr115
.LBB118_339:
	ds_load_b64 v[114:115], v1
.LBB118_340:
	s_and_saveexec_b32 s27, s0
	s_cbranch_execz .LBB118_344
; %bb.341:
	v_subrev_nc_u32_e32 v116, 21, v0
	s_movk_i32 s28, 0x268
	s_mov_b32 s0, 0
.LBB118_342:                            ; =>This Inner Loop Header: Depth=1
	scratch_load_b64 v[118:119], off, s25
	v_dual_mov_b32 v117, s28 :: v_dual_add_nc_u32 v116, -1, v116
	s_add_co_i32 s28, s28, 8
	s_wait_xcnt 0x0
	s_add_co_i32 s25, s25, 8
	ds_load_b64 v[120:121], v117
	v_cmp_eq_u32_e32 vcc_lo, 0, v116
	s_or_b32 s0, vcc_lo, s0
	s_wait_loadcnt_dscnt 0x0
	v_pk_mul_f32 v[122:123], v[120:121], v[118:119] op_sel:[1,1] op_sel_hi:[0,1]
	s_delay_alu instid0(VALU_DEP_1) | instskip(SKIP_1) | instid1(VALU_DEP_2)
	v_pk_fma_f32 v[124:125], v[120:121], v[118:119], v[122:123] op_sel_hi:[1,0,1]
	v_pk_fma_f32 v[118:119], v[120:121], v[118:119], v[122:123] neg_lo:[0,0,1] neg_hi:[0,0,1]
	v_mov_b32_e32 v119, v125
	s_delay_alu instid0(VALU_DEP_1)
	v_pk_add_f32 v[114:115], v[114:115], v[118:119]
	s_and_not1_b32 exec_lo, exec_lo, s0
	s_cbranch_execnz .LBB118_342
; %bb.343:
	s_or_b32 exec_lo, exec_lo, s0
.LBB118_344:
	s_delay_alu instid0(SALU_CYCLE_1) | instskip(SKIP_4) | instid1(VALU_DEP_1)
	s_or_b32 exec_lo, exec_lo, s27
	v_mov_b32_e32 v116, 0
	ds_load_b64 v[116:117], v116 offset:160
	s_wait_dscnt 0x0
	v_pk_mul_f32 v[118:119], v[114:115], v[116:117] op_sel:[1,1] op_sel_hi:[0,1]
	v_pk_fma_f32 v[120:121], v[114:115], v[116:117], v[118:119] op_sel_hi:[1,0,1]
	v_pk_fma_f32 v[114:115], v[114:115], v[116:117], v[118:119] neg_lo:[0,0,1] neg_hi:[0,0,1]
	s_delay_alu instid0(VALU_DEP_2)
	v_mov_b32_e32 v115, v121
	scratch_store_b64 off, v[114:115], off offset:160
.LBB118_345:
	s_wait_xcnt 0x0
	s_or_b32 exec_lo, exec_lo, s26
	scratch_load_b64 v[114:115], off, off offset:152
	v_cmp_lt_u32_e64 s0, 19, v0
	s_wait_loadcnt 0x0
	ds_store_b64 v1, v[114:115]
	s_wait_storecnt_dscnt 0x0
	s_barrier_signal -1
	s_barrier_wait -1
	s_wait_xcnt 0x0
	s_and_saveexec_b32 s25, s0
	s_cbranch_execz .LBB118_355
; %bb.346:
	s_and_not1_b32 vcc_lo, exec_lo, s5
	s_cbranch_vccnz .LBB118_348
; %bb.347:
	scratch_load_b64 v[114:115], v59, off
	ds_load_b64 v[116:117], v1
	s_wait_loadcnt_dscnt 0x0
	v_pk_mul_f32 v[118:119], v[116:117], v[114:115] op_sel:[1,1] op_sel_hi:[0,1]
	s_delay_alu instid0(VALU_DEP_1) | instskip(SKIP_1) | instid1(VALU_DEP_2)
	v_pk_fma_f32 v[120:121], v[116:117], v[114:115], v[118:119] op_sel_hi:[1,0,1]
	v_pk_fma_f32 v[114:115], v[116:117], v[114:115], v[118:119] neg_lo:[0,0,1] neg_hi:[0,0,1]
	v_mov_b32_e32 v115, v121
	s_cbranch_execz .LBB118_349
	s_branch .LBB118_350
.LBB118_348:
                                        ; implicit-def: $vgpr114_vgpr115
.LBB118_349:
	ds_load_b64 v[114:115], v1
.LBB118_350:
	s_and_saveexec_b32 s26, s1
	s_cbranch_execz .LBB118_354
; %bb.351:
	v_subrev_nc_u32_e32 v116, 20, v0
	s_movk_i32 s27, 0x260
	s_mov_b32 s1, 0
.LBB118_352:                            ; =>This Inner Loop Header: Depth=1
	scratch_load_b64 v[118:119], off, s24
	v_dual_mov_b32 v117, s27 :: v_dual_add_nc_u32 v116, -1, v116
	s_add_co_i32 s27, s27, 8
	s_wait_xcnt 0x0
	s_add_co_i32 s24, s24, 8
	ds_load_b64 v[120:121], v117
	v_cmp_eq_u32_e32 vcc_lo, 0, v116
	s_or_b32 s1, vcc_lo, s1
	s_wait_loadcnt_dscnt 0x0
	v_pk_mul_f32 v[122:123], v[120:121], v[118:119] op_sel:[1,1] op_sel_hi:[0,1]
	s_delay_alu instid0(VALU_DEP_1) | instskip(SKIP_1) | instid1(VALU_DEP_2)
	v_pk_fma_f32 v[124:125], v[120:121], v[118:119], v[122:123] op_sel_hi:[1,0,1]
	v_pk_fma_f32 v[118:119], v[120:121], v[118:119], v[122:123] neg_lo:[0,0,1] neg_hi:[0,0,1]
	v_mov_b32_e32 v119, v125
	s_delay_alu instid0(VALU_DEP_1)
	v_pk_add_f32 v[114:115], v[114:115], v[118:119]
	s_and_not1_b32 exec_lo, exec_lo, s1
	s_cbranch_execnz .LBB118_352
; %bb.353:
	s_or_b32 exec_lo, exec_lo, s1
.LBB118_354:
	s_delay_alu instid0(SALU_CYCLE_1) | instskip(SKIP_4) | instid1(VALU_DEP_1)
	s_or_b32 exec_lo, exec_lo, s26
	v_mov_b32_e32 v116, 0
	ds_load_b64 v[116:117], v116 offset:152
	s_wait_dscnt 0x0
	v_pk_mul_f32 v[118:119], v[114:115], v[116:117] op_sel:[1,1] op_sel_hi:[0,1]
	v_pk_fma_f32 v[120:121], v[114:115], v[116:117], v[118:119] op_sel_hi:[1,0,1]
	v_pk_fma_f32 v[114:115], v[114:115], v[116:117], v[118:119] neg_lo:[0,0,1] neg_hi:[0,0,1]
	s_delay_alu instid0(VALU_DEP_2)
	v_mov_b32_e32 v115, v121
	scratch_store_b64 off, v[114:115], off offset:152
.LBB118_355:
	s_wait_xcnt 0x0
	s_or_b32 exec_lo, exec_lo, s25
	scratch_load_b64 v[114:115], off, off offset:144
	v_cmp_lt_u32_e64 s1, 18, v0
	s_wait_loadcnt 0x0
	ds_store_b64 v1, v[114:115]
	s_wait_storecnt_dscnt 0x0
	s_barrier_signal -1
	s_barrier_wait -1
	s_wait_xcnt 0x0
	s_and_saveexec_b32 s24, s1
	s_cbranch_execz .LBB118_365
; %bb.356:
	s_and_not1_b32 vcc_lo, exec_lo, s5
	s_cbranch_vccnz .LBB118_358
; %bb.357:
	scratch_load_b64 v[114:115], v59, off
	ds_load_b64 v[116:117], v1
	s_wait_loadcnt_dscnt 0x0
	v_pk_mul_f32 v[118:119], v[116:117], v[114:115] op_sel:[1,1] op_sel_hi:[0,1]
	s_delay_alu instid0(VALU_DEP_1) | instskip(SKIP_1) | instid1(VALU_DEP_2)
	v_pk_fma_f32 v[120:121], v[116:117], v[114:115], v[118:119] op_sel_hi:[1,0,1]
	v_pk_fma_f32 v[114:115], v[116:117], v[114:115], v[118:119] neg_lo:[0,0,1] neg_hi:[0,0,1]
	v_mov_b32_e32 v115, v121
	s_cbranch_execz .LBB118_359
	s_branch .LBB118_360
.LBB118_358:
                                        ; implicit-def: $vgpr114_vgpr115
.LBB118_359:
	ds_load_b64 v[114:115], v1
.LBB118_360:
	s_and_saveexec_b32 s25, s0
	s_cbranch_execz .LBB118_364
; %bb.361:
	v_subrev_nc_u32_e32 v116, 19, v0
	s_movk_i32 s26, 0x258
	s_mov_b32 s0, 0
.LBB118_362:                            ; =>This Inner Loop Header: Depth=1
	scratch_load_b64 v[118:119], off, s23
	v_dual_mov_b32 v117, s26 :: v_dual_add_nc_u32 v116, -1, v116
	s_add_co_i32 s26, s26, 8
	s_wait_xcnt 0x0
	s_add_co_i32 s23, s23, 8
	ds_load_b64 v[120:121], v117
	v_cmp_eq_u32_e32 vcc_lo, 0, v116
	s_or_b32 s0, vcc_lo, s0
	s_wait_loadcnt_dscnt 0x0
	v_pk_mul_f32 v[122:123], v[120:121], v[118:119] op_sel:[1,1] op_sel_hi:[0,1]
	s_delay_alu instid0(VALU_DEP_1) | instskip(SKIP_1) | instid1(VALU_DEP_2)
	v_pk_fma_f32 v[124:125], v[120:121], v[118:119], v[122:123] op_sel_hi:[1,0,1]
	v_pk_fma_f32 v[118:119], v[120:121], v[118:119], v[122:123] neg_lo:[0,0,1] neg_hi:[0,0,1]
	v_mov_b32_e32 v119, v125
	s_delay_alu instid0(VALU_DEP_1)
	v_pk_add_f32 v[114:115], v[114:115], v[118:119]
	s_and_not1_b32 exec_lo, exec_lo, s0
	s_cbranch_execnz .LBB118_362
; %bb.363:
	s_or_b32 exec_lo, exec_lo, s0
.LBB118_364:
	s_delay_alu instid0(SALU_CYCLE_1) | instskip(SKIP_4) | instid1(VALU_DEP_1)
	s_or_b32 exec_lo, exec_lo, s25
	v_mov_b32_e32 v116, 0
	ds_load_b64 v[116:117], v116 offset:144
	s_wait_dscnt 0x0
	v_pk_mul_f32 v[118:119], v[114:115], v[116:117] op_sel:[1,1] op_sel_hi:[0,1]
	v_pk_fma_f32 v[120:121], v[114:115], v[116:117], v[118:119] op_sel_hi:[1,0,1]
	v_pk_fma_f32 v[114:115], v[114:115], v[116:117], v[118:119] neg_lo:[0,0,1] neg_hi:[0,0,1]
	s_delay_alu instid0(VALU_DEP_2)
	v_mov_b32_e32 v115, v121
	scratch_store_b64 off, v[114:115], off offset:144
.LBB118_365:
	s_wait_xcnt 0x0
	s_or_b32 exec_lo, exec_lo, s24
	scratch_load_b64 v[114:115], off, off offset:136
	v_cmp_lt_u32_e64 s0, 17, v0
	s_wait_loadcnt 0x0
	ds_store_b64 v1, v[114:115]
	s_wait_storecnt_dscnt 0x0
	s_barrier_signal -1
	s_barrier_wait -1
	s_wait_xcnt 0x0
	s_and_saveexec_b32 s23, s0
	s_cbranch_execz .LBB118_375
; %bb.366:
	s_and_not1_b32 vcc_lo, exec_lo, s5
	s_cbranch_vccnz .LBB118_368
; %bb.367:
	scratch_load_b64 v[114:115], v59, off
	ds_load_b64 v[116:117], v1
	s_wait_loadcnt_dscnt 0x0
	v_pk_mul_f32 v[118:119], v[116:117], v[114:115] op_sel:[1,1] op_sel_hi:[0,1]
	s_delay_alu instid0(VALU_DEP_1) | instskip(SKIP_1) | instid1(VALU_DEP_2)
	v_pk_fma_f32 v[120:121], v[116:117], v[114:115], v[118:119] op_sel_hi:[1,0,1]
	v_pk_fma_f32 v[114:115], v[116:117], v[114:115], v[118:119] neg_lo:[0,0,1] neg_hi:[0,0,1]
	v_mov_b32_e32 v115, v121
	s_cbranch_execz .LBB118_369
	s_branch .LBB118_370
.LBB118_368:
                                        ; implicit-def: $vgpr114_vgpr115
.LBB118_369:
	ds_load_b64 v[114:115], v1
.LBB118_370:
	s_and_saveexec_b32 s24, s1
	s_cbranch_execz .LBB118_374
; %bb.371:
	v_subrev_nc_u32_e32 v116, 18, v0
	s_movk_i32 s25, 0x250
	s_mov_b32 s1, 0
.LBB118_372:                            ; =>This Inner Loop Header: Depth=1
	scratch_load_b64 v[118:119], off, s22
	v_dual_mov_b32 v117, s25 :: v_dual_add_nc_u32 v116, -1, v116
	s_add_co_i32 s25, s25, 8
	s_wait_xcnt 0x0
	s_add_co_i32 s22, s22, 8
	ds_load_b64 v[120:121], v117
	v_cmp_eq_u32_e32 vcc_lo, 0, v116
	s_or_b32 s1, vcc_lo, s1
	s_wait_loadcnt_dscnt 0x0
	v_pk_mul_f32 v[122:123], v[120:121], v[118:119] op_sel:[1,1] op_sel_hi:[0,1]
	s_delay_alu instid0(VALU_DEP_1) | instskip(SKIP_1) | instid1(VALU_DEP_2)
	v_pk_fma_f32 v[124:125], v[120:121], v[118:119], v[122:123] op_sel_hi:[1,0,1]
	v_pk_fma_f32 v[118:119], v[120:121], v[118:119], v[122:123] neg_lo:[0,0,1] neg_hi:[0,0,1]
	v_mov_b32_e32 v119, v125
	s_delay_alu instid0(VALU_DEP_1)
	v_pk_add_f32 v[114:115], v[114:115], v[118:119]
	s_and_not1_b32 exec_lo, exec_lo, s1
	s_cbranch_execnz .LBB118_372
; %bb.373:
	s_or_b32 exec_lo, exec_lo, s1
.LBB118_374:
	s_delay_alu instid0(SALU_CYCLE_1) | instskip(SKIP_4) | instid1(VALU_DEP_1)
	s_or_b32 exec_lo, exec_lo, s24
	v_mov_b32_e32 v116, 0
	ds_load_b64 v[116:117], v116 offset:136
	s_wait_dscnt 0x0
	v_pk_mul_f32 v[118:119], v[114:115], v[116:117] op_sel:[1,1] op_sel_hi:[0,1]
	v_pk_fma_f32 v[120:121], v[114:115], v[116:117], v[118:119] op_sel_hi:[1,0,1]
	v_pk_fma_f32 v[114:115], v[114:115], v[116:117], v[118:119] neg_lo:[0,0,1] neg_hi:[0,0,1]
	s_delay_alu instid0(VALU_DEP_2)
	v_mov_b32_e32 v115, v121
	scratch_store_b64 off, v[114:115], off offset:136
.LBB118_375:
	s_wait_xcnt 0x0
	s_or_b32 exec_lo, exec_lo, s23
	scratch_load_b64 v[114:115], off, off offset:128
	v_cmp_lt_u32_e64 s1, 16, v0
	s_wait_loadcnt 0x0
	ds_store_b64 v1, v[114:115]
	s_wait_storecnt_dscnt 0x0
	s_barrier_signal -1
	s_barrier_wait -1
	s_wait_xcnt 0x0
	s_and_saveexec_b32 s22, s1
	s_cbranch_execz .LBB118_385
; %bb.376:
	s_and_not1_b32 vcc_lo, exec_lo, s5
	s_cbranch_vccnz .LBB118_378
; %bb.377:
	scratch_load_b64 v[114:115], v59, off
	ds_load_b64 v[116:117], v1
	s_wait_loadcnt_dscnt 0x0
	v_pk_mul_f32 v[118:119], v[116:117], v[114:115] op_sel:[1,1] op_sel_hi:[0,1]
	s_delay_alu instid0(VALU_DEP_1) | instskip(SKIP_1) | instid1(VALU_DEP_2)
	v_pk_fma_f32 v[120:121], v[116:117], v[114:115], v[118:119] op_sel_hi:[1,0,1]
	v_pk_fma_f32 v[114:115], v[116:117], v[114:115], v[118:119] neg_lo:[0,0,1] neg_hi:[0,0,1]
	v_mov_b32_e32 v115, v121
	s_cbranch_execz .LBB118_379
	s_branch .LBB118_380
.LBB118_378:
                                        ; implicit-def: $vgpr114_vgpr115
.LBB118_379:
	ds_load_b64 v[114:115], v1
.LBB118_380:
	s_and_saveexec_b32 s23, s0
	s_cbranch_execz .LBB118_384
; %bb.381:
	v_subrev_nc_u32_e32 v116, 17, v0
	s_movk_i32 s24, 0x248
	s_mov_b32 s0, 0
.LBB118_382:                            ; =>This Inner Loop Header: Depth=1
	scratch_load_b64 v[118:119], off, s21
	v_dual_mov_b32 v117, s24 :: v_dual_add_nc_u32 v116, -1, v116
	s_add_co_i32 s24, s24, 8
	s_wait_xcnt 0x0
	s_add_co_i32 s21, s21, 8
	ds_load_b64 v[120:121], v117
	v_cmp_eq_u32_e32 vcc_lo, 0, v116
	s_or_b32 s0, vcc_lo, s0
	s_wait_loadcnt_dscnt 0x0
	v_pk_mul_f32 v[122:123], v[120:121], v[118:119] op_sel:[1,1] op_sel_hi:[0,1]
	s_delay_alu instid0(VALU_DEP_1) | instskip(SKIP_1) | instid1(VALU_DEP_2)
	v_pk_fma_f32 v[124:125], v[120:121], v[118:119], v[122:123] op_sel_hi:[1,0,1]
	v_pk_fma_f32 v[118:119], v[120:121], v[118:119], v[122:123] neg_lo:[0,0,1] neg_hi:[0,0,1]
	v_mov_b32_e32 v119, v125
	s_delay_alu instid0(VALU_DEP_1)
	v_pk_add_f32 v[114:115], v[114:115], v[118:119]
	s_and_not1_b32 exec_lo, exec_lo, s0
	s_cbranch_execnz .LBB118_382
; %bb.383:
	s_or_b32 exec_lo, exec_lo, s0
.LBB118_384:
	s_delay_alu instid0(SALU_CYCLE_1) | instskip(SKIP_4) | instid1(VALU_DEP_1)
	s_or_b32 exec_lo, exec_lo, s23
	v_mov_b32_e32 v116, 0
	ds_load_b64 v[116:117], v116 offset:128
	s_wait_dscnt 0x0
	v_pk_mul_f32 v[118:119], v[114:115], v[116:117] op_sel:[1,1] op_sel_hi:[0,1]
	v_pk_fma_f32 v[120:121], v[114:115], v[116:117], v[118:119] op_sel_hi:[1,0,1]
	v_pk_fma_f32 v[114:115], v[114:115], v[116:117], v[118:119] neg_lo:[0,0,1] neg_hi:[0,0,1]
	s_delay_alu instid0(VALU_DEP_2)
	v_mov_b32_e32 v115, v121
	scratch_store_b64 off, v[114:115], off offset:128
.LBB118_385:
	s_wait_xcnt 0x0
	s_or_b32 exec_lo, exec_lo, s22
	scratch_load_b64 v[114:115], off, off offset:120
	v_cmp_lt_u32_e64 s0, 15, v0
	s_wait_loadcnt 0x0
	ds_store_b64 v1, v[114:115]
	s_wait_storecnt_dscnt 0x0
	s_barrier_signal -1
	s_barrier_wait -1
	s_wait_xcnt 0x0
	s_and_saveexec_b32 s21, s0
	s_cbranch_execz .LBB118_395
; %bb.386:
	s_and_not1_b32 vcc_lo, exec_lo, s5
	s_cbranch_vccnz .LBB118_388
; %bb.387:
	scratch_load_b64 v[114:115], v59, off
	ds_load_b64 v[116:117], v1
	s_wait_loadcnt_dscnt 0x0
	v_pk_mul_f32 v[118:119], v[116:117], v[114:115] op_sel:[1,1] op_sel_hi:[0,1]
	s_delay_alu instid0(VALU_DEP_1) | instskip(SKIP_1) | instid1(VALU_DEP_2)
	v_pk_fma_f32 v[120:121], v[116:117], v[114:115], v[118:119] op_sel_hi:[1,0,1]
	v_pk_fma_f32 v[114:115], v[116:117], v[114:115], v[118:119] neg_lo:[0,0,1] neg_hi:[0,0,1]
	v_mov_b32_e32 v115, v121
	s_cbranch_execz .LBB118_389
	s_branch .LBB118_390
.LBB118_388:
                                        ; implicit-def: $vgpr114_vgpr115
.LBB118_389:
	ds_load_b64 v[114:115], v1
.LBB118_390:
	s_and_saveexec_b32 s22, s1
	s_cbranch_execz .LBB118_394
; %bb.391:
	v_add_nc_u32_e32 v116, -16, v0
	s_movk_i32 s23, 0x240
	s_mov_b32 s1, 0
.LBB118_392:                            ; =>This Inner Loop Header: Depth=1
	scratch_load_b64 v[118:119], off, s20
	v_dual_mov_b32 v117, s23 :: v_dual_add_nc_u32 v116, -1, v116
	s_add_co_i32 s23, s23, 8
	s_wait_xcnt 0x0
	s_add_co_i32 s20, s20, 8
	ds_load_b64 v[120:121], v117
	v_cmp_eq_u32_e32 vcc_lo, 0, v116
	s_or_b32 s1, vcc_lo, s1
	s_wait_loadcnt_dscnt 0x0
	v_pk_mul_f32 v[122:123], v[120:121], v[118:119] op_sel:[1,1] op_sel_hi:[0,1]
	s_delay_alu instid0(VALU_DEP_1) | instskip(SKIP_1) | instid1(VALU_DEP_2)
	v_pk_fma_f32 v[124:125], v[120:121], v[118:119], v[122:123] op_sel_hi:[1,0,1]
	v_pk_fma_f32 v[118:119], v[120:121], v[118:119], v[122:123] neg_lo:[0,0,1] neg_hi:[0,0,1]
	v_mov_b32_e32 v119, v125
	s_delay_alu instid0(VALU_DEP_1)
	v_pk_add_f32 v[114:115], v[114:115], v[118:119]
	s_and_not1_b32 exec_lo, exec_lo, s1
	s_cbranch_execnz .LBB118_392
; %bb.393:
	s_or_b32 exec_lo, exec_lo, s1
.LBB118_394:
	s_delay_alu instid0(SALU_CYCLE_1) | instskip(SKIP_4) | instid1(VALU_DEP_1)
	s_or_b32 exec_lo, exec_lo, s22
	v_mov_b32_e32 v116, 0
	ds_load_b64 v[116:117], v116 offset:120
	s_wait_dscnt 0x0
	v_pk_mul_f32 v[118:119], v[114:115], v[116:117] op_sel:[1,1] op_sel_hi:[0,1]
	v_pk_fma_f32 v[120:121], v[114:115], v[116:117], v[118:119] op_sel_hi:[1,0,1]
	v_pk_fma_f32 v[114:115], v[114:115], v[116:117], v[118:119] neg_lo:[0,0,1] neg_hi:[0,0,1]
	s_delay_alu instid0(VALU_DEP_2)
	v_mov_b32_e32 v115, v121
	scratch_store_b64 off, v[114:115], off offset:120
.LBB118_395:
	s_wait_xcnt 0x0
	s_or_b32 exec_lo, exec_lo, s21
	scratch_load_b64 v[114:115], off, off offset:112
	v_cmp_lt_u32_e64 s1, 14, v0
	s_wait_loadcnt 0x0
	ds_store_b64 v1, v[114:115]
	s_wait_storecnt_dscnt 0x0
	s_barrier_signal -1
	s_barrier_wait -1
	s_wait_xcnt 0x0
	s_and_saveexec_b32 s20, s1
	s_cbranch_execz .LBB118_405
; %bb.396:
	s_and_not1_b32 vcc_lo, exec_lo, s5
	s_cbranch_vccnz .LBB118_398
; %bb.397:
	scratch_load_b64 v[114:115], v59, off
	ds_load_b64 v[116:117], v1
	s_wait_loadcnt_dscnt 0x0
	v_pk_mul_f32 v[118:119], v[116:117], v[114:115] op_sel:[1,1] op_sel_hi:[0,1]
	s_delay_alu instid0(VALU_DEP_1) | instskip(SKIP_1) | instid1(VALU_DEP_2)
	v_pk_fma_f32 v[120:121], v[116:117], v[114:115], v[118:119] op_sel_hi:[1,0,1]
	v_pk_fma_f32 v[114:115], v[116:117], v[114:115], v[118:119] neg_lo:[0,0,1] neg_hi:[0,0,1]
	v_mov_b32_e32 v115, v121
	s_cbranch_execz .LBB118_399
	s_branch .LBB118_400
.LBB118_398:
                                        ; implicit-def: $vgpr114_vgpr115
.LBB118_399:
	ds_load_b64 v[114:115], v1
.LBB118_400:
	s_and_saveexec_b32 s21, s0
	s_cbranch_execz .LBB118_404
; %bb.401:
	v_add_nc_u32_e32 v116, -15, v0
	s_movk_i32 s22, 0x238
	s_mov_b32 s0, 0
.LBB118_402:                            ; =>This Inner Loop Header: Depth=1
	scratch_load_b64 v[118:119], off, s19
	v_dual_mov_b32 v117, s22 :: v_dual_add_nc_u32 v116, -1, v116
	s_add_co_i32 s22, s22, 8
	s_wait_xcnt 0x0
	s_add_co_i32 s19, s19, 8
	ds_load_b64 v[120:121], v117
	v_cmp_eq_u32_e32 vcc_lo, 0, v116
	s_or_b32 s0, vcc_lo, s0
	s_wait_loadcnt_dscnt 0x0
	v_pk_mul_f32 v[122:123], v[120:121], v[118:119] op_sel:[1,1] op_sel_hi:[0,1]
	s_delay_alu instid0(VALU_DEP_1) | instskip(SKIP_1) | instid1(VALU_DEP_2)
	v_pk_fma_f32 v[124:125], v[120:121], v[118:119], v[122:123] op_sel_hi:[1,0,1]
	v_pk_fma_f32 v[118:119], v[120:121], v[118:119], v[122:123] neg_lo:[0,0,1] neg_hi:[0,0,1]
	v_mov_b32_e32 v119, v125
	s_delay_alu instid0(VALU_DEP_1)
	v_pk_add_f32 v[114:115], v[114:115], v[118:119]
	s_and_not1_b32 exec_lo, exec_lo, s0
	s_cbranch_execnz .LBB118_402
; %bb.403:
	s_or_b32 exec_lo, exec_lo, s0
.LBB118_404:
	s_delay_alu instid0(SALU_CYCLE_1) | instskip(SKIP_4) | instid1(VALU_DEP_1)
	s_or_b32 exec_lo, exec_lo, s21
	v_mov_b32_e32 v116, 0
	ds_load_b64 v[116:117], v116 offset:112
	s_wait_dscnt 0x0
	v_pk_mul_f32 v[118:119], v[114:115], v[116:117] op_sel:[1,1] op_sel_hi:[0,1]
	v_pk_fma_f32 v[120:121], v[114:115], v[116:117], v[118:119] op_sel_hi:[1,0,1]
	v_pk_fma_f32 v[114:115], v[114:115], v[116:117], v[118:119] neg_lo:[0,0,1] neg_hi:[0,0,1]
	s_delay_alu instid0(VALU_DEP_2)
	v_mov_b32_e32 v115, v121
	scratch_store_b64 off, v[114:115], off offset:112
.LBB118_405:
	s_wait_xcnt 0x0
	s_or_b32 exec_lo, exec_lo, s20
	scratch_load_b64 v[114:115], off, off offset:104
	v_cmp_lt_u32_e64 s0, 13, v0
	s_wait_loadcnt 0x0
	ds_store_b64 v1, v[114:115]
	s_wait_storecnt_dscnt 0x0
	s_barrier_signal -1
	s_barrier_wait -1
	s_wait_xcnt 0x0
	s_and_saveexec_b32 s19, s0
	s_cbranch_execz .LBB118_415
; %bb.406:
	s_and_not1_b32 vcc_lo, exec_lo, s5
	s_cbranch_vccnz .LBB118_408
; %bb.407:
	scratch_load_b64 v[114:115], v59, off
	ds_load_b64 v[116:117], v1
	s_wait_loadcnt_dscnt 0x0
	v_pk_mul_f32 v[118:119], v[116:117], v[114:115] op_sel:[1,1] op_sel_hi:[0,1]
	s_delay_alu instid0(VALU_DEP_1) | instskip(SKIP_1) | instid1(VALU_DEP_2)
	v_pk_fma_f32 v[120:121], v[116:117], v[114:115], v[118:119] op_sel_hi:[1,0,1]
	v_pk_fma_f32 v[114:115], v[116:117], v[114:115], v[118:119] neg_lo:[0,0,1] neg_hi:[0,0,1]
	v_mov_b32_e32 v115, v121
	s_cbranch_execz .LBB118_409
	s_branch .LBB118_410
.LBB118_408:
                                        ; implicit-def: $vgpr114_vgpr115
.LBB118_409:
	ds_load_b64 v[114:115], v1
.LBB118_410:
	s_and_saveexec_b32 s20, s1
	s_cbranch_execz .LBB118_414
; %bb.411:
	v_add_nc_u32_e32 v116, -14, v0
	s_movk_i32 s21, 0x230
	s_mov_b32 s1, 0
.LBB118_412:                            ; =>This Inner Loop Header: Depth=1
	scratch_load_b64 v[118:119], off, s18
	v_dual_mov_b32 v117, s21 :: v_dual_add_nc_u32 v116, -1, v116
	s_add_co_i32 s21, s21, 8
	s_wait_xcnt 0x0
	s_add_co_i32 s18, s18, 8
	ds_load_b64 v[120:121], v117
	v_cmp_eq_u32_e32 vcc_lo, 0, v116
	s_or_b32 s1, vcc_lo, s1
	s_wait_loadcnt_dscnt 0x0
	v_pk_mul_f32 v[122:123], v[120:121], v[118:119] op_sel:[1,1] op_sel_hi:[0,1]
	s_delay_alu instid0(VALU_DEP_1) | instskip(SKIP_1) | instid1(VALU_DEP_2)
	v_pk_fma_f32 v[124:125], v[120:121], v[118:119], v[122:123] op_sel_hi:[1,0,1]
	v_pk_fma_f32 v[118:119], v[120:121], v[118:119], v[122:123] neg_lo:[0,0,1] neg_hi:[0,0,1]
	v_mov_b32_e32 v119, v125
	s_delay_alu instid0(VALU_DEP_1)
	v_pk_add_f32 v[114:115], v[114:115], v[118:119]
	s_and_not1_b32 exec_lo, exec_lo, s1
	s_cbranch_execnz .LBB118_412
; %bb.413:
	s_or_b32 exec_lo, exec_lo, s1
.LBB118_414:
	s_delay_alu instid0(SALU_CYCLE_1) | instskip(SKIP_4) | instid1(VALU_DEP_1)
	s_or_b32 exec_lo, exec_lo, s20
	v_mov_b32_e32 v116, 0
	ds_load_b64 v[116:117], v116 offset:104
	s_wait_dscnt 0x0
	v_pk_mul_f32 v[118:119], v[114:115], v[116:117] op_sel:[1,1] op_sel_hi:[0,1]
	v_pk_fma_f32 v[120:121], v[114:115], v[116:117], v[118:119] op_sel_hi:[1,0,1]
	v_pk_fma_f32 v[114:115], v[114:115], v[116:117], v[118:119] neg_lo:[0,0,1] neg_hi:[0,0,1]
	s_delay_alu instid0(VALU_DEP_2)
	v_mov_b32_e32 v115, v121
	scratch_store_b64 off, v[114:115], off offset:104
.LBB118_415:
	s_wait_xcnt 0x0
	s_or_b32 exec_lo, exec_lo, s19
	scratch_load_b64 v[114:115], off, off offset:96
	v_cmp_lt_u32_e64 s1, 12, v0
	s_wait_loadcnt 0x0
	ds_store_b64 v1, v[114:115]
	s_wait_storecnt_dscnt 0x0
	s_barrier_signal -1
	s_barrier_wait -1
	s_wait_xcnt 0x0
	s_and_saveexec_b32 s18, s1
	s_cbranch_execz .LBB118_425
; %bb.416:
	s_and_not1_b32 vcc_lo, exec_lo, s5
	s_cbranch_vccnz .LBB118_418
; %bb.417:
	scratch_load_b64 v[114:115], v59, off
	ds_load_b64 v[116:117], v1
	s_wait_loadcnt_dscnt 0x0
	v_pk_mul_f32 v[118:119], v[116:117], v[114:115] op_sel:[1,1] op_sel_hi:[0,1]
	s_delay_alu instid0(VALU_DEP_1) | instskip(SKIP_1) | instid1(VALU_DEP_2)
	v_pk_fma_f32 v[120:121], v[116:117], v[114:115], v[118:119] op_sel_hi:[1,0,1]
	v_pk_fma_f32 v[114:115], v[116:117], v[114:115], v[118:119] neg_lo:[0,0,1] neg_hi:[0,0,1]
	v_mov_b32_e32 v115, v121
	s_cbranch_execz .LBB118_419
	s_branch .LBB118_420
.LBB118_418:
                                        ; implicit-def: $vgpr114_vgpr115
.LBB118_419:
	ds_load_b64 v[114:115], v1
.LBB118_420:
	s_and_saveexec_b32 s19, s0
	s_cbranch_execz .LBB118_424
; %bb.421:
	v_add_nc_u32_e32 v116, -13, v0
	s_movk_i32 s20, 0x228
	s_mov_b32 s0, 0
.LBB118_422:                            ; =>This Inner Loop Header: Depth=1
	scratch_load_b64 v[118:119], off, s17
	v_dual_mov_b32 v117, s20 :: v_dual_add_nc_u32 v116, -1, v116
	s_add_co_i32 s20, s20, 8
	s_wait_xcnt 0x0
	s_add_co_i32 s17, s17, 8
	ds_load_b64 v[120:121], v117
	v_cmp_eq_u32_e32 vcc_lo, 0, v116
	s_or_b32 s0, vcc_lo, s0
	s_wait_loadcnt_dscnt 0x0
	v_pk_mul_f32 v[122:123], v[120:121], v[118:119] op_sel:[1,1] op_sel_hi:[0,1]
	s_delay_alu instid0(VALU_DEP_1) | instskip(SKIP_1) | instid1(VALU_DEP_2)
	v_pk_fma_f32 v[124:125], v[120:121], v[118:119], v[122:123] op_sel_hi:[1,0,1]
	v_pk_fma_f32 v[118:119], v[120:121], v[118:119], v[122:123] neg_lo:[0,0,1] neg_hi:[0,0,1]
	v_mov_b32_e32 v119, v125
	s_delay_alu instid0(VALU_DEP_1)
	v_pk_add_f32 v[114:115], v[114:115], v[118:119]
	s_and_not1_b32 exec_lo, exec_lo, s0
	s_cbranch_execnz .LBB118_422
; %bb.423:
	s_or_b32 exec_lo, exec_lo, s0
.LBB118_424:
	s_delay_alu instid0(SALU_CYCLE_1) | instskip(SKIP_4) | instid1(VALU_DEP_1)
	s_or_b32 exec_lo, exec_lo, s19
	v_mov_b32_e32 v116, 0
	ds_load_b64 v[116:117], v116 offset:96
	s_wait_dscnt 0x0
	v_pk_mul_f32 v[118:119], v[114:115], v[116:117] op_sel:[1,1] op_sel_hi:[0,1]
	v_pk_fma_f32 v[120:121], v[114:115], v[116:117], v[118:119] op_sel_hi:[1,0,1]
	v_pk_fma_f32 v[114:115], v[114:115], v[116:117], v[118:119] neg_lo:[0,0,1] neg_hi:[0,0,1]
	s_delay_alu instid0(VALU_DEP_2)
	v_mov_b32_e32 v115, v121
	scratch_store_b64 off, v[114:115], off offset:96
.LBB118_425:
	s_wait_xcnt 0x0
	s_or_b32 exec_lo, exec_lo, s18
	scratch_load_b64 v[114:115], off, off offset:88
	v_cmp_lt_u32_e64 s0, 11, v0
	s_wait_loadcnt 0x0
	ds_store_b64 v1, v[114:115]
	s_wait_storecnt_dscnt 0x0
	s_barrier_signal -1
	s_barrier_wait -1
	s_wait_xcnt 0x0
	s_and_saveexec_b32 s17, s0
	s_cbranch_execz .LBB118_435
; %bb.426:
	s_and_not1_b32 vcc_lo, exec_lo, s5
	s_cbranch_vccnz .LBB118_428
; %bb.427:
	scratch_load_b64 v[114:115], v59, off
	ds_load_b64 v[116:117], v1
	s_wait_loadcnt_dscnt 0x0
	v_pk_mul_f32 v[118:119], v[116:117], v[114:115] op_sel:[1,1] op_sel_hi:[0,1]
	s_delay_alu instid0(VALU_DEP_1) | instskip(SKIP_1) | instid1(VALU_DEP_2)
	v_pk_fma_f32 v[120:121], v[116:117], v[114:115], v[118:119] op_sel_hi:[1,0,1]
	v_pk_fma_f32 v[114:115], v[116:117], v[114:115], v[118:119] neg_lo:[0,0,1] neg_hi:[0,0,1]
	v_mov_b32_e32 v115, v121
	s_cbranch_execz .LBB118_429
	s_branch .LBB118_430
.LBB118_428:
                                        ; implicit-def: $vgpr114_vgpr115
.LBB118_429:
	ds_load_b64 v[114:115], v1
.LBB118_430:
	s_and_saveexec_b32 s18, s1
	s_cbranch_execz .LBB118_434
; %bb.431:
	v_add_nc_u32_e32 v116, -12, v0
	s_movk_i32 s19, 0x220
	s_mov_b32 s1, 0
.LBB118_432:                            ; =>This Inner Loop Header: Depth=1
	scratch_load_b64 v[118:119], off, s16
	v_dual_mov_b32 v117, s19 :: v_dual_add_nc_u32 v116, -1, v116
	s_add_co_i32 s19, s19, 8
	s_wait_xcnt 0x0
	s_add_co_i32 s16, s16, 8
	ds_load_b64 v[120:121], v117
	v_cmp_eq_u32_e32 vcc_lo, 0, v116
	s_or_b32 s1, vcc_lo, s1
	s_wait_loadcnt_dscnt 0x0
	v_pk_mul_f32 v[122:123], v[120:121], v[118:119] op_sel:[1,1] op_sel_hi:[0,1]
	s_delay_alu instid0(VALU_DEP_1) | instskip(SKIP_1) | instid1(VALU_DEP_2)
	v_pk_fma_f32 v[124:125], v[120:121], v[118:119], v[122:123] op_sel_hi:[1,0,1]
	v_pk_fma_f32 v[118:119], v[120:121], v[118:119], v[122:123] neg_lo:[0,0,1] neg_hi:[0,0,1]
	v_mov_b32_e32 v119, v125
	s_delay_alu instid0(VALU_DEP_1)
	v_pk_add_f32 v[114:115], v[114:115], v[118:119]
	s_and_not1_b32 exec_lo, exec_lo, s1
	s_cbranch_execnz .LBB118_432
; %bb.433:
	s_or_b32 exec_lo, exec_lo, s1
.LBB118_434:
	s_delay_alu instid0(SALU_CYCLE_1) | instskip(SKIP_4) | instid1(VALU_DEP_1)
	s_or_b32 exec_lo, exec_lo, s18
	v_mov_b32_e32 v116, 0
	ds_load_b64 v[116:117], v116 offset:88
	s_wait_dscnt 0x0
	v_pk_mul_f32 v[118:119], v[114:115], v[116:117] op_sel:[1,1] op_sel_hi:[0,1]
	v_pk_fma_f32 v[120:121], v[114:115], v[116:117], v[118:119] op_sel_hi:[1,0,1]
	v_pk_fma_f32 v[114:115], v[114:115], v[116:117], v[118:119] neg_lo:[0,0,1] neg_hi:[0,0,1]
	s_delay_alu instid0(VALU_DEP_2)
	v_mov_b32_e32 v115, v121
	scratch_store_b64 off, v[114:115], off offset:88
.LBB118_435:
	s_wait_xcnt 0x0
	s_or_b32 exec_lo, exec_lo, s17
	scratch_load_b64 v[114:115], off, off offset:80
	v_cmp_lt_u32_e64 s1, 10, v0
	s_wait_loadcnt 0x0
	ds_store_b64 v1, v[114:115]
	s_wait_storecnt_dscnt 0x0
	s_barrier_signal -1
	s_barrier_wait -1
	s_wait_xcnt 0x0
	s_and_saveexec_b32 s16, s1
	s_cbranch_execz .LBB118_445
; %bb.436:
	s_and_not1_b32 vcc_lo, exec_lo, s5
	s_cbranch_vccnz .LBB118_438
; %bb.437:
	scratch_load_b64 v[114:115], v59, off
	ds_load_b64 v[116:117], v1
	s_wait_loadcnt_dscnt 0x0
	v_pk_mul_f32 v[118:119], v[116:117], v[114:115] op_sel:[1,1] op_sel_hi:[0,1]
	s_delay_alu instid0(VALU_DEP_1) | instskip(SKIP_1) | instid1(VALU_DEP_2)
	v_pk_fma_f32 v[120:121], v[116:117], v[114:115], v[118:119] op_sel_hi:[1,0,1]
	v_pk_fma_f32 v[114:115], v[116:117], v[114:115], v[118:119] neg_lo:[0,0,1] neg_hi:[0,0,1]
	v_mov_b32_e32 v115, v121
	s_cbranch_execz .LBB118_439
	s_branch .LBB118_440
.LBB118_438:
                                        ; implicit-def: $vgpr114_vgpr115
.LBB118_439:
	ds_load_b64 v[114:115], v1
.LBB118_440:
	s_and_saveexec_b32 s17, s0
	s_cbranch_execz .LBB118_444
; %bb.441:
	v_add_nc_u32_e32 v116, -11, v0
	s_movk_i32 s18, 0x218
	s_mov_b32 s0, 0
.LBB118_442:                            ; =>This Inner Loop Header: Depth=1
	scratch_load_b64 v[118:119], off, s15
	v_dual_mov_b32 v117, s18 :: v_dual_add_nc_u32 v116, -1, v116
	s_add_co_i32 s18, s18, 8
	s_wait_xcnt 0x0
	s_add_co_i32 s15, s15, 8
	ds_load_b64 v[120:121], v117
	v_cmp_eq_u32_e32 vcc_lo, 0, v116
	s_or_b32 s0, vcc_lo, s0
	s_wait_loadcnt_dscnt 0x0
	v_pk_mul_f32 v[122:123], v[120:121], v[118:119] op_sel:[1,1] op_sel_hi:[0,1]
	s_delay_alu instid0(VALU_DEP_1) | instskip(SKIP_1) | instid1(VALU_DEP_2)
	v_pk_fma_f32 v[124:125], v[120:121], v[118:119], v[122:123] op_sel_hi:[1,0,1]
	v_pk_fma_f32 v[118:119], v[120:121], v[118:119], v[122:123] neg_lo:[0,0,1] neg_hi:[0,0,1]
	v_mov_b32_e32 v119, v125
	s_delay_alu instid0(VALU_DEP_1)
	v_pk_add_f32 v[114:115], v[114:115], v[118:119]
	s_and_not1_b32 exec_lo, exec_lo, s0
	s_cbranch_execnz .LBB118_442
; %bb.443:
	s_or_b32 exec_lo, exec_lo, s0
.LBB118_444:
	s_delay_alu instid0(SALU_CYCLE_1) | instskip(SKIP_4) | instid1(VALU_DEP_1)
	s_or_b32 exec_lo, exec_lo, s17
	v_mov_b32_e32 v116, 0
	ds_load_b64 v[116:117], v116 offset:80
	s_wait_dscnt 0x0
	v_pk_mul_f32 v[118:119], v[114:115], v[116:117] op_sel:[1,1] op_sel_hi:[0,1]
	v_pk_fma_f32 v[120:121], v[114:115], v[116:117], v[118:119] op_sel_hi:[1,0,1]
	v_pk_fma_f32 v[114:115], v[114:115], v[116:117], v[118:119] neg_lo:[0,0,1] neg_hi:[0,0,1]
	s_delay_alu instid0(VALU_DEP_2)
	v_mov_b32_e32 v115, v121
	scratch_store_b64 off, v[114:115], off offset:80
.LBB118_445:
	s_wait_xcnt 0x0
	s_or_b32 exec_lo, exec_lo, s16
	scratch_load_b64 v[114:115], off, off offset:72
	v_cmp_lt_u32_e64 s0, 9, v0
	s_wait_loadcnt 0x0
	ds_store_b64 v1, v[114:115]
	s_wait_storecnt_dscnt 0x0
	s_barrier_signal -1
	s_barrier_wait -1
	s_wait_xcnt 0x0
	s_and_saveexec_b32 s15, s0
	s_cbranch_execz .LBB118_455
; %bb.446:
	s_and_not1_b32 vcc_lo, exec_lo, s5
	s_cbranch_vccnz .LBB118_448
; %bb.447:
	scratch_load_b64 v[114:115], v59, off
	ds_load_b64 v[116:117], v1
	s_wait_loadcnt_dscnt 0x0
	v_pk_mul_f32 v[118:119], v[116:117], v[114:115] op_sel:[1,1] op_sel_hi:[0,1]
	s_delay_alu instid0(VALU_DEP_1) | instskip(SKIP_1) | instid1(VALU_DEP_2)
	v_pk_fma_f32 v[120:121], v[116:117], v[114:115], v[118:119] op_sel_hi:[1,0,1]
	v_pk_fma_f32 v[114:115], v[116:117], v[114:115], v[118:119] neg_lo:[0,0,1] neg_hi:[0,0,1]
	v_mov_b32_e32 v115, v121
	s_cbranch_execz .LBB118_449
	s_branch .LBB118_450
.LBB118_448:
                                        ; implicit-def: $vgpr114_vgpr115
.LBB118_449:
	ds_load_b64 v[114:115], v1
.LBB118_450:
	s_and_saveexec_b32 s16, s1
	s_cbranch_execz .LBB118_454
; %bb.451:
	v_add_nc_u32_e32 v116, -10, v0
	s_movk_i32 s17, 0x210
	s_mov_b32 s1, 0
.LBB118_452:                            ; =>This Inner Loop Header: Depth=1
	scratch_load_b64 v[118:119], off, s14
	v_dual_mov_b32 v117, s17 :: v_dual_add_nc_u32 v116, -1, v116
	s_add_co_i32 s17, s17, 8
	s_wait_xcnt 0x0
	s_add_co_i32 s14, s14, 8
	ds_load_b64 v[120:121], v117
	v_cmp_eq_u32_e32 vcc_lo, 0, v116
	s_or_b32 s1, vcc_lo, s1
	s_wait_loadcnt_dscnt 0x0
	v_pk_mul_f32 v[122:123], v[120:121], v[118:119] op_sel:[1,1] op_sel_hi:[0,1]
	s_delay_alu instid0(VALU_DEP_1) | instskip(SKIP_1) | instid1(VALU_DEP_2)
	v_pk_fma_f32 v[124:125], v[120:121], v[118:119], v[122:123] op_sel_hi:[1,0,1]
	v_pk_fma_f32 v[118:119], v[120:121], v[118:119], v[122:123] neg_lo:[0,0,1] neg_hi:[0,0,1]
	v_mov_b32_e32 v119, v125
	s_delay_alu instid0(VALU_DEP_1)
	v_pk_add_f32 v[114:115], v[114:115], v[118:119]
	s_and_not1_b32 exec_lo, exec_lo, s1
	s_cbranch_execnz .LBB118_452
; %bb.453:
	s_or_b32 exec_lo, exec_lo, s1
.LBB118_454:
	s_delay_alu instid0(SALU_CYCLE_1) | instskip(SKIP_4) | instid1(VALU_DEP_1)
	s_or_b32 exec_lo, exec_lo, s16
	v_mov_b32_e32 v116, 0
	ds_load_b64 v[116:117], v116 offset:72
	s_wait_dscnt 0x0
	v_pk_mul_f32 v[118:119], v[114:115], v[116:117] op_sel:[1,1] op_sel_hi:[0,1]
	v_pk_fma_f32 v[120:121], v[114:115], v[116:117], v[118:119] op_sel_hi:[1,0,1]
	v_pk_fma_f32 v[114:115], v[114:115], v[116:117], v[118:119] neg_lo:[0,0,1] neg_hi:[0,0,1]
	s_delay_alu instid0(VALU_DEP_2)
	v_mov_b32_e32 v115, v121
	scratch_store_b64 off, v[114:115], off offset:72
.LBB118_455:
	s_wait_xcnt 0x0
	s_or_b32 exec_lo, exec_lo, s15
	scratch_load_b64 v[114:115], off, off offset:64
	v_cmp_lt_u32_e64 s1, 8, v0
	s_wait_loadcnt 0x0
	ds_store_b64 v1, v[114:115]
	s_wait_storecnt_dscnt 0x0
	s_barrier_signal -1
	s_barrier_wait -1
	s_wait_xcnt 0x0
	s_and_saveexec_b32 s14, s1
	s_cbranch_execz .LBB118_465
; %bb.456:
	s_and_not1_b32 vcc_lo, exec_lo, s5
	s_cbranch_vccnz .LBB118_458
; %bb.457:
	scratch_load_b64 v[114:115], v59, off
	ds_load_b64 v[116:117], v1
	s_wait_loadcnt_dscnt 0x0
	v_pk_mul_f32 v[118:119], v[116:117], v[114:115] op_sel:[1,1] op_sel_hi:[0,1]
	s_delay_alu instid0(VALU_DEP_1) | instskip(SKIP_1) | instid1(VALU_DEP_2)
	v_pk_fma_f32 v[120:121], v[116:117], v[114:115], v[118:119] op_sel_hi:[1,0,1]
	v_pk_fma_f32 v[114:115], v[116:117], v[114:115], v[118:119] neg_lo:[0,0,1] neg_hi:[0,0,1]
	v_mov_b32_e32 v115, v121
	s_cbranch_execz .LBB118_459
	s_branch .LBB118_460
.LBB118_458:
                                        ; implicit-def: $vgpr114_vgpr115
.LBB118_459:
	ds_load_b64 v[114:115], v1
.LBB118_460:
	s_and_saveexec_b32 s15, s0
	s_cbranch_execz .LBB118_464
; %bb.461:
	v_add_nc_u32_e32 v116, -9, v0
	s_movk_i32 s16, 0x208
	s_mov_b32 s0, 0
.LBB118_462:                            ; =>This Inner Loop Header: Depth=1
	scratch_load_b64 v[118:119], off, s13
	v_dual_mov_b32 v117, s16 :: v_dual_add_nc_u32 v116, -1, v116
	s_add_co_i32 s16, s16, 8
	s_wait_xcnt 0x0
	s_add_co_i32 s13, s13, 8
	ds_load_b64 v[120:121], v117
	v_cmp_eq_u32_e32 vcc_lo, 0, v116
	s_or_b32 s0, vcc_lo, s0
	s_wait_loadcnt_dscnt 0x0
	v_pk_mul_f32 v[122:123], v[120:121], v[118:119] op_sel:[1,1] op_sel_hi:[0,1]
	s_delay_alu instid0(VALU_DEP_1) | instskip(SKIP_1) | instid1(VALU_DEP_2)
	v_pk_fma_f32 v[124:125], v[120:121], v[118:119], v[122:123] op_sel_hi:[1,0,1]
	v_pk_fma_f32 v[118:119], v[120:121], v[118:119], v[122:123] neg_lo:[0,0,1] neg_hi:[0,0,1]
	v_mov_b32_e32 v119, v125
	s_delay_alu instid0(VALU_DEP_1)
	v_pk_add_f32 v[114:115], v[114:115], v[118:119]
	s_and_not1_b32 exec_lo, exec_lo, s0
	s_cbranch_execnz .LBB118_462
; %bb.463:
	s_or_b32 exec_lo, exec_lo, s0
.LBB118_464:
	s_delay_alu instid0(SALU_CYCLE_1) | instskip(SKIP_4) | instid1(VALU_DEP_1)
	s_or_b32 exec_lo, exec_lo, s15
	v_mov_b32_e32 v116, 0
	ds_load_b64 v[116:117], v116 offset:64
	s_wait_dscnt 0x0
	v_pk_mul_f32 v[118:119], v[114:115], v[116:117] op_sel:[1,1] op_sel_hi:[0,1]
	v_pk_fma_f32 v[120:121], v[114:115], v[116:117], v[118:119] op_sel_hi:[1,0,1]
	v_pk_fma_f32 v[114:115], v[114:115], v[116:117], v[118:119] neg_lo:[0,0,1] neg_hi:[0,0,1]
	s_delay_alu instid0(VALU_DEP_2)
	v_mov_b32_e32 v115, v121
	scratch_store_b64 off, v[114:115], off offset:64
.LBB118_465:
	s_wait_xcnt 0x0
	s_or_b32 exec_lo, exec_lo, s14
	scratch_load_b64 v[114:115], off, off offset:56
	v_cmp_lt_u32_e64 s0, 7, v0
	s_wait_loadcnt 0x0
	ds_store_b64 v1, v[114:115]
	s_wait_storecnt_dscnt 0x0
	s_barrier_signal -1
	s_barrier_wait -1
	s_wait_xcnt 0x0
	s_and_saveexec_b32 s13, s0
	s_cbranch_execz .LBB118_475
; %bb.466:
	s_and_not1_b32 vcc_lo, exec_lo, s5
	s_cbranch_vccnz .LBB118_468
; %bb.467:
	scratch_load_b64 v[114:115], v59, off
	ds_load_b64 v[116:117], v1
	s_wait_loadcnt_dscnt 0x0
	v_pk_mul_f32 v[118:119], v[116:117], v[114:115] op_sel:[1,1] op_sel_hi:[0,1]
	s_delay_alu instid0(VALU_DEP_1) | instskip(SKIP_1) | instid1(VALU_DEP_2)
	v_pk_fma_f32 v[120:121], v[116:117], v[114:115], v[118:119] op_sel_hi:[1,0,1]
	v_pk_fma_f32 v[114:115], v[116:117], v[114:115], v[118:119] neg_lo:[0,0,1] neg_hi:[0,0,1]
	v_mov_b32_e32 v115, v121
	s_cbranch_execz .LBB118_469
	s_branch .LBB118_470
.LBB118_468:
                                        ; implicit-def: $vgpr114_vgpr115
.LBB118_469:
	ds_load_b64 v[114:115], v1
.LBB118_470:
	s_and_saveexec_b32 s14, s1
	s_cbranch_execz .LBB118_474
; %bb.471:
	v_add_nc_u32_e32 v116, -8, v0
	s_movk_i32 s15, 0x200
	s_mov_b32 s1, 0
.LBB118_472:                            ; =>This Inner Loop Header: Depth=1
	scratch_load_b64 v[118:119], off, s12
	v_dual_mov_b32 v117, s15 :: v_dual_add_nc_u32 v116, -1, v116
	s_add_co_i32 s15, s15, 8
	s_wait_xcnt 0x0
	s_add_co_i32 s12, s12, 8
	ds_load_b64 v[120:121], v117
	v_cmp_eq_u32_e32 vcc_lo, 0, v116
	s_or_b32 s1, vcc_lo, s1
	s_wait_loadcnt_dscnt 0x0
	v_pk_mul_f32 v[122:123], v[120:121], v[118:119] op_sel:[1,1] op_sel_hi:[0,1]
	s_delay_alu instid0(VALU_DEP_1) | instskip(SKIP_1) | instid1(VALU_DEP_2)
	v_pk_fma_f32 v[124:125], v[120:121], v[118:119], v[122:123] op_sel_hi:[1,0,1]
	v_pk_fma_f32 v[118:119], v[120:121], v[118:119], v[122:123] neg_lo:[0,0,1] neg_hi:[0,0,1]
	v_mov_b32_e32 v119, v125
	s_delay_alu instid0(VALU_DEP_1)
	v_pk_add_f32 v[114:115], v[114:115], v[118:119]
	s_and_not1_b32 exec_lo, exec_lo, s1
	s_cbranch_execnz .LBB118_472
; %bb.473:
	s_or_b32 exec_lo, exec_lo, s1
.LBB118_474:
	s_delay_alu instid0(SALU_CYCLE_1) | instskip(SKIP_4) | instid1(VALU_DEP_1)
	s_or_b32 exec_lo, exec_lo, s14
	v_mov_b32_e32 v116, 0
	ds_load_b64 v[116:117], v116 offset:56
	s_wait_dscnt 0x0
	v_pk_mul_f32 v[118:119], v[114:115], v[116:117] op_sel:[1,1] op_sel_hi:[0,1]
	v_pk_fma_f32 v[120:121], v[114:115], v[116:117], v[118:119] op_sel_hi:[1,0,1]
	v_pk_fma_f32 v[114:115], v[114:115], v[116:117], v[118:119] neg_lo:[0,0,1] neg_hi:[0,0,1]
	s_delay_alu instid0(VALU_DEP_2)
	v_mov_b32_e32 v115, v121
	scratch_store_b64 off, v[114:115], off offset:56
.LBB118_475:
	s_wait_xcnt 0x0
	s_or_b32 exec_lo, exec_lo, s13
	scratch_load_b64 v[114:115], off, off offset:48
	v_cmp_lt_u32_e64 s1, 6, v0
	s_wait_loadcnt 0x0
	ds_store_b64 v1, v[114:115]
	s_wait_storecnt_dscnt 0x0
	s_barrier_signal -1
	s_barrier_wait -1
	s_wait_xcnt 0x0
	s_and_saveexec_b32 s12, s1
	s_cbranch_execz .LBB118_485
; %bb.476:
	s_and_not1_b32 vcc_lo, exec_lo, s5
	s_cbranch_vccnz .LBB118_478
; %bb.477:
	scratch_load_b64 v[114:115], v59, off
	ds_load_b64 v[116:117], v1
	s_wait_loadcnt_dscnt 0x0
	v_pk_mul_f32 v[118:119], v[116:117], v[114:115] op_sel:[1,1] op_sel_hi:[0,1]
	s_delay_alu instid0(VALU_DEP_1) | instskip(SKIP_1) | instid1(VALU_DEP_2)
	v_pk_fma_f32 v[120:121], v[116:117], v[114:115], v[118:119] op_sel_hi:[1,0,1]
	v_pk_fma_f32 v[114:115], v[116:117], v[114:115], v[118:119] neg_lo:[0,0,1] neg_hi:[0,0,1]
	v_mov_b32_e32 v115, v121
	s_cbranch_execz .LBB118_479
	s_branch .LBB118_480
.LBB118_478:
                                        ; implicit-def: $vgpr114_vgpr115
.LBB118_479:
	ds_load_b64 v[114:115], v1
.LBB118_480:
	s_and_saveexec_b32 s13, s0
	s_cbranch_execz .LBB118_484
; %bb.481:
	v_add_nc_u32_e32 v116, -7, v0
	s_movk_i32 s14, 0x1f8
	s_mov_b32 s0, 0
.LBB118_482:                            ; =>This Inner Loop Header: Depth=1
	scratch_load_b64 v[118:119], off, s11
	v_dual_mov_b32 v117, s14 :: v_dual_add_nc_u32 v116, -1, v116
	s_add_co_i32 s14, s14, 8
	s_wait_xcnt 0x0
	s_add_co_i32 s11, s11, 8
	ds_load_b64 v[120:121], v117
	v_cmp_eq_u32_e32 vcc_lo, 0, v116
	s_or_b32 s0, vcc_lo, s0
	s_wait_loadcnt_dscnt 0x0
	v_pk_mul_f32 v[122:123], v[120:121], v[118:119] op_sel:[1,1] op_sel_hi:[0,1]
	s_delay_alu instid0(VALU_DEP_1) | instskip(SKIP_1) | instid1(VALU_DEP_2)
	v_pk_fma_f32 v[124:125], v[120:121], v[118:119], v[122:123] op_sel_hi:[1,0,1]
	v_pk_fma_f32 v[118:119], v[120:121], v[118:119], v[122:123] neg_lo:[0,0,1] neg_hi:[0,0,1]
	v_mov_b32_e32 v119, v125
	s_delay_alu instid0(VALU_DEP_1)
	v_pk_add_f32 v[114:115], v[114:115], v[118:119]
	s_and_not1_b32 exec_lo, exec_lo, s0
	s_cbranch_execnz .LBB118_482
; %bb.483:
	s_or_b32 exec_lo, exec_lo, s0
.LBB118_484:
	s_delay_alu instid0(SALU_CYCLE_1) | instskip(SKIP_4) | instid1(VALU_DEP_1)
	s_or_b32 exec_lo, exec_lo, s13
	v_mov_b32_e32 v116, 0
	ds_load_b64 v[116:117], v116 offset:48
	s_wait_dscnt 0x0
	v_pk_mul_f32 v[118:119], v[114:115], v[116:117] op_sel:[1,1] op_sel_hi:[0,1]
	v_pk_fma_f32 v[120:121], v[114:115], v[116:117], v[118:119] op_sel_hi:[1,0,1]
	v_pk_fma_f32 v[114:115], v[114:115], v[116:117], v[118:119] neg_lo:[0,0,1] neg_hi:[0,0,1]
	s_delay_alu instid0(VALU_DEP_2)
	v_mov_b32_e32 v115, v121
	scratch_store_b64 off, v[114:115], off offset:48
.LBB118_485:
	s_wait_xcnt 0x0
	s_or_b32 exec_lo, exec_lo, s12
	scratch_load_b64 v[114:115], off, off offset:40
	v_cmp_lt_u32_e64 s0, 5, v0
	s_wait_loadcnt 0x0
	ds_store_b64 v1, v[114:115]
	s_wait_storecnt_dscnt 0x0
	s_barrier_signal -1
	s_barrier_wait -1
	s_wait_xcnt 0x0
	s_and_saveexec_b32 s11, s0
	s_cbranch_execz .LBB118_495
; %bb.486:
	s_and_not1_b32 vcc_lo, exec_lo, s5
	s_cbranch_vccnz .LBB118_488
; %bb.487:
	scratch_load_b64 v[114:115], v59, off
	ds_load_b64 v[116:117], v1
	s_wait_loadcnt_dscnt 0x0
	v_pk_mul_f32 v[118:119], v[116:117], v[114:115] op_sel:[1,1] op_sel_hi:[0,1]
	s_delay_alu instid0(VALU_DEP_1) | instskip(SKIP_1) | instid1(VALU_DEP_2)
	v_pk_fma_f32 v[120:121], v[116:117], v[114:115], v[118:119] op_sel_hi:[1,0,1]
	v_pk_fma_f32 v[114:115], v[116:117], v[114:115], v[118:119] neg_lo:[0,0,1] neg_hi:[0,0,1]
	v_mov_b32_e32 v115, v121
	s_cbranch_execz .LBB118_489
	s_branch .LBB118_490
.LBB118_488:
                                        ; implicit-def: $vgpr114_vgpr115
.LBB118_489:
	ds_load_b64 v[114:115], v1
.LBB118_490:
	s_and_saveexec_b32 s12, s1
	s_cbranch_execz .LBB118_494
; %bb.491:
	v_add_nc_u32_e32 v116, -6, v0
	s_movk_i32 s13, 0x1f0
	s_mov_b32 s1, 0
.LBB118_492:                            ; =>This Inner Loop Header: Depth=1
	scratch_load_b64 v[118:119], off, s10
	v_dual_mov_b32 v117, s13 :: v_dual_add_nc_u32 v116, -1, v116
	s_add_co_i32 s13, s13, 8
	s_wait_xcnt 0x0
	s_add_co_i32 s10, s10, 8
	ds_load_b64 v[120:121], v117
	v_cmp_eq_u32_e32 vcc_lo, 0, v116
	s_or_b32 s1, vcc_lo, s1
	s_wait_loadcnt_dscnt 0x0
	v_pk_mul_f32 v[122:123], v[120:121], v[118:119] op_sel:[1,1] op_sel_hi:[0,1]
	s_delay_alu instid0(VALU_DEP_1) | instskip(SKIP_1) | instid1(VALU_DEP_2)
	v_pk_fma_f32 v[124:125], v[120:121], v[118:119], v[122:123] op_sel_hi:[1,0,1]
	v_pk_fma_f32 v[118:119], v[120:121], v[118:119], v[122:123] neg_lo:[0,0,1] neg_hi:[0,0,1]
	v_mov_b32_e32 v119, v125
	s_delay_alu instid0(VALU_DEP_1)
	v_pk_add_f32 v[114:115], v[114:115], v[118:119]
	s_and_not1_b32 exec_lo, exec_lo, s1
	s_cbranch_execnz .LBB118_492
; %bb.493:
	s_or_b32 exec_lo, exec_lo, s1
.LBB118_494:
	s_delay_alu instid0(SALU_CYCLE_1) | instskip(SKIP_4) | instid1(VALU_DEP_1)
	s_or_b32 exec_lo, exec_lo, s12
	v_mov_b32_e32 v116, 0
	ds_load_b64 v[116:117], v116 offset:40
	s_wait_dscnt 0x0
	v_pk_mul_f32 v[118:119], v[114:115], v[116:117] op_sel:[1,1] op_sel_hi:[0,1]
	v_pk_fma_f32 v[120:121], v[114:115], v[116:117], v[118:119] op_sel_hi:[1,0,1]
	v_pk_fma_f32 v[114:115], v[114:115], v[116:117], v[118:119] neg_lo:[0,0,1] neg_hi:[0,0,1]
	s_delay_alu instid0(VALU_DEP_2)
	v_mov_b32_e32 v115, v121
	scratch_store_b64 off, v[114:115], off offset:40
.LBB118_495:
	s_wait_xcnt 0x0
	s_or_b32 exec_lo, exec_lo, s11
	scratch_load_b64 v[114:115], off, off offset:32
	v_cmp_lt_u32_e64 s1, 4, v0
	s_wait_loadcnt 0x0
	ds_store_b64 v1, v[114:115]
	s_wait_storecnt_dscnt 0x0
	s_barrier_signal -1
	s_barrier_wait -1
	s_wait_xcnt 0x0
	s_and_saveexec_b32 s10, s1
	s_cbranch_execz .LBB118_505
; %bb.496:
	s_and_not1_b32 vcc_lo, exec_lo, s5
	s_cbranch_vccnz .LBB118_498
; %bb.497:
	scratch_load_b64 v[114:115], v59, off
	ds_load_b64 v[116:117], v1
	s_wait_loadcnt_dscnt 0x0
	v_pk_mul_f32 v[118:119], v[116:117], v[114:115] op_sel:[1,1] op_sel_hi:[0,1]
	s_delay_alu instid0(VALU_DEP_1) | instskip(SKIP_1) | instid1(VALU_DEP_2)
	v_pk_fma_f32 v[120:121], v[116:117], v[114:115], v[118:119] op_sel_hi:[1,0,1]
	v_pk_fma_f32 v[114:115], v[116:117], v[114:115], v[118:119] neg_lo:[0,0,1] neg_hi:[0,0,1]
	v_mov_b32_e32 v115, v121
	s_cbranch_execz .LBB118_499
	s_branch .LBB118_500
.LBB118_498:
                                        ; implicit-def: $vgpr114_vgpr115
.LBB118_499:
	ds_load_b64 v[114:115], v1
.LBB118_500:
	s_and_saveexec_b32 s11, s0
	s_cbranch_execz .LBB118_504
; %bb.501:
	v_add_nc_u32_e32 v116, -5, v0
	s_movk_i32 s12, 0x1e8
	s_mov_b32 s0, 0
.LBB118_502:                            ; =>This Inner Loop Header: Depth=1
	scratch_load_b64 v[118:119], off, s9
	v_dual_mov_b32 v117, s12 :: v_dual_add_nc_u32 v116, -1, v116
	s_add_co_i32 s12, s12, 8
	s_wait_xcnt 0x0
	s_add_co_i32 s9, s9, 8
	ds_load_b64 v[120:121], v117
	v_cmp_eq_u32_e32 vcc_lo, 0, v116
	s_or_b32 s0, vcc_lo, s0
	s_wait_loadcnt_dscnt 0x0
	v_pk_mul_f32 v[122:123], v[120:121], v[118:119] op_sel:[1,1] op_sel_hi:[0,1]
	s_delay_alu instid0(VALU_DEP_1) | instskip(SKIP_1) | instid1(VALU_DEP_2)
	v_pk_fma_f32 v[124:125], v[120:121], v[118:119], v[122:123] op_sel_hi:[1,0,1]
	v_pk_fma_f32 v[118:119], v[120:121], v[118:119], v[122:123] neg_lo:[0,0,1] neg_hi:[0,0,1]
	v_mov_b32_e32 v119, v125
	s_delay_alu instid0(VALU_DEP_1)
	v_pk_add_f32 v[114:115], v[114:115], v[118:119]
	s_and_not1_b32 exec_lo, exec_lo, s0
	s_cbranch_execnz .LBB118_502
; %bb.503:
	s_or_b32 exec_lo, exec_lo, s0
.LBB118_504:
	s_delay_alu instid0(SALU_CYCLE_1) | instskip(SKIP_4) | instid1(VALU_DEP_1)
	s_or_b32 exec_lo, exec_lo, s11
	v_mov_b32_e32 v116, 0
	ds_load_b64 v[116:117], v116 offset:32
	s_wait_dscnt 0x0
	v_pk_mul_f32 v[118:119], v[114:115], v[116:117] op_sel:[1,1] op_sel_hi:[0,1]
	v_pk_fma_f32 v[120:121], v[114:115], v[116:117], v[118:119] op_sel_hi:[1,0,1]
	v_pk_fma_f32 v[114:115], v[114:115], v[116:117], v[118:119] neg_lo:[0,0,1] neg_hi:[0,0,1]
	s_delay_alu instid0(VALU_DEP_2)
	v_mov_b32_e32 v115, v121
	scratch_store_b64 off, v[114:115], off offset:32
.LBB118_505:
	s_wait_xcnt 0x0
	s_or_b32 exec_lo, exec_lo, s10
	scratch_load_b64 v[114:115], off, off offset:24
	v_cmp_lt_u32_e64 s0, 3, v0
	s_wait_loadcnt 0x0
	ds_store_b64 v1, v[114:115]
	s_wait_storecnt_dscnt 0x0
	s_barrier_signal -1
	s_barrier_wait -1
	s_wait_xcnt 0x0
	s_and_saveexec_b32 s9, s0
	s_cbranch_execz .LBB118_515
; %bb.506:
	s_and_not1_b32 vcc_lo, exec_lo, s5
	s_cbranch_vccnz .LBB118_508
; %bb.507:
	scratch_load_b64 v[114:115], v59, off
	ds_load_b64 v[116:117], v1
	s_wait_loadcnt_dscnt 0x0
	v_pk_mul_f32 v[118:119], v[116:117], v[114:115] op_sel:[1,1] op_sel_hi:[0,1]
	s_delay_alu instid0(VALU_DEP_1) | instskip(SKIP_1) | instid1(VALU_DEP_2)
	v_pk_fma_f32 v[120:121], v[116:117], v[114:115], v[118:119] op_sel_hi:[1,0,1]
	v_pk_fma_f32 v[114:115], v[116:117], v[114:115], v[118:119] neg_lo:[0,0,1] neg_hi:[0,0,1]
	v_mov_b32_e32 v115, v121
	s_cbranch_execz .LBB118_509
	s_branch .LBB118_510
.LBB118_508:
                                        ; implicit-def: $vgpr114_vgpr115
.LBB118_509:
	ds_load_b64 v[114:115], v1
.LBB118_510:
	s_and_saveexec_b32 s10, s1
	s_cbranch_execz .LBB118_514
; %bb.511:
	v_add_nc_u32_e32 v116, -4, v0
	s_movk_i32 s11, 0x1e0
	s_mov_b32 s1, 0
.LBB118_512:                            ; =>This Inner Loop Header: Depth=1
	scratch_load_b64 v[118:119], off, s8
	v_dual_mov_b32 v117, s11 :: v_dual_add_nc_u32 v116, -1, v116
	s_add_co_i32 s11, s11, 8
	s_wait_xcnt 0x0
	s_add_co_i32 s8, s8, 8
	ds_load_b64 v[120:121], v117
	v_cmp_eq_u32_e32 vcc_lo, 0, v116
	s_or_b32 s1, vcc_lo, s1
	s_wait_loadcnt_dscnt 0x0
	v_pk_mul_f32 v[122:123], v[120:121], v[118:119] op_sel:[1,1] op_sel_hi:[0,1]
	s_delay_alu instid0(VALU_DEP_1) | instskip(SKIP_1) | instid1(VALU_DEP_2)
	v_pk_fma_f32 v[124:125], v[120:121], v[118:119], v[122:123] op_sel_hi:[1,0,1]
	v_pk_fma_f32 v[118:119], v[120:121], v[118:119], v[122:123] neg_lo:[0,0,1] neg_hi:[0,0,1]
	v_mov_b32_e32 v119, v125
	s_delay_alu instid0(VALU_DEP_1)
	v_pk_add_f32 v[114:115], v[114:115], v[118:119]
	s_and_not1_b32 exec_lo, exec_lo, s1
	s_cbranch_execnz .LBB118_512
; %bb.513:
	s_or_b32 exec_lo, exec_lo, s1
.LBB118_514:
	s_delay_alu instid0(SALU_CYCLE_1) | instskip(SKIP_4) | instid1(VALU_DEP_1)
	s_or_b32 exec_lo, exec_lo, s10
	v_mov_b32_e32 v116, 0
	ds_load_b64 v[116:117], v116 offset:24
	s_wait_dscnt 0x0
	v_pk_mul_f32 v[118:119], v[114:115], v[116:117] op_sel:[1,1] op_sel_hi:[0,1]
	v_pk_fma_f32 v[120:121], v[114:115], v[116:117], v[118:119] op_sel_hi:[1,0,1]
	v_pk_fma_f32 v[114:115], v[114:115], v[116:117], v[118:119] neg_lo:[0,0,1] neg_hi:[0,0,1]
	s_delay_alu instid0(VALU_DEP_2)
	v_mov_b32_e32 v115, v121
	scratch_store_b64 off, v[114:115], off offset:24
.LBB118_515:
	s_wait_xcnt 0x0
	s_or_b32 exec_lo, exec_lo, s9
	scratch_load_b64 v[114:115], off, off offset:16
	v_cmp_lt_u32_e64 s1, 2, v0
	s_wait_loadcnt 0x0
	ds_store_b64 v1, v[114:115]
	s_wait_storecnt_dscnt 0x0
	s_barrier_signal -1
	s_barrier_wait -1
	s_wait_xcnt 0x0
	s_and_saveexec_b32 s8, s1
	s_cbranch_execz .LBB118_525
; %bb.516:
	s_and_not1_b32 vcc_lo, exec_lo, s5
	s_cbranch_vccnz .LBB118_518
; %bb.517:
	scratch_load_b64 v[114:115], v59, off
	ds_load_b64 v[116:117], v1
	s_wait_loadcnt_dscnt 0x0
	v_pk_mul_f32 v[118:119], v[116:117], v[114:115] op_sel:[1,1] op_sel_hi:[0,1]
	s_delay_alu instid0(VALU_DEP_1) | instskip(SKIP_1) | instid1(VALU_DEP_2)
	v_pk_fma_f32 v[120:121], v[116:117], v[114:115], v[118:119] op_sel_hi:[1,0,1]
	v_pk_fma_f32 v[114:115], v[116:117], v[114:115], v[118:119] neg_lo:[0,0,1] neg_hi:[0,0,1]
	v_mov_b32_e32 v115, v121
	s_cbranch_execz .LBB118_519
	s_branch .LBB118_520
.LBB118_518:
                                        ; implicit-def: $vgpr114_vgpr115
.LBB118_519:
	ds_load_b64 v[114:115], v1
.LBB118_520:
	s_and_saveexec_b32 s9, s0
	s_cbranch_execz .LBB118_524
; %bb.521:
	v_add_nc_u32_e32 v116, -3, v0
	s_movk_i32 s10, 0x1d8
	s_mov_b32 s0, 0
.LBB118_522:                            ; =>This Inner Loop Header: Depth=1
	scratch_load_b64 v[118:119], off, s7
	v_dual_mov_b32 v117, s10 :: v_dual_add_nc_u32 v116, -1, v116
	s_add_co_i32 s10, s10, 8
	s_wait_xcnt 0x0
	s_add_co_i32 s7, s7, 8
	ds_load_b64 v[120:121], v117
	v_cmp_eq_u32_e32 vcc_lo, 0, v116
	s_or_b32 s0, vcc_lo, s0
	s_wait_loadcnt_dscnt 0x0
	v_pk_mul_f32 v[122:123], v[120:121], v[118:119] op_sel:[1,1] op_sel_hi:[0,1]
	s_delay_alu instid0(VALU_DEP_1) | instskip(SKIP_1) | instid1(VALU_DEP_2)
	v_pk_fma_f32 v[124:125], v[120:121], v[118:119], v[122:123] op_sel_hi:[1,0,1]
	v_pk_fma_f32 v[118:119], v[120:121], v[118:119], v[122:123] neg_lo:[0,0,1] neg_hi:[0,0,1]
	v_mov_b32_e32 v119, v125
	s_delay_alu instid0(VALU_DEP_1)
	v_pk_add_f32 v[114:115], v[114:115], v[118:119]
	s_and_not1_b32 exec_lo, exec_lo, s0
	s_cbranch_execnz .LBB118_522
; %bb.523:
	s_or_b32 exec_lo, exec_lo, s0
.LBB118_524:
	s_delay_alu instid0(SALU_CYCLE_1) | instskip(SKIP_4) | instid1(VALU_DEP_1)
	s_or_b32 exec_lo, exec_lo, s9
	v_mov_b32_e32 v116, 0
	ds_load_b64 v[116:117], v116 offset:16
	s_wait_dscnt 0x0
	v_pk_mul_f32 v[118:119], v[114:115], v[116:117] op_sel:[1,1] op_sel_hi:[0,1]
	v_pk_fma_f32 v[120:121], v[114:115], v[116:117], v[118:119] op_sel_hi:[1,0,1]
	v_pk_fma_f32 v[114:115], v[114:115], v[116:117], v[118:119] neg_lo:[0,0,1] neg_hi:[0,0,1]
	s_delay_alu instid0(VALU_DEP_2)
	v_mov_b32_e32 v115, v121
	scratch_store_b64 off, v[114:115], off offset:16
.LBB118_525:
	s_wait_xcnt 0x0
	s_or_b32 exec_lo, exec_lo, s8
	scratch_load_b64 v[114:115], off, off offset:8
	v_cmp_lt_u32_e64 s0, 1, v0
	s_wait_loadcnt 0x0
	ds_store_b64 v1, v[114:115]
	s_wait_storecnt_dscnt 0x0
	s_barrier_signal -1
	s_barrier_wait -1
	s_wait_xcnt 0x0
	s_and_saveexec_b32 s7, s0
	s_cbranch_execz .LBB118_535
; %bb.526:
	s_and_not1_b32 vcc_lo, exec_lo, s5
	s_cbranch_vccnz .LBB118_528
; %bb.527:
	scratch_load_b64 v[114:115], v59, off
	ds_load_b64 v[116:117], v1
	s_wait_loadcnt_dscnt 0x0
	v_pk_mul_f32 v[118:119], v[116:117], v[114:115] op_sel:[1,1] op_sel_hi:[0,1]
	s_delay_alu instid0(VALU_DEP_1) | instskip(SKIP_1) | instid1(VALU_DEP_2)
	v_pk_fma_f32 v[120:121], v[116:117], v[114:115], v[118:119] op_sel_hi:[1,0,1]
	v_pk_fma_f32 v[114:115], v[116:117], v[114:115], v[118:119] neg_lo:[0,0,1] neg_hi:[0,0,1]
	v_mov_b32_e32 v115, v121
	s_cbranch_execz .LBB118_529
	s_branch .LBB118_530
.LBB118_528:
                                        ; implicit-def: $vgpr114_vgpr115
.LBB118_529:
	ds_load_b64 v[114:115], v1
.LBB118_530:
	s_and_saveexec_b32 s8, s1
	s_cbranch_execz .LBB118_534
; %bb.531:
	v_add_nc_u32_e32 v116, -2, v0
	s_movk_i32 s9, 0x1d0
	s_mov_b32 s1, 0
.LBB118_532:                            ; =>This Inner Loop Header: Depth=1
	scratch_load_b64 v[118:119], off, s6
	v_dual_mov_b32 v117, s9 :: v_dual_add_nc_u32 v116, -1, v116
	s_add_co_i32 s9, s9, 8
	s_wait_xcnt 0x0
	s_add_co_i32 s6, s6, 8
	ds_load_b64 v[120:121], v117
	v_cmp_eq_u32_e32 vcc_lo, 0, v116
	s_or_b32 s1, vcc_lo, s1
	s_wait_loadcnt_dscnt 0x0
	v_pk_mul_f32 v[122:123], v[120:121], v[118:119] op_sel:[1,1] op_sel_hi:[0,1]
	s_delay_alu instid0(VALU_DEP_1) | instskip(SKIP_1) | instid1(VALU_DEP_2)
	v_pk_fma_f32 v[124:125], v[120:121], v[118:119], v[122:123] op_sel_hi:[1,0,1]
	v_pk_fma_f32 v[118:119], v[120:121], v[118:119], v[122:123] neg_lo:[0,0,1] neg_hi:[0,0,1]
	v_mov_b32_e32 v119, v125
	s_delay_alu instid0(VALU_DEP_1)
	v_pk_add_f32 v[114:115], v[114:115], v[118:119]
	s_and_not1_b32 exec_lo, exec_lo, s1
	s_cbranch_execnz .LBB118_532
; %bb.533:
	s_or_b32 exec_lo, exec_lo, s1
.LBB118_534:
	s_delay_alu instid0(SALU_CYCLE_1) | instskip(SKIP_4) | instid1(VALU_DEP_1)
	s_or_b32 exec_lo, exec_lo, s8
	v_mov_b32_e32 v116, 0
	ds_load_b64 v[116:117], v116 offset:8
	s_wait_dscnt 0x0
	v_pk_mul_f32 v[118:119], v[114:115], v[116:117] op_sel:[1,1] op_sel_hi:[0,1]
	v_pk_fma_f32 v[120:121], v[114:115], v[116:117], v[118:119] op_sel_hi:[1,0,1]
	v_pk_fma_f32 v[114:115], v[114:115], v[116:117], v[118:119] neg_lo:[0,0,1] neg_hi:[0,0,1]
	s_delay_alu instid0(VALU_DEP_2)
	v_mov_b32_e32 v115, v121
	scratch_store_b64 off, v[114:115], off offset:8
.LBB118_535:
	s_wait_xcnt 0x0
	s_or_b32 exec_lo, exec_lo, s7
	scratch_load_b64 v[114:115], off, off
	s_mov_b32 s6, 0
	s_mov_b32 s1, 0
	s_mov_b32 s8, exec_lo
                                        ; implicit-def: $vgpr164
                                        ; implicit-def: $sgpr7
	s_wait_loadcnt 0x0
	ds_store_b64 v1, v[114:115]
	s_wait_storecnt_dscnt 0x0
	s_barrier_signal -1
	s_barrier_wait -1
	s_wait_xcnt 0x0
	v_cmpx_ne_u32_e32 0, v0
	s_cbranch_execz .LBB118_545
; %bb.536:
	s_and_not1_b32 vcc_lo, exec_lo, s5
	s_cbranch_vccnz .LBB118_538
; %bb.537:
	scratch_load_b64 v[116:117], v59, off
	ds_load_b64 v[118:119], v1
	s_wait_loadcnt_dscnt 0x0
	v_dual_mul_f32 v114, v119, v117 :: v_dual_mul_f32 v115, v118, v117
	s_delay_alu instid0(VALU_DEP_1)
	v_dual_fma_f32 v114, v118, v116, -v114 :: v_dual_fmac_f32 v115, v119, v116
	s_and_not1_b32 vcc_lo, exec_lo, s1
	s_cbranch_vccz .LBB118_539
	s_branch .LBB118_540
.LBB118_538:
                                        ; implicit-def: $vgpr114
.LBB118_539:
	ds_load_b64 v[114:115], v1
.LBB118_540:
	s_and_saveexec_b32 s1, s0
	s_cbranch_execz .LBB118_544
; %bb.541:
	v_add_nc_u32_e32 v116, -1, v0
	s_movk_i32 s7, 0x1c8
	s_mov_b32 s0, 0
.LBB118_542:                            ; =>This Inner Loop Header: Depth=1
	scratch_load_b64 v[118:119], off, s4
	v_mov_b32_e32 v117, s7
	s_add_co_i32 s7, s7, 8
	s_wait_xcnt 0x0
	s_add_co_i32 s4, s4, 8
	v_add_nc_u32_e32 v116, -1, v116
	ds_load_b64 v[120:121], v117
	v_cmp_eq_u32_e32 vcc_lo, 0, v116
	s_or_b32 s0, vcc_lo, s0
	s_wait_loadcnt_dscnt 0x0
	v_dual_mul_f32 v117, v121, v119 :: v_dual_mul_f32 v119, v120, v119
	s_delay_alu instid0(VALU_DEP_1) | instskip(NEXT) | instid1(VALU_DEP_1)
	v_dual_fma_f32 v117, v120, v118, -v117 :: v_dual_fmac_f32 v119, v121, v118
	v_dual_add_f32 v114, v114, v117 :: v_dual_add_f32 v115, v115, v119
	s_and_not1_b32 exec_lo, exec_lo, s0
	s_cbranch_execnz .LBB118_542
; %bb.543:
	s_or_b32 exec_lo, exec_lo, s0
.LBB118_544:
	s_delay_alu instid0(SALU_CYCLE_1)
	s_or_b32 exec_lo, exec_lo, s1
	v_mov_b32_e32 v116, 0
	s_mov_b32 s1, exec_lo
	s_or_b32 s7, 0, 4
	ds_load_b64 v[116:117], v116
	s_wait_dscnt 0x0
	v_dual_mul_f32 v118, v115, v117 :: v_dual_mul_f32 v164, v114, v117
	s_delay_alu instid0(VALU_DEP_1)
	v_dual_fma_f32 v114, v114, v116, -v118 :: v_dual_fmac_f32 v164, v115, v116
	scratch_store_b32 off, v114, off
.LBB118_545:
	s_wait_xcnt 0x0
	s_or_b32 exec_lo, exec_lo, s8
	s_delay_alu instid0(SALU_CYCLE_1)
	s_and_b32 vcc_lo, exec_lo, s6
	s_cbranch_vccz .LBB118_1081
.LBB118_546:
	scratch_load_b64 v[114:115], off, off offset:8
	v_cmp_eq_u32_e64 s0, 0, v0
	s_wait_loadcnt 0x0
	ds_store_b64 v1, v[114:115]
	s_wait_storecnt_dscnt 0x0
	s_barrier_signal -1
	s_barrier_wait -1
	s_wait_xcnt 0x0
	s_and_saveexec_b32 s4, s0
	s_cbranch_execz .LBB118_552
; %bb.547:
	s_and_b32 vcc_lo, exec_lo, s5
	s_cbranch_vccz .LBB118_549
; %bb.548:
	scratch_load_b64 v[114:115], v59, off
	ds_load_b64 v[116:117], v1
	s_wait_loadcnt_dscnt 0x0
	v_pk_mul_f32 v[118:119], v[116:117], v[114:115] op_sel:[1,1] op_sel_hi:[0,1]
	v_pk_mul_f32 v[120:121], v[116:117], v[114:115] op_sel_hi:[1,0]
	s_delay_alu instid0(VALU_DEP_2) | instskip(NEXT) | instid1(VALU_DEP_2)
	v_pk_fma_f32 v[114:115], v[116:117], v[114:115], v[118:119] op_sel_hi:[1,0,1]
	v_sub_f32_e32 v114, v120, v118
	s_cbranch_execz .LBB118_550
	s_branch .LBB118_551
.LBB118_549:
                                        ; implicit-def: $vgpr115
.LBB118_550:
	ds_load_b64 v[114:115], v1
.LBB118_551:
	s_wait_dscnt 0x0
	v_dual_mov_b32 v116, 0 :: v_dual_mov_b32 v118, v115
	v_mov_b32_e32 v119, v114
	ds_load_b64 v[116:117], v116 offset:8
	s_wait_dscnt 0x0
	v_pk_mul_f32 v[118:119], v[118:119], v[116:117] op_sel:[0,1]
	s_delay_alu instid0(VALU_DEP_1) | instskip(SKIP_1) | instid1(VALU_DEP_2)
	v_pk_fma_f32 v[120:121], v[114:115], v[116:117], v[118:119] op_sel_hi:[1,0,1]
	v_pk_fma_f32 v[114:115], v[114:115], v[116:117], v[118:119] neg_lo:[0,0,1] neg_hi:[0,0,1]
	v_mov_b32_e32 v115, v121
	scratch_store_b64 off, v[114:115], off offset:8
.LBB118_552:
	s_wait_xcnt 0x0
	s_or_b32 exec_lo, exec_lo, s4
	scratch_load_b64 v[114:115], off, off offset:16
	v_cndmask_b32_e64 v116, 0, 1, s5
	s_mov_b32 s4, exec_lo
	s_wait_loadcnt 0x0
	ds_store_b64 v1, v[114:115]
	s_wait_storecnt_dscnt 0x0
	s_barrier_signal -1
	s_barrier_wait -1
	s_wait_xcnt 0x0
	v_cmpx_gt_u32_e32 2, v0
	s_cbranch_execz .LBB118_560
; %bb.553:
	s_and_not1_b32 vcc_lo, exec_lo, s5
	s_cbranch_vccnz .LBB118_555
; %bb.554:
	scratch_load_b64 v[114:115], v59, off
	ds_load_b64 v[118:119], v1
	s_wait_loadcnt_dscnt 0x0
	v_pk_mul_f32 v[120:121], v[118:119], v[114:115] op_sel:[1,1] op_sel_hi:[0,1]
	s_delay_alu instid0(VALU_DEP_1) | instskip(SKIP_1) | instid1(VALU_DEP_2)
	v_pk_fma_f32 v[122:123], v[118:119], v[114:115], v[120:121] op_sel_hi:[1,0,1]
	v_pk_fma_f32 v[114:115], v[118:119], v[114:115], v[120:121] neg_lo:[0,0,1] neg_hi:[0,0,1]
	v_mov_b32_e32 v115, v123
	s_cbranch_execz .LBB118_556
	s_branch .LBB118_557
.LBB118_555:
                                        ; implicit-def: $vgpr114_vgpr115
.LBB118_556:
	ds_load_b64 v[114:115], v1
.LBB118_557:
	s_and_saveexec_b32 s5, s0
	s_cbranch_execz .LBB118_559
; %bb.558:
	scratch_load_b64 v[118:119], off, off offset:8
	v_mov_b32_e32 v117, 0
	ds_load_b64 v[120:121], v117 offset:456
	s_wait_loadcnt_dscnt 0x0
	v_pk_mul_f32 v[122:123], v[120:121], v[118:119] op_sel:[1,1] op_sel_hi:[0,1]
	s_delay_alu instid0(VALU_DEP_1) | instskip(SKIP_1) | instid1(VALU_DEP_2)
	v_pk_fma_f32 v[124:125], v[120:121], v[118:119], v[122:123] op_sel_hi:[1,0,1]
	v_pk_fma_f32 v[118:119], v[120:121], v[118:119], v[122:123] neg_lo:[0,0,1] neg_hi:[0,0,1]
	v_mov_b32_e32 v119, v125
	s_delay_alu instid0(VALU_DEP_1)
	v_pk_add_f32 v[114:115], v[114:115], v[118:119]
.LBB118_559:
	s_or_b32 exec_lo, exec_lo, s5
	v_mov_b32_e32 v117, 0
	ds_load_b64 v[118:119], v117 offset:16
	s_wait_dscnt 0x0
	v_pk_mul_f32 v[120:121], v[114:115], v[118:119] op_sel:[1,1] op_sel_hi:[0,1]
	s_delay_alu instid0(VALU_DEP_1) | instskip(SKIP_1) | instid1(VALU_DEP_2)
	v_pk_fma_f32 v[122:123], v[114:115], v[118:119], v[120:121] op_sel_hi:[1,0,1]
	v_pk_fma_f32 v[114:115], v[114:115], v[118:119], v[120:121] neg_lo:[0,0,1] neg_hi:[0,0,1]
	v_mov_b32_e32 v115, v123
	scratch_store_b64 off, v[114:115], off offset:16
.LBB118_560:
	s_wait_xcnt 0x0
	s_or_b32 exec_lo, exec_lo, s4
	scratch_load_b64 v[114:115], off, off offset:24
	s_mov_b32 s4, exec_lo
	s_wait_loadcnt 0x0
	ds_store_b64 v1, v[114:115]
	s_wait_storecnt_dscnt 0x0
	s_barrier_signal -1
	s_barrier_wait -1
	s_wait_xcnt 0x0
	v_cmpx_gt_u32_e32 3, v0
	s_cbranch_execz .LBB118_570
; %bb.561:
	v_cmp_ne_u32_e32 vcc_lo, 1, v116
	s_cbranch_vccnz .LBB118_563
; %bb.562:
	scratch_load_b64 v[114:115], v59, off
	ds_load_b64 v[118:119], v1
	s_wait_loadcnt_dscnt 0x0
	v_pk_mul_f32 v[120:121], v[118:119], v[114:115] op_sel:[1,1] op_sel_hi:[0,1]
	s_delay_alu instid0(VALU_DEP_1) | instskip(SKIP_1) | instid1(VALU_DEP_2)
	v_pk_fma_f32 v[122:123], v[118:119], v[114:115], v[120:121] op_sel_hi:[1,0,1]
	v_pk_fma_f32 v[114:115], v[118:119], v[114:115], v[120:121] neg_lo:[0,0,1] neg_hi:[0,0,1]
	v_mov_b32_e32 v115, v123
	s_cbranch_execz .LBB118_564
	s_branch .LBB118_565
.LBB118_563:
                                        ; implicit-def: $vgpr114_vgpr115
.LBB118_564:
	ds_load_b64 v[114:115], v1
.LBB118_565:
	s_mov_b32 s5, exec_lo
	v_cmpx_ne_u32_e32 2, v0
	s_cbranch_execz .LBB118_569
; %bb.566:
	scratch_load_b64 v[118:119], v59, off offset:8
	ds_load_b64 v[120:121], v1 offset:8
	s_wait_loadcnt_dscnt 0x0
	v_pk_mul_f32 v[122:123], v[120:121], v[118:119] op_sel:[1,1] op_sel_hi:[0,1]
	s_delay_alu instid0(VALU_DEP_1) | instskip(SKIP_1) | instid1(VALU_DEP_2)
	v_pk_fma_f32 v[124:125], v[120:121], v[118:119], v[122:123] op_sel_hi:[1,0,1]
	v_pk_fma_f32 v[118:119], v[120:121], v[118:119], v[122:123] neg_lo:[0,0,1] neg_hi:[0,0,1]
	v_mov_b32_e32 v119, v125
	s_delay_alu instid0(VALU_DEP_1)
	v_pk_add_f32 v[114:115], v[114:115], v[118:119]
	s_and_saveexec_b32 s6, s0
	s_cbranch_execz .LBB118_568
; %bb.567:
	scratch_load_b64 v[118:119], off, off offset:16
	v_mov_b32_e32 v117, 0
	ds_load_b64 v[120:121], v117 offset:464
	s_wait_loadcnt_dscnt 0x0
	v_pk_mul_f32 v[122:123], v[120:121], v[118:119] op_sel:[1,1] op_sel_hi:[0,1]
	s_delay_alu instid0(VALU_DEP_1) | instskip(SKIP_1) | instid1(VALU_DEP_2)
	v_pk_fma_f32 v[124:125], v[120:121], v[118:119], v[122:123] op_sel_hi:[1,0,1]
	v_pk_fma_f32 v[118:119], v[120:121], v[118:119], v[122:123] neg_lo:[0,0,1] neg_hi:[0,0,1]
	v_mov_b32_e32 v119, v125
	s_delay_alu instid0(VALU_DEP_1)
	v_pk_add_f32 v[114:115], v[114:115], v[118:119]
.LBB118_568:
	s_or_b32 exec_lo, exec_lo, s6
.LBB118_569:
	s_delay_alu instid0(SALU_CYCLE_1) | instskip(SKIP_4) | instid1(VALU_DEP_1)
	s_or_b32 exec_lo, exec_lo, s5
	v_mov_b32_e32 v117, 0
	ds_load_b64 v[118:119], v117 offset:24
	s_wait_dscnt 0x0
	v_pk_mul_f32 v[120:121], v[114:115], v[118:119] op_sel:[1,1] op_sel_hi:[0,1]
	v_pk_fma_f32 v[122:123], v[114:115], v[118:119], v[120:121] op_sel_hi:[1,0,1]
	v_pk_fma_f32 v[114:115], v[114:115], v[118:119], v[120:121] neg_lo:[0,0,1] neg_hi:[0,0,1]
	s_delay_alu instid0(VALU_DEP_2)
	v_mov_b32_e32 v115, v123
	scratch_store_b64 off, v[114:115], off offset:24
.LBB118_570:
	s_wait_xcnt 0x0
	s_or_b32 exec_lo, exec_lo, s4
	scratch_load_b64 v[114:115], off, off offset:32
	s_mov_b32 s0, exec_lo
	s_wait_loadcnt 0x0
	ds_store_b64 v1, v[114:115]
	s_wait_storecnt_dscnt 0x0
	s_barrier_signal -1
	s_barrier_wait -1
	s_wait_xcnt 0x0
	v_cmpx_gt_u32_e32 4, v0
	s_cbranch_execz .LBB118_580
; %bb.571:
	v_cmp_ne_u32_e32 vcc_lo, 1, v116
	s_cbranch_vccnz .LBB118_573
; %bb.572:
	scratch_load_b64 v[114:115], v59, off
	ds_load_b64 v[118:119], v1
	s_wait_loadcnt_dscnt 0x0
	v_pk_mul_f32 v[120:121], v[118:119], v[114:115] op_sel:[1,1] op_sel_hi:[0,1]
	s_delay_alu instid0(VALU_DEP_1) | instskip(SKIP_1) | instid1(VALU_DEP_2)
	v_pk_fma_f32 v[122:123], v[118:119], v[114:115], v[120:121] op_sel_hi:[1,0,1]
	v_pk_fma_f32 v[114:115], v[118:119], v[114:115], v[120:121] neg_lo:[0,0,1] neg_hi:[0,0,1]
	v_mov_b32_e32 v115, v123
	s_cbranch_execz .LBB118_574
	s_branch .LBB118_575
.LBB118_573:
                                        ; implicit-def: $vgpr114_vgpr115
.LBB118_574:
	ds_load_b64 v[114:115], v1
.LBB118_575:
	s_mov_b32 s4, exec_lo
	v_cmpx_ne_u32_e32 3, v0
	s_cbranch_execz .LBB118_579
; %bb.576:
	v_add_nc_u32_e32 v117, 0x1c8, v58
	v_add3_u32 v118, 0, v58, 8
	v_mov_b32_e32 v119, v0
	s_mov_b32 s5, 0
.LBB118_577:                            ; =>This Inner Loop Header: Depth=1
	scratch_load_b64 v[120:121], v118, off
	ds_load_b64 v[122:123], v117
	s_wait_xcnt 0x0
	v_dual_add_nc_u32 v117, 8, v117 :: v_dual_add_nc_u32 v118, 8, v118
	s_wait_loadcnt_dscnt 0x0
	v_pk_mul_f32 v[124:125], v[122:123], v[120:121] op_sel:[1,1] op_sel_hi:[0,1]
	s_delay_alu instid0(VALU_DEP_1) | instskip(SKIP_2) | instid1(VALU_DEP_3)
	v_pk_fma_f32 v[126:127], v[122:123], v[120:121], v[124:125] op_sel_hi:[1,0,1]
	v_add_nc_u32_e32 v119, 1, v119
	v_pk_fma_f32 v[120:121], v[122:123], v[120:121], v[124:125] neg_lo:[0,0,1] neg_hi:[0,0,1]
	v_mov_b32_e32 v121, v127
	s_delay_alu instid0(VALU_DEP_3) | instskip(NEXT) | instid1(VALU_DEP_2)
	v_cmp_lt_u32_e32 vcc_lo, 2, v119
	v_pk_add_f32 v[114:115], v[114:115], v[120:121]
	s_or_b32 s5, vcc_lo, s5
	s_delay_alu instid0(SALU_CYCLE_1)
	s_and_not1_b32 exec_lo, exec_lo, s5
	s_cbranch_execnz .LBB118_577
; %bb.578:
	s_or_b32 exec_lo, exec_lo, s5
.LBB118_579:
	s_delay_alu instid0(SALU_CYCLE_1) | instskip(SKIP_4) | instid1(VALU_DEP_1)
	s_or_b32 exec_lo, exec_lo, s4
	v_mov_b32_e32 v117, 0
	ds_load_b64 v[118:119], v117 offset:32
	s_wait_dscnt 0x0
	v_pk_mul_f32 v[120:121], v[114:115], v[118:119] op_sel:[1,1] op_sel_hi:[0,1]
	v_pk_fma_f32 v[122:123], v[114:115], v[118:119], v[120:121] op_sel_hi:[1,0,1]
	v_pk_fma_f32 v[114:115], v[114:115], v[118:119], v[120:121] neg_lo:[0,0,1] neg_hi:[0,0,1]
	s_delay_alu instid0(VALU_DEP_2)
	v_mov_b32_e32 v115, v123
	scratch_store_b64 off, v[114:115], off offset:32
.LBB118_580:
	s_wait_xcnt 0x0
	s_or_b32 exec_lo, exec_lo, s0
	scratch_load_b64 v[114:115], off, off offset:40
	s_mov_b32 s0, exec_lo
	s_wait_loadcnt 0x0
	ds_store_b64 v1, v[114:115]
	s_wait_storecnt_dscnt 0x0
	s_barrier_signal -1
	s_barrier_wait -1
	s_wait_xcnt 0x0
	v_cmpx_gt_u32_e32 5, v0
	s_cbranch_execz .LBB118_590
; %bb.581:
	v_cmp_ne_u32_e32 vcc_lo, 1, v116
	s_cbranch_vccnz .LBB118_583
; %bb.582:
	scratch_load_b64 v[114:115], v59, off
	ds_load_b64 v[118:119], v1
	s_wait_loadcnt_dscnt 0x0
	v_pk_mul_f32 v[120:121], v[118:119], v[114:115] op_sel:[1,1] op_sel_hi:[0,1]
	s_delay_alu instid0(VALU_DEP_1) | instskip(SKIP_1) | instid1(VALU_DEP_2)
	v_pk_fma_f32 v[122:123], v[118:119], v[114:115], v[120:121] op_sel_hi:[1,0,1]
	v_pk_fma_f32 v[114:115], v[118:119], v[114:115], v[120:121] neg_lo:[0,0,1] neg_hi:[0,0,1]
	v_mov_b32_e32 v115, v123
	s_cbranch_execz .LBB118_584
	s_branch .LBB118_585
.LBB118_583:
                                        ; implicit-def: $vgpr114_vgpr115
.LBB118_584:
	ds_load_b64 v[114:115], v1
.LBB118_585:
	s_mov_b32 s4, exec_lo
	v_cmpx_ne_u32_e32 4, v0
	s_cbranch_execz .LBB118_589
; %bb.586:
	v_add_nc_u32_e32 v117, 0x1c8, v58
	v_add3_u32 v118, 0, v58, 8
	v_mov_b32_e32 v119, v0
	s_mov_b32 s5, 0
.LBB118_587:                            ; =>This Inner Loop Header: Depth=1
	scratch_load_b64 v[120:121], v118, off
	ds_load_b64 v[122:123], v117
	s_wait_xcnt 0x0
	v_dual_add_nc_u32 v117, 8, v117 :: v_dual_add_nc_u32 v118, 8, v118
	s_wait_loadcnt_dscnt 0x0
	v_pk_mul_f32 v[124:125], v[122:123], v[120:121] op_sel:[1,1] op_sel_hi:[0,1]
	s_delay_alu instid0(VALU_DEP_1) | instskip(SKIP_2) | instid1(VALU_DEP_3)
	v_pk_fma_f32 v[126:127], v[122:123], v[120:121], v[124:125] op_sel_hi:[1,0,1]
	v_add_nc_u32_e32 v119, 1, v119
	v_pk_fma_f32 v[120:121], v[122:123], v[120:121], v[124:125] neg_lo:[0,0,1] neg_hi:[0,0,1]
	v_mov_b32_e32 v121, v127
	s_delay_alu instid0(VALU_DEP_3) | instskip(NEXT) | instid1(VALU_DEP_2)
	v_cmp_lt_u32_e32 vcc_lo, 3, v119
	v_pk_add_f32 v[114:115], v[114:115], v[120:121]
	s_or_b32 s5, vcc_lo, s5
	s_delay_alu instid0(SALU_CYCLE_1)
	s_and_not1_b32 exec_lo, exec_lo, s5
	s_cbranch_execnz .LBB118_587
; %bb.588:
	s_or_b32 exec_lo, exec_lo, s5
.LBB118_589:
	s_delay_alu instid0(SALU_CYCLE_1) | instskip(SKIP_4) | instid1(VALU_DEP_1)
	s_or_b32 exec_lo, exec_lo, s4
	v_mov_b32_e32 v117, 0
	ds_load_b64 v[118:119], v117 offset:40
	s_wait_dscnt 0x0
	v_pk_mul_f32 v[120:121], v[114:115], v[118:119] op_sel:[1,1] op_sel_hi:[0,1]
	v_pk_fma_f32 v[122:123], v[114:115], v[118:119], v[120:121] op_sel_hi:[1,0,1]
	v_pk_fma_f32 v[114:115], v[114:115], v[118:119], v[120:121] neg_lo:[0,0,1] neg_hi:[0,0,1]
	s_delay_alu instid0(VALU_DEP_2)
	v_mov_b32_e32 v115, v123
	scratch_store_b64 off, v[114:115], off offset:40
.LBB118_590:
	s_wait_xcnt 0x0
	s_or_b32 exec_lo, exec_lo, s0
	scratch_load_b64 v[114:115], off, off offset:48
	s_mov_b32 s0, exec_lo
	s_wait_loadcnt 0x0
	ds_store_b64 v1, v[114:115]
	s_wait_storecnt_dscnt 0x0
	s_barrier_signal -1
	s_barrier_wait -1
	s_wait_xcnt 0x0
	v_cmpx_gt_u32_e32 6, v0
	s_cbranch_execz .LBB118_600
; %bb.591:
	v_cmp_ne_u32_e32 vcc_lo, 1, v116
	s_cbranch_vccnz .LBB118_593
; %bb.592:
	scratch_load_b64 v[114:115], v59, off
	ds_load_b64 v[118:119], v1
	s_wait_loadcnt_dscnt 0x0
	v_pk_mul_f32 v[120:121], v[118:119], v[114:115] op_sel:[1,1] op_sel_hi:[0,1]
	s_delay_alu instid0(VALU_DEP_1) | instskip(SKIP_1) | instid1(VALU_DEP_2)
	v_pk_fma_f32 v[122:123], v[118:119], v[114:115], v[120:121] op_sel_hi:[1,0,1]
	v_pk_fma_f32 v[114:115], v[118:119], v[114:115], v[120:121] neg_lo:[0,0,1] neg_hi:[0,0,1]
	v_mov_b32_e32 v115, v123
	s_cbranch_execz .LBB118_594
	s_branch .LBB118_595
.LBB118_593:
                                        ; implicit-def: $vgpr114_vgpr115
.LBB118_594:
	ds_load_b64 v[114:115], v1
.LBB118_595:
	s_mov_b32 s4, exec_lo
	v_cmpx_ne_u32_e32 5, v0
	s_cbranch_execz .LBB118_599
; %bb.596:
	v_add_nc_u32_e32 v117, 0x1c8, v58
	v_add3_u32 v118, 0, v58, 8
	v_mov_b32_e32 v119, v0
	s_mov_b32 s5, 0
.LBB118_597:                            ; =>This Inner Loop Header: Depth=1
	scratch_load_b64 v[120:121], v118, off
	ds_load_b64 v[122:123], v117
	s_wait_xcnt 0x0
	v_dual_add_nc_u32 v117, 8, v117 :: v_dual_add_nc_u32 v118, 8, v118
	s_wait_loadcnt_dscnt 0x0
	v_pk_mul_f32 v[124:125], v[122:123], v[120:121] op_sel:[1,1] op_sel_hi:[0,1]
	s_delay_alu instid0(VALU_DEP_1) | instskip(SKIP_2) | instid1(VALU_DEP_3)
	v_pk_fma_f32 v[126:127], v[122:123], v[120:121], v[124:125] op_sel_hi:[1,0,1]
	v_add_nc_u32_e32 v119, 1, v119
	v_pk_fma_f32 v[120:121], v[122:123], v[120:121], v[124:125] neg_lo:[0,0,1] neg_hi:[0,0,1]
	v_mov_b32_e32 v121, v127
	s_delay_alu instid0(VALU_DEP_3) | instskip(NEXT) | instid1(VALU_DEP_2)
	v_cmp_lt_u32_e32 vcc_lo, 4, v119
	v_pk_add_f32 v[114:115], v[114:115], v[120:121]
	s_or_b32 s5, vcc_lo, s5
	s_delay_alu instid0(SALU_CYCLE_1)
	s_and_not1_b32 exec_lo, exec_lo, s5
	s_cbranch_execnz .LBB118_597
; %bb.598:
	s_or_b32 exec_lo, exec_lo, s5
.LBB118_599:
	s_delay_alu instid0(SALU_CYCLE_1) | instskip(SKIP_4) | instid1(VALU_DEP_1)
	s_or_b32 exec_lo, exec_lo, s4
	v_mov_b32_e32 v117, 0
	ds_load_b64 v[118:119], v117 offset:48
	s_wait_dscnt 0x0
	v_pk_mul_f32 v[120:121], v[114:115], v[118:119] op_sel:[1,1] op_sel_hi:[0,1]
	v_pk_fma_f32 v[122:123], v[114:115], v[118:119], v[120:121] op_sel_hi:[1,0,1]
	v_pk_fma_f32 v[114:115], v[114:115], v[118:119], v[120:121] neg_lo:[0,0,1] neg_hi:[0,0,1]
	s_delay_alu instid0(VALU_DEP_2)
	v_mov_b32_e32 v115, v123
	scratch_store_b64 off, v[114:115], off offset:48
.LBB118_600:
	s_wait_xcnt 0x0
	s_or_b32 exec_lo, exec_lo, s0
	scratch_load_b64 v[114:115], off, off offset:56
	s_mov_b32 s0, exec_lo
	s_wait_loadcnt 0x0
	ds_store_b64 v1, v[114:115]
	s_wait_storecnt_dscnt 0x0
	s_barrier_signal -1
	s_barrier_wait -1
	s_wait_xcnt 0x0
	v_cmpx_gt_u32_e32 7, v0
	s_cbranch_execz .LBB118_610
; %bb.601:
	v_cmp_ne_u32_e32 vcc_lo, 1, v116
	s_cbranch_vccnz .LBB118_603
; %bb.602:
	scratch_load_b64 v[114:115], v59, off
	ds_load_b64 v[118:119], v1
	s_wait_loadcnt_dscnt 0x0
	v_pk_mul_f32 v[120:121], v[118:119], v[114:115] op_sel:[1,1] op_sel_hi:[0,1]
	s_delay_alu instid0(VALU_DEP_1) | instskip(SKIP_1) | instid1(VALU_DEP_2)
	v_pk_fma_f32 v[122:123], v[118:119], v[114:115], v[120:121] op_sel_hi:[1,0,1]
	v_pk_fma_f32 v[114:115], v[118:119], v[114:115], v[120:121] neg_lo:[0,0,1] neg_hi:[0,0,1]
	v_mov_b32_e32 v115, v123
	s_cbranch_execz .LBB118_604
	s_branch .LBB118_605
.LBB118_603:
                                        ; implicit-def: $vgpr114_vgpr115
.LBB118_604:
	ds_load_b64 v[114:115], v1
.LBB118_605:
	s_mov_b32 s4, exec_lo
	v_cmpx_ne_u32_e32 6, v0
	s_cbranch_execz .LBB118_609
; %bb.606:
	v_add_nc_u32_e32 v117, 0x1c8, v58
	v_add3_u32 v118, 0, v58, 8
	v_mov_b32_e32 v119, v0
	s_mov_b32 s5, 0
.LBB118_607:                            ; =>This Inner Loop Header: Depth=1
	scratch_load_b64 v[120:121], v118, off
	ds_load_b64 v[122:123], v117
	s_wait_xcnt 0x0
	v_dual_add_nc_u32 v117, 8, v117 :: v_dual_add_nc_u32 v118, 8, v118
	s_wait_loadcnt_dscnt 0x0
	v_pk_mul_f32 v[124:125], v[122:123], v[120:121] op_sel:[1,1] op_sel_hi:[0,1]
	s_delay_alu instid0(VALU_DEP_1) | instskip(SKIP_2) | instid1(VALU_DEP_3)
	v_pk_fma_f32 v[126:127], v[122:123], v[120:121], v[124:125] op_sel_hi:[1,0,1]
	v_add_nc_u32_e32 v119, 1, v119
	v_pk_fma_f32 v[120:121], v[122:123], v[120:121], v[124:125] neg_lo:[0,0,1] neg_hi:[0,0,1]
	v_mov_b32_e32 v121, v127
	s_delay_alu instid0(VALU_DEP_3) | instskip(NEXT) | instid1(VALU_DEP_2)
	v_cmp_lt_u32_e32 vcc_lo, 5, v119
	v_pk_add_f32 v[114:115], v[114:115], v[120:121]
	s_or_b32 s5, vcc_lo, s5
	s_delay_alu instid0(SALU_CYCLE_1)
	s_and_not1_b32 exec_lo, exec_lo, s5
	s_cbranch_execnz .LBB118_607
; %bb.608:
	s_or_b32 exec_lo, exec_lo, s5
.LBB118_609:
	s_delay_alu instid0(SALU_CYCLE_1) | instskip(SKIP_4) | instid1(VALU_DEP_1)
	s_or_b32 exec_lo, exec_lo, s4
	v_mov_b32_e32 v117, 0
	ds_load_b64 v[118:119], v117 offset:56
	s_wait_dscnt 0x0
	v_pk_mul_f32 v[120:121], v[114:115], v[118:119] op_sel:[1,1] op_sel_hi:[0,1]
	v_pk_fma_f32 v[122:123], v[114:115], v[118:119], v[120:121] op_sel_hi:[1,0,1]
	v_pk_fma_f32 v[114:115], v[114:115], v[118:119], v[120:121] neg_lo:[0,0,1] neg_hi:[0,0,1]
	s_delay_alu instid0(VALU_DEP_2)
	v_mov_b32_e32 v115, v123
	scratch_store_b64 off, v[114:115], off offset:56
.LBB118_610:
	s_wait_xcnt 0x0
	s_or_b32 exec_lo, exec_lo, s0
	scratch_load_b64 v[114:115], off, off offset:64
	s_mov_b32 s0, exec_lo
	s_wait_loadcnt 0x0
	ds_store_b64 v1, v[114:115]
	s_wait_storecnt_dscnt 0x0
	s_barrier_signal -1
	s_barrier_wait -1
	s_wait_xcnt 0x0
	v_cmpx_gt_u32_e32 8, v0
	s_cbranch_execz .LBB118_620
; %bb.611:
	v_cmp_ne_u32_e32 vcc_lo, 1, v116
	s_cbranch_vccnz .LBB118_613
; %bb.612:
	scratch_load_b64 v[114:115], v59, off
	ds_load_b64 v[118:119], v1
	s_wait_loadcnt_dscnt 0x0
	v_pk_mul_f32 v[120:121], v[118:119], v[114:115] op_sel:[1,1] op_sel_hi:[0,1]
	s_delay_alu instid0(VALU_DEP_1) | instskip(SKIP_1) | instid1(VALU_DEP_2)
	v_pk_fma_f32 v[122:123], v[118:119], v[114:115], v[120:121] op_sel_hi:[1,0,1]
	v_pk_fma_f32 v[114:115], v[118:119], v[114:115], v[120:121] neg_lo:[0,0,1] neg_hi:[0,0,1]
	v_mov_b32_e32 v115, v123
	s_cbranch_execz .LBB118_614
	s_branch .LBB118_615
.LBB118_613:
                                        ; implicit-def: $vgpr114_vgpr115
.LBB118_614:
	ds_load_b64 v[114:115], v1
.LBB118_615:
	s_mov_b32 s4, exec_lo
	v_cmpx_ne_u32_e32 7, v0
	s_cbranch_execz .LBB118_619
; %bb.616:
	v_add_nc_u32_e32 v117, 0x1c8, v58
	v_add3_u32 v118, 0, v58, 8
	v_mov_b32_e32 v119, v0
	s_mov_b32 s5, 0
.LBB118_617:                            ; =>This Inner Loop Header: Depth=1
	scratch_load_b64 v[120:121], v118, off
	ds_load_b64 v[122:123], v117
	s_wait_xcnt 0x0
	v_dual_add_nc_u32 v117, 8, v117 :: v_dual_add_nc_u32 v118, 8, v118
	s_wait_loadcnt_dscnt 0x0
	v_pk_mul_f32 v[124:125], v[122:123], v[120:121] op_sel:[1,1] op_sel_hi:[0,1]
	s_delay_alu instid0(VALU_DEP_1) | instskip(SKIP_2) | instid1(VALU_DEP_3)
	v_pk_fma_f32 v[126:127], v[122:123], v[120:121], v[124:125] op_sel_hi:[1,0,1]
	v_add_nc_u32_e32 v119, 1, v119
	v_pk_fma_f32 v[120:121], v[122:123], v[120:121], v[124:125] neg_lo:[0,0,1] neg_hi:[0,0,1]
	v_mov_b32_e32 v121, v127
	s_delay_alu instid0(VALU_DEP_3) | instskip(NEXT) | instid1(VALU_DEP_2)
	v_cmp_lt_u32_e32 vcc_lo, 6, v119
	v_pk_add_f32 v[114:115], v[114:115], v[120:121]
	s_or_b32 s5, vcc_lo, s5
	s_delay_alu instid0(SALU_CYCLE_1)
	s_and_not1_b32 exec_lo, exec_lo, s5
	s_cbranch_execnz .LBB118_617
; %bb.618:
	s_or_b32 exec_lo, exec_lo, s5
.LBB118_619:
	s_delay_alu instid0(SALU_CYCLE_1) | instskip(SKIP_4) | instid1(VALU_DEP_1)
	s_or_b32 exec_lo, exec_lo, s4
	v_mov_b32_e32 v117, 0
	ds_load_b64 v[118:119], v117 offset:64
	s_wait_dscnt 0x0
	v_pk_mul_f32 v[120:121], v[114:115], v[118:119] op_sel:[1,1] op_sel_hi:[0,1]
	v_pk_fma_f32 v[122:123], v[114:115], v[118:119], v[120:121] op_sel_hi:[1,0,1]
	v_pk_fma_f32 v[114:115], v[114:115], v[118:119], v[120:121] neg_lo:[0,0,1] neg_hi:[0,0,1]
	s_delay_alu instid0(VALU_DEP_2)
	v_mov_b32_e32 v115, v123
	scratch_store_b64 off, v[114:115], off offset:64
.LBB118_620:
	s_wait_xcnt 0x0
	s_or_b32 exec_lo, exec_lo, s0
	scratch_load_b64 v[114:115], off, off offset:72
	s_mov_b32 s0, exec_lo
	s_wait_loadcnt 0x0
	ds_store_b64 v1, v[114:115]
	s_wait_storecnt_dscnt 0x0
	s_barrier_signal -1
	s_barrier_wait -1
	s_wait_xcnt 0x0
	v_cmpx_gt_u32_e32 9, v0
	s_cbranch_execz .LBB118_630
; %bb.621:
	v_cmp_ne_u32_e32 vcc_lo, 1, v116
	s_cbranch_vccnz .LBB118_623
; %bb.622:
	scratch_load_b64 v[114:115], v59, off
	ds_load_b64 v[118:119], v1
	s_wait_loadcnt_dscnt 0x0
	v_pk_mul_f32 v[120:121], v[118:119], v[114:115] op_sel:[1,1] op_sel_hi:[0,1]
	s_delay_alu instid0(VALU_DEP_1) | instskip(SKIP_1) | instid1(VALU_DEP_2)
	v_pk_fma_f32 v[122:123], v[118:119], v[114:115], v[120:121] op_sel_hi:[1,0,1]
	v_pk_fma_f32 v[114:115], v[118:119], v[114:115], v[120:121] neg_lo:[0,0,1] neg_hi:[0,0,1]
	v_mov_b32_e32 v115, v123
	s_cbranch_execz .LBB118_624
	s_branch .LBB118_625
.LBB118_623:
                                        ; implicit-def: $vgpr114_vgpr115
.LBB118_624:
	ds_load_b64 v[114:115], v1
.LBB118_625:
	s_mov_b32 s4, exec_lo
	v_cmpx_ne_u32_e32 8, v0
	s_cbranch_execz .LBB118_629
; %bb.626:
	v_add_nc_u32_e32 v117, 0x1c8, v58
	v_add3_u32 v118, 0, v58, 8
	v_mov_b32_e32 v119, v0
	s_mov_b32 s5, 0
.LBB118_627:                            ; =>This Inner Loop Header: Depth=1
	scratch_load_b64 v[120:121], v118, off
	ds_load_b64 v[122:123], v117
	s_wait_xcnt 0x0
	v_dual_add_nc_u32 v117, 8, v117 :: v_dual_add_nc_u32 v118, 8, v118
	s_wait_loadcnt_dscnt 0x0
	v_pk_mul_f32 v[124:125], v[122:123], v[120:121] op_sel:[1,1] op_sel_hi:[0,1]
	s_delay_alu instid0(VALU_DEP_1) | instskip(SKIP_2) | instid1(VALU_DEP_3)
	v_pk_fma_f32 v[126:127], v[122:123], v[120:121], v[124:125] op_sel_hi:[1,0,1]
	v_add_nc_u32_e32 v119, 1, v119
	v_pk_fma_f32 v[120:121], v[122:123], v[120:121], v[124:125] neg_lo:[0,0,1] neg_hi:[0,0,1]
	v_mov_b32_e32 v121, v127
	s_delay_alu instid0(VALU_DEP_3) | instskip(NEXT) | instid1(VALU_DEP_2)
	v_cmp_lt_u32_e32 vcc_lo, 7, v119
	v_pk_add_f32 v[114:115], v[114:115], v[120:121]
	s_or_b32 s5, vcc_lo, s5
	s_delay_alu instid0(SALU_CYCLE_1)
	s_and_not1_b32 exec_lo, exec_lo, s5
	s_cbranch_execnz .LBB118_627
; %bb.628:
	s_or_b32 exec_lo, exec_lo, s5
.LBB118_629:
	s_delay_alu instid0(SALU_CYCLE_1) | instskip(SKIP_4) | instid1(VALU_DEP_1)
	s_or_b32 exec_lo, exec_lo, s4
	v_mov_b32_e32 v117, 0
	ds_load_b64 v[118:119], v117 offset:72
	s_wait_dscnt 0x0
	v_pk_mul_f32 v[120:121], v[114:115], v[118:119] op_sel:[1,1] op_sel_hi:[0,1]
	v_pk_fma_f32 v[122:123], v[114:115], v[118:119], v[120:121] op_sel_hi:[1,0,1]
	v_pk_fma_f32 v[114:115], v[114:115], v[118:119], v[120:121] neg_lo:[0,0,1] neg_hi:[0,0,1]
	s_delay_alu instid0(VALU_DEP_2)
	v_mov_b32_e32 v115, v123
	scratch_store_b64 off, v[114:115], off offset:72
.LBB118_630:
	s_wait_xcnt 0x0
	s_or_b32 exec_lo, exec_lo, s0
	scratch_load_b64 v[114:115], off, off offset:80
	s_mov_b32 s0, exec_lo
	s_wait_loadcnt 0x0
	ds_store_b64 v1, v[114:115]
	s_wait_storecnt_dscnt 0x0
	s_barrier_signal -1
	s_barrier_wait -1
	s_wait_xcnt 0x0
	v_cmpx_gt_u32_e32 10, v0
	s_cbranch_execz .LBB118_640
; %bb.631:
	v_cmp_ne_u32_e32 vcc_lo, 1, v116
	s_cbranch_vccnz .LBB118_633
; %bb.632:
	scratch_load_b64 v[114:115], v59, off
	ds_load_b64 v[118:119], v1
	s_wait_loadcnt_dscnt 0x0
	v_pk_mul_f32 v[120:121], v[118:119], v[114:115] op_sel:[1,1] op_sel_hi:[0,1]
	s_delay_alu instid0(VALU_DEP_1) | instskip(SKIP_1) | instid1(VALU_DEP_2)
	v_pk_fma_f32 v[122:123], v[118:119], v[114:115], v[120:121] op_sel_hi:[1,0,1]
	v_pk_fma_f32 v[114:115], v[118:119], v[114:115], v[120:121] neg_lo:[0,0,1] neg_hi:[0,0,1]
	v_mov_b32_e32 v115, v123
	s_cbranch_execz .LBB118_634
	s_branch .LBB118_635
.LBB118_633:
                                        ; implicit-def: $vgpr114_vgpr115
.LBB118_634:
	ds_load_b64 v[114:115], v1
.LBB118_635:
	s_mov_b32 s4, exec_lo
	v_cmpx_ne_u32_e32 9, v0
	s_cbranch_execz .LBB118_639
; %bb.636:
	v_add_nc_u32_e32 v117, 0x1c8, v58
	v_add3_u32 v118, 0, v58, 8
	v_mov_b32_e32 v119, v0
	s_mov_b32 s5, 0
.LBB118_637:                            ; =>This Inner Loop Header: Depth=1
	scratch_load_b64 v[120:121], v118, off
	ds_load_b64 v[122:123], v117
	s_wait_xcnt 0x0
	v_dual_add_nc_u32 v117, 8, v117 :: v_dual_add_nc_u32 v118, 8, v118
	s_wait_loadcnt_dscnt 0x0
	v_pk_mul_f32 v[124:125], v[122:123], v[120:121] op_sel:[1,1] op_sel_hi:[0,1]
	s_delay_alu instid0(VALU_DEP_1) | instskip(SKIP_2) | instid1(VALU_DEP_3)
	v_pk_fma_f32 v[126:127], v[122:123], v[120:121], v[124:125] op_sel_hi:[1,0,1]
	v_add_nc_u32_e32 v119, 1, v119
	v_pk_fma_f32 v[120:121], v[122:123], v[120:121], v[124:125] neg_lo:[0,0,1] neg_hi:[0,0,1]
	v_mov_b32_e32 v121, v127
	s_delay_alu instid0(VALU_DEP_3) | instskip(NEXT) | instid1(VALU_DEP_2)
	v_cmp_lt_u32_e32 vcc_lo, 8, v119
	v_pk_add_f32 v[114:115], v[114:115], v[120:121]
	s_or_b32 s5, vcc_lo, s5
	s_delay_alu instid0(SALU_CYCLE_1)
	s_and_not1_b32 exec_lo, exec_lo, s5
	s_cbranch_execnz .LBB118_637
; %bb.638:
	s_or_b32 exec_lo, exec_lo, s5
.LBB118_639:
	s_delay_alu instid0(SALU_CYCLE_1) | instskip(SKIP_4) | instid1(VALU_DEP_1)
	s_or_b32 exec_lo, exec_lo, s4
	v_mov_b32_e32 v117, 0
	ds_load_b64 v[118:119], v117 offset:80
	s_wait_dscnt 0x0
	v_pk_mul_f32 v[120:121], v[114:115], v[118:119] op_sel:[1,1] op_sel_hi:[0,1]
	v_pk_fma_f32 v[122:123], v[114:115], v[118:119], v[120:121] op_sel_hi:[1,0,1]
	v_pk_fma_f32 v[114:115], v[114:115], v[118:119], v[120:121] neg_lo:[0,0,1] neg_hi:[0,0,1]
	s_delay_alu instid0(VALU_DEP_2)
	v_mov_b32_e32 v115, v123
	scratch_store_b64 off, v[114:115], off offset:80
.LBB118_640:
	s_wait_xcnt 0x0
	s_or_b32 exec_lo, exec_lo, s0
	scratch_load_b64 v[114:115], off, off offset:88
	s_mov_b32 s0, exec_lo
	s_wait_loadcnt 0x0
	ds_store_b64 v1, v[114:115]
	s_wait_storecnt_dscnt 0x0
	s_barrier_signal -1
	s_barrier_wait -1
	s_wait_xcnt 0x0
	v_cmpx_gt_u32_e32 11, v0
	s_cbranch_execz .LBB118_650
; %bb.641:
	v_cmp_ne_u32_e32 vcc_lo, 1, v116
	s_cbranch_vccnz .LBB118_643
; %bb.642:
	scratch_load_b64 v[114:115], v59, off
	ds_load_b64 v[118:119], v1
	s_wait_loadcnt_dscnt 0x0
	v_pk_mul_f32 v[120:121], v[118:119], v[114:115] op_sel:[1,1] op_sel_hi:[0,1]
	s_delay_alu instid0(VALU_DEP_1) | instskip(SKIP_1) | instid1(VALU_DEP_2)
	v_pk_fma_f32 v[122:123], v[118:119], v[114:115], v[120:121] op_sel_hi:[1,0,1]
	v_pk_fma_f32 v[114:115], v[118:119], v[114:115], v[120:121] neg_lo:[0,0,1] neg_hi:[0,0,1]
	v_mov_b32_e32 v115, v123
	s_cbranch_execz .LBB118_644
	s_branch .LBB118_645
.LBB118_643:
                                        ; implicit-def: $vgpr114_vgpr115
.LBB118_644:
	ds_load_b64 v[114:115], v1
.LBB118_645:
	s_mov_b32 s4, exec_lo
	v_cmpx_ne_u32_e32 10, v0
	s_cbranch_execz .LBB118_649
; %bb.646:
	v_add_nc_u32_e32 v117, 0x1c8, v58
	v_add3_u32 v118, 0, v58, 8
	v_mov_b32_e32 v119, v0
	s_mov_b32 s5, 0
.LBB118_647:                            ; =>This Inner Loop Header: Depth=1
	scratch_load_b64 v[120:121], v118, off
	ds_load_b64 v[122:123], v117
	s_wait_xcnt 0x0
	v_dual_add_nc_u32 v117, 8, v117 :: v_dual_add_nc_u32 v118, 8, v118
	s_wait_loadcnt_dscnt 0x0
	v_pk_mul_f32 v[124:125], v[122:123], v[120:121] op_sel:[1,1] op_sel_hi:[0,1]
	s_delay_alu instid0(VALU_DEP_1) | instskip(SKIP_2) | instid1(VALU_DEP_3)
	v_pk_fma_f32 v[126:127], v[122:123], v[120:121], v[124:125] op_sel_hi:[1,0,1]
	v_add_nc_u32_e32 v119, 1, v119
	v_pk_fma_f32 v[120:121], v[122:123], v[120:121], v[124:125] neg_lo:[0,0,1] neg_hi:[0,0,1]
	v_mov_b32_e32 v121, v127
	s_delay_alu instid0(VALU_DEP_3) | instskip(NEXT) | instid1(VALU_DEP_2)
	v_cmp_lt_u32_e32 vcc_lo, 9, v119
	v_pk_add_f32 v[114:115], v[114:115], v[120:121]
	s_or_b32 s5, vcc_lo, s5
	s_delay_alu instid0(SALU_CYCLE_1)
	s_and_not1_b32 exec_lo, exec_lo, s5
	s_cbranch_execnz .LBB118_647
; %bb.648:
	s_or_b32 exec_lo, exec_lo, s5
.LBB118_649:
	s_delay_alu instid0(SALU_CYCLE_1) | instskip(SKIP_4) | instid1(VALU_DEP_1)
	s_or_b32 exec_lo, exec_lo, s4
	v_mov_b32_e32 v117, 0
	ds_load_b64 v[118:119], v117 offset:88
	s_wait_dscnt 0x0
	v_pk_mul_f32 v[120:121], v[114:115], v[118:119] op_sel:[1,1] op_sel_hi:[0,1]
	v_pk_fma_f32 v[122:123], v[114:115], v[118:119], v[120:121] op_sel_hi:[1,0,1]
	v_pk_fma_f32 v[114:115], v[114:115], v[118:119], v[120:121] neg_lo:[0,0,1] neg_hi:[0,0,1]
	s_delay_alu instid0(VALU_DEP_2)
	v_mov_b32_e32 v115, v123
	scratch_store_b64 off, v[114:115], off offset:88
.LBB118_650:
	s_wait_xcnt 0x0
	s_or_b32 exec_lo, exec_lo, s0
	scratch_load_b64 v[114:115], off, off offset:96
	s_mov_b32 s0, exec_lo
	s_wait_loadcnt 0x0
	ds_store_b64 v1, v[114:115]
	s_wait_storecnt_dscnt 0x0
	s_barrier_signal -1
	s_barrier_wait -1
	s_wait_xcnt 0x0
	v_cmpx_gt_u32_e32 12, v0
	s_cbranch_execz .LBB118_660
; %bb.651:
	v_cmp_ne_u32_e32 vcc_lo, 1, v116
	s_cbranch_vccnz .LBB118_653
; %bb.652:
	scratch_load_b64 v[114:115], v59, off
	ds_load_b64 v[118:119], v1
	s_wait_loadcnt_dscnt 0x0
	v_pk_mul_f32 v[120:121], v[118:119], v[114:115] op_sel:[1,1] op_sel_hi:[0,1]
	s_delay_alu instid0(VALU_DEP_1) | instskip(SKIP_1) | instid1(VALU_DEP_2)
	v_pk_fma_f32 v[122:123], v[118:119], v[114:115], v[120:121] op_sel_hi:[1,0,1]
	v_pk_fma_f32 v[114:115], v[118:119], v[114:115], v[120:121] neg_lo:[0,0,1] neg_hi:[0,0,1]
	v_mov_b32_e32 v115, v123
	s_cbranch_execz .LBB118_654
	s_branch .LBB118_655
.LBB118_653:
                                        ; implicit-def: $vgpr114_vgpr115
.LBB118_654:
	ds_load_b64 v[114:115], v1
.LBB118_655:
	s_mov_b32 s4, exec_lo
	v_cmpx_ne_u32_e32 11, v0
	s_cbranch_execz .LBB118_659
; %bb.656:
	v_add_nc_u32_e32 v117, 0x1c8, v58
	v_add3_u32 v118, 0, v58, 8
	v_mov_b32_e32 v119, v0
	s_mov_b32 s5, 0
.LBB118_657:                            ; =>This Inner Loop Header: Depth=1
	scratch_load_b64 v[120:121], v118, off
	ds_load_b64 v[122:123], v117
	s_wait_xcnt 0x0
	v_dual_add_nc_u32 v117, 8, v117 :: v_dual_add_nc_u32 v118, 8, v118
	s_wait_loadcnt_dscnt 0x0
	v_pk_mul_f32 v[124:125], v[122:123], v[120:121] op_sel:[1,1] op_sel_hi:[0,1]
	s_delay_alu instid0(VALU_DEP_1) | instskip(SKIP_2) | instid1(VALU_DEP_3)
	v_pk_fma_f32 v[126:127], v[122:123], v[120:121], v[124:125] op_sel_hi:[1,0,1]
	v_add_nc_u32_e32 v119, 1, v119
	v_pk_fma_f32 v[120:121], v[122:123], v[120:121], v[124:125] neg_lo:[0,0,1] neg_hi:[0,0,1]
	v_mov_b32_e32 v121, v127
	s_delay_alu instid0(VALU_DEP_3) | instskip(NEXT) | instid1(VALU_DEP_2)
	v_cmp_lt_u32_e32 vcc_lo, 10, v119
	v_pk_add_f32 v[114:115], v[114:115], v[120:121]
	s_or_b32 s5, vcc_lo, s5
	s_delay_alu instid0(SALU_CYCLE_1)
	s_and_not1_b32 exec_lo, exec_lo, s5
	s_cbranch_execnz .LBB118_657
; %bb.658:
	s_or_b32 exec_lo, exec_lo, s5
.LBB118_659:
	s_delay_alu instid0(SALU_CYCLE_1) | instskip(SKIP_4) | instid1(VALU_DEP_1)
	s_or_b32 exec_lo, exec_lo, s4
	v_mov_b32_e32 v117, 0
	ds_load_b64 v[118:119], v117 offset:96
	s_wait_dscnt 0x0
	v_pk_mul_f32 v[120:121], v[114:115], v[118:119] op_sel:[1,1] op_sel_hi:[0,1]
	v_pk_fma_f32 v[122:123], v[114:115], v[118:119], v[120:121] op_sel_hi:[1,0,1]
	v_pk_fma_f32 v[114:115], v[114:115], v[118:119], v[120:121] neg_lo:[0,0,1] neg_hi:[0,0,1]
	s_delay_alu instid0(VALU_DEP_2)
	v_mov_b32_e32 v115, v123
	scratch_store_b64 off, v[114:115], off offset:96
.LBB118_660:
	s_wait_xcnt 0x0
	s_or_b32 exec_lo, exec_lo, s0
	scratch_load_b64 v[114:115], off, off offset:104
	s_mov_b32 s0, exec_lo
	s_wait_loadcnt 0x0
	ds_store_b64 v1, v[114:115]
	s_wait_storecnt_dscnt 0x0
	s_barrier_signal -1
	s_barrier_wait -1
	s_wait_xcnt 0x0
	v_cmpx_gt_u32_e32 13, v0
	s_cbranch_execz .LBB118_670
; %bb.661:
	v_cmp_ne_u32_e32 vcc_lo, 1, v116
	s_cbranch_vccnz .LBB118_663
; %bb.662:
	scratch_load_b64 v[114:115], v59, off
	ds_load_b64 v[118:119], v1
	s_wait_loadcnt_dscnt 0x0
	v_pk_mul_f32 v[120:121], v[118:119], v[114:115] op_sel:[1,1] op_sel_hi:[0,1]
	s_delay_alu instid0(VALU_DEP_1) | instskip(SKIP_1) | instid1(VALU_DEP_2)
	v_pk_fma_f32 v[122:123], v[118:119], v[114:115], v[120:121] op_sel_hi:[1,0,1]
	v_pk_fma_f32 v[114:115], v[118:119], v[114:115], v[120:121] neg_lo:[0,0,1] neg_hi:[0,0,1]
	v_mov_b32_e32 v115, v123
	s_cbranch_execz .LBB118_664
	s_branch .LBB118_665
.LBB118_663:
                                        ; implicit-def: $vgpr114_vgpr115
.LBB118_664:
	ds_load_b64 v[114:115], v1
.LBB118_665:
	s_mov_b32 s4, exec_lo
	v_cmpx_ne_u32_e32 12, v0
	s_cbranch_execz .LBB118_669
; %bb.666:
	v_add_nc_u32_e32 v117, 0x1c8, v58
	v_add3_u32 v118, 0, v58, 8
	v_mov_b32_e32 v119, v0
	s_mov_b32 s5, 0
.LBB118_667:                            ; =>This Inner Loop Header: Depth=1
	scratch_load_b64 v[120:121], v118, off
	ds_load_b64 v[122:123], v117
	s_wait_xcnt 0x0
	v_dual_add_nc_u32 v117, 8, v117 :: v_dual_add_nc_u32 v118, 8, v118
	s_wait_loadcnt_dscnt 0x0
	v_pk_mul_f32 v[124:125], v[122:123], v[120:121] op_sel:[1,1] op_sel_hi:[0,1]
	s_delay_alu instid0(VALU_DEP_1) | instskip(SKIP_2) | instid1(VALU_DEP_3)
	v_pk_fma_f32 v[126:127], v[122:123], v[120:121], v[124:125] op_sel_hi:[1,0,1]
	v_add_nc_u32_e32 v119, 1, v119
	v_pk_fma_f32 v[120:121], v[122:123], v[120:121], v[124:125] neg_lo:[0,0,1] neg_hi:[0,0,1]
	v_mov_b32_e32 v121, v127
	s_delay_alu instid0(VALU_DEP_3) | instskip(NEXT) | instid1(VALU_DEP_2)
	v_cmp_lt_u32_e32 vcc_lo, 11, v119
	v_pk_add_f32 v[114:115], v[114:115], v[120:121]
	s_or_b32 s5, vcc_lo, s5
	s_delay_alu instid0(SALU_CYCLE_1)
	s_and_not1_b32 exec_lo, exec_lo, s5
	s_cbranch_execnz .LBB118_667
; %bb.668:
	s_or_b32 exec_lo, exec_lo, s5
.LBB118_669:
	s_delay_alu instid0(SALU_CYCLE_1) | instskip(SKIP_4) | instid1(VALU_DEP_1)
	s_or_b32 exec_lo, exec_lo, s4
	v_mov_b32_e32 v117, 0
	ds_load_b64 v[118:119], v117 offset:104
	s_wait_dscnt 0x0
	v_pk_mul_f32 v[120:121], v[114:115], v[118:119] op_sel:[1,1] op_sel_hi:[0,1]
	v_pk_fma_f32 v[122:123], v[114:115], v[118:119], v[120:121] op_sel_hi:[1,0,1]
	v_pk_fma_f32 v[114:115], v[114:115], v[118:119], v[120:121] neg_lo:[0,0,1] neg_hi:[0,0,1]
	s_delay_alu instid0(VALU_DEP_2)
	v_mov_b32_e32 v115, v123
	scratch_store_b64 off, v[114:115], off offset:104
.LBB118_670:
	s_wait_xcnt 0x0
	s_or_b32 exec_lo, exec_lo, s0
	scratch_load_b64 v[114:115], off, off offset:112
	s_mov_b32 s0, exec_lo
	s_wait_loadcnt 0x0
	ds_store_b64 v1, v[114:115]
	s_wait_storecnt_dscnt 0x0
	s_barrier_signal -1
	s_barrier_wait -1
	s_wait_xcnt 0x0
	v_cmpx_gt_u32_e32 14, v0
	s_cbranch_execz .LBB118_680
; %bb.671:
	v_cmp_ne_u32_e32 vcc_lo, 1, v116
	s_cbranch_vccnz .LBB118_673
; %bb.672:
	scratch_load_b64 v[114:115], v59, off
	ds_load_b64 v[118:119], v1
	s_wait_loadcnt_dscnt 0x0
	v_pk_mul_f32 v[120:121], v[118:119], v[114:115] op_sel:[1,1] op_sel_hi:[0,1]
	s_delay_alu instid0(VALU_DEP_1) | instskip(SKIP_1) | instid1(VALU_DEP_2)
	v_pk_fma_f32 v[122:123], v[118:119], v[114:115], v[120:121] op_sel_hi:[1,0,1]
	v_pk_fma_f32 v[114:115], v[118:119], v[114:115], v[120:121] neg_lo:[0,0,1] neg_hi:[0,0,1]
	v_mov_b32_e32 v115, v123
	s_cbranch_execz .LBB118_674
	s_branch .LBB118_675
.LBB118_673:
                                        ; implicit-def: $vgpr114_vgpr115
.LBB118_674:
	ds_load_b64 v[114:115], v1
.LBB118_675:
	s_mov_b32 s4, exec_lo
	v_cmpx_ne_u32_e32 13, v0
	s_cbranch_execz .LBB118_679
; %bb.676:
	v_add_nc_u32_e32 v117, 0x1c8, v58
	v_add3_u32 v118, 0, v58, 8
	v_mov_b32_e32 v119, v0
	s_mov_b32 s5, 0
.LBB118_677:                            ; =>This Inner Loop Header: Depth=1
	scratch_load_b64 v[120:121], v118, off
	ds_load_b64 v[122:123], v117
	s_wait_xcnt 0x0
	v_dual_add_nc_u32 v117, 8, v117 :: v_dual_add_nc_u32 v118, 8, v118
	s_wait_loadcnt_dscnt 0x0
	v_pk_mul_f32 v[124:125], v[122:123], v[120:121] op_sel:[1,1] op_sel_hi:[0,1]
	s_delay_alu instid0(VALU_DEP_1) | instskip(SKIP_2) | instid1(VALU_DEP_3)
	v_pk_fma_f32 v[126:127], v[122:123], v[120:121], v[124:125] op_sel_hi:[1,0,1]
	v_add_nc_u32_e32 v119, 1, v119
	v_pk_fma_f32 v[120:121], v[122:123], v[120:121], v[124:125] neg_lo:[0,0,1] neg_hi:[0,0,1]
	v_mov_b32_e32 v121, v127
	s_delay_alu instid0(VALU_DEP_3) | instskip(NEXT) | instid1(VALU_DEP_2)
	v_cmp_lt_u32_e32 vcc_lo, 12, v119
	v_pk_add_f32 v[114:115], v[114:115], v[120:121]
	s_or_b32 s5, vcc_lo, s5
	s_delay_alu instid0(SALU_CYCLE_1)
	s_and_not1_b32 exec_lo, exec_lo, s5
	s_cbranch_execnz .LBB118_677
; %bb.678:
	s_or_b32 exec_lo, exec_lo, s5
.LBB118_679:
	s_delay_alu instid0(SALU_CYCLE_1) | instskip(SKIP_4) | instid1(VALU_DEP_1)
	s_or_b32 exec_lo, exec_lo, s4
	v_mov_b32_e32 v117, 0
	ds_load_b64 v[118:119], v117 offset:112
	s_wait_dscnt 0x0
	v_pk_mul_f32 v[120:121], v[114:115], v[118:119] op_sel:[1,1] op_sel_hi:[0,1]
	v_pk_fma_f32 v[122:123], v[114:115], v[118:119], v[120:121] op_sel_hi:[1,0,1]
	v_pk_fma_f32 v[114:115], v[114:115], v[118:119], v[120:121] neg_lo:[0,0,1] neg_hi:[0,0,1]
	s_delay_alu instid0(VALU_DEP_2)
	v_mov_b32_e32 v115, v123
	scratch_store_b64 off, v[114:115], off offset:112
.LBB118_680:
	s_wait_xcnt 0x0
	s_or_b32 exec_lo, exec_lo, s0
	scratch_load_b64 v[114:115], off, off offset:120
	s_mov_b32 s0, exec_lo
	s_wait_loadcnt 0x0
	ds_store_b64 v1, v[114:115]
	s_wait_storecnt_dscnt 0x0
	s_barrier_signal -1
	s_barrier_wait -1
	s_wait_xcnt 0x0
	v_cmpx_gt_u32_e32 15, v0
	s_cbranch_execz .LBB118_690
; %bb.681:
	v_cmp_ne_u32_e32 vcc_lo, 1, v116
	s_cbranch_vccnz .LBB118_683
; %bb.682:
	scratch_load_b64 v[114:115], v59, off
	ds_load_b64 v[118:119], v1
	s_wait_loadcnt_dscnt 0x0
	v_pk_mul_f32 v[120:121], v[118:119], v[114:115] op_sel:[1,1] op_sel_hi:[0,1]
	s_delay_alu instid0(VALU_DEP_1) | instskip(SKIP_1) | instid1(VALU_DEP_2)
	v_pk_fma_f32 v[122:123], v[118:119], v[114:115], v[120:121] op_sel_hi:[1,0,1]
	v_pk_fma_f32 v[114:115], v[118:119], v[114:115], v[120:121] neg_lo:[0,0,1] neg_hi:[0,0,1]
	v_mov_b32_e32 v115, v123
	s_cbranch_execz .LBB118_684
	s_branch .LBB118_685
.LBB118_683:
                                        ; implicit-def: $vgpr114_vgpr115
.LBB118_684:
	ds_load_b64 v[114:115], v1
.LBB118_685:
	s_mov_b32 s4, exec_lo
	v_cmpx_ne_u32_e32 14, v0
	s_cbranch_execz .LBB118_689
; %bb.686:
	v_add_nc_u32_e32 v117, 0x1c8, v58
	v_add3_u32 v118, 0, v58, 8
	v_mov_b32_e32 v119, v0
	s_mov_b32 s5, 0
.LBB118_687:                            ; =>This Inner Loop Header: Depth=1
	scratch_load_b64 v[120:121], v118, off
	ds_load_b64 v[122:123], v117
	s_wait_xcnt 0x0
	v_dual_add_nc_u32 v117, 8, v117 :: v_dual_add_nc_u32 v118, 8, v118
	s_wait_loadcnt_dscnt 0x0
	v_pk_mul_f32 v[124:125], v[122:123], v[120:121] op_sel:[1,1] op_sel_hi:[0,1]
	s_delay_alu instid0(VALU_DEP_1) | instskip(SKIP_2) | instid1(VALU_DEP_3)
	v_pk_fma_f32 v[126:127], v[122:123], v[120:121], v[124:125] op_sel_hi:[1,0,1]
	v_add_nc_u32_e32 v119, 1, v119
	v_pk_fma_f32 v[120:121], v[122:123], v[120:121], v[124:125] neg_lo:[0,0,1] neg_hi:[0,0,1]
	v_mov_b32_e32 v121, v127
	s_delay_alu instid0(VALU_DEP_3) | instskip(NEXT) | instid1(VALU_DEP_2)
	v_cmp_lt_u32_e32 vcc_lo, 13, v119
	v_pk_add_f32 v[114:115], v[114:115], v[120:121]
	s_or_b32 s5, vcc_lo, s5
	s_delay_alu instid0(SALU_CYCLE_1)
	s_and_not1_b32 exec_lo, exec_lo, s5
	s_cbranch_execnz .LBB118_687
; %bb.688:
	s_or_b32 exec_lo, exec_lo, s5
.LBB118_689:
	s_delay_alu instid0(SALU_CYCLE_1) | instskip(SKIP_4) | instid1(VALU_DEP_1)
	s_or_b32 exec_lo, exec_lo, s4
	v_mov_b32_e32 v117, 0
	ds_load_b64 v[118:119], v117 offset:120
	s_wait_dscnt 0x0
	v_pk_mul_f32 v[120:121], v[114:115], v[118:119] op_sel:[1,1] op_sel_hi:[0,1]
	v_pk_fma_f32 v[122:123], v[114:115], v[118:119], v[120:121] op_sel_hi:[1,0,1]
	v_pk_fma_f32 v[114:115], v[114:115], v[118:119], v[120:121] neg_lo:[0,0,1] neg_hi:[0,0,1]
	s_delay_alu instid0(VALU_DEP_2)
	v_mov_b32_e32 v115, v123
	scratch_store_b64 off, v[114:115], off offset:120
.LBB118_690:
	s_wait_xcnt 0x0
	s_or_b32 exec_lo, exec_lo, s0
	scratch_load_b64 v[114:115], off, off offset:128
	s_mov_b32 s0, exec_lo
	s_wait_loadcnt 0x0
	ds_store_b64 v1, v[114:115]
	s_wait_storecnt_dscnt 0x0
	s_barrier_signal -1
	s_barrier_wait -1
	s_wait_xcnt 0x0
	v_cmpx_gt_u32_e32 16, v0
	s_cbranch_execz .LBB118_700
; %bb.691:
	v_cmp_ne_u32_e32 vcc_lo, 1, v116
	s_cbranch_vccnz .LBB118_693
; %bb.692:
	scratch_load_b64 v[114:115], v59, off
	ds_load_b64 v[118:119], v1
	s_wait_loadcnt_dscnt 0x0
	v_pk_mul_f32 v[120:121], v[118:119], v[114:115] op_sel:[1,1] op_sel_hi:[0,1]
	s_delay_alu instid0(VALU_DEP_1) | instskip(SKIP_1) | instid1(VALU_DEP_2)
	v_pk_fma_f32 v[122:123], v[118:119], v[114:115], v[120:121] op_sel_hi:[1,0,1]
	v_pk_fma_f32 v[114:115], v[118:119], v[114:115], v[120:121] neg_lo:[0,0,1] neg_hi:[0,0,1]
	v_mov_b32_e32 v115, v123
	s_cbranch_execz .LBB118_694
	s_branch .LBB118_695
.LBB118_693:
                                        ; implicit-def: $vgpr114_vgpr115
.LBB118_694:
	ds_load_b64 v[114:115], v1
.LBB118_695:
	s_mov_b32 s4, exec_lo
	v_cmpx_ne_u32_e32 15, v0
	s_cbranch_execz .LBB118_699
; %bb.696:
	v_add_nc_u32_e32 v117, 0x1c8, v58
	v_add3_u32 v118, 0, v58, 8
	v_mov_b32_e32 v119, v0
	s_mov_b32 s5, 0
.LBB118_697:                            ; =>This Inner Loop Header: Depth=1
	scratch_load_b64 v[120:121], v118, off
	ds_load_b64 v[122:123], v117
	s_wait_xcnt 0x0
	v_dual_add_nc_u32 v117, 8, v117 :: v_dual_add_nc_u32 v118, 8, v118
	s_wait_loadcnt_dscnt 0x0
	v_pk_mul_f32 v[124:125], v[122:123], v[120:121] op_sel:[1,1] op_sel_hi:[0,1]
	s_delay_alu instid0(VALU_DEP_1) | instskip(SKIP_2) | instid1(VALU_DEP_3)
	v_pk_fma_f32 v[126:127], v[122:123], v[120:121], v[124:125] op_sel_hi:[1,0,1]
	v_add_nc_u32_e32 v119, 1, v119
	v_pk_fma_f32 v[120:121], v[122:123], v[120:121], v[124:125] neg_lo:[0,0,1] neg_hi:[0,0,1]
	v_mov_b32_e32 v121, v127
	s_delay_alu instid0(VALU_DEP_3) | instskip(NEXT) | instid1(VALU_DEP_2)
	v_cmp_lt_u32_e32 vcc_lo, 14, v119
	v_pk_add_f32 v[114:115], v[114:115], v[120:121]
	s_or_b32 s5, vcc_lo, s5
	s_delay_alu instid0(SALU_CYCLE_1)
	s_and_not1_b32 exec_lo, exec_lo, s5
	s_cbranch_execnz .LBB118_697
; %bb.698:
	s_or_b32 exec_lo, exec_lo, s5
.LBB118_699:
	s_delay_alu instid0(SALU_CYCLE_1) | instskip(SKIP_4) | instid1(VALU_DEP_1)
	s_or_b32 exec_lo, exec_lo, s4
	v_mov_b32_e32 v117, 0
	ds_load_b64 v[118:119], v117 offset:128
	s_wait_dscnt 0x0
	v_pk_mul_f32 v[120:121], v[114:115], v[118:119] op_sel:[1,1] op_sel_hi:[0,1]
	v_pk_fma_f32 v[122:123], v[114:115], v[118:119], v[120:121] op_sel_hi:[1,0,1]
	v_pk_fma_f32 v[114:115], v[114:115], v[118:119], v[120:121] neg_lo:[0,0,1] neg_hi:[0,0,1]
	s_delay_alu instid0(VALU_DEP_2)
	v_mov_b32_e32 v115, v123
	scratch_store_b64 off, v[114:115], off offset:128
.LBB118_700:
	s_wait_xcnt 0x0
	s_or_b32 exec_lo, exec_lo, s0
	scratch_load_b64 v[114:115], off, off offset:136
	s_mov_b32 s0, exec_lo
	s_wait_loadcnt 0x0
	ds_store_b64 v1, v[114:115]
	s_wait_storecnt_dscnt 0x0
	s_barrier_signal -1
	s_barrier_wait -1
	s_wait_xcnt 0x0
	v_cmpx_gt_u32_e32 17, v0
	s_cbranch_execz .LBB118_710
; %bb.701:
	v_cmp_ne_u32_e32 vcc_lo, 1, v116
	s_cbranch_vccnz .LBB118_703
; %bb.702:
	scratch_load_b64 v[114:115], v59, off
	ds_load_b64 v[118:119], v1
	s_wait_loadcnt_dscnt 0x0
	v_pk_mul_f32 v[120:121], v[118:119], v[114:115] op_sel:[1,1] op_sel_hi:[0,1]
	s_delay_alu instid0(VALU_DEP_1) | instskip(SKIP_1) | instid1(VALU_DEP_2)
	v_pk_fma_f32 v[122:123], v[118:119], v[114:115], v[120:121] op_sel_hi:[1,0,1]
	v_pk_fma_f32 v[114:115], v[118:119], v[114:115], v[120:121] neg_lo:[0,0,1] neg_hi:[0,0,1]
	v_mov_b32_e32 v115, v123
	s_cbranch_execz .LBB118_704
	s_branch .LBB118_705
.LBB118_703:
                                        ; implicit-def: $vgpr114_vgpr115
.LBB118_704:
	ds_load_b64 v[114:115], v1
.LBB118_705:
	s_mov_b32 s4, exec_lo
	v_cmpx_ne_u32_e32 16, v0
	s_cbranch_execz .LBB118_709
; %bb.706:
	v_add_nc_u32_e32 v117, 0x1c8, v58
	v_add3_u32 v118, 0, v58, 8
	v_mov_b32_e32 v119, v0
	s_mov_b32 s5, 0
.LBB118_707:                            ; =>This Inner Loop Header: Depth=1
	scratch_load_b64 v[120:121], v118, off
	ds_load_b64 v[122:123], v117
	s_wait_xcnt 0x0
	v_dual_add_nc_u32 v117, 8, v117 :: v_dual_add_nc_u32 v118, 8, v118
	s_wait_loadcnt_dscnt 0x0
	v_pk_mul_f32 v[124:125], v[122:123], v[120:121] op_sel:[1,1] op_sel_hi:[0,1]
	s_delay_alu instid0(VALU_DEP_1) | instskip(SKIP_2) | instid1(VALU_DEP_3)
	v_pk_fma_f32 v[126:127], v[122:123], v[120:121], v[124:125] op_sel_hi:[1,0,1]
	v_add_nc_u32_e32 v119, 1, v119
	v_pk_fma_f32 v[120:121], v[122:123], v[120:121], v[124:125] neg_lo:[0,0,1] neg_hi:[0,0,1]
	v_mov_b32_e32 v121, v127
	s_delay_alu instid0(VALU_DEP_3) | instskip(NEXT) | instid1(VALU_DEP_2)
	v_cmp_lt_u32_e32 vcc_lo, 15, v119
	v_pk_add_f32 v[114:115], v[114:115], v[120:121]
	s_or_b32 s5, vcc_lo, s5
	s_delay_alu instid0(SALU_CYCLE_1)
	s_and_not1_b32 exec_lo, exec_lo, s5
	s_cbranch_execnz .LBB118_707
; %bb.708:
	s_or_b32 exec_lo, exec_lo, s5
.LBB118_709:
	s_delay_alu instid0(SALU_CYCLE_1) | instskip(SKIP_4) | instid1(VALU_DEP_1)
	s_or_b32 exec_lo, exec_lo, s4
	v_mov_b32_e32 v117, 0
	ds_load_b64 v[118:119], v117 offset:136
	s_wait_dscnt 0x0
	v_pk_mul_f32 v[120:121], v[114:115], v[118:119] op_sel:[1,1] op_sel_hi:[0,1]
	v_pk_fma_f32 v[122:123], v[114:115], v[118:119], v[120:121] op_sel_hi:[1,0,1]
	v_pk_fma_f32 v[114:115], v[114:115], v[118:119], v[120:121] neg_lo:[0,0,1] neg_hi:[0,0,1]
	s_delay_alu instid0(VALU_DEP_2)
	v_mov_b32_e32 v115, v123
	scratch_store_b64 off, v[114:115], off offset:136
.LBB118_710:
	s_wait_xcnt 0x0
	s_or_b32 exec_lo, exec_lo, s0
	scratch_load_b64 v[114:115], off, off offset:144
	s_mov_b32 s0, exec_lo
	s_wait_loadcnt 0x0
	ds_store_b64 v1, v[114:115]
	s_wait_storecnt_dscnt 0x0
	s_barrier_signal -1
	s_barrier_wait -1
	s_wait_xcnt 0x0
	v_cmpx_gt_u32_e32 18, v0
	s_cbranch_execz .LBB118_720
; %bb.711:
	v_cmp_ne_u32_e32 vcc_lo, 1, v116
	s_cbranch_vccnz .LBB118_713
; %bb.712:
	scratch_load_b64 v[114:115], v59, off
	ds_load_b64 v[118:119], v1
	s_wait_loadcnt_dscnt 0x0
	v_pk_mul_f32 v[120:121], v[118:119], v[114:115] op_sel:[1,1] op_sel_hi:[0,1]
	s_delay_alu instid0(VALU_DEP_1) | instskip(SKIP_1) | instid1(VALU_DEP_2)
	v_pk_fma_f32 v[122:123], v[118:119], v[114:115], v[120:121] op_sel_hi:[1,0,1]
	v_pk_fma_f32 v[114:115], v[118:119], v[114:115], v[120:121] neg_lo:[0,0,1] neg_hi:[0,0,1]
	v_mov_b32_e32 v115, v123
	s_cbranch_execz .LBB118_714
	s_branch .LBB118_715
.LBB118_713:
                                        ; implicit-def: $vgpr114_vgpr115
.LBB118_714:
	ds_load_b64 v[114:115], v1
.LBB118_715:
	s_mov_b32 s4, exec_lo
	v_cmpx_ne_u32_e32 17, v0
	s_cbranch_execz .LBB118_719
; %bb.716:
	v_add_nc_u32_e32 v117, 0x1c8, v58
	v_add3_u32 v118, 0, v58, 8
	v_mov_b32_e32 v119, v0
	s_mov_b32 s5, 0
.LBB118_717:                            ; =>This Inner Loop Header: Depth=1
	scratch_load_b64 v[120:121], v118, off
	ds_load_b64 v[122:123], v117
	s_wait_xcnt 0x0
	v_dual_add_nc_u32 v117, 8, v117 :: v_dual_add_nc_u32 v118, 8, v118
	s_wait_loadcnt_dscnt 0x0
	v_pk_mul_f32 v[124:125], v[122:123], v[120:121] op_sel:[1,1] op_sel_hi:[0,1]
	s_delay_alu instid0(VALU_DEP_1) | instskip(SKIP_2) | instid1(VALU_DEP_3)
	v_pk_fma_f32 v[126:127], v[122:123], v[120:121], v[124:125] op_sel_hi:[1,0,1]
	v_add_nc_u32_e32 v119, 1, v119
	v_pk_fma_f32 v[120:121], v[122:123], v[120:121], v[124:125] neg_lo:[0,0,1] neg_hi:[0,0,1]
	v_mov_b32_e32 v121, v127
	s_delay_alu instid0(VALU_DEP_3) | instskip(NEXT) | instid1(VALU_DEP_2)
	v_cmp_lt_u32_e32 vcc_lo, 16, v119
	v_pk_add_f32 v[114:115], v[114:115], v[120:121]
	s_or_b32 s5, vcc_lo, s5
	s_delay_alu instid0(SALU_CYCLE_1)
	s_and_not1_b32 exec_lo, exec_lo, s5
	s_cbranch_execnz .LBB118_717
; %bb.718:
	s_or_b32 exec_lo, exec_lo, s5
.LBB118_719:
	s_delay_alu instid0(SALU_CYCLE_1) | instskip(SKIP_4) | instid1(VALU_DEP_1)
	s_or_b32 exec_lo, exec_lo, s4
	v_mov_b32_e32 v117, 0
	ds_load_b64 v[118:119], v117 offset:144
	s_wait_dscnt 0x0
	v_pk_mul_f32 v[120:121], v[114:115], v[118:119] op_sel:[1,1] op_sel_hi:[0,1]
	v_pk_fma_f32 v[122:123], v[114:115], v[118:119], v[120:121] op_sel_hi:[1,0,1]
	v_pk_fma_f32 v[114:115], v[114:115], v[118:119], v[120:121] neg_lo:[0,0,1] neg_hi:[0,0,1]
	s_delay_alu instid0(VALU_DEP_2)
	v_mov_b32_e32 v115, v123
	scratch_store_b64 off, v[114:115], off offset:144
.LBB118_720:
	s_wait_xcnt 0x0
	s_or_b32 exec_lo, exec_lo, s0
	scratch_load_b64 v[114:115], off, off offset:152
	s_mov_b32 s0, exec_lo
	s_wait_loadcnt 0x0
	ds_store_b64 v1, v[114:115]
	s_wait_storecnt_dscnt 0x0
	s_barrier_signal -1
	s_barrier_wait -1
	s_wait_xcnt 0x0
	v_cmpx_gt_u32_e32 19, v0
	s_cbranch_execz .LBB118_730
; %bb.721:
	v_cmp_ne_u32_e32 vcc_lo, 1, v116
	s_cbranch_vccnz .LBB118_723
; %bb.722:
	scratch_load_b64 v[114:115], v59, off
	ds_load_b64 v[118:119], v1
	s_wait_loadcnt_dscnt 0x0
	v_pk_mul_f32 v[120:121], v[118:119], v[114:115] op_sel:[1,1] op_sel_hi:[0,1]
	s_delay_alu instid0(VALU_DEP_1) | instskip(SKIP_1) | instid1(VALU_DEP_2)
	v_pk_fma_f32 v[122:123], v[118:119], v[114:115], v[120:121] op_sel_hi:[1,0,1]
	v_pk_fma_f32 v[114:115], v[118:119], v[114:115], v[120:121] neg_lo:[0,0,1] neg_hi:[0,0,1]
	v_mov_b32_e32 v115, v123
	s_cbranch_execz .LBB118_724
	s_branch .LBB118_725
.LBB118_723:
                                        ; implicit-def: $vgpr114_vgpr115
.LBB118_724:
	ds_load_b64 v[114:115], v1
.LBB118_725:
	s_mov_b32 s4, exec_lo
	v_cmpx_ne_u32_e32 18, v0
	s_cbranch_execz .LBB118_729
; %bb.726:
	v_add_nc_u32_e32 v117, 0x1c8, v58
	v_add3_u32 v118, 0, v58, 8
	v_mov_b32_e32 v119, v0
	s_mov_b32 s5, 0
.LBB118_727:                            ; =>This Inner Loop Header: Depth=1
	scratch_load_b64 v[120:121], v118, off
	ds_load_b64 v[122:123], v117
	s_wait_xcnt 0x0
	v_dual_add_nc_u32 v117, 8, v117 :: v_dual_add_nc_u32 v118, 8, v118
	s_wait_loadcnt_dscnt 0x0
	v_pk_mul_f32 v[124:125], v[122:123], v[120:121] op_sel:[1,1] op_sel_hi:[0,1]
	s_delay_alu instid0(VALU_DEP_1) | instskip(SKIP_2) | instid1(VALU_DEP_3)
	v_pk_fma_f32 v[126:127], v[122:123], v[120:121], v[124:125] op_sel_hi:[1,0,1]
	v_add_nc_u32_e32 v119, 1, v119
	v_pk_fma_f32 v[120:121], v[122:123], v[120:121], v[124:125] neg_lo:[0,0,1] neg_hi:[0,0,1]
	v_mov_b32_e32 v121, v127
	s_delay_alu instid0(VALU_DEP_3) | instskip(NEXT) | instid1(VALU_DEP_2)
	v_cmp_lt_u32_e32 vcc_lo, 17, v119
	v_pk_add_f32 v[114:115], v[114:115], v[120:121]
	s_or_b32 s5, vcc_lo, s5
	s_delay_alu instid0(SALU_CYCLE_1)
	s_and_not1_b32 exec_lo, exec_lo, s5
	s_cbranch_execnz .LBB118_727
; %bb.728:
	s_or_b32 exec_lo, exec_lo, s5
.LBB118_729:
	s_delay_alu instid0(SALU_CYCLE_1) | instskip(SKIP_4) | instid1(VALU_DEP_1)
	s_or_b32 exec_lo, exec_lo, s4
	v_mov_b32_e32 v117, 0
	ds_load_b64 v[118:119], v117 offset:152
	s_wait_dscnt 0x0
	v_pk_mul_f32 v[120:121], v[114:115], v[118:119] op_sel:[1,1] op_sel_hi:[0,1]
	v_pk_fma_f32 v[122:123], v[114:115], v[118:119], v[120:121] op_sel_hi:[1,0,1]
	v_pk_fma_f32 v[114:115], v[114:115], v[118:119], v[120:121] neg_lo:[0,0,1] neg_hi:[0,0,1]
	s_delay_alu instid0(VALU_DEP_2)
	v_mov_b32_e32 v115, v123
	scratch_store_b64 off, v[114:115], off offset:152
.LBB118_730:
	s_wait_xcnt 0x0
	s_or_b32 exec_lo, exec_lo, s0
	scratch_load_b64 v[114:115], off, off offset:160
	s_mov_b32 s0, exec_lo
	s_wait_loadcnt 0x0
	ds_store_b64 v1, v[114:115]
	s_wait_storecnt_dscnt 0x0
	s_barrier_signal -1
	s_barrier_wait -1
	s_wait_xcnt 0x0
	v_cmpx_gt_u32_e32 20, v0
	s_cbranch_execz .LBB118_740
; %bb.731:
	v_cmp_ne_u32_e32 vcc_lo, 1, v116
	s_cbranch_vccnz .LBB118_733
; %bb.732:
	scratch_load_b64 v[114:115], v59, off
	ds_load_b64 v[118:119], v1
	s_wait_loadcnt_dscnt 0x0
	v_pk_mul_f32 v[120:121], v[118:119], v[114:115] op_sel:[1,1] op_sel_hi:[0,1]
	s_delay_alu instid0(VALU_DEP_1) | instskip(SKIP_1) | instid1(VALU_DEP_2)
	v_pk_fma_f32 v[122:123], v[118:119], v[114:115], v[120:121] op_sel_hi:[1,0,1]
	v_pk_fma_f32 v[114:115], v[118:119], v[114:115], v[120:121] neg_lo:[0,0,1] neg_hi:[0,0,1]
	v_mov_b32_e32 v115, v123
	s_cbranch_execz .LBB118_734
	s_branch .LBB118_735
.LBB118_733:
                                        ; implicit-def: $vgpr114_vgpr115
.LBB118_734:
	ds_load_b64 v[114:115], v1
.LBB118_735:
	s_mov_b32 s4, exec_lo
	v_cmpx_ne_u32_e32 19, v0
	s_cbranch_execz .LBB118_739
; %bb.736:
	v_add_nc_u32_e32 v117, 0x1c8, v58
	v_add3_u32 v118, 0, v58, 8
	v_mov_b32_e32 v119, v0
	s_mov_b32 s5, 0
.LBB118_737:                            ; =>This Inner Loop Header: Depth=1
	scratch_load_b64 v[120:121], v118, off
	ds_load_b64 v[122:123], v117
	s_wait_xcnt 0x0
	v_dual_add_nc_u32 v117, 8, v117 :: v_dual_add_nc_u32 v118, 8, v118
	s_wait_loadcnt_dscnt 0x0
	v_pk_mul_f32 v[124:125], v[122:123], v[120:121] op_sel:[1,1] op_sel_hi:[0,1]
	s_delay_alu instid0(VALU_DEP_1) | instskip(SKIP_2) | instid1(VALU_DEP_3)
	v_pk_fma_f32 v[126:127], v[122:123], v[120:121], v[124:125] op_sel_hi:[1,0,1]
	v_add_nc_u32_e32 v119, 1, v119
	v_pk_fma_f32 v[120:121], v[122:123], v[120:121], v[124:125] neg_lo:[0,0,1] neg_hi:[0,0,1]
	v_mov_b32_e32 v121, v127
	s_delay_alu instid0(VALU_DEP_3) | instskip(NEXT) | instid1(VALU_DEP_2)
	v_cmp_lt_u32_e32 vcc_lo, 18, v119
	v_pk_add_f32 v[114:115], v[114:115], v[120:121]
	s_or_b32 s5, vcc_lo, s5
	s_delay_alu instid0(SALU_CYCLE_1)
	s_and_not1_b32 exec_lo, exec_lo, s5
	s_cbranch_execnz .LBB118_737
; %bb.738:
	s_or_b32 exec_lo, exec_lo, s5
.LBB118_739:
	s_delay_alu instid0(SALU_CYCLE_1) | instskip(SKIP_4) | instid1(VALU_DEP_1)
	s_or_b32 exec_lo, exec_lo, s4
	v_mov_b32_e32 v117, 0
	ds_load_b64 v[118:119], v117 offset:160
	s_wait_dscnt 0x0
	v_pk_mul_f32 v[120:121], v[114:115], v[118:119] op_sel:[1,1] op_sel_hi:[0,1]
	v_pk_fma_f32 v[122:123], v[114:115], v[118:119], v[120:121] op_sel_hi:[1,0,1]
	v_pk_fma_f32 v[114:115], v[114:115], v[118:119], v[120:121] neg_lo:[0,0,1] neg_hi:[0,0,1]
	s_delay_alu instid0(VALU_DEP_2)
	v_mov_b32_e32 v115, v123
	scratch_store_b64 off, v[114:115], off offset:160
.LBB118_740:
	s_wait_xcnt 0x0
	s_or_b32 exec_lo, exec_lo, s0
	scratch_load_b64 v[114:115], off, off offset:168
	s_mov_b32 s0, exec_lo
	s_wait_loadcnt 0x0
	ds_store_b64 v1, v[114:115]
	s_wait_storecnt_dscnt 0x0
	s_barrier_signal -1
	s_barrier_wait -1
	s_wait_xcnt 0x0
	v_cmpx_gt_u32_e32 21, v0
	s_cbranch_execz .LBB118_750
; %bb.741:
	v_cmp_ne_u32_e32 vcc_lo, 1, v116
	s_cbranch_vccnz .LBB118_743
; %bb.742:
	scratch_load_b64 v[114:115], v59, off
	ds_load_b64 v[118:119], v1
	s_wait_loadcnt_dscnt 0x0
	v_pk_mul_f32 v[120:121], v[118:119], v[114:115] op_sel:[1,1] op_sel_hi:[0,1]
	s_delay_alu instid0(VALU_DEP_1) | instskip(SKIP_1) | instid1(VALU_DEP_2)
	v_pk_fma_f32 v[122:123], v[118:119], v[114:115], v[120:121] op_sel_hi:[1,0,1]
	v_pk_fma_f32 v[114:115], v[118:119], v[114:115], v[120:121] neg_lo:[0,0,1] neg_hi:[0,0,1]
	v_mov_b32_e32 v115, v123
	s_cbranch_execz .LBB118_744
	s_branch .LBB118_745
.LBB118_743:
                                        ; implicit-def: $vgpr114_vgpr115
.LBB118_744:
	ds_load_b64 v[114:115], v1
.LBB118_745:
	s_mov_b32 s4, exec_lo
	v_cmpx_ne_u32_e32 20, v0
	s_cbranch_execz .LBB118_749
; %bb.746:
	v_add_nc_u32_e32 v117, 0x1c8, v58
	v_add3_u32 v118, 0, v58, 8
	v_mov_b32_e32 v119, v0
	s_mov_b32 s5, 0
.LBB118_747:                            ; =>This Inner Loop Header: Depth=1
	scratch_load_b64 v[120:121], v118, off
	ds_load_b64 v[122:123], v117
	s_wait_xcnt 0x0
	v_dual_add_nc_u32 v117, 8, v117 :: v_dual_add_nc_u32 v118, 8, v118
	s_wait_loadcnt_dscnt 0x0
	v_pk_mul_f32 v[124:125], v[122:123], v[120:121] op_sel:[1,1] op_sel_hi:[0,1]
	s_delay_alu instid0(VALU_DEP_1) | instskip(SKIP_2) | instid1(VALU_DEP_3)
	v_pk_fma_f32 v[126:127], v[122:123], v[120:121], v[124:125] op_sel_hi:[1,0,1]
	v_add_nc_u32_e32 v119, 1, v119
	v_pk_fma_f32 v[120:121], v[122:123], v[120:121], v[124:125] neg_lo:[0,0,1] neg_hi:[0,0,1]
	v_mov_b32_e32 v121, v127
	s_delay_alu instid0(VALU_DEP_3) | instskip(NEXT) | instid1(VALU_DEP_2)
	v_cmp_lt_u32_e32 vcc_lo, 19, v119
	v_pk_add_f32 v[114:115], v[114:115], v[120:121]
	s_or_b32 s5, vcc_lo, s5
	s_delay_alu instid0(SALU_CYCLE_1)
	s_and_not1_b32 exec_lo, exec_lo, s5
	s_cbranch_execnz .LBB118_747
; %bb.748:
	s_or_b32 exec_lo, exec_lo, s5
.LBB118_749:
	s_delay_alu instid0(SALU_CYCLE_1) | instskip(SKIP_4) | instid1(VALU_DEP_1)
	s_or_b32 exec_lo, exec_lo, s4
	v_mov_b32_e32 v117, 0
	ds_load_b64 v[118:119], v117 offset:168
	s_wait_dscnt 0x0
	v_pk_mul_f32 v[120:121], v[114:115], v[118:119] op_sel:[1,1] op_sel_hi:[0,1]
	v_pk_fma_f32 v[122:123], v[114:115], v[118:119], v[120:121] op_sel_hi:[1,0,1]
	v_pk_fma_f32 v[114:115], v[114:115], v[118:119], v[120:121] neg_lo:[0,0,1] neg_hi:[0,0,1]
	s_delay_alu instid0(VALU_DEP_2)
	v_mov_b32_e32 v115, v123
	scratch_store_b64 off, v[114:115], off offset:168
.LBB118_750:
	s_wait_xcnt 0x0
	s_or_b32 exec_lo, exec_lo, s0
	scratch_load_b64 v[114:115], off, off offset:176
	s_mov_b32 s0, exec_lo
	s_wait_loadcnt 0x0
	ds_store_b64 v1, v[114:115]
	s_wait_storecnt_dscnt 0x0
	s_barrier_signal -1
	s_barrier_wait -1
	s_wait_xcnt 0x0
	v_cmpx_gt_u32_e32 22, v0
	s_cbranch_execz .LBB118_760
; %bb.751:
	v_cmp_ne_u32_e32 vcc_lo, 1, v116
	s_cbranch_vccnz .LBB118_753
; %bb.752:
	scratch_load_b64 v[114:115], v59, off
	ds_load_b64 v[118:119], v1
	s_wait_loadcnt_dscnt 0x0
	v_pk_mul_f32 v[120:121], v[118:119], v[114:115] op_sel:[1,1] op_sel_hi:[0,1]
	s_delay_alu instid0(VALU_DEP_1) | instskip(SKIP_1) | instid1(VALU_DEP_2)
	v_pk_fma_f32 v[122:123], v[118:119], v[114:115], v[120:121] op_sel_hi:[1,0,1]
	v_pk_fma_f32 v[114:115], v[118:119], v[114:115], v[120:121] neg_lo:[0,0,1] neg_hi:[0,0,1]
	v_mov_b32_e32 v115, v123
	s_cbranch_execz .LBB118_754
	s_branch .LBB118_755
.LBB118_753:
                                        ; implicit-def: $vgpr114_vgpr115
.LBB118_754:
	ds_load_b64 v[114:115], v1
.LBB118_755:
	s_mov_b32 s4, exec_lo
	v_cmpx_ne_u32_e32 21, v0
	s_cbranch_execz .LBB118_759
; %bb.756:
	v_add_nc_u32_e32 v117, 0x1c8, v58
	v_add3_u32 v118, 0, v58, 8
	v_mov_b32_e32 v119, v0
	s_mov_b32 s5, 0
.LBB118_757:                            ; =>This Inner Loop Header: Depth=1
	scratch_load_b64 v[120:121], v118, off
	ds_load_b64 v[122:123], v117
	s_wait_xcnt 0x0
	v_dual_add_nc_u32 v117, 8, v117 :: v_dual_add_nc_u32 v118, 8, v118
	s_wait_loadcnt_dscnt 0x0
	v_pk_mul_f32 v[124:125], v[122:123], v[120:121] op_sel:[1,1] op_sel_hi:[0,1]
	s_delay_alu instid0(VALU_DEP_1) | instskip(SKIP_2) | instid1(VALU_DEP_3)
	v_pk_fma_f32 v[126:127], v[122:123], v[120:121], v[124:125] op_sel_hi:[1,0,1]
	v_add_nc_u32_e32 v119, 1, v119
	v_pk_fma_f32 v[120:121], v[122:123], v[120:121], v[124:125] neg_lo:[0,0,1] neg_hi:[0,0,1]
	v_mov_b32_e32 v121, v127
	s_delay_alu instid0(VALU_DEP_3) | instskip(NEXT) | instid1(VALU_DEP_2)
	v_cmp_lt_u32_e32 vcc_lo, 20, v119
	v_pk_add_f32 v[114:115], v[114:115], v[120:121]
	s_or_b32 s5, vcc_lo, s5
	s_delay_alu instid0(SALU_CYCLE_1)
	s_and_not1_b32 exec_lo, exec_lo, s5
	s_cbranch_execnz .LBB118_757
; %bb.758:
	s_or_b32 exec_lo, exec_lo, s5
.LBB118_759:
	s_delay_alu instid0(SALU_CYCLE_1) | instskip(SKIP_4) | instid1(VALU_DEP_1)
	s_or_b32 exec_lo, exec_lo, s4
	v_mov_b32_e32 v117, 0
	ds_load_b64 v[118:119], v117 offset:176
	s_wait_dscnt 0x0
	v_pk_mul_f32 v[120:121], v[114:115], v[118:119] op_sel:[1,1] op_sel_hi:[0,1]
	v_pk_fma_f32 v[122:123], v[114:115], v[118:119], v[120:121] op_sel_hi:[1,0,1]
	v_pk_fma_f32 v[114:115], v[114:115], v[118:119], v[120:121] neg_lo:[0,0,1] neg_hi:[0,0,1]
	s_delay_alu instid0(VALU_DEP_2)
	v_mov_b32_e32 v115, v123
	scratch_store_b64 off, v[114:115], off offset:176
.LBB118_760:
	s_wait_xcnt 0x0
	s_or_b32 exec_lo, exec_lo, s0
	scratch_load_b64 v[114:115], off, off offset:184
	s_mov_b32 s0, exec_lo
	s_wait_loadcnt 0x0
	ds_store_b64 v1, v[114:115]
	s_wait_storecnt_dscnt 0x0
	s_barrier_signal -1
	s_barrier_wait -1
	s_wait_xcnt 0x0
	v_cmpx_gt_u32_e32 23, v0
	s_cbranch_execz .LBB118_770
; %bb.761:
	v_cmp_ne_u32_e32 vcc_lo, 1, v116
	s_cbranch_vccnz .LBB118_763
; %bb.762:
	scratch_load_b64 v[114:115], v59, off
	ds_load_b64 v[118:119], v1
	s_wait_loadcnt_dscnt 0x0
	v_pk_mul_f32 v[120:121], v[118:119], v[114:115] op_sel:[1,1] op_sel_hi:[0,1]
	s_delay_alu instid0(VALU_DEP_1) | instskip(SKIP_1) | instid1(VALU_DEP_2)
	v_pk_fma_f32 v[122:123], v[118:119], v[114:115], v[120:121] op_sel_hi:[1,0,1]
	v_pk_fma_f32 v[114:115], v[118:119], v[114:115], v[120:121] neg_lo:[0,0,1] neg_hi:[0,0,1]
	v_mov_b32_e32 v115, v123
	s_cbranch_execz .LBB118_764
	s_branch .LBB118_765
.LBB118_763:
                                        ; implicit-def: $vgpr114_vgpr115
.LBB118_764:
	ds_load_b64 v[114:115], v1
.LBB118_765:
	s_mov_b32 s4, exec_lo
	v_cmpx_ne_u32_e32 22, v0
	s_cbranch_execz .LBB118_769
; %bb.766:
	v_add_nc_u32_e32 v117, 0x1c8, v58
	v_add3_u32 v118, 0, v58, 8
	v_mov_b32_e32 v119, v0
	s_mov_b32 s5, 0
.LBB118_767:                            ; =>This Inner Loop Header: Depth=1
	scratch_load_b64 v[120:121], v118, off
	ds_load_b64 v[122:123], v117
	s_wait_xcnt 0x0
	v_dual_add_nc_u32 v117, 8, v117 :: v_dual_add_nc_u32 v118, 8, v118
	s_wait_loadcnt_dscnt 0x0
	v_pk_mul_f32 v[124:125], v[122:123], v[120:121] op_sel:[1,1] op_sel_hi:[0,1]
	s_delay_alu instid0(VALU_DEP_1) | instskip(SKIP_2) | instid1(VALU_DEP_3)
	v_pk_fma_f32 v[126:127], v[122:123], v[120:121], v[124:125] op_sel_hi:[1,0,1]
	v_add_nc_u32_e32 v119, 1, v119
	v_pk_fma_f32 v[120:121], v[122:123], v[120:121], v[124:125] neg_lo:[0,0,1] neg_hi:[0,0,1]
	v_mov_b32_e32 v121, v127
	s_delay_alu instid0(VALU_DEP_3) | instskip(NEXT) | instid1(VALU_DEP_2)
	v_cmp_lt_u32_e32 vcc_lo, 21, v119
	v_pk_add_f32 v[114:115], v[114:115], v[120:121]
	s_or_b32 s5, vcc_lo, s5
	s_delay_alu instid0(SALU_CYCLE_1)
	s_and_not1_b32 exec_lo, exec_lo, s5
	s_cbranch_execnz .LBB118_767
; %bb.768:
	s_or_b32 exec_lo, exec_lo, s5
.LBB118_769:
	s_delay_alu instid0(SALU_CYCLE_1) | instskip(SKIP_4) | instid1(VALU_DEP_1)
	s_or_b32 exec_lo, exec_lo, s4
	v_mov_b32_e32 v117, 0
	ds_load_b64 v[118:119], v117 offset:184
	s_wait_dscnt 0x0
	v_pk_mul_f32 v[120:121], v[114:115], v[118:119] op_sel:[1,1] op_sel_hi:[0,1]
	v_pk_fma_f32 v[122:123], v[114:115], v[118:119], v[120:121] op_sel_hi:[1,0,1]
	v_pk_fma_f32 v[114:115], v[114:115], v[118:119], v[120:121] neg_lo:[0,0,1] neg_hi:[0,0,1]
	s_delay_alu instid0(VALU_DEP_2)
	v_mov_b32_e32 v115, v123
	scratch_store_b64 off, v[114:115], off offset:184
.LBB118_770:
	s_wait_xcnt 0x0
	s_or_b32 exec_lo, exec_lo, s0
	scratch_load_b64 v[114:115], off, off offset:192
	s_mov_b32 s0, exec_lo
	s_wait_loadcnt 0x0
	ds_store_b64 v1, v[114:115]
	s_wait_storecnt_dscnt 0x0
	s_barrier_signal -1
	s_barrier_wait -1
	s_wait_xcnt 0x0
	v_cmpx_gt_u32_e32 24, v0
	s_cbranch_execz .LBB118_780
; %bb.771:
	v_cmp_ne_u32_e32 vcc_lo, 1, v116
	s_cbranch_vccnz .LBB118_773
; %bb.772:
	scratch_load_b64 v[114:115], v59, off
	ds_load_b64 v[118:119], v1
	s_wait_loadcnt_dscnt 0x0
	v_pk_mul_f32 v[120:121], v[118:119], v[114:115] op_sel:[1,1] op_sel_hi:[0,1]
	s_delay_alu instid0(VALU_DEP_1) | instskip(SKIP_1) | instid1(VALU_DEP_2)
	v_pk_fma_f32 v[122:123], v[118:119], v[114:115], v[120:121] op_sel_hi:[1,0,1]
	v_pk_fma_f32 v[114:115], v[118:119], v[114:115], v[120:121] neg_lo:[0,0,1] neg_hi:[0,0,1]
	v_mov_b32_e32 v115, v123
	s_cbranch_execz .LBB118_774
	s_branch .LBB118_775
.LBB118_773:
                                        ; implicit-def: $vgpr114_vgpr115
.LBB118_774:
	ds_load_b64 v[114:115], v1
.LBB118_775:
	s_mov_b32 s4, exec_lo
	v_cmpx_ne_u32_e32 23, v0
	s_cbranch_execz .LBB118_779
; %bb.776:
	v_add_nc_u32_e32 v117, 0x1c8, v58
	v_add3_u32 v118, 0, v58, 8
	v_mov_b32_e32 v119, v0
	s_mov_b32 s5, 0
.LBB118_777:                            ; =>This Inner Loop Header: Depth=1
	scratch_load_b64 v[120:121], v118, off
	ds_load_b64 v[122:123], v117
	s_wait_xcnt 0x0
	v_dual_add_nc_u32 v117, 8, v117 :: v_dual_add_nc_u32 v118, 8, v118
	s_wait_loadcnt_dscnt 0x0
	v_pk_mul_f32 v[124:125], v[122:123], v[120:121] op_sel:[1,1] op_sel_hi:[0,1]
	s_delay_alu instid0(VALU_DEP_1) | instskip(SKIP_2) | instid1(VALU_DEP_3)
	v_pk_fma_f32 v[126:127], v[122:123], v[120:121], v[124:125] op_sel_hi:[1,0,1]
	v_add_nc_u32_e32 v119, 1, v119
	v_pk_fma_f32 v[120:121], v[122:123], v[120:121], v[124:125] neg_lo:[0,0,1] neg_hi:[0,0,1]
	v_mov_b32_e32 v121, v127
	s_delay_alu instid0(VALU_DEP_3) | instskip(NEXT) | instid1(VALU_DEP_2)
	v_cmp_lt_u32_e32 vcc_lo, 22, v119
	v_pk_add_f32 v[114:115], v[114:115], v[120:121]
	s_or_b32 s5, vcc_lo, s5
	s_delay_alu instid0(SALU_CYCLE_1)
	s_and_not1_b32 exec_lo, exec_lo, s5
	s_cbranch_execnz .LBB118_777
; %bb.778:
	s_or_b32 exec_lo, exec_lo, s5
.LBB118_779:
	s_delay_alu instid0(SALU_CYCLE_1) | instskip(SKIP_4) | instid1(VALU_DEP_1)
	s_or_b32 exec_lo, exec_lo, s4
	v_mov_b32_e32 v117, 0
	ds_load_b64 v[118:119], v117 offset:192
	s_wait_dscnt 0x0
	v_pk_mul_f32 v[120:121], v[114:115], v[118:119] op_sel:[1,1] op_sel_hi:[0,1]
	v_pk_fma_f32 v[122:123], v[114:115], v[118:119], v[120:121] op_sel_hi:[1,0,1]
	v_pk_fma_f32 v[114:115], v[114:115], v[118:119], v[120:121] neg_lo:[0,0,1] neg_hi:[0,0,1]
	s_delay_alu instid0(VALU_DEP_2)
	v_mov_b32_e32 v115, v123
	scratch_store_b64 off, v[114:115], off offset:192
.LBB118_780:
	s_wait_xcnt 0x0
	s_or_b32 exec_lo, exec_lo, s0
	scratch_load_b64 v[114:115], off, off offset:200
	s_mov_b32 s0, exec_lo
	s_wait_loadcnt 0x0
	ds_store_b64 v1, v[114:115]
	s_wait_storecnt_dscnt 0x0
	s_barrier_signal -1
	s_barrier_wait -1
	s_wait_xcnt 0x0
	v_cmpx_gt_u32_e32 25, v0
	s_cbranch_execz .LBB118_790
; %bb.781:
	v_cmp_ne_u32_e32 vcc_lo, 1, v116
	s_cbranch_vccnz .LBB118_783
; %bb.782:
	scratch_load_b64 v[114:115], v59, off
	ds_load_b64 v[118:119], v1
	s_wait_loadcnt_dscnt 0x0
	v_pk_mul_f32 v[120:121], v[118:119], v[114:115] op_sel:[1,1] op_sel_hi:[0,1]
	s_delay_alu instid0(VALU_DEP_1) | instskip(SKIP_1) | instid1(VALU_DEP_2)
	v_pk_fma_f32 v[122:123], v[118:119], v[114:115], v[120:121] op_sel_hi:[1,0,1]
	v_pk_fma_f32 v[114:115], v[118:119], v[114:115], v[120:121] neg_lo:[0,0,1] neg_hi:[0,0,1]
	v_mov_b32_e32 v115, v123
	s_cbranch_execz .LBB118_784
	s_branch .LBB118_785
.LBB118_783:
                                        ; implicit-def: $vgpr114_vgpr115
.LBB118_784:
	ds_load_b64 v[114:115], v1
.LBB118_785:
	s_mov_b32 s4, exec_lo
	v_cmpx_ne_u32_e32 24, v0
	s_cbranch_execz .LBB118_789
; %bb.786:
	v_add_nc_u32_e32 v117, 0x1c8, v58
	v_add3_u32 v118, 0, v58, 8
	v_mov_b32_e32 v119, v0
	s_mov_b32 s5, 0
.LBB118_787:                            ; =>This Inner Loop Header: Depth=1
	scratch_load_b64 v[120:121], v118, off
	ds_load_b64 v[122:123], v117
	s_wait_xcnt 0x0
	v_dual_add_nc_u32 v117, 8, v117 :: v_dual_add_nc_u32 v118, 8, v118
	s_wait_loadcnt_dscnt 0x0
	v_pk_mul_f32 v[124:125], v[122:123], v[120:121] op_sel:[1,1] op_sel_hi:[0,1]
	s_delay_alu instid0(VALU_DEP_1) | instskip(SKIP_2) | instid1(VALU_DEP_3)
	v_pk_fma_f32 v[126:127], v[122:123], v[120:121], v[124:125] op_sel_hi:[1,0,1]
	v_add_nc_u32_e32 v119, 1, v119
	v_pk_fma_f32 v[120:121], v[122:123], v[120:121], v[124:125] neg_lo:[0,0,1] neg_hi:[0,0,1]
	v_mov_b32_e32 v121, v127
	s_delay_alu instid0(VALU_DEP_3) | instskip(NEXT) | instid1(VALU_DEP_2)
	v_cmp_lt_u32_e32 vcc_lo, 23, v119
	v_pk_add_f32 v[114:115], v[114:115], v[120:121]
	s_or_b32 s5, vcc_lo, s5
	s_delay_alu instid0(SALU_CYCLE_1)
	s_and_not1_b32 exec_lo, exec_lo, s5
	s_cbranch_execnz .LBB118_787
; %bb.788:
	s_or_b32 exec_lo, exec_lo, s5
.LBB118_789:
	s_delay_alu instid0(SALU_CYCLE_1) | instskip(SKIP_4) | instid1(VALU_DEP_1)
	s_or_b32 exec_lo, exec_lo, s4
	v_mov_b32_e32 v117, 0
	ds_load_b64 v[118:119], v117 offset:200
	s_wait_dscnt 0x0
	v_pk_mul_f32 v[120:121], v[114:115], v[118:119] op_sel:[1,1] op_sel_hi:[0,1]
	v_pk_fma_f32 v[122:123], v[114:115], v[118:119], v[120:121] op_sel_hi:[1,0,1]
	v_pk_fma_f32 v[114:115], v[114:115], v[118:119], v[120:121] neg_lo:[0,0,1] neg_hi:[0,0,1]
	s_delay_alu instid0(VALU_DEP_2)
	v_mov_b32_e32 v115, v123
	scratch_store_b64 off, v[114:115], off offset:200
.LBB118_790:
	s_wait_xcnt 0x0
	s_or_b32 exec_lo, exec_lo, s0
	scratch_load_b64 v[114:115], off, off offset:208
	s_mov_b32 s0, exec_lo
	s_wait_loadcnt 0x0
	ds_store_b64 v1, v[114:115]
	s_wait_storecnt_dscnt 0x0
	s_barrier_signal -1
	s_barrier_wait -1
	s_wait_xcnt 0x0
	v_cmpx_gt_u32_e32 26, v0
	s_cbranch_execz .LBB118_800
; %bb.791:
	v_cmp_ne_u32_e32 vcc_lo, 1, v116
	s_cbranch_vccnz .LBB118_793
; %bb.792:
	scratch_load_b64 v[114:115], v59, off
	ds_load_b64 v[118:119], v1
	s_wait_loadcnt_dscnt 0x0
	v_pk_mul_f32 v[120:121], v[118:119], v[114:115] op_sel:[1,1] op_sel_hi:[0,1]
	s_delay_alu instid0(VALU_DEP_1) | instskip(SKIP_1) | instid1(VALU_DEP_2)
	v_pk_fma_f32 v[122:123], v[118:119], v[114:115], v[120:121] op_sel_hi:[1,0,1]
	v_pk_fma_f32 v[114:115], v[118:119], v[114:115], v[120:121] neg_lo:[0,0,1] neg_hi:[0,0,1]
	v_mov_b32_e32 v115, v123
	s_cbranch_execz .LBB118_794
	s_branch .LBB118_795
.LBB118_793:
                                        ; implicit-def: $vgpr114_vgpr115
.LBB118_794:
	ds_load_b64 v[114:115], v1
.LBB118_795:
	s_mov_b32 s4, exec_lo
	v_cmpx_ne_u32_e32 25, v0
	s_cbranch_execz .LBB118_799
; %bb.796:
	v_add_nc_u32_e32 v117, 0x1c8, v58
	v_add3_u32 v118, 0, v58, 8
	v_mov_b32_e32 v119, v0
	s_mov_b32 s5, 0
.LBB118_797:                            ; =>This Inner Loop Header: Depth=1
	scratch_load_b64 v[120:121], v118, off
	ds_load_b64 v[122:123], v117
	s_wait_xcnt 0x0
	v_dual_add_nc_u32 v117, 8, v117 :: v_dual_add_nc_u32 v118, 8, v118
	s_wait_loadcnt_dscnt 0x0
	v_pk_mul_f32 v[124:125], v[122:123], v[120:121] op_sel:[1,1] op_sel_hi:[0,1]
	s_delay_alu instid0(VALU_DEP_1) | instskip(SKIP_2) | instid1(VALU_DEP_3)
	v_pk_fma_f32 v[126:127], v[122:123], v[120:121], v[124:125] op_sel_hi:[1,0,1]
	v_add_nc_u32_e32 v119, 1, v119
	v_pk_fma_f32 v[120:121], v[122:123], v[120:121], v[124:125] neg_lo:[0,0,1] neg_hi:[0,0,1]
	v_mov_b32_e32 v121, v127
	s_delay_alu instid0(VALU_DEP_3) | instskip(NEXT) | instid1(VALU_DEP_2)
	v_cmp_lt_u32_e32 vcc_lo, 24, v119
	v_pk_add_f32 v[114:115], v[114:115], v[120:121]
	s_or_b32 s5, vcc_lo, s5
	s_delay_alu instid0(SALU_CYCLE_1)
	s_and_not1_b32 exec_lo, exec_lo, s5
	s_cbranch_execnz .LBB118_797
; %bb.798:
	s_or_b32 exec_lo, exec_lo, s5
.LBB118_799:
	s_delay_alu instid0(SALU_CYCLE_1) | instskip(SKIP_4) | instid1(VALU_DEP_1)
	s_or_b32 exec_lo, exec_lo, s4
	v_mov_b32_e32 v117, 0
	ds_load_b64 v[118:119], v117 offset:208
	s_wait_dscnt 0x0
	v_pk_mul_f32 v[120:121], v[114:115], v[118:119] op_sel:[1,1] op_sel_hi:[0,1]
	v_pk_fma_f32 v[122:123], v[114:115], v[118:119], v[120:121] op_sel_hi:[1,0,1]
	v_pk_fma_f32 v[114:115], v[114:115], v[118:119], v[120:121] neg_lo:[0,0,1] neg_hi:[0,0,1]
	s_delay_alu instid0(VALU_DEP_2)
	v_mov_b32_e32 v115, v123
	scratch_store_b64 off, v[114:115], off offset:208
.LBB118_800:
	s_wait_xcnt 0x0
	s_or_b32 exec_lo, exec_lo, s0
	scratch_load_b64 v[114:115], off, off offset:216
	s_mov_b32 s0, exec_lo
	s_wait_loadcnt 0x0
	ds_store_b64 v1, v[114:115]
	s_wait_storecnt_dscnt 0x0
	s_barrier_signal -1
	s_barrier_wait -1
	s_wait_xcnt 0x0
	v_cmpx_gt_u32_e32 27, v0
	s_cbranch_execz .LBB118_810
; %bb.801:
	v_cmp_ne_u32_e32 vcc_lo, 1, v116
	s_cbranch_vccnz .LBB118_803
; %bb.802:
	scratch_load_b64 v[114:115], v59, off
	ds_load_b64 v[118:119], v1
	s_wait_loadcnt_dscnt 0x0
	v_pk_mul_f32 v[120:121], v[118:119], v[114:115] op_sel:[1,1] op_sel_hi:[0,1]
	s_delay_alu instid0(VALU_DEP_1) | instskip(SKIP_1) | instid1(VALU_DEP_2)
	v_pk_fma_f32 v[122:123], v[118:119], v[114:115], v[120:121] op_sel_hi:[1,0,1]
	v_pk_fma_f32 v[114:115], v[118:119], v[114:115], v[120:121] neg_lo:[0,0,1] neg_hi:[0,0,1]
	v_mov_b32_e32 v115, v123
	s_cbranch_execz .LBB118_804
	s_branch .LBB118_805
.LBB118_803:
                                        ; implicit-def: $vgpr114_vgpr115
.LBB118_804:
	ds_load_b64 v[114:115], v1
.LBB118_805:
	s_mov_b32 s4, exec_lo
	v_cmpx_ne_u32_e32 26, v0
	s_cbranch_execz .LBB118_809
; %bb.806:
	v_add_nc_u32_e32 v117, 0x1c8, v58
	v_add3_u32 v118, 0, v58, 8
	v_mov_b32_e32 v119, v0
	s_mov_b32 s5, 0
.LBB118_807:                            ; =>This Inner Loop Header: Depth=1
	scratch_load_b64 v[120:121], v118, off
	ds_load_b64 v[122:123], v117
	s_wait_xcnt 0x0
	v_dual_add_nc_u32 v117, 8, v117 :: v_dual_add_nc_u32 v118, 8, v118
	s_wait_loadcnt_dscnt 0x0
	v_pk_mul_f32 v[124:125], v[122:123], v[120:121] op_sel:[1,1] op_sel_hi:[0,1]
	s_delay_alu instid0(VALU_DEP_1) | instskip(SKIP_2) | instid1(VALU_DEP_3)
	v_pk_fma_f32 v[126:127], v[122:123], v[120:121], v[124:125] op_sel_hi:[1,0,1]
	v_add_nc_u32_e32 v119, 1, v119
	v_pk_fma_f32 v[120:121], v[122:123], v[120:121], v[124:125] neg_lo:[0,0,1] neg_hi:[0,0,1]
	v_mov_b32_e32 v121, v127
	s_delay_alu instid0(VALU_DEP_3) | instskip(NEXT) | instid1(VALU_DEP_2)
	v_cmp_lt_u32_e32 vcc_lo, 25, v119
	v_pk_add_f32 v[114:115], v[114:115], v[120:121]
	s_or_b32 s5, vcc_lo, s5
	s_delay_alu instid0(SALU_CYCLE_1)
	s_and_not1_b32 exec_lo, exec_lo, s5
	s_cbranch_execnz .LBB118_807
; %bb.808:
	s_or_b32 exec_lo, exec_lo, s5
.LBB118_809:
	s_delay_alu instid0(SALU_CYCLE_1) | instskip(SKIP_4) | instid1(VALU_DEP_1)
	s_or_b32 exec_lo, exec_lo, s4
	v_mov_b32_e32 v117, 0
	ds_load_b64 v[118:119], v117 offset:216
	s_wait_dscnt 0x0
	v_pk_mul_f32 v[120:121], v[114:115], v[118:119] op_sel:[1,1] op_sel_hi:[0,1]
	v_pk_fma_f32 v[122:123], v[114:115], v[118:119], v[120:121] op_sel_hi:[1,0,1]
	v_pk_fma_f32 v[114:115], v[114:115], v[118:119], v[120:121] neg_lo:[0,0,1] neg_hi:[0,0,1]
	s_delay_alu instid0(VALU_DEP_2)
	v_mov_b32_e32 v115, v123
	scratch_store_b64 off, v[114:115], off offset:216
.LBB118_810:
	s_wait_xcnt 0x0
	s_or_b32 exec_lo, exec_lo, s0
	scratch_load_b64 v[114:115], off, off offset:224
	s_mov_b32 s0, exec_lo
	s_wait_loadcnt 0x0
	ds_store_b64 v1, v[114:115]
	s_wait_storecnt_dscnt 0x0
	s_barrier_signal -1
	s_barrier_wait -1
	s_wait_xcnt 0x0
	v_cmpx_gt_u32_e32 28, v0
	s_cbranch_execz .LBB118_820
; %bb.811:
	v_cmp_ne_u32_e32 vcc_lo, 1, v116
	s_cbranch_vccnz .LBB118_813
; %bb.812:
	scratch_load_b64 v[114:115], v59, off
	ds_load_b64 v[118:119], v1
	s_wait_loadcnt_dscnt 0x0
	v_pk_mul_f32 v[120:121], v[118:119], v[114:115] op_sel:[1,1] op_sel_hi:[0,1]
	s_delay_alu instid0(VALU_DEP_1) | instskip(SKIP_1) | instid1(VALU_DEP_2)
	v_pk_fma_f32 v[122:123], v[118:119], v[114:115], v[120:121] op_sel_hi:[1,0,1]
	v_pk_fma_f32 v[114:115], v[118:119], v[114:115], v[120:121] neg_lo:[0,0,1] neg_hi:[0,0,1]
	v_mov_b32_e32 v115, v123
	s_cbranch_execz .LBB118_814
	s_branch .LBB118_815
.LBB118_813:
                                        ; implicit-def: $vgpr114_vgpr115
.LBB118_814:
	ds_load_b64 v[114:115], v1
.LBB118_815:
	s_mov_b32 s4, exec_lo
	v_cmpx_ne_u32_e32 27, v0
	s_cbranch_execz .LBB118_819
; %bb.816:
	v_add_nc_u32_e32 v117, 0x1c8, v58
	v_add3_u32 v118, 0, v58, 8
	v_mov_b32_e32 v119, v0
	s_mov_b32 s5, 0
.LBB118_817:                            ; =>This Inner Loop Header: Depth=1
	scratch_load_b64 v[120:121], v118, off
	ds_load_b64 v[122:123], v117
	s_wait_xcnt 0x0
	v_dual_add_nc_u32 v117, 8, v117 :: v_dual_add_nc_u32 v118, 8, v118
	s_wait_loadcnt_dscnt 0x0
	v_pk_mul_f32 v[124:125], v[122:123], v[120:121] op_sel:[1,1] op_sel_hi:[0,1]
	s_delay_alu instid0(VALU_DEP_1) | instskip(SKIP_2) | instid1(VALU_DEP_3)
	v_pk_fma_f32 v[126:127], v[122:123], v[120:121], v[124:125] op_sel_hi:[1,0,1]
	v_add_nc_u32_e32 v119, 1, v119
	v_pk_fma_f32 v[120:121], v[122:123], v[120:121], v[124:125] neg_lo:[0,0,1] neg_hi:[0,0,1]
	v_mov_b32_e32 v121, v127
	s_delay_alu instid0(VALU_DEP_3) | instskip(NEXT) | instid1(VALU_DEP_2)
	v_cmp_lt_u32_e32 vcc_lo, 26, v119
	v_pk_add_f32 v[114:115], v[114:115], v[120:121]
	s_or_b32 s5, vcc_lo, s5
	s_delay_alu instid0(SALU_CYCLE_1)
	s_and_not1_b32 exec_lo, exec_lo, s5
	s_cbranch_execnz .LBB118_817
; %bb.818:
	s_or_b32 exec_lo, exec_lo, s5
.LBB118_819:
	s_delay_alu instid0(SALU_CYCLE_1) | instskip(SKIP_4) | instid1(VALU_DEP_1)
	s_or_b32 exec_lo, exec_lo, s4
	v_mov_b32_e32 v117, 0
	ds_load_b64 v[118:119], v117 offset:224
	s_wait_dscnt 0x0
	v_pk_mul_f32 v[120:121], v[114:115], v[118:119] op_sel:[1,1] op_sel_hi:[0,1]
	v_pk_fma_f32 v[122:123], v[114:115], v[118:119], v[120:121] op_sel_hi:[1,0,1]
	v_pk_fma_f32 v[114:115], v[114:115], v[118:119], v[120:121] neg_lo:[0,0,1] neg_hi:[0,0,1]
	s_delay_alu instid0(VALU_DEP_2)
	v_mov_b32_e32 v115, v123
	scratch_store_b64 off, v[114:115], off offset:224
.LBB118_820:
	s_wait_xcnt 0x0
	s_or_b32 exec_lo, exec_lo, s0
	scratch_load_b64 v[114:115], off, off offset:232
	s_mov_b32 s0, exec_lo
	s_wait_loadcnt 0x0
	ds_store_b64 v1, v[114:115]
	s_wait_storecnt_dscnt 0x0
	s_barrier_signal -1
	s_barrier_wait -1
	s_wait_xcnt 0x0
	v_cmpx_gt_u32_e32 29, v0
	s_cbranch_execz .LBB118_830
; %bb.821:
	v_cmp_ne_u32_e32 vcc_lo, 1, v116
	s_cbranch_vccnz .LBB118_823
; %bb.822:
	scratch_load_b64 v[114:115], v59, off
	ds_load_b64 v[118:119], v1
	s_wait_loadcnt_dscnt 0x0
	v_pk_mul_f32 v[120:121], v[118:119], v[114:115] op_sel:[1,1] op_sel_hi:[0,1]
	s_delay_alu instid0(VALU_DEP_1) | instskip(SKIP_1) | instid1(VALU_DEP_2)
	v_pk_fma_f32 v[122:123], v[118:119], v[114:115], v[120:121] op_sel_hi:[1,0,1]
	v_pk_fma_f32 v[114:115], v[118:119], v[114:115], v[120:121] neg_lo:[0,0,1] neg_hi:[0,0,1]
	v_mov_b32_e32 v115, v123
	s_cbranch_execz .LBB118_824
	s_branch .LBB118_825
.LBB118_823:
                                        ; implicit-def: $vgpr114_vgpr115
.LBB118_824:
	ds_load_b64 v[114:115], v1
.LBB118_825:
	s_mov_b32 s4, exec_lo
	v_cmpx_ne_u32_e32 28, v0
	s_cbranch_execz .LBB118_829
; %bb.826:
	v_add_nc_u32_e32 v117, 0x1c8, v58
	v_add3_u32 v118, 0, v58, 8
	v_mov_b32_e32 v119, v0
	s_mov_b32 s5, 0
.LBB118_827:                            ; =>This Inner Loop Header: Depth=1
	scratch_load_b64 v[120:121], v118, off
	ds_load_b64 v[122:123], v117
	s_wait_xcnt 0x0
	v_dual_add_nc_u32 v117, 8, v117 :: v_dual_add_nc_u32 v118, 8, v118
	s_wait_loadcnt_dscnt 0x0
	v_pk_mul_f32 v[124:125], v[122:123], v[120:121] op_sel:[1,1] op_sel_hi:[0,1]
	s_delay_alu instid0(VALU_DEP_1) | instskip(SKIP_2) | instid1(VALU_DEP_3)
	v_pk_fma_f32 v[126:127], v[122:123], v[120:121], v[124:125] op_sel_hi:[1,0,1]
	v_add_nc_u32_e32 v119, 1, v119
	v_pk_fma_f32 v[120:121], v[122:123], v[120:121], v[124:125] neg_lo:[0,0,1] neg_hi:[0,0,1]
	v_mov_b32_e32 v121, v127
	s_delay_alu instid0(VALU_DEP_3) | instskip(NEXT) | instid1(VALU_DEP_2)
	v_cmp_lt_u32_e32 vcc_lo, 27, v119
	v_pk_add_f32 v[114:115], v[114:115], v[120:121]
	s_or_b32 s5, vcc_lo, s5
	s_delay_alu instid0(SALU_CYCLE_1)
	s_and_not1_b32 exec_lo, exec_lo, s5
	s_cbranch_execnz .LBB118_827
; %bb.828:
	s_or_b32 exec_lo, exec_lo, s5
.LBB118_829:
	s_delay_alu instid0(SALU_CYCLE_1) | instskip(SKIP_4) | instid1(VALU_DEP_1)
	s_or_b32 exec_lo, exec_lo, s4
	v_mov_b32_e32 v117, 0
	ds_load_b64 v[118:119], v117 offset:232
	s_wait_dscnt 0x0
	v_pk_mul_f32 v[120:121], v[114:115], v[118:119] op_sel:[1,1] op_sel_hi:[0,1]
	v_pk_fma_f32 v[122:123], v[114:115], v[118:119], v[120:121] op_sel_hi:[1,0,1]
	v_pk_fma_f32 v[114:115], v[114:115], v[118:119], v[120:121] neg_lo:[0,0,1] neg_hi:[0,0,1]
	s_delay_alu instid0(VALU_DEP_2)
	v_mov_b32_e32 v115, v123
	scratch_store_b64 off, v[114:115], off offset:232
.LBB118_830:
	s_wait_xcnt 0x0
	s_or_b32 exec_lo, exec_lo, s0
	scratch_load_b64 v[114:115], off, off offset:240
	s_mov_b32 s0, exec_lo
	s_wait_loadcnt 0x0
	ds_store_b64 v1, v[114:115]
	s_wait_storecnt_dscnt 0x0
	s_barrier_signal -1
	s_barrier_wait -1
	s_wait_xcnt 0x0
	v_cmpx_gt_u32_e32 30, v0
	s_cbranch_execz .LBB118_840
; %bb.831:
	v_cmp_ne_u32_e32 vcc_lo, 1, v116
	s_cbranch_vccnz .LBB118_833
; %bb.832:
	scratch_load_b64 v[114:115], v59, off
	ds_load_b64 v[118:119], v1
	s_wait_loadcnt_dscnt 0x0
	v_pk_mul_f32 v[120:121], v[118:119], v[114:115] op_sel:[1,1] op_sel_hi:[0,1]
	s_delay_alu instid0(VALU_DEP_1) | instskip(SKIP_1) | instid1(VALU_DEP_2)
	v_pk_fma_f32 v[122:123], v[118:119], v[114:115], v[120:121] op_sel_hi:[1,0,1]
	v_pk_fma_f32 v[114:115], v[118:119], v[114:115], v[120:121] neg_lo:[0,0,1] neg_hi:[0,0,1]
	v_mov_b32_e32 v115, v123
	s_cbranch_execz .LBB118_834
	s_branch .LBB118_835
.LBB118_833:
                                        ; implicit-def: $vgpr114_vgpr115
.LBB118_834:
	ds_load_b64 v[114:115], v1
.LBB118_835:
	s_mov_b32 s4, exec_lo
	v_cmpx_ne_u32_e32 29, v0
	s_cbranch_execz .LBB118_839
; %bb.836:
	v_add_nc_u32_e32 v117, 0x1c8, v58
	v_add3_u32 v118, 0, v58, 8
	v_mov_b32_e32 v119, v0
	s_mov_b32 s5, 0
.LBB118_837:                            ; =>This Inner Loop Header: Depth=1
	scratch_load_b64 v[120:121], v118, off
	ds_load_b64 v[122:123], v117
	s_wait_xcnt 0x0
	v_dual_add_nc_u32 v117, 8, v117 :: v_dual_add_nc_u32 v118, 8, v118
	s_wait_loadcnt_dscnt 0x0
	v_pk_mul_f32 v[124:125], v[122:123], v[120:121] op_sel:[1,1] op_sel_hi:[0,1]
	s_delay_alu instid0(VALU_DEP_1) | instskip(SKIP_2) | instid1(VALU_DEP_3)
	v_pk_fma_f32 v[126:127], v[122:123], v[120:121], v[124:125] op_sel_hi:[1,0,1]
	v_add_nc_u32_e32 v119, 1, v119
	v_pk_fma_f32 v[120:121], v[122:123], v[120:121], v[124:125] neg_lo:[0,0,1] neg_hi:[0,0,1]
	v_mov_b32_e32 v121, v127
	s_delay_alu instid0(VALU_DEP_3) | instskip(NEXT) | instid1(VALU_DEP_2)
	v_cmp_lt_u32_e32 vcc_lo, 28, v119
	v_pk_add_f32 v[114:115], v[114:115], v[120:121]
	s_or_b32 s5, vcc_lo, s5
	s_delay_alu instid0(SALU_CYCLE_1)
	s_and_not1_b32 exec_lo, exec_lo, s5
	s_cbranch_execnz .LBB118_837
; %bb.838:
	s_or_b32 exec_lo, exec_lo, s5
.LBB118_839:
	s_delay_alu instid0(SALU_CYCLE_1) | instskip(SKIP_4) | instid1(VALU_DEP_1)
	s_or_b32 exec_lo, exec_lo, s4
	v_mov_b32_e32 v117, 0
	ds_load_b64 v[118:119], v117 offset:240
	s_wait_dscnt 0x0
	v_pk_mul_f32 v[120:121], v[114:115], v[118:119] op_sel:[1,1] op_sel_hi:[0,1]
	v_pk_fma_f32 v[122:123], v[114:115], v[118:119], v[120:121] op_sel_hi:[1,0,1]
	v_pk_fma_f32 v[114:115], v[114:115], v[118:119], v[120:121] neg_lo:[0,0,1] neg_hi:[0,0,1]
	s_delay_alu instid0(VALU_DEP_2)
	v_mov_b32_e32 v115, v123
	scratch_store_b64 off, v[114:115], off offset:240
.LBB118_840:
	s_wait_xcnt 0x0
	s_or_b32 exec_lo, exec_lo, s0
	scratch_load_b64 v[114:115], off, off offset:248
	s_mov_b32 s0, exec_lo
	s_wait_loadcnt 0x0
	ds_store_b64 v1, v[114:115]
	s_wait_storecnt_dscnt 0x0
	s_barrier_signal -1
	s_barrier_wait -1
	s_wait_xcnt 0x0
	v_cmpx_gt_u32_e32 31, v0
	s_cbranch_execz .LBB118_850
; %bb.841:
	v_cmp_ne_u32_e32 vcc_lo, 1, v116
	s_cbranch_vccnz .LBB118_843
; %bb.842:
	scratch_load_b64 v[114:115], v59, off
	ds_load_b64 v[118:119], v1
	s_wait_loadcnt_dscnt 0x0
	v_pk_mul_f32 v[120:121], v[118:119], v[114:115] op_sel:[1,1] op_sel_hi:[0,1]
	s_delay_alu instid0(VALU_DEP_1) | instskip(SKIP_1) | instid1(VALU_DEP_2)
	v_pk_fma_f32 v[122:123], v[118:119], v[114:115], v[120:121] op_sel_hi:[1,0,1]
	v_pk_fma_f32 v[114:115], v[118:119], v[114:115], v[120:121] neg_lo:[0,0,1] neg_hi:[0,0,1]
	v_mov_b32_e32 v115, v123
	s_cbranch_execz .LBB118_844
	s_branch .LBB118_845
.LBB118_843:
                                        ; implicit-def: $vgpr114_vgpr115
.LBB118_844:
	ds_load_b64 v[114:115], v1
.LBB118_845:
	s_mov_b32 s4, exec_lo
	v_cmpx_ne_u32_e32 30, v0
	s_cbranch_execz .LBB118_849
; %bb.846:
	v_add_nc_u32_e32 v117, 0x1c8, v58
	v_add3_u32 v118, 0, v58, 8
	v_mov_b32_e32 v119, v0
	s_mov_b32 s5, 0
.LBB118_847:                            ; =>This Inner Loop Header: Depth=1
	scratch_load_b64 v[120:121], v118, off
	ds_load_b64 v[122:123], v117
	s_wait_xcnt 0x0
	v_dual_add_nc_u32 v117, 8, v117 :: v_dual_add_nc_u32 v118, 8, v118
	s_wait_loadcnt_dscnt 0x0
	v_pk_mul_f32 v[124:125], v[122:123], v[120:121] op_sel:[1,1] op_sel_hi:[0,1]
	s_delay_alu instid0(VALU_DEP_1) | instskip(SKIP_2) | instid1(VALU_DEP_3)
	v_pk_fma_f32 v[126:127], v[122:123], v[120:121], v[124:125] op_sel_hi:[1,0,1]
	v_add_nc_u32_e32 v119, 1, v119
	v_pk_fma_f32 v[120:121], v[122:123], v[120:121], v[124:125] neg_lo:[0,0,1] neg_hi:[0,0,1]
	v_mov_b32_e32 v121, v127
	s_delay_alu instid0(VALU_DEP_3) | instskip(NEXT) | instid1(VALU_DEP_2)
	v_cmp_lt_u32_e32 vcc_lo, 29, v119
	v_pk_add_f32 v[114:115], v[114:115], v[120:121]
	s_or_b32 s5, vcc_lo, s5
	s_delay_alu instid0(SALU_CYCLE_1)
	s_and_not1_b32 exec_lo, exec_lo, s5
	s_cbranch_execnz .LBB118_847
; %bb.848:
	s_or_b32 exec_lo, exec_lo, s5
.LBB118_849:
	s_delay_alu instid0(SALU_CYCLE_1) | instskip(SKIP_4) | instid1(VALU_DEP_1)
	s_or_b32 exec_lo, exec_lo, s4
	v_mov_b32_e32 v117, 0
	ds_load_b64 v[118:119], v117 offset:248
	s_wait_dscnt 0x0
	v_pk_mul_f32 v[120:121], v[114:115], v[118:119] op_sel:[1,1] op_sel_hi:[0,1]
	v_pk_fma_f32 v[122:123], v[114:115], v[118:119], v[120:121] op_sel_hi:[1,0,1]
	v_pk_fma_f32 v[114:115], v[114:115], v[118:119], v[120:121] neg_lo:[0,0,1] neg_hi:[0,0,1]
	s_delay_alu instid0(VALU_DEP_2)
	v_mov_b32_e32 v115, v123
	scratch_store_b64 off, v[114:115], off offset:248
.LBB118_850:
	s_wait_xcnt 0x0
	s_or_b32 exec_lo, exec_lo, s0
	scratch_load_b64 v[114:115], off, off offset:256
	s_mov_b32 s0, exec_lo
	s_wait_loadcnt 0x0
	ds_store_b64 v1, v[114:115]
	s_wait_storecnt_dscnt 0x0
	s_barrier_signal -1
	s_barrier_wait -1
	s_wait_xcnt 0x0
	v_cmpx_gt_u32_e32 32, v0
	s_cbranch_execz .LBB118_860
; %bb.851:
	v_cmp_ne_u32_e32 vcc_lo, 1, v116
	s_cbranch_vccnz .LBB118_853
; %bb.852:
	scratch_load_b64 v[114:115], v59, off
	ds_load_b64 v[118:119], v1
	s_wait_loadcnt_dscnt 0x0
	v_pk_mul_f32 v[120:121], v[118:119], v[114:115] op_sel:[1,1] op_sel_hi:[0,1]
	s_delay_alu instid0(VALU_DEP_1) | instskip(SKIP_1) | instid1(VALU_DEP_2)
	v_pk_fma_f32 v[122:123], v[118:119], v[114:115], v[120:121] op_sel_hi:[1,0,1]
	v_pk_fma_f32 v[114:115], v[118:119], v[114:115], v[120:121] neg_lo:[0,0,1] neg_hi:[0,0,1]
	v_mov_b32_e32 v115, v123
	s_cbranch_execz .LBB118_854
	s_branch .LBB118_855
.LBB118_853:
                                        ; implicit-def: $vgpr114_vgpr115
.LBB118_854:
	ds_load_b64 v[114:115], v1
.LBB118_855:
	s_mov_b32 s4, exec_lo
	v_cmpx_ne_u32_e32 31, v0
	s_cbranch_execz .LBB118_859
; %bb.856:
	v_add_nc_u32_e32 v117, 0x1c8, v58
	v_add3_u32 v118, 0, v58, 8
	v_mov_b32_e32 v119, v0
	s_mov_b32 s5, 0
.LBB118_857:                            ; =>This Inner Loop Header: Depth=1
	scratch_load_b64 v[120:121], v118, off
	ds_load_b64 v[122:123], v117
	s_wait_xcnt 0x0
	v_dual_add_nc_u32 v117, 8, v117 :: v_dual_add_nc_u32 v118, 8, v118
	s_wait_loadcnt_dscnt 0x0
	v_pk_mul_f32 v[124:125], v[122:123], v[120:121] op_sel:[1,1] op_sel_hi:[0,1]
	s_delay_alu instid0(VALU_DEP_1) | instskip(SKIP_2) | instid1(VALU_DEP_3)
	v_pk_fma_f32 v[126:127], v[122:123], v[120:121], v[124:125] op_sel_hi:[1,0,1]
	v_add_nc_u32_e32 v119, 1, v119
	v_pk_fma_f32 v[120:121], v[122:123], v[120:121], v[124:125] neg_lo:[0,0,1] neg_hi:[0,0,1]
	v_mov_b32_e32 v121, v127
	s_delay_alu instid0(VALU_DEP_3) | instskip(NEXT) | instid1(VALU_DEP_2)
	v_cmp_lt_u32_e32 vcc_lo, 30, v119
	v_pk_add_f32 v[114:115], v[114:115], v[120:121]
	s_or_b32 s5, vcc_lo, s5
	s_delay_alu instid0(SALU_CYCLE_1)
	s_and_not1_b32 exec_lo, exec_lo, s5
	s_cbranch_execnz .LBB118_857
; %bb.858:
	s_or_b32 exec_lo, exec_lo, s5
.LBB118_859:
	s_delay_alu instid0(SALU_CYCLE_1) | instskip(SKIP_4) | instid1(VALU_DEP_1)
	s_or_b32 exec_lo, exec_lo, s4
	v_mov_b32_e32 v117, 0
	ds_load_b64 v[118:119], v117 offset:256
	s_wait_dscnt 0x0
	v_pk_mul_f32 v[120:121], v[114:115], v[118:119] op_sel:[1,1] op_sel_hi:[0,1]
	v_pk_fma_f32 v[122:123], v[114:115], v[118:119], v[120:121] op_sel_hi:[1,0,1]
	v_pk_fma_f32 v[114:115], v[114:115], v[118:119], v[120:121] neg_lo:[0,0,1] neg_hi:[0,0,1]
	s_delay_alu instid0(VALU_DEP_2)
	v_mov_b32_e32 v115, v123
	scratch_store_b64 off, v[114:115], off offset:256
.LBB118_860:
	s_wait_xcnt 0x0
	s_or_b32 exec_lo, exec_lo, s0
	scratch_load_b64 v[114:115], off, off offset:264
	s_mov_b32 s0, exec_lo
	s_wait_loadcnt 0x0
	ds_store_b64 v1, v[114:115]
	s_wait_storecnt_dscnt 0x0
	s_barrier_signal -1
	s_barrier_wait -1
	s_wait_xcnt 0x0
	v_cmpx_gt_u32_e32 33, v0
	s_cbranch_execz .LBB118_870
; %bb.861:
	v_cmp_ne_u32_e32 vcc_lo, 1, v116
	s_cbranch_vccnz .LBB118_863
; %bb.862:
	scratch_load_b64 v[114:115], v59, off
	ds_load_b64 v[118:119], v1
	s_wait_loadcnt_dscnt 0x0
	v_pk_mul_f32 v[120:121], v[118:119], v[114:115] op_sel:[1,1] op_sel_hi:[0,1]
	s_delay_alu instid0(VALU_DEP_1) | instskip(SKIP_1) | instid1(VALU_DEP_2)
	v_pk_fma_f32 v[122:123], v[118:119], v[114:115], v[120:121] op_sel_hi:[1,0,1]
	v_pk_fma_f32 v[114:115], v[118:119], v[114:115], v[120:121] neg_lo:[0,0,1] neg_hi:[0,0,1]
	v_mov_b32_e32 v115, v123
	s_cbranch_execz .LBB118_864
	s_branch .LBB118_865
.LBB118_863:
                                        ; implicit-def: $vgpr114_vgpr115
.LBB118_864:
	ds_load_b64 v[114:115], v1
.LBB118_865:
	s_mov_b32 s4, exec_lo
	v_cmpx_ne_u32_e32 32, v0
	s_cbranch_execz .LBB118_869
; %bb.866:
	v_add_nc_u32_e32 v117, 0x1c8, v58
	v_add3_u32 v118, 0, v58, 8
	v_mov_b32_e32 v119, v0
	s_mov_b32 s5, 0
.LBB118_867:                            ; =>This Inner Loop Header: Depth=1
	scratch_load_b64 v[120:121], v118, off
	ds_load_b64 v[122:123], v117
	s_wait_xcnt 0x0
	v_dual_add_nc_u32 v117, 8, v117 :: v_dual_add_nc_u32 v118, 8, v118
	s_wait_loadcnt_dscnt 0x0
	v_pk_mul_f32 v[124:125], v[122:123], v[120:121] op_sel:[1,1] op_sel_hi:[0,1]
	s_delay_alu instid0(VALU_DEP_1) | instskip(SKIP_2) | instid1(VALU_DEP_3)
	v_pk_fma_f32 v[126:127], v[122:123], v[120:121], v[124:125] op_sel_hi:[1,0,1]
	v_add_nc_u32_e32 v119, 1, v119
	v_pk_fma_f32 v[120:121], v[122:123], v[120:121], v[124:125] neg_lo:[0,0,1] neg_hi:[0,0,1]
	v_mov_b32_e32 v121, v127
	s_delay_alu instid0(VALU_DEP_3) | instskip(NEXT) | instid1(VALU_DEP_2)
	v_cmp_lt_u32_e32 vcc_lo, 31, v119
	v_pk_add_f32 v[114:115], v[114:115], v[120:121]
	s_or_b32 s5, vcc_lo, s5
	s_delay_alu instid0(SALU_CYCLE_1)
	s_and_not1_b32 exec_lo, exec_lo, s5
	s_cbranch_execnz .LBB118_867
; %bb.868:
	s_or_b32 exec_lo, exec_lo, s5
.LBB118_869:
	s_delay_alu instid0(SALU_CYCLE_1) | instskip(SKIP_4) | instid1(VALU_DEP_1)
	s_or_b32 exec_lo, exec_lo, s4
	v_mov_b32_e32 v117, 0
	ds_load_b64 v[118:119], v117 offset:264
	s_wait_dscnt 0x0
	v_pk_mul_f32 v[120:121], v[114:115], v[118:119] op_sel:[1,1] op_sel_hi:[0,1]
	v_pk_fma_f32 v[122:123], v[114:115], v[118:119], v[120:121] op_sel_hi:[1,0,1]
	v_pk_fma_f32 v[114:115], v[114:115], v[118:119], v[120:121] neg_lo:[0,0,1] neg_hi:[0,0,1]
	s_delay_alu instid0(VALU_DEP_2)
	v_mov_b32_e32 v115, v123
	scratch_store_b64 off, v[114:115], off offset:264
.LBB118_870:
	s_wait_xcnt 0x0
	s_or_b32 exec_lo, exec_lo, s0
	scratch_load_b64 v[114:115], off, off offset:272
	s_mov_b32 s0, exec_lo
	s_wait_loadcnt 0x0
	ds_store_b64 v1, v[114:115]
	s_wait_storecnt_dscnt 0x0
	s_barrier_signal -1
	s_barrier_wait -1
	s_wait_xcnt 0x0
	v_cmpx_gt_u32_e32 34, v0
	s_cbranch_execz .LBB118_880
; %bb.871:
	v_cmp_ne_u32_e32 vcc_lo, 1, v116
	s_cbranch_vccnz .LBB118_873
; %bb.872:
	scratch_load_b64 v[114:115], v59, off
	ds_load_b64 v[118:119], v1
	s_wait_loadcnt_dscnt 0x0
	v_pk_mul_f32 v[120:121], v[118:119], v[114:115] op_sel:[1,1] op_sel_hi:[0,1]
	s_delay_alu instid0(VALU_DEP_1) | instskip(SKIP_1) | instid1(VALU_DEP_2)
	v_pk_fma_f32 v[122:123], v[118:119], v[114:115], v[120:121] op_sel_hi:[1,0,1]
	v_pk_fma_f32 v[114:115], v[118:119], v[114:115], v[120:121] neg_lo:[0,0,1] neg_hi:[0,0,1]
	v_mov_b32_e32 v115, v123
	s_cbranch_execz .LBB118_874
	s_branch .LBB118_875
.LBB118_873:
                                        ; implicit-def: $vgpr114_vgpr115
.LBB118_874:
	ds_load_b64 v[114:115], v1
.LBB118_875:
	s_mov_b32 s4, exec_lo
	v_cmpx_ne_u32_e32 33, v0
	s_cbranch_execz .LBB118_879
; %bb.876:
	v_add_nc_u32_e32 v117, 0x1c8, v58
	v_add3_u32 v118, 0, v58, 8
	v_mov_b32_e32 v119, v0
	s_mov_b32 s5, 0
.LBB118_877:                            ; =>This Inner Loop Header: Depth=1
	scratch_load_b64 v[120:121], v118, off
	ds_load_b64 v[122:123], v117
	s_wait_xcnt 0x0
	v_dual_add_nc_u32 v117, 8, v117 :: v_dual_add_nc_u32 v118, 8, v118
	s_wait_loadcnt_dscnt 0x0
	v_pk_mul_f32 v[124:125], v[122:123], v[120:121] op_sel:[1,1] op_sel_hi:[0,1]
	s_delay_alu instid0(VALU_DEP_1) | instskip(SKIP_2) | instid1(VALU_DEP_3)
	v_pk_fma_f32 v[126:127], v[122:123], v[120:121], v[124:125] op_sel_hi:[1,0,1]
	v_add_nc_u32_e32 v119, 1, v119
	v_pk_fma_f32 v[120:121], v[122:123], v[120:121], v[124:125] neg_lo:[0,0,1] neg_hi:[0,0,1]
	v_mov_b32_e32 v121, v127
	s_delay_alu instid0(VALU_DEP_3) | instskip(NEXT) | instid1(VALU_DEP_2)
	v_cmp_lt_u32_e32 vcc_lo, 32, v119
	v_pk_add_f32 v[114:115], v[114:115], v[120:121]
	s_or_b32 s5, vcc_lo, s5
	s_delay_alu instid0(SALU_CYCLE_1)
	s_and_not1_b32 exec_lo, exec_lo, s5
	s_cbranch_execnz .LBB118_877
; %bb.878:
	s_or_b32 exec_lo, exec_lo, s5
.LBB118_879:
	s_delay_alu instid0(SALU_CYCLE_1) | instskip(SKIP_4) | instid1(VALU_DEP_1)
	s_or_b32 exec_lo, exec_lo, s4
	v_mov_b32_e32 v117, 0
	ds_load_b64 v[118:119], v117 offset:272
	s_wait_dscnt 0x0
	v_pk_mul_f32 v[120:121], v[114:115], v[118:119] op_sel:[1,1] op_sel_hi:[0,1]
	v_pk_fma_f32 v[122:123], v[114:115], v[118:119], v[120:121] op_sel_hi:[1,0,1]
	v_pk_fma_f32 v[114:115], v[114:115], v[118:119], v[120:121] neg_lo:[0,0,1] neg_hi:[0,0,1]
	s_delay_alu instid0(VALU_DEP_2)
	v_mov_b32_e32 v115, v123
	scratch_store_b64 off, v[114:115], off offset:272
.LBB118_880:
	s_wait_xcnt 0x0
	s_or_b32 exec_lo, exec_lo, s0
	scratch_load_b64 v[114:115], off, off offset:280
	s_mov_b32 s0, exec_lo
	s_wait_loadcnt 0x0
	ds_store_b64 v1, v[114:115]
	s_wait_storecnt_dscnt 0x0
	s_barrier_signal -1
	s_barrier_wait -1
	s_wait_xcnt 0x0
	v_cmpx_gt_u32_e32 35, v0
	s_cbranch_execz .LBB118_890
; %bb.881:
	v_cmp_ne_u32_e32 vcc_lo, 1, v116
	s_cbranch_vccnz .LBB118_883
; %bb.882:
	scratch_load_b64 v[114:115], v59, off
	ds_load_b64 v[118:119], v1
	s_wait_loadcnt_dscnt 0x0
	v_pk_mul_f32 v[120:121], v[118:119], v[114:115] op_sel:[1,1] op_sel_hi:[0,1]
	s_delay_alu instid0(VALU_DEP_1) | instskip(SKIP_1) | instid1(VALU_DEP_2)
	v_pk_fma_f32 v[122:123], v[118:119], v[114:115], v[120:121] op_sel_hi:[1,0,1]
	v_pk_fma_f32 v[114:115], v[118:119], v[114:115], v[120:121] neg_lo:[0,0,1] neg_hi:[0,0,1]
	v_mov_b32_e32 v115, v123
	s_cbranch_execz .LBB118_884
	s_branch .LBB118_885
.LBB118_883:
                                        ; implicit-def: $vgpr114_vgpr115
.LBB118_884:
	ds_load_b64 v[114:115], v1
.LBB118_885:
	s_mov_b32 s4, exec_lo
	v_cmpx_ne_u32_e32 34, v0
	s_cbranch_execz .LBB118_889
; %bb.886:
	v_add_nc_u32_e32 v117, 0x1c8, v58
	v_add3_u32 v118, 0, v58, 8
	v_mov_b32_e32 v119, v0
	s_mov_b32 s5, 0
.LBB118_887:                            ; =>This Inner Loop Header: Depth=1
	scratch_load_b64 v[120:121], v118, off
	ds_load_b64 v[122:123], v117
	s_wait_xcnt 0x0
	v_dual_add_nc_u32 v117, 8, v117 :: v_dual_add_nc_u32 v118, 8, v118
	s_wait_loadcnt_dscnt 0x0
	v_pk_mul_f32 v[124:125], v[122:123], v[120:121] op_sel:[1,1] op_sel_hi:[0,1]
	s_delay_alu instid0(VALU_DEP_1) | instskip(SKIP_2) | instid1(VALU_DEP_3)
	v_pk_fma_f32 v[126:127], v[122:123], v[120:121], v[124:125] op_sel_hi:[1,0,1]
	v_add_nc_u32_e32 v119, 1, v119
	v_pk_fma_f32 v[120:121], v[122:123], v[120:121], v[124:125] neg_lo:[0,0,1] neg_hi:[0,0,1]
	v_mov_b32_e32 v121, v127
	s_delay_alu instid0(VALU_DEP_3) | instskip(NEXT) | instid1(VALU_DEP_2)
	v_cmp_lt_u32_e32 vcc_lo, 33, v119
	v_pk_add_f32 v[114:115], v[114:115], v[120:121]
	s_or_b32 s5, vcc_lo, s5
	s_delay_alu instid0(SALU_CYCLE_1)
	s_and_not1_b32 exec_lo, exec_lo, s5
	s_cbranch_execnz .LBB118_887
; %bb.888:
	s_or_b32 exec_lo, exec_lo, s5
.LBB118_889:
	s_delay_alu instid0(SALU_CYCLE_1) | instskip(SKIP_4) | instid1(VALU_DEP_1)
	s_or_b32 exec_lo, exec_lo, s4
	v_mov_b32_e32 v117, 0
	ds_load_b64 v[118:119], v117 offset:280
	s_wait_dscnt 0x0
	v_pk_mul_f32 v[120:121], v[114:115], v[118:119] op_sel:[1,1] op_sel_hi:[0,1]
	v_pk_fma_f32 v[122:123], v[114:115], v[118:119], v[120:121] op_sel_hi:[1,0,1]
	v_pk_fma_f32 v[114:115], v[114:115], v[118:119], v[120:121] neg_lo:[0,0,1] neg_hi:[0,0,1]
	s_delay_alu instid0(VALU_DEP_2)
	v_mov_b32_e32 v115, v123
	scratch_store_b64 off, v[114:115], off offset:280
.LBB118_890:
	s_wait_xcnt 0x0
	s_or_b32 exec_lo, exec_lo, s0
	scratch_load_b64 v[114:115], off, off offset:288
	s_mov_b32 s0, exec_lo
	s_wait_loadcnt 0x0
	ds_store_b64 v1, v[114:115]
	s_wait_storecnt_dscnt 0x0
	s_barrier_signal -1
	s_barrier_wait -1
	s_wait_xcnt 0x0
	v_cmpx_gt_u32_e32 36, v0
	s_cbranch_execz .LBB118_900
; %bb.891:
	v_cmp_ne_u32_e32 vcc_lo, 1, v116
	s_cbranch_vccnz .LBB118_893
; %bb.892:
	scratch_load_b64 v[114:115], v59, off
	ds_load_b64 v[118:119], v1
	s_wait_loadcnt_dscnt 0x0
	v_pk_mul_f32 v[120:121], v[118:119], v[114:115] op_sel:[1,1] op_sel_hi:[0,1]
	s_delay_alu instid0(VALU_DEP_1) | instskip(SKIP_1) | instid1(VALU_DEP_2)
	v_pk_fma_f32 v[122:123], v[118:119], v[114:115], v[120:121] op_sel_hi:[1,0,1]
	v_pk_fma_f32 v[114:115], v[118:119], v[114:115], v[120:121] neg_lo:[0,0,1] neg_hi:[0,0,1]
	v_mov_b32_e32 v115, v123
	s_cbranch_execz .LBB118_894
	s_branch .LBB118_895
.LBB118_893:
                                        ; implicit-def: $vgpr114_vgpr115
.LBB118_894:
	ds_load_b64 v[114:115], v1
.LBB118_895:
	s_mov_b32 s4, exec_lo
	v_cmpx_ne_u32_e32 35, v0
	s_cbranch_execz .LBB118_899
; %bb.896:
	v_add_nc_u32_e32 v117, 0x1c8, v58
	v_add3_u32 v118, 0, v58, 8
	v_mov_b32_e32 v119, v0
	s_mov_b32 s5, 0
.LBB118_897:                            ; =>This Inner Loop Header: Depth=1
	scratch_load_b64 v[120:121], v118, off
	ds_load_b64 v[122:123], v117
	s_wait_xcnt 0x0
	v_dual_add_nc_u32 v117, 8, v117 :: v_dual_add_nc_u32 v118, 8, v118
	s_wait_loadcnt_dscnt 0x0
	v_pk_mul_f32 v[124:125], v[122:123], v[120:121] op_sel:[1,1] op_sel_hi:[0,1]
	s_delay_alu instid0(VALU_DEP_1) | instskip(SKIP_2) | instid1(VALU_DEP_3)
	v_pk_fma_f32 v[126:127], v[122:123], v[120:121], v[124:125] op_sel_hi:[1,0,1]
	v_add_nc_u32_e32 v119, 1, v119
	v_pk_fma_f32 v[120:121], v[122:123], v[120:121], v[124:125] neg_lo:[0,0,1] neg_hi:[0,0,1]
	v_mov_b32_e32 v121, v127
	s_delay_alu instid0(VALU_DEP_3) | instskip(NEXT) | instid1(VALU_DEP_2)
	v_cmp_lt_u32_e32 vcc_lo, 34, v119
	v_pk_add_f32 v[114:115], v[114:115], v[120:121]
	s_or_b32 s5, vcc_lo, s5
	s_delay_alu instid0(SALU_CYCLE_1)
	s_and_not1_b32 exec_lo, exec_lo, s5
	s_cbranch_execnz .LBB118_897
; %bb.898:
	s_or_b32 exec_lo, exec_lo, s5
.LBB118_899:
	s_delay_alu instid0(SALU_CYCLE_1) | instskip(SKIP_4) | instid1(VALU_DEP_1)
	s_or_b32 exec_lo, exec_lo, s4
	v_mov_b32_e32 v117, 0
	ds_load_b64 v[118:119], v117 offset:288
	s_wait_dscnt 0x0
	v_pk_mul_f32 v[120:121], v[114:115], v[118:119] op_sel:[1,1] op_sel_hi:[0,1]
	v_pk_fma_f32 v[122:123], v[114:115], v[118:119], v[120:121] op_sel_hi:[1,0,1]
	v_pk_fma_f32 v[114:115], v[114:115], v[118:119], v[120:121] neg_lo:[0,0,1] neg_hi:[0,0,1]
	s_delay_alu instid0(VALU_DEP_2)
	v_mov_b32_e32 v115, v123
	scratch_store_b64 off, v[114:115], off offset:288
.LBB118_900:
	s_wait_xcnt 0x0
	s_or_b32 exec_lo, exec_lo, s0
	scratch_load_b64 v[114:115], off, off offset:296
	s_mov_b32 s0, exec_lo
	s_wait_loadcnt 0x0
	ds_store_b64 v1, v[114:115]
	s_wait_storecnt_dscnt 0x0
	s_barrier_signal -1
	s_barrier_wait -1
	s_wait_xcnt 0x0
	v_cmpx_gt_u32_e32 37, v0
	s_cbranch_execz .LBB118_910
; %bb.901:
	v_cmp_ne_u32_e32 vcc_lo, 1, v116
	s_cbranch_vccnz .LBB118_903
; %bb.902:
	scratch_load_b64 v[114:115], v59, off
	ds_load_b64 v[118:119], v1
	s_wait_loadcnt_dscnt 0x0
	v_pk_mul_f32 v[120:121], v[118:119], v[114:115] op_sel:[1,1] op_sel_hi:[0,1]
	s_delay_alu instid0(VALU_DEP_1) | instskip(SKIP_1) | instid1(VALU_DEP_2)
	v_pk_fma_f32 v[122:123], v[118:119], v[114:115], v[120:121] op_sel_hi:[1,0,1]
	v_pk_fma_f32 v[114:115], v[118:119], v[114:115], v[120:121] neg_lo:[0,0,1] neg_hi:[0,0,1]
	v_mov_b32_e32 v115, v123
	s_cbranch_execz .LBB118_904
	s_branch .LBB118_905
.LBB118_903:
                                        ; implicit-def: $vgpr114_vgpr115
.LBB118_904:
	ds_load_b64 v[114:115], v1
.LBB118_905:
	s_mov_b32 s4, exec_lo
	v_cmpx_ne_u32_e32 36, v0
	s_cbranch_execz .LBB118_909
; %bb.906:
	v_add_nc_u32_e32 v117, 0x1c8, v58
	v_add3_u32 v118, 0, v58, 8
	v_mov_b32_e32 v119, v0
	s_mov_b32 s5, 0
.LBB118_907:                            ; =>This Inner Loop Header: Depth=1
	scratch_load_b64 v[120:121], v118, off
	ds_load_b64 v[122:123], v117
	s_wait_xcnt 0x0
	v_dual_add_nc_u32 v117, 8, v117 :: v_dual_add_nc_u32 v118, 8, v118
	s_wait_loadcnt_dscnt 0x0
	v_pk_mul_f32 v[124:125], v[122:123], v[120:121] op_sel:[1,1] op_sel_hi:[0,1]
	s_delay_alu instid0(VALU_DEP_1) | instskip(SKIP_2) | instid1(VALU_DEP_3)
	v_pk_fma_f32 v[126:127], v[122:123], v[120:121], v[124:125] op_sel_hi:[1,0,1]
	v_add_nc_u32_e32 v119, 1, v119
	v_pk_fma_f32 v[120:121], v[122:123], v[120:121], v[124:125] neg_lo:[0,0,1] neg_hi:[0,0,1]
	v_mov_b32_e32 v121, v127
	s_delay_alu instid0(VALU_DEP_3) | instskip(NEXT) | instid1(VALU_DEP_2)
	v_cmp_lt_u32_e32 vcc_lo, 35, v119
	v_pk_add_f32 v[114:115], v[114:115], v[120:121]
	s_or_b32 s5, vcc_lo, s5
	s_delay_alu instid0(SALU_CYCLE_1)
	s_and_not1_b32 exec_lo, exec_lo, s5
	s_cbranch_execnz .LBB118_907
; %bb.908:
	s_or_b32 exec_lo, exec_lo, s5
.LBB118_909:
	s_delay_alu instid0(SALU_CYCLE_1) | instskip(SKIP_4) | instid1(VALU_DEP_1)
	s_or_b32 exec_lo, exec_lo, s4
	v_mov_b32_e32 v117, 0
	ds_load_b64 v[118:119], v117 offset:296
	s_wait_dscnt 0x0
	v_pk_mul_f32 v[120:121], v[114:115], v[118:119] op_sel:[1,1] op_sel_hi:[0,1]
	v_pk_fma_f32 v[122:123], v[114:115], v[118:119], v[120:121] op_sel_hi:[1,0,1]
	v_pk_fma_f32 v[114:115], v[114:115], v[118:119], v[120:121] neg_lo:[0,0,1] neg_hi:[0,0,1]
	s_delay_alu instid0(VALU_DEP_2)
	v_mov_b32_e32 v115, v123
	scratch_store_b64 off, v[114:115], off offset:296
.LBB118_910:
	s_wait_xcnt 0x0
	s_or_b32 exec_lo, exec_lo, s0
	scratch_load_b64 v[114:115], off, off offset:304
	s_mov_b32 s0, exec_lo
	s_wait_loadcnt 0x0
	ds_store_b64 v1, v[114:115]
	s_wait_storecnt_dscnt 0x0
	s_barrier_signal -1
	s_barrier_wait -1
	s_wait_xcnt 0x0
	v_cmpx_gt_u32_e32 38, v0
	s_cbranch_execz .LBB118_920
; %bb.911:
	v_cmp_ne_u32_e32 vcc_lo, 1, v116
	s_cbranch_vccnz .LBB118_913
; %bb.912:
	scratch_load_b64 v[114:115], v59, off
	ds_load_b64 v[118:119], v1
	s_wait_loadcnt_dscnt 0x0
	v_pk_mul_f32 v[120:121], v[118:119], v[114:115] op_sel:[1,1] op_sel_hi:[0,1]
	s_delay_alu instid0(VALU_DEP_1) | instskip(SKIP_1) | instid1(VALU_DEP_2)
	v_pk_fma_f32 v[122:123], v[118:119], v[114:115], v[120:121] op_sel_hi:[1,0,1]
	v_pk_fma_f32 v[114:115], v[118:119], v[114:115], v[120:121] neg_lo:[0,0,1] neg_hi:[0,0,1]
	v_mov_b32_e32 v115, v123
	s_cbranch_execz .LBB118_914
	s_branch .LBB118_915
.LBB118_913:
                                        ; implicit-def: $vgpr114_vgpr115
.LBB118_914:
	ds_load_b64 v[114:115], v1
.LBB118_915:
	s_mov_b32 s4, exec_lo
	v_cmpx_ne_u32_e32 37, v0
	s_cbranch_execz .LBB118_919
; %bb.916:
	v_add_nc_u32_e32 v117, 0x1c8, v58
	v_add3_u32 v118, 0, v58, 8
	v_mov_b32_e32 v119, v0
	s_mov_b32 s5, 0
.LBB118_917:                            ; =>This Inner Loop Header: Depth=1
	scratch_load_b64 v[120:121], v118, off
	ds_load_b64 v[122:123], v117
	s_wait_xcnt 0x0
	v_dual_add_nc_u32 v117, 8, v117 :: v_dual_add_nc_u32 v118, 8, v118
	s_wait_loadcnt_dscnt 0x0
	v_pk_mul_f32 v[124:125], v[122:123], v[120:121] op_sel:[1,1] op_sel_hi:[0,1]
	s_delay_alu instid0(VALU_DEP_1) | instskip(SKIP_2) | instid1(VALU_DEP_3)
	v_pk_fma_f32 v[126:127], v[122:123], v[120:121], v[124:125] op_sel_hi:[1,0,1]
	v_add_nc_u32_e32 v119, 1, v119
	v_pk_fma_f32 v[120:121], v[122:123], v[120:121], v[124:125] neg_lo:[0,0,1] neg_hi:[0,0,1]
	v_mov_b32_e32 v121, v127
	s_delay_alu instid0(VALU_DEP_3) | instskip(NEXT) | instid1(VALU_DEP_2)
	v_cmp_lt_u32_e32 vcc_lo, 36, v119
	v_pk_add_f32 v[114:115], v[114:115], v[120:121]
	s_or_b32 s5, vcc_lo, s5
	s_delay_alu instid0(SALU_CYCLE_1)
	s_and_not1_b32 exec_lo, exec_lo, s5
	s_cbranch_execnz .LBB118_917
; %bb.918:
	s_or_b32 exec_lo, exec_lo, s5
.LBB118_919:
	s_delay_alu instid0(SALU_CYCLE_1) | instskip(SKIP_4) | instid1(VALU_DEP_1)
	s_or_b32 exec_lo, exec_lo, s4
	v_mov_b32_e32 v117, 0
	ds_load_b64 v[118:119], v117 offset:304
	s_wait_dscnt 0x0
	v_pk_mul_f32 v[120:121], v[114:115], v[118:119] op_sel:[1,1] op_sel_hi:[0,1]
	v_pk_fma_f32 v[122:123], v[114:115], v[118:119], v[120:121] op_sel_hi:[1,0,1]
	v_pk_fma_f32 v[114:115], v[114:115], v[118:119], v[120:121] neg_lo:[0,0,1] neg_hi:[0,0,1]
	s_delay_alu instid0(VALU_DEP_2)
	v_mov_b32_e32 v115, v123
	scratch_store_b64 off, v[114:115], off offset:304
.LBB118_920:
	s_wait_xcnt 0x0
	s_or_b32 exec_lo, exec_lo, s0
	scratch_load_b64 v[114:115], off, off offset:312
	s_mov_b32 s0, exec_lo
	s_wait_loadcnt 0x0
	ds_store_b64 v1, v[114:115]
	s_wait_storecnt_dscnt 0x0
	s_barrier_signal -1
	s_barrier_wait -1
	s_wait_xcnt 0x0
	v_cmpx_gt_u32_e32 39, v0
	s_cbranch_execz .LBB118_930
; %bb.921:
	v_cmp_ne_u32_e32 vcc_lo, 1, v116
	s_cbranch_vccnz .LBB118_923
; %bb.922:
	scratch_load_b64 v[114:115], v59, off
	ds_load_b64 v[118:119], v1
	s_wait_loadcnt_dscnt 0x0
	v_pk_mul_f32 v[120:121], v[118:119], v[114:115] op_sel:[1,1] op_sel_hi:[0,1]
	s_delay_alu instid0(VALU_DEP_1) | instskip(SKIP_1) | instid1(VALU_DEP_2)
	v_pk_fma_f32 v[122:123], v[118:119], v[114:115], v[120:121] op_sel_hi:[1,0,1]
	v_pk_fma_f32 v[114:115], v[118:119], v[114:115], v[120:121] neg_lo:[0,0,1] neg_hi:[0,0,1]
	v_mov_b32_e32 v115, v123
	s_cbranch_execz .LBB118_924
	s_branch .LBB118_925
.LBB118_923:
                                        ; implicit-def: $vgpr114_vgpr115
.LBB118_924:
	ds_load_b64 v[114:115], v1
.LBB118_925:
	s_mov_b32 s4, exec_lo
	v_cmpx_ne_u32_e32 38, v0
	s_cbranch_execz .LBB118_929
; %bb.926:
	v_add_nc_u32_e32 v117, 0x1c8, v58
	v_add3_u32 v118, 0, v58, 8
	v_mov_b32_e32 v119, v0
	s_mov_b32 s5, 0
.LBB118_927:                            ; =>This Inner Loop Header: Depth=1
	scratch_load_b64 v[120:121], v118, off
	ds_load_b64 v[122:123], v117
	s_wait_xcnt 0x0
	v_dual_add_nc_u32 v117, 8, v117 :: v_dual_add_nc_u32 v118, 8, v118
	s_wait_loadcnt_dscnt 0x0
	v_pk_mul_f32 v[124:125], v[122:123], v[120:121] op_sel:[1,1] op_sel_hi:[0,1]
	s_delay_alu instid0(VALU_DEP_1) | instskip(SKIP_2) | instid1(VALU_DEP_3)
	v_pk_fma_f32 v[126:127], v[122:123], v[120:121], v[124:125] op_sel_hi:[1,0,1]
	v_add_nc_u32_e32 v119, 1, v119
	v_pk_fma_f32 v[120:121], v[122:123], v[120:121], v[124:125] neg_lo:[0,0,1] neg_hi:[0,0,1]
	v_mov_b32_e32 v121, v127
	s_delay_alu instid0(VALU_DEP_3) | instskip(NEXT) | instid1(VALU_DEP_2)
	v_cmp_lt_u32_e32 vcc_lo, 37, v119
	v_pk_add_f32 v[114:115], v[114:115], v[120:121]
	s_or_b32 s5, vcc_lo, s5
	s_delay_alu instid0(SALU_CYCLE_1)
	s_and_not1_b32 exec_lo, exec_lo, s5
	s_cbranch_execnz .LBB118_927
; %bb.928:
	s_or_b32 exec_lo, exec_lo, s5
.LBB118_929:
	s_delay_alu instid0(SALU_CYCLE_1) | instskip(SKIP_4) | instid1(VALU_DEP_1)
	s_or_b32 exec_lo, exec_lo, s4
	v_mov_b32_e32 v117, 0
	ds_load_b64 v[118:119], v117 offset:312
	s_wait_dscnt 0x0
	v_pk_mul_f32 v[120:121], v[114:115], v[118:119] op_sel:[1,1] op_sel_hi:[0,1]
	v_pk_fma_f32 v[122:123], v[114:115], v[118:119], v[120:121] op_sel_hi:[1,0,1]
	v_pk_fma_f32 v[114:115], v[114:115], v[118:119], v[120:121] neg_lo:[0,0,1] neg_hi:[0,0,1]
	s_delay_alu instid0(VALU_DEP_2)
	v_mov_b32_e32 v115, v123
	scratch_store_b64 off, v[114:115], off offset:312
.LBB118_930:
	s_wait_xcnt 0x0
	s_or_b32 exec_lo, exec_lo, s0
	scratch_load_b64 v[114:115], off, off offset:320
	s_mov_b32 s0, exec_lo
	s_wait_loadcnt 0x0
	ds_store_b64 v1, v[114:115]
	s_wait_storecnt_dscnt 0x0
	s_barrier_signal -1
	s_barrier_wait -1
	s_wait_xcnt 0x0
	v_cmpx_gt_u32_e32 40, v0
	s_cbranch_execz .LBB118_940
; %bb.931:
	v_cmp_ne_u32_e32 vcc_lo, 1, v116
	s_cbranch_vccnz .LBB118_933
; %bb.932:
	scratch_load_b64 v[114:115], v59, off
	ds_load_b64 v[118:119], v1
	s_wait_loadcnt_dscnt 0x0
	v_pk_mul_f32 v[120:121], v[118:119], v[114:115] op_sel:[1,1] op_sel_hi:[0,1]
	s_delay_alu instid0(VALU_DEP_1) | instskip(SKIP_1) | instid1(VALU_DEP_2)
	v_pk_fma_f32 v[122:123], v[118:119], v[114:115], v[120:121] op_sel_hi:[1,0,1]
	v_pk_fma_f32 v[114:115], v[118:119], v[114:115], v[120:121] neg_lo:[0,0,1] neg_hi:[0,0,1]
	v_mov_b32_e32 v115, v123
	s_cbranch_execz .LBB118_934
	s_branch .LBB118_935
.LBB118_933:
                                        ; implicit-def: $vgpr114_vgpr115
.LBB118_934:
	ds_load_b64 v[114:115], v1
.LBB118_935:
	s_mov_b32 s4, exec_lo
	v_cmpx_ne_u32_e32 39, v0
	s_cbranch_execz .LBB118_939
; %bb.936:
	v_add_nc_u32_e32 v117, 0x1c8, v58
	v_add3_u32 v118, 0, v58, 8
	v_mov_b32_e32 v119, v0
	s_mov_b32 s5, 0
.LBB118_937:                            ; =>This Inner Loop Header: Depth=1
	scratch_load_b64 v[120:121], v118, off
	ds_load_b64 v[122:123], v117
	s_wait_xcnt 0x0
	v_dual_add_nc_u32 v117, 8, v117 :: v_dual_add_nc_u32 v118, 8, v118
	s_wait_loadcnt_dscnt 0x0
	v_pk_mul_f32 v[124:125], v[122:123], v[120:121] op_sel:[1,1] op_sel_hi:[0,1]
	s_delay_alu instid0(VALU_DEP_1) | instskip(SKIP_2) | instid1(VALU_DEP_3)
	v_pk_fma_f32 v[126:127], v[122:123], v[120:121], v[124:125] op_sel_hi:[1,0,1]
	v_add_nc_u32_e32 v119, 1, v119
	v_pk_fma_f32 v[120:121], v[122:123], v[120:121], v[124:125] neg_lo:[0,0,1] neg_hi:[0,0,1]
	v_mov_b32_e32 v121, v127
	s_delay_alu instid0(VALU_DEP_3) | instskip(NEXT) | instid1(VALU_DEP_2)
	v_cmp_lt_u32_e32 vcc_lo, 38, v119
	v_pk_add_f32 v[114:115], v[114:115], v[120:121]
	s_or_b32 s5, vcc_lo, s5
	s_delay_alu instid0(SALU_CYCLE_1)
	s_and_not1_b32 exec_lo, exec_lo, s5
	s_cbranch_execnz .LBB118_937
; %bb.938:
	s_or_b32 exec_lo, exec_lo, s5
.LBB118_939:
	s_delay_alu instid0(SALU_CYCLE_1) | instskip(SKIP_4) | instid1(VALU_DEP_1)
	s_or_b32 exec_lo, exec_lo, s4
	v_mov_b32_e32 v117, 0
	ds_load_b64 v[118:119], v117 offset:320
	s_wait_dscnt 0x0
	v_pk_mul_f32 v[120:121], v[114:115], v[118:119] op_sel:[1,1] op_sel_hi:[0,1]
	v_pk_fma_f32 v[122:123], v[114:115], v[118:119], v[120:121] op_sel_hi:[1,0,1]
	v_pk_fma_f32 v[114:115], v[114:115], v[118:119], v[120:121] neg_lo:[0,0,1] neg_hi:[0,0,1]
	s_delay_alu instid0(VALU_DEP_2)
	v_mov_b32_e32 v115, v123
	scratch_store_b64 off, v[114:115], off offset:320
.LBB118_940:
	s_wait_xcnt 0x0
	s_or_b32 exec_lo, exec_lo, s0
	scratch_load_b64 v[114:115], off, off offset:328
	s_mov_b32 s0, exec_lo
	s_wait_loadcnt 0x0
	ds_store_b64 v1, v[114:115]
	s_wait_storecnt_dscnt 0x0
	s_barrier_signal -1
	s_barrier_wait -1
	s_wait_xcnt 0x0
	v_cmpx_gt_u32_e32 41, v0
	s_cbranch_execz .LBB118_950
; %bb.941:
	v_cmp_ne_u32_e32 vcc_lo, 1, v116
	s_cbranch_vccnz .LBB118_943
; %bb.942:
	scratch_load_b64 v[114:115], v59, off
	ds_load_b64 v[118:119], v1
	s_wait_loadcnt_dscnt 0x0
	v_pk_mul_f32 v[120:121], v[118:119], v[114:115] op_sel:[1,1] op_sel_hi:[0,1]
	s_delay_alu instid0(VALU_DEP_1) | instskip(SKIP_1) | instid1(VALU_DEP_2)
	v_pk_fma_f32 v[122:123], v[118:119], v[114:115], v[120:121] op_sel_hi:[1,0,1]
	v_pk_fma_f32 v[114:115], v[118:119], v[114:115], v[120:121] neg_lo:[0,0,1] neg_hi:[0,0,1]
	v_mov_b32_e32 v115, v123
	s_cbranch_execz .LBB118_944
	s_branch .LBB118_945
.LBB118_943:
                                        ; implicit-def: $vgpr114_vgpr115
.LBB118_944:
	ds_load_b64 v[114:115], v1
.LBB118_945:
	s_mov_b32 s4, exec_lo
	v_cmpx_ne_u32_e32 40, v0
	s_cbranch_execz .LBB118_949
; %bb.946:
	v_add_nc_u32_e32 v117, 0x1c8, v58
	v_add3_u32 v118, 0, v58, 8
	v_mov_b32_e32 v119, v0
	s_mov_b32 s5, 0
.LBB118_947:                            ; =>This Inner Loop Header: Depth=1
	scratch_load_b64 v[120:121], v118, off
	ds_load_b64 v[122:123], v117
	s_wait_xcnt 0x0
	v_dual_add_nc_u32 v117, 8, v117 :: v_dual_add_nc_u32 v118, 8, v118
	s_wait_loadcnt_dscnt 0x0
	v_pk_mul_f32 v[124:125], v[122:123], v[120:121] op_sel:[1,1] op_sel_hi:[0,1]
	s_delay_alu instid0(VALU_DEP_1) | instskip(SKIP_2) | instid1(VALU_DEP_3)
	v_pk_fma_f32 v[126:127], v[122:123], v[120:121], v[124:125] op_sel_hi:[1,0,1]
	v_add_nc_u32_e32 v119, 1, v119
	v_pk_fma_f32 v[120:121], v[122:123], v[120:121], v[124:125] neg_lo:[0,0,1] neg_hi:[0,0,1]
	v_mov_b32_e32 v121, v127
	s_delay_alu instid0(VALU_DEP_3) | instskip(NEXT) | instid1(VALU_DEP_2)
	v_cmp_lt_u32_e32 vcc_lo, 39, v119
	v_pk_add_f32 v[114:115], v[114:115], v[120:121]
	s_or_b32 s5, vcc_lo, s5
	s_delay_alu instid0(SALU_CYCLE_1)
	s_and_not1_b32 exec_lo, exec_lo, s5
	s_cbranch_execnz .LBB118_947
; %bb.948:
	s_or_b32 exec_lo, exec_lo, s5
.LBB118_949:
	s_delay_alu instid0(SALU_CYCLE_1) | instskip(SKIP_4) | instid1(VALU_DEP_1)
	s_or_b32 exec_lo, exec_lo, s4
	v_mov_b32_e32 v117, 0
	ds_load_b64 v[118:119], v117 offset:328
	s_wait_dscnt 0x0
	v_pk_mul_f32 v[120:121], v[114:115], v[118:119] op_sel:[1,1] op_sel_hi:[0,1]
	v_pk_fma_f32 v[122:123], v[114:115], v[118:119], v[120:121] op_sel_hi:[1,0,1]
	v_pk_fma_f32 v[114:115], v[114:115], v[118:119], v[120:121] neg_lo:[0,0,1] neg_hi:[0,0,1]
	s_delay_alu instid0(VALU_DEP_2)
	v_mov_b32_e32 v115, v123
	scratch_store_b64 off, v[114:115], off offset:328
.LBB118_950:
	s_wait_xcnt 0x0
	s_or_b32 exec_lo, exec_lo, s0
	scratch_load_b64 v[114:115], off, off offset:336
	s_mov_b32 s0, exec_lo
	s_wait_loadcnt 0x0
	ds_store_b64 v1, v[114:115]
	s_wait_storecnt_dscnt 0x0
	s_barrier_signal -1
	s_barrier_wait -1
	s_wait_xcnt 0x0
	v_cmpx_gt_u32_e32 42, v0
	s_cbranch_execz .LBB118_960
; %bb.951:
	v_cmp_ne_u32_e32 vcc_lo, 1, v116
	s_cbranch_vccnz .LBB118_953
; %bb.952:
	scratch_load_b64 v[114:115], v59, off
	ds_load_b64 v[118:119], v1
	s_wait_loadcnt_dscnt 0x0
	v_pk_mul_f32 v[120:121], v[118:119], v[114:115] op_sel:[1,1] op_sel_hi:[0,1]
	s_delay_alu instid0(VALU_DEP_1) | instskip(SKIP_1) | instid1(VALU_DEP_2)
	v_pk_fma_f32 v[122:123], v[118:119], v[114:115], v[120:121] op_sel_hi:[1,0,1]
	v_pk_fma_f32 v[114:115], v[118:119], v[114:115], v[120:121] neg_lo:[0,0,1] neg_hi:[0,0,1]
	v_mov_b32_e32 v115, v123
	s_cbranch_execz .LBB118_954
	s_branch .LBB118_955
.LBB118_953:
                                        ; implicit-def: $vgpr114_vgpr115
.LBB118_954:
	ds_load_b64 v[114:115], v1
.LBB118_955:
	s_mov_b32 s4, exec_lo
	v_cmpx_ne_u32_e32 41, v0
	s_cbranch_execz .LBB118_959
; %bb.956:
	v_add_nc_u32_e32 v117, 0x1c8, v58
	v_add3_u32 v118, 0, v58, 8
	v_mov_b32_e32 v119, v0
	s_mov_b32 s5, 0
.LBB118_957:                            ; =>This Inner Loop Header: Depth=1
	scratch_load_b64 v[120:121], v118, off
	ds_load_b64 v[122:123], v117
	s_wait_xcnt 0x0
	v_dual_add_nc_u32 v117, 8, v117 :: v_dual_add_nc_u32 v118, 8, v118
	s_wait_loadcnt_dscnt 0x0
	v_pk_mul_f32 v[124:125], v[122:123], v[120:121] op_sel:[1,1] op_sel_hi:[0,1]
	s_delay_alu instid0(VALU_DEP_1) | instskip(SKIP_2) | instid1(VALU_DEP_3)
	v_pk_fma_f32 v[126:127], v[122:123], v[120:121], v[124:125] op_sel_hi:[1,0,1]
	v_add_nc_u32_e32 v119, 1, v119
	v_pk_fma_f32 v[120:121], v[122:123], v[120:121], v[124:125] neg_lo:[0,0,1] neg_hi:[0,0,1]
	v_mov_b32_e32 v121, v127
	s_delay_alu instid0(VALU_DEP_3) | instskip(NEXT) | instid1(VALU_DEP_2)
	v_cmp_lt_u32_e32 vcc_lo, 40, v119
	v_pk_add_f32 v[114:115], v[114:115], v[120:121]
	s_or_b32 s5, vcc_lo, s5
	s_delay_alu instid0(SALU_CYCLE_1)
	s_and_not1_b32 exec_lo, exec_lo, s5
	s_cbranch_execnz .LBB118_957
; %bb.958:
	s_or_b32 exec_lo, exec_lo, s5
.LBB118_959:
	s_delay_alu instid0(SALU_CYCLE_1) | instskip(SKIP_4) | instid1(VALU_DEP_1)
	s_or_b32 exec_lo, exec_lo, s4
	v_mov_b32_e32 v117, 0
	ds_load_b64 v[118:119], v117 offset:336
	s_wait_dscnt 0x0
	v_pk_mul_f32 v[120:121], v[114:115], v[118:119] op_sel:[1,1] op_sel_hi:[0,1]
	v_pk_fma_f32 v[122:123], v[114:115], v[118:119], v[120:121] op_sel_hi:[1,0,1]
	v_pk_fma_f32 v[114:115], v[114:115], v[118:119], v[120:121] neg_lo:[0,0,1] neg_hi:[0,0,1]
	s_delay_alu instid0(VALU_DEP_2)
	v_mov_b32_e32 v115, v123
	scratch_store_b64 off, v[114:115], off offset:336
.LBB118_960:
	s_wait_xcnt 0x0
	s_or_b32 exec_lo, exec_lo, s0
	scratch_load_b64 v[114:115], off, off offset:344
	s_mov_b32 s0, exec_lo
	s_wait_loadcnt 0x0
	ds_store_b64 v1, v[114:115]
	s_wait_storecnt_dscnt 0x0
	s_barrier_signal -1
	s_barrier_wait -1
	s_wait_xcnt 0x0
	v_cmpx_gt_u32_e32 43, v0
	s_cbranch_execz .LBB118_970
; %bb.961:
	v_cmp_ne_u32_e32 vcc_lo, 1, v116
	s_cbranch_vccnz .LBB118_963
; %bb.962:
	scratch_load_b64 v[114:115], v59, off
	ds_load_b64 v[118:119], v1
	s_wait_loadcnt_dscnt 0x0
	v_pk_mul_f32 v[120:121], v[118:119], v[114:115] op_sel:[1,1] op_sel_hi:[0,1]
	s_delay_alu instid0(VALU_DEP_1) | instskip(SKIP_1) | instid1(VALU_DEP_2)
	v_pk_fma_f32 v[122:123], v[118:119], v[114:115], v[120:121] op_sel_hi:[1,0,1]
	v_pk_fma_f32 v[114:115], v[118:119], v[114:115], v[120:121] neg_lo:[0,0,1] neg_hi:[0,0,1]
	v_mov_b32_e32 v115, v123
	s_cbranch_execz .LBB118_964
	s_branch .LBB118_965
.LBB118_963:
                                        ; implicit-def: $vgpr114_vgpr115
.LBB118_964:
	ds_load_b64 v[114:115], v1
.LBB118_965:
	s_mov_b32 s4, exec_lo
	v_cmpx_ne_u32_e32 42, v0
	s_cbranch_execz .LBB118_969
; %bb.966:
	v_add_nc_u32_e32 v117, 0x1c8, v58
	v_add3_u32 v118, 0, v58, 8
	v_mov_b32_e32 v119, v0
	s_mov_b32 s5, 0
.LBB118_967:                            ; =>This Inner Loop Header: Depth=1
	scratch_load_b64 v[120:121], v118, off
	ds_load_b64 v[122:123], v117
	s_wait_xcnt 0x0
	v_dual_add_nc_u32 v117, 8, v117 :: v_dual_add_nc_u32 v118, 8, v118
	s_wait_loadcnt_dscnt 0x0
	v_pk_mul_f32 v[124:125], v[122:123], v[120:121] op_sel:[1,1] op_sel_hi:[0,1]
	s_delay_alu instid0(VALU_DEP_1) | instskip(SKIP_2) | instid1(VALU_DEP_3)
	v_pk_fma_f32 v[126:127], v[122:123], v[120:121], v[124:125] op_sel_hi:[1,0,1]
	v_add_nc_u32_e32 v119, 1, v119
	v_pk_fma_f32 v[120:121], v[122:123], v[120:121], v[124:125] neg_lo:[0,0,1] neg_hi:[0,0,1]
	v_mov_b32_e32 v121, v127
	s_delay_alu instid0(VALU_DEP_3) | instskip(NEXT) | instid1(VALU_DEP_2)
	v_cmp_lt_u32_e32 vcc_lo, 41, v119
	v_pk_add_f32 v[114:115], v[114:115], v[120:121]
	s_or_b32 s5, vcc_lo, s5
	s_delay_alu instid0(SALU_CYCLE_1)
	s_and_not1_b32 exec_lo, exec_lo, s5
	s_cbranch_execnz .LBB118_967
; %bb.968:
	s_or_b32 exec_lo, exec_lo, s5
.LBB118_969:
	s_delay_alu instid0(SALU_CYCLE_1) | instskip(SKIP_4) | instid1(VALU_DEP_1)
	s_or_b32 exec_lo, exec_lo, s4
	v_mov_b32_e32 v117, 0
	ds_load_b64 v[118:119], v117 offset:344
	s_wait_dscnt 0x0
	v_pk_mul_f32 v[120:121], v[114:115], v[118:119] op_sel:[1,1] op_sel_hi:[0,1]
	v_pk_fma_f32 v[122:123], v[114:115], v[118:119], v[120:121] op_sel_hi:[1,0,1]
	v_pk_fma_f32 v[114:115], v[114:115], v[118:119], v[120:121] neg_lo:[0,0,1] neg_hi:[0,0,1]
	s_delay_alu instid0(VALU_DEP_2)
	v_mov_b32_e32 v115, v123
	scratch_store_b64 off, v[114:115], off offset:344
.LBB118_970:
	s_wait_xcnt 0x0
	s_or_b32 exec_lo, exec_lo, s0
	scratch_load_b64 v[114:115], off, off offset:352
	s_mov_b32 s0, exec_lo
	s_wait_loadcnt 0x0
	ds_store_b64 v1, v[114:115]
	s_wait_storecnt_dscnt 0x0
	s_barrier_signal -1
	s_barrier_wait -1
	s_wait_xcnt 0x0
	v_cmpx_gt_u32_e32 44, v0
	s_cbranch_execz .LBB118_980
; %bb.971:
	v_cmp_ne_u32_e32 vcc_lo, 1, v116
	s_cbranch_vccnz .LBB118_973
; %bb.972:
	scratch_load_b64 v[114:115], v59, off
	ds_load_b64 v[118:119], v1
	s_wait_loadcnt_dscnt 0x0
	v_pk_mul_f32 v[120:121], v[118:119], v[114:115] op_sel:[1,1] op_sel_hi:[0,1]
	s_delay_alu instid0(VALU_DEP_1) | instskip(SKIP_1) | instid1(VALU_DEP_2)
	v_pk_fma_f32 v[122:123], v[118:119], v[114:115], v[120:121] op_sel_hi:[1,0,1]
	v_pk_fma_f32 v[114:115], v[118:119], v[114:115], v[120:121] neg_lo:[0,0,1] neg_hi:[0,0,1]
	v_mov_b32_e32 v115, v123
	s_cbranch_execz .LBB118_974
	s_branch .LBB118_975
.LBB118_973:
                                        ; implicit-def: $vgpr114_vgpr115
.LBB118_974:
	ds_load_b64 v[114:115], v1
.LBB118_975:
	s_mov_b32 s4, exec_lo
	v_cmpx_ne_u32_e32 43, v0
	s_cbranch_execz .LBB118_979
; %bb.976:
	v_add_nc_u32_e32 v117, 0x1c8, v58
	v_add3_u32 v118, 0, v58, 8
	v_mov_b32_e32 v119, v0
	s_mov_b32 s5, 0
.LBB118_977:                            ; =>This Inner Loop Header: Depth=1
	scratch_load_b64 v[120:121], v118, off
	ds_load_b64 v[122:123], v117
	s_wait_xcnt 0x0
	v_dual_add_nc_u32 v117, 8, v117 :: v_dual_add_nc_u32 v118, 8, v118
	s_wait_loadcnt_dscnt 0x0
	v_pk_mul_f32 v[124:125], v[122:123], v[120:121] op_sel:[1,1] op_sel_hi:[0,1]
	s_delay_alu instid0(VALU_DEP_1) | instskip(SKIP_2) | instid1(VALU_DEP_3)
	v_pk_fma_f32 v[126:127], v[122:123], v[120:121], v[124:125] op_sel_hi:[1,0,1]
	v_add_nc_u32_e32 v119, 1, v119
	v_pk_fma_f32 v[120:121], v[122:123], v[120:121], v[124:125] neg_lo:[0,0,1] neg_hi:[0,0,1]
	v_mov_b32_e32 v121, v127
	s_delay_alu instid0(VALU_DEP_3) | instskip(NEXT) | instid1(VALU_DEP_2)
	v_cmp_lt_u32_e32 vcc_lo, 42, v119
	v_pk_add_f32 v[114:115], v[114:115], v[120:121]
	s_or_b32 s5, vcc_lo, s5
	s_delay_alu instid0(SALU_CYCLE_1)
	s_and_not1_b32 exec_lo, exec_lo, s5
	s_cbranch_execnz .LBB118_977
; %bb.978:
	s_or_b32 exec_lo, exec_lo, s5
.LBB118_979:
	s_delay_alu instid0(SALU_CYCLE_1) | instskip(SKIP_4) | instid1(VALU_DEP_1)
	s_or_b32 exec_lo, exec_lo, s4
	v_mov_b32_e32 v117, 0
	ds_load_b64 v[118:119], v117 offset:352
	s_wait_dscnt 0x0
	v_pk_mul_f32 v[120:121], v[114:115], v[118:119] op_sel:[1,1] op_sel_hi:[0,1]
	v_pk_fma_f32 v[122:123], v[114:115], v[118:119], v[120:121] op_sel_hi:[1,0,1]
	v_pk_fma_f32 v[114:115], v[114:115], v[118:119], v[120:121] neg_lo:[0,0,1] neg_hi:[0,0,1]
	s_delay_alu instid0(VALU_DEP_2)
	v_mov_b32_e32 v115, v123
	scratch_store_b64 off, v[114:115], off offset:352
.LBB118_980:
	s_wait_xcnt 0x0
	s_or_b32 exec_lo, exec_lo, s0
	scratch_load_b64 v[114:115], off, off offset:360
	s_mov_b32 s0, exec_lo
	s_wait_loadcnt 0x0
	ds_store_b64 v1, v[114:115]
	s_wait_storecnt_dscnt 0x0
	s_barrier_signal -1
	s_barrier_wait -1
	s_wait_xcnt 0x0
	v_cmpx_gt_u32_e32 45, v0
	s_cbranch_execz .LBB118_990
; %bb.981:
	v_cmp_ne_u32_e32 vcc_lo, 1, v116
	s_cbranch_vccnz .LBB118_983
; %bb.982:
	scratch_load_b64 v[114:115], v59, off
	ds_load_b64 v[118:119], v1
	s_wait_loadcnt_dscnt 0x0
	v_pk_mul_f32 v[120:121], v[118:119], v[114:115] op_sel:[1,1] op_sel_hi:[0,1]
	s_delay_alu instid0(VALU_DEP_1) | instskip(SKIP_1) | instid1(VALU_DEP_2)
	v_pk_fma_f32 v[122:123], v[118:119], v[114:115], v[120:121] op_sel_hi:[1,0,1]
	v_pk_fma_f32 v[114:115], v[118:119], v[114:115], v[120:121] neg_lo:[0,0,1] neg_hi:[0,0,1]
	v_mov_b32_e32 v115, v123
	s_cbranch_execz .LBB118_984
	s_branch .LBB118_985
.LBB118_983:
                                        ; implicit-def: $vgpr114_vgpr115
.LBB118_984:
	ds_load_b64 v[114:115], v1
.LBB118_985:
	s_mov_b32 s4, exec_lo
	v_cmpx_ne_u32_e32 44, v0
	s_cbranch_execz .LBB118_989
; %bb.986:
	v_add_nc_u32_e32 v117, 0x1c8, v58
	v_add3_u32 v118, 0, v58, 8
	v_mov_b32_e32 v119, v0
	s_mov_b32 s5, 0
.LBB118_987:                            ; =>This Inner Loop Header: Depth=1
	scratch_load_b64 v[120:121], v118, off
	ds_load_b64 v[122:123], v117
	s_wait_xcnt 0x0
	v_dual_add_nc_u32 v117, 8, v117 :: v_dual_add_nc_u32 v118, 8, v118
	s_wait_loadcnt_dscnt 0x0
	v_pk_mul_f32 v[124:125], v[122:123], v[120:121] op_sel:[1,1] op_sel_hi:[0,1]
	s_delay_alu instid0(VALU_DEP_1) | instskip(SKIP_2) | instid1(VALU_DEP_3)
	v_pk_fma_f32 v[126:127], v[122:123], v[120:121], v[124:125] op_sel_hi:[1,0,1]
	v_add_nc_u32_e32 v119, 1, v119
	v_pk_fma_f32 v[120:121], v[122:123], v[120:121], v[124:125] neg_lo:[0,0,1] neg_hi:[0,0,1]
	v_mov_b32_e32 v121, v127
	s_delay_alu instid0(VALU_DEP_3) | instskip(NEXT) | instid1(VALU_DEP_2)
	v_cmp_lt_u32_e32 vcc_lo, 43, v119
	v_pk_add_f32 v[114:115], v[114:115], v[120:121]
	s_or_b32 s5, vcc_lo, s5
	s_delay_alu instid0(SALU_CYCLE_1)
	s_and_not1_b32 exec_lo, exec_lo, s5
	s_cbranch_execnz .LBB118_987
; %bb.988:
	s_or_b32 exec_lo, exec_lo, s5
.LBB118_989:
	s_delay_alu instid0(SALU_CYCLE_1) | instskip(SKIP_4) | instid1(VALU_DEP_1)
	s_or_b32 exec_lo, exec_lo, s4
	v_mov_b32_e32 v117, 0
	ds_load_b64 v[118:119], v117 offset:360
	s_wait_dscnt 0x0
	v_pk_mul_f32 v[120:121], v[114:115], v[118:119] op_sel:[1,1] op_sel_hi:[0,1]
	v_pk_fma_f32 v[122:123], v[114:115], v[118:119], v[120:121] op_sel_hi:[1,0,1]
	v_pk_fma_f32 v[114:115], v[114:115], v[118:119], v[120:121] neg_lo:[0,0,1] neg_hi:[0,0,1]
	s_delay_alu instid0(VALU_DEP_2)
	v_mov_b32_e32 v115, v123
	scratch_store_b64 off, v[114:115], off offset:360
.LBB118_990:
	s_wait_xcnt 0x0
	s_or_b32 exec_lo, exec_lo, s0
	scratch_load_b64 v[114:115], off, off offset:368
	s_mov_b32 s0, exec_lo
	s_wait_loadcnt 0x0
	ds_store_b64 v1, v[114:115]
	s_wait_storecnt_dscnt 0x0
	s_barrier_signal -1
	s_barrier_wait -1
	s_wait_xcnt 0x0
	v_cmpx_gt_u32_e32 46, v0
	s_cbranch_execz .LBB118_1000
; %bb.991:
	v_cmp_ne_u32_e32 vcc_lo, 1, v116
	s_cbranch_vccnz .LBB118_993
; %bb.992:
	scratch_load_b64 v[114:115], v59, off
	ds_load_b64 v[118:119], v1
	s_wait_loadcnt_dscnt 0x0
	v_pk_mul_f32 v[120:121], v[118:119], v[114:115] op_sel:[1,1] op_sel_hi:[0,1]
	s_delay_alu instid0(VALU_DEP_1) | instskip(SKIP_1) | instid1(VALU_DEP_2)
	v_pk_fma_f32 v[122:123], v[118:119], v[114:115], v[120:121] op_sel_hi:[1,0,1]
	v_pk_fma_f32 v[114:115], v[118:119], v[114:115], v[120:121] neg_lo:[0,0,1] neg_hi:[0,0,1]
	v_mov_b32_e32 v115, v123
	s_cbranch_execz .LBB118_994
	s_branch .LBB118_995
.LBB118_993:
                                        ; implicit-def: $vgpr114_vgpr115
.LBB118_994:
	ds_load_b64 v[114:115], v1
.LBB118_995:
	s_mov_b32 s4, exec_lo
	v_cmpx_ne_u32_e32 45, v0
	s_cbranch_execz .LBB118_999
; %bb.996:
	v_add_nc_u32_e32 v117, 0x1c8, v58
	v_add3_u32 v118, 0, v58, 8
	v_mov_b32_e32 v119, v0
	s_mov_b32 s5, 0
.LBB118_997:                            ; =>This Inner Loop Header: Depth=1
	scratch_load_b64 v[120:121], v118, off
	ds_load_b64 v[122:123], v117
	s_wait_xcnt 0x0
	v_dual_add_nc_u32 v117, 8, v117 :: v_dual_add_nc_u32 v118, 8, v118
	s_wait_loadcnt_dscnt 0x0
	v_pk_mul_f32 v[124:125], v[122:123], v[120:121] op_sel:[1,1] op_sel_hi:[0,1]
	s_delay_alu instid0(VALU_DEP_1) | instskip(SKIP_2) | instid1(VALU_DEP_3)
	v_pk_fma_f32 v[126:127], v[122:123], v[120:121], v[124:125] op_sel_hi:[1,0,1]
	v_add_nc_u32_e32 v119, 1, v119
	v_pk_fma_f32 v[120:121], v[122:123], v[120:121], v[124:125] neg_lo:[0,0,1] neg_hi:[0,0,1]
	v_mov_b32_e32 v121, v127
	s_delay_alu instid0(VALU_DEP_3) | instskip(NEXT) | instid1(VALU_DEP_2)
	v_cmp_lt_u32_e32 vcc_lo, 44, v119
	v_pk_add_f32 v[114:115], v[114:115], v[120:121]
	s_or_b32 s5, vcc_lo, s5
	s_delay_alu instid0(SALU_CYCLE_1)
	s_and_not1_b32 exec_lo, exec_lo, s5
	s_cbranch_execnz .LBB118_997
; %bb.998:
	s_or_b32 exec_lo, exec_lo, s5
.LBB118_999:
	s_delay_alu instid0(SALU_CYCLE_1) | instskip(SKIP_4) | instid1(VALU_DEP_1)
	s_or_b32 exec_lo, exec_lo, s4
	v_mov_b32_e32 v117, 0
	ds_load_b64 v[118:119], v117 offset:368
	s_wait_dscnt 0x0
	v_pk_mul_f32 v[120:121], v[114:115], v[118:119] op_sel:[1,1] op_sel_hi:[0,1]
	v_pk_fma_f32 v[122:123], v[114:115], v[118:119], v[120:121] op_sel_hi:[1,0,1]
	v_pk_fma_f32 v[114:115], v[114:115], v[118:119], v[120:121] neg_lo:[0,0,1] neg_hi:[0,0,1]
	s_delay_alu instid0(VALU_DEP_2)
	v_mov_b32_e32 v115, v123
	scratch_store_b64 off, v[114:115], off offset:368
.LBB118_1000:
	s_wait_xcnt 0x0
	s_or_b32 exec_lo, exec_lo, s0
	scratch_load_b64 v[114:115], off, off offset:376
	s_mov_b32 s0, exec_lo
	s_wait_loadcnt 0x0
	ds_store_b64 v1, v[114:115]
	s_wait_storecnt_dscnt 0x0
	s_barrier_signal -1
	s_barrier_wait -1
	s_wait_xcnt 0x0
	v_cmpx_gt_u32_e32 47, v0
	s_cbranch_execz .LBB118_1010
; %bb.1001:
	v_cmp_ne_u32_e32 vcc_lo, 1, v116
	s_cbranch_vccnz .LBB118_1003
; %bb.1002:
	scratch_load_b64 v[114:115], v59, off
	ds_load_b64 v[118:119], v1
	s_wait_loadcnt_dscnt 0x0
	v_pk_mul_f32 v[120:121], v[118:119], v[114:115] op_sel:[1,1] op_sel_hi:[0,1]
	s_delay_alu instid0(VALU_DEP_1) | instskip(SKIP_1) | instid1(VALU_DEP_2)
	v_pk_fma_f32 v[122:123], v[118:119], v[114:115], v[120:121] op_sel_hi:[1,0,1]
	v_pk_fma_f32 v[114:115], v[118:119], v[114:115], v[120:121] neg_lo:[0,0,1] neg_hi:[0,0,1]
	v_mov_b32_e32 v115, v123
	s_cbranch_execz .LBB118_1004
	s_branch .LBB118_1005
.LBB118_1003:
                                        ; implicit-def: $vgpr114_vgpr115
.LBB118_1004:
	ds_load_b64 v[114:115], v1
.LBB118_1005:
	s_mov_b32 s4, exec_lo
	v_cmpx_ne_u32_e32 46, v0
	s_cbranch_execz .LBB118_1009
; %bb.1006:
	v_add_nc_u32_e32 v117, 0x1c8, v58
	v_add3_u32 v118, 0, v58, 8
	v_mov_b32_e32 v119, v0
	s_mov_b32 s5, 0
.LBB118_1007:                           ; =>This Inner Loop Header: Depth=1
	scratch_load_b64 v[120:121], v118, off
	ds_load_b64 v[122:123], v117
	s_wait_xcnt 0x0
	v_dual_add_nc_u32 v117, 8, v117 :: v_dual_add_nc_u32 v118, 8, v118
	s_wait_loadcnt_dscnt 0x0
	v_pk_mul_f32 v[124:125], v[122:123], v[120:121] op_sel:[1,1] op_sel_hi:[0,1]
	s_delay_alu instid0(VALU_DEP_1) | instskip(SKIP_2) | instid1(VALU_DEP_3)
	v_pk_fma_f32 v[126:127], v[122:123], v[120:121], v[124:125] op_sel_hi:[1,0,1]
	v_add_nc_u32_e32 v119, 1, v119
	v_pk_fma_f32 v[120:121], v[122:123], v[120:121], v[124:125] neg_lo:[0,0,1] neg_hi:[0,0,1]
	v_mov_b32_e32 v121, v127
	s_delay_alu instid0(VALU_DEP_3) | instskip(NEXT) | instid1(VALU_DEP_2)
	v_cmp_lt_u32_e32 vcc_lo, 45, v119
	v_pk_add_f32 v[114:115], v[114:115], v[120:121]
	s_or_b32 s5, vcc_lo, s5
	s_delay_alu instid0(SALU_CYCLE_1)
	s_and_not1_b32 exec_lo, exec_lo, s5
	s_cbranch_execnz .LBB118_1007
; %bb.1008:
	s_or_b32 exec_lo, exec_lo, s5
.LBB118_1009:
	s_delay_alu instid0(SALU_CYCLE_1) | instskip(SKIP_4) | instid1(VALU_DEP_1)
	s_or_b32 exec_lo, exec_lo, s4
	v_mov_b32_e32 v117, 0
	ds_load_b64 v[118:119], v117 offset:376
	s_wait_dscnt 0x0
	v_pk_mul_f32 v[120:121], v[114:115], v[118:119] op_sel:[1,1] op_sel_hi:[0,1]
	v_pk_fma_f32 v[122:123], v[114:115], v[118:119], v[120:121] op_sel_hi:[1,0,1]
	v_pk_fma_f32 v[114:115], v[114:115], v[118:119], v[120:121] neg_lo:[0,0,1] neg_hi:[0,0,1]
	s_delay_alu instid0(VALU_DEP_2)
	v_mov_b32_e32 v115, v123
	scratch_store_b64 off, v[114:115], off offset:376
.LBB118_1010:
	s_wait_xcnt 0x0
	s_or_b32 exec_lo, exec_lo, s0
	scratch_load_b64 v[114:115], off, off offset:384
	s_mov_b32 s0, exec_lo
	s_wait_loadcnt 0x0
	ds_store_b64 v1, v[114:115]
	s_wait_storecnt_dscnt 0x0
	s_barrier_signal -1
	s_barrier_wait -1
	s_wait_xcnt 0x0
	v_cmpx_gt_u32_e32 48, v0
	s_cbranch_execz .LBB118_1020
; %bb.1011:
	v_cmp_ne_u32_e32 vcc_lo, 1, v116
	s_cbranch_vccnz .LBB118_1013
; %bb.1012:
	scratch_load_b64 v[114:115], v59, off
	ds_load_b64 v[118:119], v1
	s_wait_loadcnt_dscnt 0x0
	v_pk_mul_f32 v[120:121], v[118:119], v[114:115] op_sel:[1,1] op_sel_hi:[0,1]
	s_delay_alu instid0(VALU_DEP_1) | instskip(SKIP_1) | instid1(VALU_DEP_2)
	v_pk_fma_f32 v[122:123], v[118:119], v[114:115], v[120:121] op_sel_hi:[1,0,1]
	v_pk_fma_f32 v[114:115], v[118:119], v[114:115], v[120:121] neg_lo:[0,0,1] neg_hi:[0,0,1]
	v_mov_b32_e32 v115, v123
	s_cbranch_execz .LBB118_1014
	s_branch .LBB118_1015
.LBB118_1013:
                                        ; implicit-def: $vgpr114_vgpr115
.LBB118_1014:
	ds_load_b64 v[114:115], v1
.LBB118_1015:
	s_mov_b32 s4, exec_lo
	v_cmpx_ne_u32_e32 47, v0
	s_cbranch_execz .LBB118_1019
; %bb.1016:
	v_add_nc_u32_e32 v117, 0x1c8, v58
	v_add3_u32 v118, 0, v58, 8
	v_mov_b32_e32 v119, v0
	s_mov_b32 s5, 0
.LBB118_1017:                           ; =>This Inner Loop Header: Depth=1
	scratch_load_b64 v[120:121], v118, off
	ds_load_b64 v[122:123], v117
	s_wait_xcnt 0x0
	v_dual_add_nc_u32 v117, 8, v117 :: v_dual_add_nc_u32 v118, 8, v118
	s_wait_loadcnt_dscnt 0x0
	v_pk_mul_f32 v[124:125], v[122:123], v[120:121] op_sel:[1,1] op_sel_hi:[0,1]
	s_delay_alu instid0(VALU_DEP_1) | instskip(SKIP_2) | instid1(VALU_DEP_3)
	v_pk_fma_f32 v[126:127], v[122:123], v[120:121], v[124:125] op_sel_hi:[1,0,1]
	v_add_nc_u32_e32 v119, 1, v119
	v_pk_fma_f32 v[120:121], v[122:123], v[120:121], v[124:125] neg_lo:[0,0,1] neg_hi:[0,0,1]
	v_mov_b32_e32 v121, v127
	s_delay_alu instid0(VALU_DEP_3) | instskip(NEXT) | instid1(VALU_DEP_2)
	v_cmp_lt_u32_e32 vcc_lo, 46, v119
	v_pk_add_f32 v[114:115], v[114:115], v[120:121]
	s_or_b32 s5, vcc_lo, s5
	s_delay_alu instid0(SALU_CYCLE_1)
	s_and_not1_b32 exec_lo, exec_lo, s5
	s_cbranch_execnz .LBB118_1017
; %bb.1018:
	s_or_b32 exec_lo, exec_lo, s5
.LBB118_1019:
	s_delay_alu instid0(SALU_CYCLE_1) | instskip(SKIP_4) | instid1(VALU_DEP_1)
	s_or_b32 exec_lo, exec_lo, s4
	v_mov_b32_e32 v117, 0
	ds_load_b64 v[118:119], v117 offset:384
	s_wait_dscnt 0x0
	v_pk_mul_f32 v[120:121], v[114:115], v[118:119] op_sel:[1,1] op_sel_hi:[0,1]
	v_pk_fma_f32 v[122:123], v[114:115], v[118:119], v[120:121] op_sel_hi:[1,0,1]
	v_pk_fma_f32 v[114:115], v[114:115], v[118:119], v[120:121] neg_lo:[0,0,1] neg_hi:[0,0,1]
	s_delay_alu instid0(VALU_DEP_2)
	v_mov_b32_e32 v115, v123
	scratch_store_b64 off, v[114:115], off offset:384
.LBB118_1020:
	s_wait_xcnt 0x0
	s_or_b32 exec_lo, exec_lo, s0
	scratch_load_b64 v[114:115], off, off offset:392
	s_mov_b32 s0, exec_lo
	s_wait_loadcnt 0x0
	ds_store_b64 v1, v[114:115]
	s_wait_storecnt_dscnt 0x0
	s_barrier_signal -1
	s_barrier_wait -1
	s_wait_xcnt 0x0
	v_cmpx_gt_u32_e32 49, v0
	s_cbranch_execz .LBB118_1030
; %bb.1021:
	v_cmp_ne_u32_e32 vcc_lo, 1, v116
	s_cbranch_vccnz .LBB118_1023
; %bb.1022:
	scratch_load_b64 v[114:115], v59, off
	ds_load_b64 v[118:119], v1
	s_wait_loadcnt_dscnt 0x0
	v_pk_mul_f32 v[120:121], v[118:119], v[114:115] op_sel:[1,1] op_sel_hi:[0,1]
	s_delay_alu instid0(VALU_DEP_1) | instskip(SKIP_1) | instid1(VALU_DEP_2)
	v_pk_fma_f32 v[122:123], v[118:119], v[114:115], v[120:121] op_sel_hi:[1,0,1]
	v_pk_fma_f32 v[114:115], v[118:119], v[114:115], v[120:121] neg_lo:[0,0,1] neg_hi:[0,0,1]
	v_mov_b32_e32 v115, v123
	s_cbranch_execz .LBB118_1024
	s_branch .LBB118_1025
.LBB118_1023:
                                        ; implicit-def: $vgpr114_vgpr115
.LBB118_1024:
	ds_load_b64 v[114:115], v1
.LBB118_1025:
	s_mov_b32 s4, exec_lo
	v_cmpx_ne_u32_e32 48, v0
	s_cbranch_execz .LBB118_1029
; %bb.1026:
	v_add_nc_u32_e32 v117, 0x1c8, v58
	v_add3_u32 v118, 0, v58, 8
	v_mov_b32_e32 v119, v0
	s_mov_b32 s5, 0
.LBB118_1027:                           ; =>This Inner Loop Header: Depth=1
	scratch_load_b64 v[120:121], v118, off
	ds_load_b64 v[122:123], v117
	s_wait_xcnt 0x0
	v_dual_add_nc_u32 v117, 8, v117 :: v_dual_add_nc_u32 v118, 8, v118
	s_wait_loadcnt_dscnt 0x0
	v_pk_mul_f32 v[124:125], v[122:123], v[120:121] op_sel:[1,1] op_sel_hi:[0,1]
	s_delay_alu instid0(VALU_DEP_1) | instskip(SKIP_2) | instid1(VALU_DEP_3)
	v_pk_fma_f32 v[126:127], v[122:123], v[120:121], v[124:125] op_sel_hi:[1,0,1]
	v_add_nc_u32_e32 v119, 1, v119
	v_pk_fma_f32 v[120:121], v[122:123], v[120:121], v[124:125] neg_lo:[0,0,1] neg_hi:[0,0,1]
	v_mov_b32_e32 v121, v127
	s_delay_alu instid0(VALU_DEP_3) | instskip(NEXT) | instid1(VALU_DEP_2)
	v_cmp_lt_u32_e32 vcc_lo, 47, v119
	v_pk_add_f32 v[114:115], v[114:115], v[120:121]
	s_or_b32 s5, vcc_lo, s5
	s_delay_alu instid0(SALU_CYCLE_1)
	s_and_not1_b32 exec_lo, exec_lo, s5
	s_cbranch_execnz .LBB118_1027
; %bb.1028:
	s_or_b32 exec_lo, exec_lo, s5
.LBB118_1029:
	s_delay_alu instid0(SALU_CYCLE_1) | instskip(SKIP_4) | instid1(VALU_DEP_1)
	s_or_b32 exec_lo, exec_lo, s4
	v_mov_b32_e32 v117, 0
	ds_load_b64 v[118:119], v117 offset:392
	s_wait_dscnt 0x0
	v_pk_mul_f32 v[120:121], v[114:115], v[118:119] op_sel:[1,1] op_sel_hi:[0,1]
	v_pk_fma_f32 v[122:123], v[114:115], v[118:119], v[120:121] op_sel_hi:[1,0,1]
	v_pk_fma_f32 v[114:115], v[114:115], v[118:119], v[120:121] neg_lo:[0,0,1] neg_hi:[0,0,1]
	s_delay_alu instid0(VALU_DEP_2)
	v_mov_b32_e32 v115, v123
	scratch_store_b64 off, v[114:115], off offset:392
.LBB118_1030:
	s_wait_xcnt 0x0
	s_or_b32 exec_lo, exec_lo, s0
	scratch_load_b64 v[114:115], off, off offset:400
	s_mov_b32 s0, exec_lo
	s_wait_loadcnt 0x0
	ds_store_b64 v1, v[114:115]
	s_wait_storecnt_dscnt 0x0
	s_barrier_signal -1
	s_barrier_wait -1
	s_wait_xcnt 0x0
	v_cmpx_gt_u32_e32 50, v0
	s_cbranch_execz .LBB118_1040
; %bb.1031:
	v_cmp_ne_u32_e32 vcc_lo, 1, v116
	s_cbranch_vccnz .LBB118_1033
; %bb.1032:
	scratch_load_b64 v[114:115], v59, off
	ds_load_b64 v[118:119], v1
	s_wait_loadcnt_dscnt 0x0
	v_pk_mul_f32 v[120:121], v[118:119], v[114:115] op_sel:[1,1] op_sel_hi:[0,1]
	s_delay_alu instid0(VALU_DEP_1) | instskip(SKIP_1) | instid1(VALU_DEP_2)
	v_pk_fma_f32 v[122:123], v[118:119], v[114:115], v[120:121] op_sel_hi:[1,0,1]
	v_pk_fma_f32 v[114:115], v[118:119], v[114:115], v[120:121] neg_lo:[0,0,1] neg_hi:[0,0,1]
	v_mov_b32_e32 v115, v123
	s_cbranch_execz .LBB118_1034
	s_branch .LBB118_1035
.LBB118_1033:
                                        ; implicit-def: $vgpr114_vgpr115
.LBB118_1034:
	ds_load_b64 v[114:115], v1
.LBB118_1035:
	s_mov_b32 s4, exec_lo
	v_cmpx_ne_u32_e32 49, v0
	s_cbranch_execz .LBB118_1039
; %bb.1036:
	v_add_nc_u32_e32 v117, 0x1c8, v58
	v_add3_u32 v118, 0, v58, 8
	v_mov_b32_e32 v119, v0
	s_mov_b32 s5, 0
.LBB118_1037:                           ; =>This Inner Loop Header: Depth=1
	scratch_load_b64 v[120:121], v118, off
	ds_load_b64 v[122:123], v117
	s_wait_xcnt 0x0
	v_dual_add_nc_u32 v117, 8, v117 :: v_dual_add_nc_u32 v118, 8, v118
	s_wait_loadcnt_dscnt 0x0
	v_pk_mul_f32 v[124:125], v[122:123], v[120:121] op_sel:[1,1] op_sel_hi:[0,1]
	s_delay_alu instid0(VALU_DEP_1) | instskip(SKIP_2) | instid1(VALU_DEP_3)
	v_pk_fma_f32 v[126:127], v[122:123], v[120:121], v[124:125] op_sel_hi:[1,0,1]
	v_add_nc_u32_e32 v119, 1, v119
	v_pk_fma_f32 v[120:121], v[122:123], v[120:121], v[124:125] neg_lo:[0,0,1] neg_hi:[0,0,1]
	v_mov_b32_e32 v121, v127
	s_delay_alu instid0(VALU_DEP_3) | instskip(NEXT) | instid1(VALU_DEP_2)
	v_cmp_lt_u32_e32 vcc_lo, 48, v119
	v_pk_add_f32 v[114:115], v[114:115], v[120:121]
	s_or_b32 s5, vcc_lo, s5
	s_delay_alu instid0(SALU_CYCLE_1)
	s_and_not1_b32 exec_lo, exec_lo, s5
	s_cbranch_execnz .LBB118_1037
; %bb.1038:
	s_or_b32 exec_lo, exec_lo, s5
.LBB118_1039:
	s_delay_alu instid0(SALU_CYCLE_1) | instskip(SKIP_4) | instid1(VALU_DEP_1)
	s_or_b32 exec_lo, exec_lo, s4
	v_mov_b32_e32 v117, 0
	ds_load_b64 v[118:119], v117 offset:400
	s_wait_dscnt 0x0
	v_pk_mul_f32 v[120:121], v[114:115], v[118:119] op_sel:[1,1] op_sel_hi:[0,1]
	v_pk_fma_f32 v[122:123], v[114:115], v[118:119], v[120:121] op_sel_hi:[1,0,1]
	v_pk_fma_f32 v[114:115], v[114:115], v[118:119], v[120:121] neg_lo:[0,0,1] neg_hi:[0,0,1]
	s_delay_alu instid0(VALU_DEP_2)
	v_mov_b32_e32 v115, v123
	scratch_store_b64 off, v[114:115], off offset:400
.LBB118_1040:
	s_wait_xcnt 0x0
	s_or_b32 exec_lo, exec_lo, s0
	scratch_load_b64 v[114:115], off, off offset:408
	s_mov_b32 s0, exec_lo
	s_wait_loadcnt 0x0
	ds_store_b64 v1, v[114:115]
	s_wait_storecnt_dscnt 0x0
	s_barrier_signal -1
	s_barrier_wait -1
	s_wait_xcnt 0x0
	v_cmpx_gt_u32_e32 51, v0
	s_cbranch_execz .LBB118_1050
; %bb.1041:
	v_cmp_ne_u32_e32 vcc_lo, 1, v116
	s_cbranch_vccnz .LBB118_1043
; %bb.1042:
	scratch_load_b64 v[114:115], v59, off
	ds_load_b64 v[118:119], v1
	s_wait_loadcnt_dscnt 0x0
	v_pk_mul_f32 v[120:121], v[118:119], v[114:115] op_sel:[1,1] op_sel_hi:[0,1]
	s_delay_alu instid0(VALU_DEP_1) | instskip(SKIP_1) | instid1(VALU_DEP_2)
	v_pk_fma_f32 v[122:123], v[118:119], v[114:115], v[120:121] op_sel_hi:[1,0,1]
	v_pk_fma_f32 v[114:115], v[118:119], v[114:115], v[120:121] neg_lo:[0,0,1] neg_hi:[0,0,1]
	v_mov_b32_e32 v115, v123
	s_cbranch_execz .LBB118_1044
	s_branch .LBB118_1045
.LBB118_1043:
                                        ; implicit-def: $vgpr114_vgpr115
.LBB118_1044:
	ds_load_b64 v[114:115], v1
.LBB118_1045:
	s_mov_b32 s4, exec_lo
	v_cmpx_ne_u32_e32 50, v0
	s_cbranch_execz .LBB118_1049
; %bb.1046:
	v_add_nc_u32_e32 v117, 0x1c8, v58
	v_add3_u32 v118, 0, v58, 8
	v_mov_b32_e32 v119, v0
	s_mov_b32 s5, 0
.LBB118_1047:                           ; =>This Inner Loop Header: Depth=1
	scratch_load_b64 v[120:121], v118, off
	ds_load_b64 v[122:123], v117
	s_wait_xcnt 0x0
	v_dual_add_nc_u32 v117, 8, v117 :: v_dual_add_nc_u32 v118, 8, v118
	s_wait_loadcnt_dscnt 0x0
	v_pk_mul_f32 v[124:125], v[122:123], v[120:121] op_sel:[1,1] op_sel_hi:[0,1]
	s_delay_alu instid0(VALU_DEP_1) | instskip(SKIP_2) | instid1(VALU_DEP_3)
	v_pk_fma_f32 v[126:127], v[122:123], v[120:121], v[124:125] op_sel_hi:[1,0,1]
	v_add_nc_u32_e32 v119, 1, v119
	v_pk_fma_f32 v[120:121], v[122:123], v[120:121], v[124:125] neg_lo:[0,0,1] neg_hi:[0,0,1]
	v_mov_b32_e32 v121, v127
	s_delay_alu instid0(VALU_DEP_3) | instskip(NEXT) | instid1(VALU_DEP_2)
	v_cmp_lt_u32_e32 vcc_lo, 49, v119
	v_pk_add_f32 v[114:115], v[114:115], v[120:121]
	s_or_b32 s5, vcc_lo, s5
	s_delay_alu instid0(SALU_CYCLE_1)
	s_and_not1_b32 exec_lo, exec_lo, s5
	s_cbranch_execnz .LBB118_1047
; %bb.1048:
	s_or_b32 exec_lo, exec_lo, s5
.LBB118_1049:
	s_delay_alu instid0(SALU_CYCLE_1) | instskip(SKIP_4) | instid1(VALU_DEP_1)
	s_or_b32 exec_lo, exec_lo, s4
	v_mov_b32_e32 v117, 0
	ds_load_b64 v[118:119], v117 offset:408
	s_wait_dscnt 0x0
	v_pk_mul_f32 v[120:121], v[114:115], v[118:119] op_sel:[1,1] op_sel_hi:[0,1]
	v_pk_fma_f32 v[122:123], v[114:115], v[118:119], v[120:121] op_sel_hi:[1,0,1]
	v_pk_fma_f32 v[114:115], v[114:115], v[118:119], v[120:121] neg_lo:[0,0,1] neg_hi:[0,0,1]
	s_delay_alu instid0(VALU_DEP_2)
	v_mov_b32_e32 v115, v123
	scratch_store_b64 off, v[114:115], off offset:408
.LBB118_1050:
	s_wait_xcnt 0x0
	s_or_b32 exec_lo, exec_lo, s0
	scratch_load_b64 v[114:115], off, off offset:416
	s_mov_b32 s0, exec_lo
	s_wait_loadcnt 0x0
	ds_store_b64 v1, v[114:115]
	s_wait_storecnt_dscnt 0x0
	s_barrier_signal -1
	s_barrier_wait -1
	s_wait_xcnt 0x0
	v_cmpx_gt_u32_e32 52, v0
	s_cbranch_execz .LBB118_1060
; %bb.1051:
	v_cmp_ne_u32_e32 vcc_lo, 1, v116
	s_cbranch_vccnz .LBB118_1053
; %bb.1052:
	scratch_load_b64 v[114:115], v59, off
	ds_load_b64 v[118:119], v1
	s_wait_loadcnt_dscnt 0x0
	v_pk_mul_f32 v[120:121], v[118:119], v[114:115] op_sel:[1,1] op_sel_hi:[0,1]
	s_delay_alu instid0(VALU_DEP_1) | instskip(SKIP_1) | instid1(VALU_DEP_2)
	v_pk_fma_f32 v[122:123], v[118:119], v[114:115], v[120:121] op_sel_hi:[1,0,1]
	v_pk_fma_f32 v[114:115], v[118:119], v[114:115], v[120:121] neg_lo:[0,0,1] neg_hi:[0,0,1]
	v_mov_b32_e32 v115, v123
	s_cbranch_execz .LBB118_1054
	s_branch .LBB118_1055
.LBB118_1053:
                                        ; implicit-def: $vgpr114_vgpr115
.LBB118_1054:
	ds_load_b64 v[114:115], v1
.LBB118_1055:
	s_mov_b32 s4, exec_lo
	v_cmpx_ne_u32_e32 51, v0
	s_cbranch_execz .LBB118_1059
; %bb.1056:
	v_add_nc_u32_e32 v117, 0x1c8, v58
	v_add3_u32 v118, 0, v58, 8
	v_mov_b32_e32 v119, v0
	s_mov_b32 s5, 0
.LBB118_1057:                           ; =>This Inner Loop Header: Depth=1
	scratch_load_b64 v[120:121], v118, off
	ds_load_b64 v[122:123], v117
	s_wait_xcnt 0x0
	v_dual_add_nc_u32 v117, 8, v117 :: v_dual_add_nc_u32 v118, 8, v118
	s_wait_loadcnt_dscnt 0x0
	v_pk_mul_f32 v[124:125], v[122:123], v[120:121] op_sel:[1,1] op_sel_hi:[0,1]
	s_delay_alu instid0(VALU_DEP_1) | instskip(SKIP_2) | instid1(VALU_DEP_3)
	v_pk_fma_f32 v[126:127], v[122:123], v[120:121], v[124:125] op_sel_hi:[1,0,1]
	v_add_nc_u32_e32 v119, 1, v119
	v_pk_fma_f32 v[120:121], v[122:123], v[120:121], v[124:125] neg_lo:[0,0,1] neg_hi:[0,0,1]
	v_mov_b32_e32 v121, v127
	s_delay_alu instid0(VALU_DEP_3) | instskip(NEXT) | instid1(VALU_DEP_2)
	v_cmp_lt_u32_e32 vcc_lo, 50, v119
	v_pk_add_f32 v[114:115], v[114:115], v[120:121]
	s_or_b32 s5, vcc_lo, s5
	s_delay_alu instid0(SALU_CYCLE_1)
	s_and_not1_b32 exec_lo, exec_lo, s5
	s_cbranch_execnz .LBB118_1057
; %bb.1058:
	s_or_b32 exec_lo, exec_lo, s5
.LBB118_1059:
	s_delay_alu instid0(SALU_CYCLE_1) | instskip(SKIP_4) | instid1(VALU_DEP_1)
	s_or_b32 exec_lo, exec_lo, s4
	v_mov_b32_e32 v117, 0
	ds_load_b64 v[118:119], v117 offset:416
	s_wait_dscnt 0x0
	v_pk_mul_f32 v[120:121], v[114:115], v[118:119] op_sel:[1,1] op_sel_hi:[0,1]
	v_pk_fma_f32 v[122:123], v[114:115], v[118:119], v[120:121] op_sel_hi:[1,0,1]
	v_pk_fma_f32 v[114:115], v[114:115], v[118:119], v[120:121] neg_lo:[0,0,1] neg_hi:[0,0,1]
	s_delay_alu instid0(VALU_DEP_2)
	v_mov_b32_e32 v115, v123
	scratch_store_b64 off, v[114:115], off offset:416
.LBB118_1060:
	s_wait_xcnt 0x0
	s_or_b32 exec_lo, exec_lo, s0
	scratch_load_b64 v[114:115], off, off offset:424
	v_cmp_gt_u32_e64 s0, 53, v0
	s_wait_loadcnt 0x0
	ds_store_b64 v1, v[114:115]
	s_wait_storecnt_dscnt 0x0
	s_barrier_signal -1
	s_barrier_wait -1
	s_wait_xcnt 0x0
	s_and_saveexec_b32 s4, s0
	s_cbranch_execz .LBB118_1070
; %bb.1061:
	v_cmp_ne_u32_e32 vcc_lo, 1, v116
	s_cbranch_vccnz .LBB118_1063
; %bb.1062:
	scratch_load_b64 v[114:115], v59, off
	ds_load_b64 v[118:119], v1
	s_wait_loadcnt_dscnt 0x0
	v_pk_mul_f32 v[120:121], v[118:119], v[114:115] op_sel:[1,1] op_sel_hi:[0,1]
	s_delay_alu instid0(VALU_DEP_1) | instskip(SKIP_1) | instid1(VALU_DEP_2)
	v_pk_fma_f32 v[122:123], v[118:119], v[114:115], v[120:121] op_sel_hi:[1,0,1]
	v_pk_fma_f32 v[114:115], v[118:119], v[114:115], v[120:121] neg_lo:[0,0,1] neg_hi:[0,0,1]
	v_mov_b32_e32 v115, v123
	s_cbranch_execz .LBB118_1064
	s_branch .LBB118_1065
.LBB118_1063:
                                        ; implicit-def: $vgpr114_vgpr115
.LBB118_1064:
	ds_load_b64 v[114:115], v1
.LBB118_1065:
	s_mov_b32 s5, exec_lo
	v_cmpx_ne_u32_e32 52, v0
	s_cbranch_execz .LBB118_1069
; %bb.1066:
	v_add_nc_u32_e32 v117, 0x1c8, v58
	v_add3_u32 v118, 0, v58, 8
	v_mov_b32_e32 v119, v0
	s_mov_b32 s6, 0
.LBB118_1067:                           ; =>This Inner Loop Header: Depth=1
	scratch_load_b64 v[120:121], v118, off
	ds_load_b64 v[122:123], v117
	s_wait_xcnt 0x0
	v_dual_add_nc_u32 v117, 8, v117 :: v_dual_add_nc_u32 v118, 8, v118
	s_wait_loadcnt_dscnt 0x0
	v_pk_mul_f32 v[124:125], v[122:123], v[120:121] op_sel:[1,1] op_sel_hi:[0,1]
	s_delay_alu instid0(VALU_DEP_1) | instskip(SKIP_2) | instid1(VALU_DEP_3)
	v_pk_fma_f32 v[126:127], v[122:123], v[120:121], v[124:125] op_sel_hi:[1,0,1]
	v_add_nc_u32_e32 v119, 1, v119
	v_pk_fma_f32 v[120:121], v[122:123], v[120:121], v[124:125] neg_lo:[0,0,1] neg_hi:[0,0,1]
	v_mov_b32_e32 v121, v127
	s_delay_alu instid0(VALU_DEP_3) | instskip(NEXT) | instid1(VALU_DEP_2)
	v_cmp_lt_u32_e32 vcc_lo, 51, v119
	v_pk_add_f32 v[114:115], v[114:115], v[120:121]
	s_or_b32 s6, vcc_lo, s6
	s_delay_alu instid0(SALU_CYCLE_1)
	s_and_not1_b32 exec_lo, exec_lo, s6
	s_cbranch_execnz .LBB118_1067
; %bb.1068:
	s_or_b32 exec_lo, exec_lo, s6
.LBB118_1069:
	s_delay_alu instid0(SALU_CYCLE_1) | instskip(SKIP_4) | instid1(VALU_DEP_1)
	s_or_b32 exec_lo, exec_lo, s5
	v_mov_b32_e32 v117, 0
	ds_load_b64 v[118:119], v117 offset:424
	s_wait_dscnt 0x0
	v_pk_mul_f32 v[120:121], v[114:115], v[118:119] op_sel:[1,1] op_sel_hi:[0,1]
	v_pk_fma_f32 v[122:123], v[114:115], v[118:119], v[120:121] op_sel_hi:[1,0,1]
	v_pk_fma_f32 v[114:115], v[114:115], v[118:119], v[120:121] neg_lo:[0,0,1] neg_hi:[0,0,1]
	s_delay_alu instid0(VALU_DEP_2)
	v_mov_b32_e32 v115, v123
	scratch_store_b64 off, v[114:115], off offset:424
.LBB118_1070:
	s_wait_xcnt 0x0
	s_or_b32 exec_lo, exec_lo, s4
	scratch_load_b64 v[114:115], off, off offset:432
	s_mov_b32 s4, exec_lo
                                        ; implicit-def: $vgpr164
                                        ; implicit-def: $sgpr7
	s_wait_loadcnt 0x0
	ds_store_b64 v1, v[114:115]
	s_wait_storecnt_dscnt 0x0
	s_barrier_signal -1
	s_barrier_wait -1
	s_wait_xcnt 0x0
	v_cmpx_ne_u32_e32 54, v0
	s_cbranch_execz .LBB118_1080
; %bb.1071:
	v_cmp_ne_u32_e32 vcc_lo, 1, v116
	s_cbranch_vccnz .LBB118_1073
; %bb.1072:
	scratch_load_b64 v[116:117], v59, off
	ds_load_b64 v[118:119], v1
	s_wait_loadcnt_dscnt 0x0
	v_dual_mul_f32 v59, v119, v117 :: v_dual_mul_f32 v115, v118, v117
	s_delay_alu instid0(VALU_DEP_1) | instskip(NEXT) | instid1(VALU_DEP_2)
	v_fma_f32 v114, v118, v116, -v59
	v_fmac_f32_e32 v115, v119, v116
	s_cbranch_execz .LBB118_1074
	s_branch .LBB118_1075
.LBB118_1073:
                                        ; implicit-def: $vgpr115
.LBB118_1074:
	ds_load_b64 v[114:115], v1
.LBB118_1075:
	s_and_saveexec_b32 s5, s0
	s_cbranch_execz .LBB118_1079
; %bb.1076:
	v_add_nc_u32_e32 v1, 0x1c8, v58
	v_add3_u32 v58, 0, v58, 8
	s_mov_b32 s0, 0
.LBB118_1077:                           ; =>This Inner Loop Header: Depth=1
	scratch_load_b64 v[116:117], v58, off
	ds_load_b64 v[118:119], v1
	v_dual_add_nc_u32 v0, 1, v0 :: v_dual_add_nc_u32 v1, 8, v1
	s_delay_alu instid0(VALU_DEP_1) | instskip(SKIP_3) | instid1(VALU_DEP_1)
	v_cmp_lt_u32_e32 vcc_lo, 52, v0
	s_or_b32 s0, vcc_lo, s0
	s_wait_loadcnt_dscnt 0x0
	v_dual_mul_f32 v59, v119, v117 :: v_dual_mul_f32 v117, v118, v117
	v_dual_fma_f32 v59, v118, v116, -v59 :: v_dual_fmac_f32 v117, v119, v116
	s_delay_alu instid0(VALU_DEP_1) | instskip(NEXT) | instid1(VALU_DEP_2)
	v_dual_add_nc_u32 v58, 8, v58 :: v_dual_add_f32 v114, v114, v59
	v_add_f32_e32 v115, v115, v117
	s_and_not1_b32 exec_lo, exec_lo, s0
	s_cbranch_execnz .LBB118_1077
; %bb.1078:
	s_or_b32 exec_lo, exec_lo, s0
.LBB118_1079:
	s_delay_alu instid0(SALU_CYCLE_1)
	s_or_b32 exec_lo, exec_lo, s5
	v_mov_b32_e32 v0, 0
	s_movk_i32 s7, 0x1b4
	s_or_b32 s1, s1, exec_lo
	ds_load_b64 v[0:1], v0 offset:432
	s_wait_dscnt 0x0
	v_dual_mul_f32 v58, v115, v1 :: v_dual_mul_f32 v164, v114, v1
	s_delay_alu instid0(VALU_DEP_1)
	v_dual_fma_f32 v1, v114, v0, -v58 :: v_dual_fmac_f32 v164, v115, v0
	scratch_store_b32 off, v1, off offset:432
.LBB118_1080:
	s_wait_xcnt 0x0
	s_or_b32 exec_lo, exec_lo, s4
.LBB118_1081:
	v_lshl_add_u64 v[162:163], v[6:7], 3, s[2:3]
	v_lshl_add_u64 v[160:161], v[8:9], 3, s[2:3]
	;; [unrolled: 1-line block ×53, first 2 shown]
	s_and_saveexec_b32 s0, s1
	s_cbranch_execz .LBB118_1083
; %bb.1082:
	scratch_store_b32 off, v164, s7
.LBB118_1083:
	s_wait_xcnt 0x0
	s_or_b32 exec_lo, exec_lo, s0
	scratch_load_b64 v[60:61], off, off
	s_wait_loadcnt 0x0
	flat_store_b64 v[2:3], v[60:61]
	scratch_load_b64 v[2:3], off, off offset:8
	s_wait_loadcnt 0x0
	flat_store_b64 v[4:5], v[2:3]
	scratch_load_b64 v[2:3], off, off offset:16
	;; [unrolled: 3-line block ×54, first 2 shown]
	s_wait_loadcnt 0x0
	flat_store_b64 v[0:1], v[2:3]
.LBB118_1084:
	s_sendmsg sendmsg(MSG_DEALLOC_VGPRS)
	s_endpgm
	.section	.rodata,"a",@progbits
	.p2align	6, 0x0
	.amdhsa_kernel _ZN9rocsolver6v33100L18trti2_kernel_smallILi55E19rocblas_complex_numIfEPKPS3_EEv13rocblas_fill_17rocblas_diagonal_T1_iil
		.amdhsa_group_segment_fixed_size 888
		.amdhsa_private_segment_fixed_size 448
		.amdhsa_kernarg_size 32
		.amdhsa_user_sgpr_count 2
		.amdhsa_user_sgpr_dispatch_ptr 0
		.amdhsa_user_sgpr_queue_ptr 0
		.amdhsa_user_sgpr_kernarg_segment_ptr 1
		.amdhsa_user_sgpr_dispatch_id 0
		.amdhsa_user_sgpr_kernarg_preload_length 0
		.amdhsa_user_sgpr_kernarg_preload_offset 0
		.amdhsa_user_sgpr_private_segment_size 0
		.amdhsa_wavefront_size32 1
		.amdhsa_uses_dynamic_stack 0
		.amdhsa_enable_private_segment 1
		.amdhsa_system_sgpr_workgroup_id_x 1
		.amdhsa_system_sgpr_workgroup_id_y 0
		.amdhsa_system_sgpr_workgroup_id_z 0
		.amdhsa_system_sgpr_workgroup_info 0
		.amdhsa_system_vgpr_workitem_id 0
		.amdhsa_next_free_vgpr 165
		.amdhsa_next_free_sgpr 61
		.amdhsa_named_barrier_count 0
		.amdhsa_reserve_vcc 1
		.amdhsa_float_round_mode_32 0
		.amdhsa_float_round_mode_16_64 0
		.amdhsa_float_denorm_mode_32 3
		.amdhsa_float_denorm_mode_16_64 3
		.amdhsa_fp16_overflow 0
		.amdhsa_memory_ordered 1
		.amdhsa_forward_progress 1
		.amdhsa_inst_pref_size 255
		.amdhsa_round_robin_scheduling 0
		.amdhsa_exception_fp_ieee_invalid_op 0
		.amdhsa_exception_fp_denorm_src 0
		.amdhsa_exception_fp_ieee_div_zero 0
		.amdhsa_exception_fp_ieee_overflow 0
		.amdhsa_exception_fp_ieee_underflow 0
		.amdhsa_exception_fp_ieee_inexact 0
		.amdhsa_exception_int_div_zero 0
	.end_amdhsa_kernel
	.section	.text._ZN9rocsolver6v33100L18trti2_kernel_smallILi55E19rocblas_complex_numIfEPKPS3_EEv13rocblas_fill_17rocblas_diagonal_T1_iil,"axG",@progbits,_ZN9rocsolver6v33100L18trti2_kernel_smallILi55E19rocblas_complex_numIfEPKPS3_EEv13rocblas_fill_17rocblas_diagonal_T1_iil,comdat
.Lfunc_end118:
	.size	_ZN9rocsolver6v33100L18trti2_kernel_smallILi55E19rocblas_complex_numIfEPKPS3_EEv13rocblas_fill_17rocblas_diagonal_T1_iil, .Lfunc_end118-_ZN9rocsolver6v33100L18trti2_kernel_smallILi55E19rocblas_complex_numIfEPKPS3_EEv13rocblas_fill_17rocblas_diagonal_T1_iil
                                        ; -- End function
	.set _ZN9rocsolver6v33100L18trti2_kernel_smallILi55E19rocblas_complex_numIfEPKPS3_EEv13rocblas_fill_17rocblas_diagonal_T1_iil.num_vgpr, 165
	.set _ZN9rocsolver6v33100L18trti2_kernel_smallILi55E19rocblas_complex_numIfEPKPS3_EEv13rocblas_fill_17rocblas_diagonal_T1_iil.num_agpr, 0
	.set _ZN9rocsolver6v33100L18trti2_kernel_smallILi55E19rocblas_complex_numIfEPKPS3_EEv13rocblas_fill_17rocblas_diagonal_T1_iil.numbered_sgpr, 61
	.set _ZN9rocsolver6v33100L18trti2_kernel_smallILi55E19rocblas_complex_numIfEPKPS3_EEv13rocblas_fill_17rocblas_diagonal_T1_iil.num_named_barrier, 0
	.set _ZN9rocsolver6v33100L18trti2_kernel_smallILi55E19rocblas_complex_numIfEPKPS3_EEv13rocblas_fill_17rocblas_diagonal_T1_iil.private_seg_size, 448
	.set _ZN9rocsolver6v33100L18trti2_kernel_smallILi55E19rocblas_complex_numIfEPKPS3_EEv13rocblas_fill_17rocblas_diagonal_T1_iil.uses_vcc, 1
	.set _ZN9rocsolver6v33100L18trti2_kernel_smallILi55E19rocblas_complex_numIfEPKPS3_EEv13rocblas_fill_17rocblas_diagonal_T1_iil.uses_flat_scratch, 0
	.set _ZN9rocsolver6v33100L18trti2_kernel_smallILi55E19rocblas_complex_numIfEPKPS3_EEv13rocblas_fill_17rocblas_diagonal_T1_iil.has_dyn_sized_stack, 0
	.set _ZN9rocsolver6v33100L18trti2_kernel_smallILi55E19rocblas_complex_numIfEPKPS3_EEv13rocblas_fill_17rocblas_diagonal_T1_iil.has_recursion, 0
	.set _ZN9rocsolver6v33100L18trti2_kernel_smallILi55E19rocblas_complex_numIfEPKPS3_EEv13rocblas_fill_17rocblas_diagonal_T1_iil.has_indirect_call, 0
	.section	.AMDGPU.csdata,"",@progbits
; Kernel info:
; codeLenInByte = 42504
; TotalNumSgprs: 63
; NumVgprs: 165
; ScratchSize: 448
; MemoryBound: 0
; FloatMode: 240
; IeeeMode: 1
; LDSByteSize: 888 bytes/workgroup (compile time only)
; SGPRBlocks: 0
; VGPRBlocks: 10
; NumSGPRsForWavesPerEU: 63
; NumVGPRsForWavesPerEU: 165
; NamedBarCnt: 0
; Occupancy: 5
; WaveLimiterHint : 1
; COMPUTE_PGM_RSRC2:SCRATCH_EN: 1
; COMPUTE_PGM_RSRC2:USER_SGPR: 2
; COMPUTE_PGM_RSRC2:TRAP_HANDLER: 0
; COMPUTE_PGM_RSRC2:TGID_X_EN: 1
; COMPUTE_PGM_RSRC2:TGID_Y_EN: 0
; COMPUTE_PGM_RSRC2:TGID_Z_EN: 0
; COMPUTE_PGM_RSRC2:TIDIG_COMP_CNT: 0
	.section	.text._ZN9rocsolver6v33100L18trti2_kernel_smallILi56E19rocblas_complex_numIfEPKPS3_EEv13rocblas_fill_17rocblas_diagonal_T1_iil,"axG",@progbits,_ZN9rocsolver6v33100L18trti2_kernel_smallILi56E19rocblas_complex_numIfEPKPS3_EEv13rocblas_fill_17rocblas_diagonal_T1_iil,comdat
	.globl	_ZN9rocsolver6v33100L18trti2_kernel_smallILi56E19rocblas_complex_numIfEPKPS3_EEv13rocblas_fill_17rocblas_diagonal_T1_iil ; -- Begin function _ZN9rocsolver6v33100L18trti2_kernel_smallILi56E19rocblas_complex_numIfEPKPS3_EEv13rocblas_fill_17rocblas_diagonal_T1_iil
	.p2align	8
	.type	_ZN9rocsolver6v33100L18trti2_kernel_smallILi56E19rocblas_complex_numIfEPKPS3_EEv13rocblas_fill_17rocblas_diagonal_T1_iil,@function
_ZN9rocsolver6v33100L18trti2_kernel_smallILi56E19rocblas_complex_numIfEPKPS3_EEv13rocblas_fill_17rocblas_diagonal_T1_iil: ; @_ZN9rocsolver6v33100L18trti2_kernel_smallILi56E19rocblas_complex_numIfEPKPS3_EEv13rocblas_fill_17rocblas_diagonal_T1_iil
; %bb.0:
	s_mov_b32 s2, exec_lo
	v_cmpx_gt_u32_e32 56, v0
	s_cbranch_execz .LBB119_1104
; %bb.1:
	s_clause 0x1
	s_load_b64 s[2:3], s[0:1], 0x10
	s_load_b128 s[4:7], s[0:1], 0x0
	s_wait_xcnt 0x0
	s_bfe_u32 s0, ttmp6, 0x4000c
	s_and_b32 s1, ttmp6, 15
	s_add_co_i32 s0, s0, 1
	s_getreg_b32 s8, hwreg(HW_REG_IB_STS2, 6, 4)
	s_mul_i32 s0, ttmp9, s0
	v_dual_mov_b32 v59, 0 :: v_dual_lshlrev_b32 v58, 3, v0
	s_add_co_i32 s0, s1, s0
	s_wait_kmcnt 0x0
	s_ashr_i32 s1, s2, 31
	s_cmp_eq_u32 s8, 0
	s_cselect_b32 s8, ttmp9, s0
	s_mov_b32 s0, s2
	s_ashr_i32 s9, s8, 31
	s_lshl_b64 s[0:1], s[0:1], 3
	s_lshl_b64 s[8:9], s[8:9], 3
	s_delay_alu instid0(SALU_CYCLE_1)
	s_add_nc_u64 s[6:7], s[6:7], s[8:9]
	s_load_b64 s[6:7], s[6:7], 0x0
	s_wait_kmcnt 0x0
	s_add_nc_u64 s[6:7], s[6:7], s[0:1]
	s_mov_b32 s0, s3
	flat_load_b64 v[6:7], v0, s[6:7] scale_offset
	v_add_nc_u64_e32 v[2:3], s[6:7], v[58:59]
	s_ashr_i32 s1, s3, 31
	s_cmp_lg_u32 s5, 0x84
	s_delay_alu instid0(VALU_DEP_1)
	v_lshl_add_u64 v[4:5], s[0:1], 3, v[2:3]
	s_mov_b32 s0, -1
	s_wait_loadcnt_dscnt 0x0
	scratch_store_b64 off, v[6:7], off
	flat_load_b64 v[8:9], v[4:5]
	s_wait_xcnt 0x1
	v_add3_u32 v6, s3, s3, v0
	s_wait_loadcnt_dscnt 0x0
	scratch_store_b64 off, v[8:9], off offset:8
	flat_load_b64 v[10:11], v6, s[6:7] scale_offset
	s_wait_xcnt 0x1
	v_add_nc_u32_e32 v8, s3, v6
	s_wait_loadcnt_dscnt 0x0
	scratch_store_b64 off, v[10:11], off offset:16
	flat_load_b64 v[12:13], v8, s[6:7] scale_offset
	s_wait_xcnt 0x1
	v_add_nc_u32_e32 v10, s3, v8
	;; [unrolled: 5-line block ×53, first 2 shown]
	s_cselect_b32 s3, -1, 0
	s_delay_alu instid0(SALU_CYCLE_1)
	s_and_b32 vcc_lo, exec_lo, s3
	s_wait_loadcnt_dscnt 0x0
	scratch_store_b64 off, v[116:117], off offset:432
	flat_load_b64 v[116:117], v114, s[6:7] scale_offset
	s_wait_loadcnt_dscnt 0x0
	scratch_store_b64 off, v[116:117], off offset:440
	s_cbranch_vccz .LBB119_7
; %bb.2:
	scratch_load_b64 v[116:117], v0, off scale_offset
                                        ; implicit-def: $vgpr121
                                        ; implicit-def: $vgpr118
	s_wait_loadcnt 0x0
	v_cmp_ngt_f32_e64 s0, |v116|, |v117|
	s_wait_xcnt 0x0
	s_and_saveexec_b32 s1, s0
	s_delay_alu instid0(SALU_CYCLE_1)
	s_xor_b32 s0, exec_lo, s1
	s_cbranch_execz .LBB119_4
; %bb.3:
	v_div_scale_f32 v1, null, v117, v117, v116
	v_div_scale_f32 v11, vcc_lo, v116, v117, v116
	s_delay_alu instid0(VALU_DEP_2) | instskip(SKIP_1) | instid1(TRANS32_DEP_1)
	v_rcp_f32_e32 v7, v1
	v_nop
	v_fma_f32 v9, -v1, v7, 1.0
	s_delay_alu instid0(VALU_DEP_1) | instskip(NEXT) | instid1(VALU_DEP_1)
	v_fmac_f32_e32 v7, v9, v7
	v_mul_f32_e32 v9, v11, v7
	s_delay_alu instid0(VALU_DEP_1) | instskip(NEXT) | instid1(VALU_DEP_1)
	v_fma_f32 v13, -v1, v9, v11
	v_fmac_f32_e32 v9, v13, v7
	s_delay_alu instid0(VALU_DEP_1) | instskip(NEXT) | instid1(VALU_DEP_1)
	v_fma_f32 v1, -v1, v9, v11
	v_div_fmas_f32 v1, v1, v7, v9
	s_delay_alu instid0(VALU_DEP_1) | instskip(NEXT) | instid1(VALU_DEP_1)
	v_div_fixup_f32 v1, v1, v117, v116
	v_fmac_f32_e32 v117, v116, v1
	s_delay_alu instid0(VALU_DEP_1) | instskip(NEXT) | instid1(VALU_DEP_1)
	v_div_scale_f32 v7, null, v117, v117, -1.0
	v_rcp_f32_e32 v9, v7
	v_nop
	s_delay_alu instid0(TRANS32_DEP_1) | instskip(NEXT) | instid1(VALU_DEP_1)
	v_fma_f32 v11, -v7, v9, 1.0
	v_fmac_f32_e32 v9, v11, v9
	v_div_scale_f32 v11, vcc_lo, -1.0, v117, -1.0
	s_delay_alu instid0(VALU_DEP_1) | instskip(NEXT) | instid1(VALU_DEP_1)
	v_mul_f32_e32 v13, v11, v9
	v_fma_f32 v15, -v7, v13, v11
	s_delay_alu instid0(VALU_DEP_1) | instskip(NEXT) | instid1(VALU_DEP_1)
	v_fmac_f32_e32 v13, v15, v9
	v_fma_f32 v7, -v7, v13, v11
	s_delay_alu instid0(VALU_DEP_1) | instskip(NEXT) | instid1(VALU_DEP_1)
	v_div_fmas_f32 v7, v7, v9, v13
	v_div_fixup_f32 v121, v7, v117, -1.0
                                        ; implicit-def: $vgpr116_vgpr117
	s_delay_alu instid0(VALU_DEP_1) | instskip(NEXT) | instid1(VALU_DEP_1)
	v_mul_f32_e32 v118, v1, v121
	v_xor_b32_e32 v120, 0x80000000, v118
.LBB119_4:
	s_or_saveexec_b32 s0, s0
	v_lshl_add_u32 v1, v0, 3, 0
	s_xor_b32 exec_lo, exec_lo, s0
	s_cbranch_execz .LBB119_6
; %bb.5:
	v_div_scale_f32 v7, null, v116, v116, v117
	v_div_scale_f32 v13, vcc_lo, v117, v116, v117
	s_delay_alu instid0(VALU_DEP_2) | instskip(SKIP_1) | instid1(TRANS32_DEP_1)
	v_rcp_f32_e32 v9, v7
	v_nop
	v_fma_f32 v11, -v7, v9, 1.0
	s_delay_alu instid0(VALU_DEP_1) | instskip(NEXT) | instid1(VALU_DEP_1)
	v_fmac_f32_e32 v9, v11, v9
	v_mul_f32_e32 v11, v13, v9
	s_delay_alu instid0(VALU_DEP_1) | instskip(NEXT) | instid1(VALU_DEP_1)
	v_fma_f32 v15, -v7, v11, v13
	v_fmac_f32_e32 v11, v15, v9
	s_delay_alu instid0(VALU_DEP_1) | instskip(NEXT) | instid1(VALU_DEP_1)
	v_fma_f32 v7, -v7, v11, v13
	v_div_fmas_f32 v7, v7, v9, v11
	s_delay_alu instid0(VALU_DEP_1) | instskip(NEXT) | instid1(VALU_DEP_1)
	v_div_fixup_f32 v7, v7, v116, v117
	v_fmac_f32_e32 v116, v117, v7
	s_delay_alu instid0(VALU_DEP_1) | instskip(SKIP_1) | instid1(VALU_DEP_2)
	v_div_scale_f32 v9, null, v116, v116, 1.0
	v_div_scale_f32 v15, vcc_lo, 1.0, v116, 1.0
	v_rcp_f32_e32 v11, v9
	v_nop
	s_delay_alu instid0(TRANS32_DEP_1) | instskip(NEXT) | instid1(VALU_DEP_1)
	v_fma_f32 v13, -v9, v11, 1.0
	v_fmac_f32_e32 v11, v13, v11
	s_delay_alu instid0(VALU_DEP_1) | instskip(NEXT) | instid1(VALU_DEP_1)
	v_mul_f32_e32 v13, v15, v11
	v_fma_f32 v17, -v9, v13, v15
	s_delay_alu instid0(VALU_DEP_1) | instskip(NEXT) | instid1(VALU_DEP_1)
	v_fmac_f32_e32 v13, v17, v11
	v_fma_f32 v9, -v9, v13, v15
	s_delay_alu instid0(VALU_DEP_1) | instskip(NEXT) | instid1(VALU_DEP_1)
	v_div_fmas_f32 v9, v9, v11, v13
	v_div_fixup_f32 v120, v9, v116, 1.0
	s_delay_alu instid0(VALU_DEP_1)
	v_xor_b32_e32 v118, 0x80000000, v120
	v_mul_f32_e64 v121, v7, -v120
.LBB119_6:
	s_or_b32 exec_lo, exec_lo, s0
	s_delay_alu instid0(VALU_DEP_1)
	v_xor_b32_e32 v119, 0x80000000, v121
	s_mov_b32 s0, 0
	scratch_store_b64 v1, v[120:121], off
	ds_store_b64 v58, v[118:119]
.LBB119_7:
	s_and_b32 vcc_lo, exec_lo, s0
	s_cbranch_vccz .LBB119_9
; %bb.8:
	s_mov_b64 s[0:1], 0xbf800000
	s_wait_xcnt 0x0
	v_mov_b64_e32 v[116:117], s[0:1]
	ds_store_b64 v58, v[116:117]
.LBB119_9:
	v_dual_ashrrev_i32 v7, 31, v6 :: v_dual_ashrrev_i32 v9, 31, v8
	v_dual_ashrrev_i32 v11, 31, v10 :: v_dual_ashrrev_i32 v13, 31, v12
	;; [unrolled: 1-line block ×27, first 2 shown]
	s_wait_xcnt 0x0
	v_add_nc_u32_e32 v1, 0x1c0, v58
	v_mov_b32_e32 v59, v58
	s_cmp_eq_u32 s4, 0x79
	s_cbranch_scc1 .LBB119_13
; %bb.10:
	scratch_load_b64 v[116:117], off, off offset:432
	v_cmp_eq_u32_e64 s0, 55, v0
	s_movk_i32 s1, 0x48
	s_movk_i32 s14, 0x50
	;; [unrolled: 1-line block ×45, first 2 shown]
	s_wait_loadcnt 0x0
	ds_store_b64 v1, v[116:117]
	s_wait_storecnt_dscnt 0x0
	s_barrier_signal -1
	s_barrier_wait -1
	s_wait_xcnt 0x0
	s_and_saveexec_b32 s2, s0
	s_cbranch_execz .LBB119_17
; %bb.11:
	s_and_b32 vcc_lo, exec_lo, s3
	s_cbranch_vccz .LBB119_14
; %bb.12:
	scratch_load_b64 v[116:117], v59, off
	ds_load_b64 v[118:119], v1
	s_wait_loadcnt_dscnt 0x0
	v_pk_mul_f32 v[120:121], v[118:119], v[116:117] op_sel:[1,1] op_sel_hi:[0,1]
	v_pk_mul_f32 v[122:123], v[118:119], v[116:117] op_sel_hi:[1,0]
	s_delay_alu instid0(VALU_DEP_2) | instskip(NEXT) | instid1(VALU_DEP_2)
	v_pk_fma_f32 v[116:117], v[118:119], v[116:117], v[120:121] op_sel_hi:[1,0,1]
	v_sub_f32_e32 v116, v122, v120
	s_cbranch_execz .LBB119_15
	s_branch .LBB119_16
.LBB119_13:
	s_mov_b32 s1, 0
                                        ; implicit-def: $vgpr168
                                        ; implicit-def: $sgpr5
	s_cbranch_execnz .LBB119_556
	s_branch .LBB119_1101
.LBB119_14:
                                        ; implicit-def: $vgpr117
.LBB119_15:
	ds_load_b64 v[116:117], v1
.LBB119_16:
	s_wait_dscnt 0x0
	v_dual_mov_b32 v118, 0 :: v_dual_mov_b32 v120, v117
	v_mov_b32_e32 v121, v116
	ds_load_b64 v[118:119], v118 offset:432
	s_wait_dscnt 0x0
	v_pk_mul_f32 v[120:121], v[120:121], v[118:119] op_sel:[0,1]
	s_delay_alu instid0(VALU_DEP_1) | instskip(SKIP_1) | instid1(VALU_DEP_2)
	v_pk_fma_f32 v[122:123], v[116:117], v[118:119], v[120:121] op_sel_hi:[1,0,1]
	v_pk_fma_f32 v[116:117], v[116:117], v[118:119], v[120:121] neg_lo:[0,0,1] neg_hi:[0,0,1]
	v_mov_b32_e32 v117, v123
	scratch_store_b64 off, v[116:117], off offset:432
.LBB119_17:
	s_wait_xcnt 0x0
	s_or_b32 exec_lo, exec_lo, s2
	scratch_load_b64 v[116:117], off, off offset:424
	s_mov_b32 s13, s1
	v_cmp_lt_u32_e64 s1, 53, v0
	s_or_b32 s4, 0, 8
	s_mov_b32 s5, 16
	s_mov_b32 s8, 24
	;; [unrolled: 1-line block ×7, first 2 shown]
	s_wait_loadcnt 0x0
	ds_store_b64 v1, v[116:117]
	s_wait_storecnt_dscnt 0x0
	s_barrier_signal -1
	s_barrier_wait -1
	s_wait_xcnt 0x0
	s_and_saveexec_b32 s59, s1
	s_cbranch_execz .LBB119_25
; %bb.18:
	s_and_not1_b32 vcc_lo, exec_lo, s3
	s_cbranch_vccnz .LBB119_20
; %bb.19:
	scratch_load_b64 v[116:117], v59, off
	ds_load_b64 v[118:119], v1
	s_wait_loadcnt_dscnt 0x0
	v_pk_mul_f32 v[120:121], v[118:119], v[116:117] op_sel:[1,1] op_sel_hi:[0,1]
	s_delay_alu instid0(VALU_DEP_1) | instskip(SKIP_1) | instid1(VALU_DEP_2)
	v_pk_fma_f32 v[122:123], v[118:119], v[116:117], v[120:121] op_sel_hi:[1,0,1]
	v_pk_fma_f32 v[116:117], v[118:119], v[116:117], v[120:121] neg_lo:[0,0,1] neg_hi:[0,0,1]
	v_mov_b32_e32 v117, v123
	s_cbranch_execz .LBB119_21
	s_branch .LBB119_22
.LBB119_20:
                                        ; implicit-def: $vgpr116_vgpr117
.LBB119_21:
	ds_load_b64 v[116:117], v1
.LBB119_22:
	s_and_saveexec_b32 s60, s0
	s_cbranch_execz .LBB119_24
; %bb.23:
	scratch_load_b64 v[118:119], off, off offset:432
	v_mov_b32_e32 v120, 0
	ds_load_b64 v[120:121], v120 offset:880
	s_wait_loadcnt_dscnt 0x0
	v_pk_mul_f32 v[122:123], v[120:121], v[118:119] op_sel:[1,1] op_sel_hi:[0,1]
	s_delay_alu instid0(VALU_DEP_1) | instskip(SKIP_1) | instid1(VALU_DEP_2)
	v_pk_fma_f32 v[124:125], v[120:121], v[118:119], v[122:123] op_sel_hi:[1,0,1]
	v_pk_fma_f32 v[118:119], v[120:121], v[118:119], v[122:123] neg_lo:[0,0,1] neg_hi:[0,0,1]
	v_mov_b32_e32 v119, v125
	s_delay_alu instid0(VALU_DEP_1)
	v_pk_add_f32 v[116:117], v[116:117], v[118:119]
.LBB119_24:
	s_or_b32 exec_lo, exec_lo, s60
	v_mov_b32_e32 v118, 0
	ds_load_b64 v[118:119], v118 offset:424
	s_wait_dscnt 0x0
	v_pk_mul_f32 v[120:121], v[116:117], v[118:119] op_sel:[1,1] op_sel_hi:[0,1]
	s_delay_alu instid0(VALU_DEP_1) | instskip(SKIP_1) | instid1(VALU_DEP_2)
	v_pk_fma_f32 v[122:123], v[116:117], v[118:119], v[120:121] op_sel_hi:[1,0,1]
	v_pk_fma_f32 v[116:117], v[116:117], v[118:119], v[120:121] neg_lo:[0,0,1] neg_hi:[0,0,1]
	v_mov_b32_e32 v117, v123
	scratch_store_b64 off, v[116:117], off offset:424
.LBB119_25:
	s_wait_xcnt 0x0
	s_or_b32 exec_lo, exec_lo, s59
	scratch_load_b64 v[116:117], off, off offset:416
	v_cmp_lt_u32_e64 s0, 52, v0
	s_wait_loadcnt 0x0
	ds_store_b64 v1, v[116:117]
	s_wait_storecnt_dscnt 0x0
	s_barrier_signal -1
	s_barrier_wait -1
	s_wait_xcnt 0x0
	s_and_saveexec_b32 s59, s0
	s_cbranch_execz .LBB119_35
; %bb.26:
	s_and_not1_b32 vcc_lo, exec_lo, s3
	s_cbranch_vccnz .LBB119_28
; %bb.27:
	scratch_load_b64 v[116:117], v59, off
	ds_load_b64 v[118:119], v1
	s_wait_loadcnt_dscnt 0x0
	v_pk_mul_f32 v[120:121], v[118:119], v[116:117] op_sel:[1,1] op_sel_hi:[0,1]
	s_delay_alu instid0(VALU_DEP_1) | instskip(SKIP_1) | instid1(VALU_DEP_2)
	v_pk_fma_f32 v[122:123], v[118:119], v[116:117], v[120:121] op_sel_hi:[1,0,1]
	v_pk_fma_f32 v[116:117], v[118:119], v[116:117], v[120:121] neg_lo:[0,0,1] neg_hi:[0,0,1]
	v_mov_b32_e32 v117, v123
	s_cbranch_execz .LBB119_29
	s_branch .LBB119_30
.LBB119_28:
                                        ; implicit-def: $vgpr116_vgpr117
.LBB119_29:
	ds_load_b64 v[116:117], v1
.LBB119_30:
	s_and_saveexec_b32 s60, s1
	s_cbranch_execz .LBB119_34
; %bb.31:
	v_subrev_nc_u32_e32 v118, 53, v0
	s_movk_i32 s61, 0x368
	s_mov_b32 s1, 0
.LBB119_32:                             ; =>This Inner Loop Header: Depth=1
	scratch_load_b64 v[120:121], off, s58
	v_dual_mov_b32 v119, s61 :: v_dual_add_nc_u32 v118, -1, v118
	s_add_co_i32 s61, s61, 8
	s_wait_xcnt 0x0
	s_add_co_i32 s58, s58, 8
	ds_load_b64 v[122:123], v119
	v_cmp_eq_u32_e32 vcc_lo, 0, v118
	s_or_b32 s1, vcc_lo, s1
	s_wait_loadcnt_dscnt 0x0
	v_pk_mul_f32 v[124:125], v[122:123], v[120:121] op_sel:[1,1] op_sel_hi:[0,1]
	s_delay_alu instid0(VALU_DEP_1) | instskip(SKIP_1) | instid1(VALU_DEP_2)
	v_pk_fma_f32 v[126:127], v[122:123], v[120:121], v[124:125] op_sel_hi:[1,0,1]
	v_pk_fma_f32 v[120:121], v[122:123], v[120:121], v[124:125] neg_lo:[0,0,1] neg_hi:[0,0,1]
	v_mov_b32_e32 v121, v127
	s_delay_alu instid0(VALU_DEP_1)
	v_pk_add_f32 v[116:117], v[116:117], v[120:121]
	s_and_not1_b32 exec_lo, exec_lo, s1
	s_cbranch_execnz .LBB119_32
; %bb.33:
	s_or_b32 exec_lo, exec_lo, s1
.LBB119_34:
	s_delay_alu instid0(SALU_CYCLE_1) | instskip(SKIP_4) | instid1(VALU_DEP_1)
	s_or_b32 exec_lo, exec_lo, s60
	v_mov_b32_e32 v118, 0
	ds_load_b64 v[118:119], v118 offset:416
	s_wait_dscnt 0x0
	v_pk_mul_f32 v[120:121], v[116:117], v[118:119] op_sel:[1,1] op_sel_hi:[0,1]
	v_pk_fma_f32 v[122:123], v[116:117], v[118:119], v[120:121] op_sel_hi:[1,0,1]
	v_pk_fma_f32 v[116:117], v[116:117], v[118:119], v[120:121] neg_lo:[0,0,1] neg_hi:[0,0,1]
	s_delay_alu instid0(VALU_DEP_2)
	v_mov_b32_e32 v117, v123
	scratch_store_b64 off, v[116:117], off offset:416
.LBB119_35:
	s_wait_xcnt 0x0
	s_or_b32 exec_lo, exec_lo, s59
	scratch_load_b64 v[116:117], off, off offset:408
	v_cmp_lt_u32_e64 s1, 51, v0
	s_wait_loadcnt 0x0
	ds_store_b64 v1, v[116:117]
	s_wait_storecnt_dscnt 0x0
	s_barrier_signal -1
	s_barrier_wait -1
	s_wait_xcnt 0x0
	s_and_saveexec_b32 s58, s1
	s_cbranch_execz .LBB119_45
; %bb.36:
	s_and_not1_b32 vcc_lo, exec_lo, s3
	s_cbranch_vccnz .LBB119_38
; %bb.37:
	scratch_load_b64 v[116:117], v59, off
	ds_load_b64 v[118:119], v1
	s_wait_loadcnt_dscnt 0x0
	v_pk_mul_f32 v[120:121], v[118:119], v[116:117] op_sel:[1,1] op_sel_hi:[0,1]
	s_delay_alu instid0(VALU_DEP_1) | instskip(SKIP_1) | instid1(VALU_DEP_2)
	v_pk_fma_f32 v[122:123], v[118:119], v[116:117], v[120:121] op_sel_hi:[1,0,1]
	v_pk_fma_f32 v[116:117], v[118:119], v[116:117], v[120:121] neg_lo:[0,0,1] neg_hi:[0,0,1]
	v_mov_b32_e32 v117, v123
	s_cbranch_execz .LBB119_39
	s_branch .LBB119_40
.LBB119_38:
                                        ; implicit-def: $vgpr116_vgpr117
.LBB119_39:
	ds_load_b64 v[116:117], v1
.LBB119_40:
	s_and_saveexec_b32 s59, s0
	s_cbranch_execz .LBB119_44
; %bb.41:
	v_subrev_nc_u32_e32 v118, 52, v0
	s_movk_i32 s60, 0x360
	s_mov_b32 s0, 0
.LBB119_42:                             ; =>This Inner Loop Header: Depth=1
	scratch_load_b64 v[120:121], off, s57
	v_dual_mov_b32 v119, s60 :: v_dual_add_nc_u32 v118, -1, v118
	s_add_co_i32 s60, s60, 8
	s_wait_xcnt 0x0
	s_add_co_i32 s57, s57, 8
	ds_load_b64 v[122:123], v119
	v_cmp_eq_u32_e32 vcc_lo, 0, v118
	s_or_b32 s0, vcc_lo, s0
	s_wait_loadcnt_dscnt 0x0
	v_pk_mul_f32 v[124:125], v[122:123], v[120:121] op_sel:[1,1] op_sel_hi:[0,1]
	s_delay_alu instid0(VALU_DEP_1) | instskip(SKIP_1) | instid1(VALU_DEP_2)
	v_pk_fma_f32 v[126:127], v[122:123], v[120:121], v[124:125] op_sel_hi:[1,0,1]
	v_pk_fma_f32 v[120:121], v[122:123], v[120:121], v[124:125] neg_lo:[0,0,1] neg_hi:[0,0,1]
	v_mov_b32_e32 v121, v127
	s_delay_alu instid0(VALU_DEP_1)
	v_pk_add_f32 v[116:117], v[116:117], v[120:121]
	s_and_not1_b32 exec_lo, exec_lo, s0
	s_cbranch_execnz .LBB119_42
; %bb.43:
	s_or_b32 exec_lo, exec_lo, s0
.LBB119_44:
	s_delay_alu instid0(SALU_CYCLE_1) | instskip(SKIP_4) | instid1(VALU_DEP_1)
	s_or_b32 exec_lo, exec_lo, s59
	v_mov_b32_e32 v118, 0
	ds_load_b64 v[118:119], v118 offset:408
	s_wait_dscnt 0x0
	v_pk_mul_f32 v[120:121], v[116:117], v[118:119] op_sel:[1,1] op_sel_hi:[0,1]
	v_pk_fma_f32 v[122:123], v[116:117], v[118:119], v[120:121] op_sel_hi:[1,0,1]
	v_pk_fma_f32 v[116:117], v[116:117], v[118:119], v[120:121] neg_lo:[0,0,1] neg_hi:[0,0,1]
	s_delay_alu instid0(VALU_DEP_2)
	v_mov_b32_e32 v117, v123
	scratch_store_b64 off, v[116:117], off offset:408
.LBB119_45:
	s_wait_xcnt 0x0
	s_or_b32 exec_lo, exec_lo, s58
	scratch_load_b64 v[116:117], off, off offset:400
	v_cmp_lt_u32_e64 s0, 50, v0
	s_wait_loadcnt 0x0
	ds_store_b64 v1, v[116:117]
	s_wait_storecnt_dscnt 0x0
	s_barrier_signal -1
	s_barrier_wait -1
	s_wait_xcnt 0x0
	s_and_saveexec_b32 s57, s0
	s_cbranch_execz .LBB119_55
; %bb.46:
	s_and_not1_b32 vcc_lo, exec_lo, s3
	s_cbranch_vccnz .LBB119_48
; %bb.47:
	scratch_load_b64 v[116:117], v59, off
	ds_load_b64 v[118:119], v1
	s_wait_loadcnt_dscnt 0x0
	v_pk_mul_f32 v[120:121], v[118:119], v[116:117] op_sel:[1,1] op_sel_hi:[0,1]
	s_delay_alu instid0(VALU_DEP_1) | instskip(SKIP_1) | instid1(VALU_DEP_2)
	v_pk_fma_f32 v[122:123], v[118:119], v[116:117], v[120:121] op_sel_hi:[1,0,1]
	v_pk_fma_f32 v[116:117], v[118:119], v[116:117], v[120:121] neg_lo:[0,0,1] neg_hi:[0,0,1]
	v_mov_b32_e32 v117, v123
	s_cbranch_execz .LBB119_49
	s_branch .LBB119_50
.LBB119_48:
                                        ; implicit-def: $vgpr116_vgpr117
.LBB119_49:
	ds_load_b64 v[116:117], v1
.LBB119_50:
	s_and_saveexec_b32 s58, s1
	s_cbranch_execz .LBB119_54
; %bb.51:
	v_subrev_nc_u32_e32 v118, 51, v0
	s_movk_i32 s59, 0x358
	s_mov_b32 s1, 0
.LBB119_52:                             ; =>This Inner Loop Header: Depth=1
	scratch_load_b64 v[120:121], off, s56
	v_dual_mov_b32 v119, s59 :: v_dual_add_nc_u32 v118, -1, v118
	s_add_co_i32 s59, s59, 8
	s_wait_xcnt 0x0
	s_add_co_i32 s56, s56, 8
	ds_load_b64 v[122:123], v119
	v_cmp_eq_u32_e32 vcc_lo, 0, v118
	s_or_b32 s1, vcc_lo, s1
	s_wait_loadcnt_dscnt 0x0
	v_pk_mul_f32 v[124:125], v[122:123], v[120:121] op_sel:[1,1] op_sel_hi:[0,1]
	s_delay_alu instid0(VALU_DEP_1) | instskip(SKIP_1) | instid1(VALU_DEP_2)
	v_pk_fma_f32 v[126:127], v[122:123], v[120:121], v[124:125] op_sel_hi:[1,0,1]
	v_pk_fma_f32 v[120:121], v[122:123], v[120:121], v[124:125] neg_lo:[0,0,1] neg_hi:[0,0,1]
	v_mov_b32_e32 v121, v127
	s_delay_alu instid0(VALU_DEP_1)
	v_pk_add_f32 v[116:117], v[116:117], v[120:121]
	s_and_not1_b32 exec_lo, exec_lo, s1
	s_cbranch_execnz .LBB119_52
; %bb.53:
	s_or_b32 exec_lo, exec_lo, s1
.LBB119_54:
	s_delay_alu instid0(SALU_CYCLE_1) | instskip(SKIP_4) | instid1(VALU_DEP_1)
	s_or_b32 exec_lo, exec_lo, s58
	v_mov_b32_e32 v118, 0
	ds_load_b64 v[118:119], v118 offset:400
	s_wait_dscnt 0x0
	v_pk_mul_f32 v[120:121], v[116:117], v[118:119] op_sel:[1,1] op_sel_hi:[0,1]
	v_pk_fma_f32 v[122:123], v[116:117], v[118:119], v[120:121] op_sel_hi:[1,0,1]
	v_pk_fma_f32 v[116:117], v[116:117], v[118:119], v[120:121] neg_lo:[0,0,1] neg_hi:[0,0,1]
	s_delay_alu instid0(VALU_DEP_2)
	v_mov_b32_e32 v117, v123
	scratch_store_b64 off, v[116:117], off offset:400
.LBB119_55:
	s_wait_xcnt 0x0
	s_or_b32 exec_lo, exec_lo, s57
	scratch_load_b64 v[116:117], off, off offset:392
	v_cmp_lt_u32_e64 s1, 49, v0
	s_wait_loadcnt 0x0
	ds_store_b64 v1, v[116:117]
	s_wait_storecnt_dscnt 0x0
	s_barrier_signal -1
	s_barrier_wait -1
	s_wait_xcnt 0x0
	s_and_saveexec_b32 s56, s1
	s_cbranch_execz .LBB119_65
; %bb.56:
	s_and_not1_b32 vcc_lo, exec_lo, s3
	s_cbranch_vccnz .LBB119_58
; %bb.57:
	scratch_load_b64 v[116:117], v59, off
	ds_load_b64 v[118:119], v1
	s_wait_loadcnt_dscnt 0x0
	v_pk_mul_f32 v[120:121], v[118:119], v[116:117] op_sel:[1,1] op_sel_hi:[0,1]
	s_delay_alu instid0(VALU_DEP_1) | instskip(SKIP_1) | instid1(VALU_DEP_2)
	v_pk_fma_f32 v[122:123], v[118:119], v[116:117], v[120:121] op_sel_hi:[1,0,1]
	v_pk_fma_f32 v[116:117], v[118:119], v[116:117], v[120:121] neg_lo:[0,0,1] neg_hi:[0,0,1]
	v_mov_b32_e32 v117, v123
	s_cbranch_execz .LBB119_59
	s_branch .LBB119_60
.LBB119_58:
                                        ; implicit-def: $vgpr116_vgpr117
.LBB119_59:
	ds_load_b64 v[116:117], v1
.LBB119_60:
	s_and_saveexec_b32 s57, s0
	s_cbranch_execz .LBB119_64
; %bb.61:
	v_subrev_nc_u32_e32 v118, 50, v0
	s_movk_i32 s58, 0x350
	s_mov_b32 s0, 0
.LBB119_62:                             ; =>This Inner Loop Header: Depth=1
	scratch_load_b64 v[120:121], off, s55
	v_dual_mov_b32 v119, s58 :: v_dual_add_nc_u32 v118, -1, v118
	s_add_co_i32 s58, s58, 8
	s_wait_xcnt 0x0
	s_add_co_i32 s55, s55, 8
	ds_load_b64 v[122:123], v119
	v_cmp_eq_u32_e32 vcc_lo, 0, v118
	s_or_b32 s0, vcc_lo, s0
	s_wait_loadcnt_dscnt 0x0
	v_pk_mul_f32 v[124:125], v[122:123], v[120:121] op_sel:[1,1] op_sel_hi:[0,1]
	s_delay_alu instid0(VALU_DEP_1) | instskip(SKIP_1) | instid1(VALU_DEP_2)
	v_pk_fma_f32 v[126:127], v[122:123], v[120:121], v[124:125] op_sel_hi:[1,0,1]
	v_pk_fma_f32 v[120:121], v[122:123], v[120:121], v[124:125] neg_lo:[0,0,1] neg_hi:[0,0,1]
	v_mov_b32_e32 v121, v127
	s_delay_alu instid0(VALU_DEP_1)
	v_pk_add_f32 v[116:117], v[116:117], v[120:121]
	s_and_not1_b32 exec_lo, exec_lo, s0
	s_cbranch_execnz .LBB119_62
; %bb.63:
	s_or_b32 exec_lo, exec_lo, s0
.LBB119_64:
	s_delay_alu instid0(SALU_CYCLE_1) | instskip(SKIP_4) | instid1(VALU_DEP_1)
	s_or_b32 exec_lo, exec_lo, s57
	v_mov_b32_e32 v118, 0
	ds_load_b64 v[118:119], v118 offset:392
	s_wait_dscnt 0x0
	v_pk_mul_f32 v[120:121], v[116:117], v[118:119] op_sel:[1,1] op_sel_hi:[0,1]
	v_pk_fma_f32 v[122:123], v[116:117], v[118:119], v[120:121] op_sel_hi:[1,0,1]
	v_pk_fma_f32 v[116:117], v[116:117], v[118:119], v[120:121] neg_lo:[0,0,1] neg_hi:[0,0,1]
	s_delay_alu instid0(VALU_DEP_2)
	v_mov_b32_e32 v117, v123
	scratch_store_b64 off, v[116:117], off offset:392
.LBB119_65:
	s_wait_xcnt 0x0
	s_or_b32 exec_lo, exec_lo, s56
	scratch_load_b64 v[116:117], off, off offset:384
	v_cmp_lt_u32_e64 s0, 48, v0
	s_wait_loadcnt 0x0
	ds_store_b64 v1, v[116:117]
	s_wait_storecnt_dscnt 0x0
	s_barrier_signal -1
	s_barrier_wait -1
	s_wait_xcnt 0x0
	s_and_saveexec_b32 s55, s0
	s_cbranch_execz .LBB119_75
; %bb.66:
	s_and_not1_b32 vcc_lo, exec_lo, s3
	s_cbranch_vccnz .LBB119_68
; %bb.67:
	scratch_load_b64 v[116:117], v59, off
	ds_load_b64 v[118:119], v1
	s_wait_loadcnt_dscnt 0x0
	v_pk_mul_f32 v[120:121], v[118:119], v[116:117] op_sel:[1,1] op_sel_hi:[0,1]
	s_delay_alu instid0(VALU_DEP_1) | instskip(SKIP_1) | instid1(VALU_DEP_2)
	v_pk_fma_f32 v[122:123], v[118:119], v[116:117], v[120:121] op_sel_hi:[1,0,1]
	v_pk_fma_f32 v[116:117], v[118:119], v[116:117], v[120:121] neg_lo:[0,0,1] neg_hi:[0,0,1]
	v_mov_b32_e32 v117, v123
	s_cbranch_execz .LBB119_69
	s_branch .LBB119_70
.LBB119_68:
                                        ; implicit-def: $vgpr116_vgpr117
.LBB119_69:
	ds_load_b64 v[116:117], v1
.LBB119_70:
	s_and_saveexec_b32 s56, s1
	s_cbranch_execz .LBB119_74
; %bb.71:
	v_subrev_nc_u32_e32 v118, 49, v0
	s_movk_i32 s57, 0x348
	s_mov_b32 s1, 0
.LBB119_72:                             ; =>This Inner Loop Header: Depth=1
	scratch_load_b64 v[120:121], off, s54
	v_dual_mov_b32 v119, s57 :: v_dual_add_nc_u32 v118, -1, v118
	s_add_co_i32 s57, s57, 8
	s_wait_xcnt 0x0
	s_add_co_i32 s54, s54, 8
	ds_load_b64 v[122:123], v119
	v_cmp_eq_u32_e32 vcc_lo, 0, v118
	s_or_b32 s1, vcc_lo, s1
	s_wait_loadcnt_dscnt 0x0
	v_pk_mul_f32 v[124:125], v[122:123], v[120:121] op_sel:[1,1] op_sel_hi:[0,1]
	s_delay_alu instid0(VALU_DEP_1) | instskip(SKIP_1) | instid1(VALU_DEP_2)
	v_pk_fma_f32 v[126:127], v[122:123], v[120:121], v[124:125] op_sel_hi:[1,0,1]
	v_pk_fma_f32 v[120:121], v[122:123], v[120:121], v[124:125] neg_lo:[0,0,1] neg_hi:[0,0,1]
	v_mov_b32_e32 v121, v127
	s_delay_alu instid0(VALU_DEP_1)
	v_pk_add_f32 v[116:117], v[116:117], v[120:121]
	s_and_not1_b32 exec_lo, exec_lo, s1
	s_cbranch_execnz .LBB119_72
; %bb.73:
	s_or_b32 exec_lo, exec_lo, s1
.LBB119_74:
	s_delay_alu instid0(SALU_CYCLE_1) | instskip(SKIP_4) | instid1(VALU_DEP_1)
	s_or_b32 exec_lo, exec_lo, s56
	v_mov_b32_e32 v118, 0
	ds_load_b64 v[118:119], v118 offset:384
	s_wait_dscnt 0x0
	v_pk_mul_f32 v[120:121], v[116:117], v[118:119] op_sel:[1,1] op_sel_hi:[0,1]
	v_pk_fma_f32 v[122:123], v[116:117], v[118:119], v[120:121] op_sel_hi:[1,0,1]
	v_pk_fma_f32 v[116:117], v[116:117], v[118:119], v[120:121] neg_lo:[0,0,1] neg_hi:[0,0,1]
	s_delay_alu instid0(VALU_DEP_2)
	v_mov_b32_e32 v117, v123
	scratch_store_b64 off, v[116:117], off offset:384
.LBB119_75:
	s_wait_xcnt 0x0
	s_or_b32 exec_lo, exec_lo, s55
	scratch_load_b64 v[116:117], off, off offset:376
	v_cmp_lt_u32_e64 s1, 47, v0
	s_wait_loadcnt 0x0
	ds_store_b64 v1, v[116:117]
	s_wait_storecnt_dscnt 0x0
	s_barrier_signal -1
	s_barrier_wait -1
	s_wait_xcnt 0x0
	s_and_saveexec_b32 s54, s1
	s_cbranch_execz .LBB119_85
; %bb.76:
	s_and_not1_b32 vcc_lo, exec_lo, s3
	s_cbranch_vccnz .LBB119_78
; %bb.77:
	scratch_load_b64 v[116:117], v59, off
	ds_load_b64 v[118:119], v1
	s_wait_loadcnt_dscnt 0x0
	v_pk_mul_f32 v[120:121], v[118:119], v[116:117] op_sel:[1,1] op_sel_hi:[0,1]
	s_delay_alu instid0(VALU_DEP_1) | instskip(SKIP_1) | instid1(VALU_DEP_2)
	v_pk_fma_f32 v[122:123], v[118:119], v[116:117], v[120:121] op_sel_hi:[1,0,1]
	v_pk_fma_f32 v[116:117], v[118:119], v[116:117], v[120:121] neg_lo:[0,0,1] neg_hi:[0,0,1]
	v_mov_b32_e32 v117, v123
	s_cbranch_execz .LBB119_79
	s_branch .LBB119_80
.LBB119_78:
                                        ; implicit-def: $vgpr116_vgpr117
.LBB119_79:
	ds_load_b64 v[116:117], v1
.LBB119_80:
	s_and_saveexec_b32 s55, s0
	s_cbranch_execz .LBB119_84
; %bb.81:
	v_subrev_nc_u32_e32 v118, 48, v0
	s_movk_i32 s56, 0x340
	s_mov_b32 s0, 0
.LBB119_82:                             ; =>This Inner Loop Header: Depth=1
	scratch_load_b64 v[120:121], off, s53
	v_dual_mov_b32 v119, s56 :: v_dual_add_nc_u32 v118, -1, v118
	s_add_co_i32 s56, s56, 8
	s_wait_xcnt 0x0
	s_add_co_i32 s53, s53, 8
	ds_load_b64 v[122:123], v119
	v_cmp_eq_u32_e32 vcc_lo, 0, v118
	s_or_b32 s0, vcc_lo, s0
	s_wait_loadcnt_dscnt 0x0
	v_pk_mul_f32 v[124:125], v[122:123], v[120:121] op_sel:[1,1] op_sel_hi:[0,1]
	s_delay_alu instid0(VALU_DEP_1) | instskip(SKIP_1) | instid1(VALU_DEP_2)
	v_pk_fma_f32 v[126:127], v[122:123], v[120:121], v[124:125] op_sel_hi:[1,0,1]
	v_pk_fma_f32 v[120:121], v[122:123], v[120:121], v[124:125] neg_lo:[0,0,1] neg_hi:[0,0,1]
	v_mov_b32_e32 v121, v127
	s_delay_alu instid0(VALU_DEP_1)
	v_pk_add_f32 v[116:117], v[116:117], v[120:121]
	s_and_not1_b32 exec_lo, exec_lo, s0
	s_cbranch_execnz .LBB119_82
; %bb.83:
	s_or_b32 exec_lo, exec_lo, s0
.LBB119_84:
	s_delay_alu instid0(SALU_CYCLE_1) | instskip(SKIP_4) | instid1(VALU_DEP_1)
	s_or_b32 exec_lo, exec_lo, s55
	v_mov_b32_e32 v118, 0
	ds_load_b64 v[118:119], v118 offset:376
	s_wait_dscnt 0x0
	v_pk_mul_f32 v[120:121], v[116:117], v[118:119] op_sel:[1,1] op_sel_hi:[0,1]
	v_pk_fma_f32 v[122:123], v[116:117], v[118:119], v[120:121] op_sel_hi:[1,0,1]
	v_pk_fma_f32 v[116:117], v[116:117], v[118:119], v[120:121] neg_lo:[0,0,1] neg_hi:[0,0,1]
	s_delay_alu instid0(VALU_DEP_2)
	v_mov_b32_e32 v117, v123
	scratch_store_b64 off, v[116:117], off offset:376
.LBB119_85:
	s_wait_xcnt 0x0
	s_or_b32 exec_lo, exec_lo, s54
	scratch_load_b64 v[116:117], off, off offset:368
	v_cmp_lt_u32_e64 s0, 46, v0
	s_wait_loadcnt 0x0
	ds_store_b64 v1, v[116:117]
	s_wait_storecnt_dscnt 0x0
	s_barrier_signal -1
	s_barrier_wait -1
	s_wait_xcnt 0x0
	s_and_saveexec_b32 s53, s0
	s_cbranch_execz .LBB119_95
; %bb.86:
	s_and_not1_b32 vcc_lo, exec_lo, s3
	s_cbranch_vccnz .LBB119_88
; %bb.87:
	scratch_load_b64 v[116:117], v59, off
	ds_load_b64 v[118:119], v1
	s_wait_loadcnt_dscnt 0x0
	v_pk_mul_f32 v[120:121], v[118:119], v[116:117] op_sel:[1,1] op_sel_hi:[0,1]
	s_delay_alu instid0(VALU_DEP_1) | instskip(SKIP_1) | instid1(VALU_DEP_2)
	v_pk_fma_f32 v[122:123], v[118:119], v[116:117], v[120:121] op_sel_hi:[1,0,1]
	v_pk_fma_f32 v[116:117], v[118:119], v[116:117], v[120:121] neg_lo:[0,0,1] neg_hi:[0,0,1]
	v_mov_b32_e32 v117, v123
	s_cbranch_execz .LBB119_89
	s_branch .LBB119_90
.LBB119_88:
                                        ; implicit-def: $vgpr116_vgpr117
.LBB119_89:
	ds_load_b64 v[116:117], v1
.LBB119_90:
	s_and_saveexec_b32 s54, s1
	s_cbranch_execz .LBB119_94
; %bb.91:
	v_subrev_nc_u32_e32 v118, 47, v0
	s_movk_i32 s55, 0x338
	s_mov_b32 s1, 0
.LBB119_92:                             ; =>This Inner Loop Header: Depth=1
	scratch_load_b64 v[120:121], off, s52
	v_dual_mov_b32 v119, s55 :: v_dual_add_nc_u32 v118, -1, v118
	s_add_co_i32 s55, s55, 8
	s_wait_xcnt 0x0
	s_add_co_i32 s52, s52, 8
	ds_load_b64 v[122:123], v119
	v_cmp_eq_u32_e32 vcc_lo, 0, v118
	s_or_b32 s1, vcc_lo, s1
	s_wait_loadcnt_dscnt 0x0
	v_pk_mul_f32 v[124:125], v[122:123], v[120:121] op_sel:[1,1] op_sel_hi:[0,1]
	s_delay_alu instid0(VALU_DEP_1) | instskip(SKIP_1) | instid1(VALU_DEP_2)
	v_pk_fma_f32 v[126:127], v[122:123], v[120:121], v[124:125] op_sel_hi:[1,0,1]
	v_pk_fma_f32 v[120:121], v[122:123], v[120:121], v[124:125] neg_lo:[0,0,1] neg_hi:[0,0,1]
	v_mov_b32_e32 v121, v127
	s_delay_alu instid0(VALU_DEP_1)
	v_pk_add_f32 v[116:117], v[116:117], v[120:121]
	s_and_not1_b32 exec_lo, exec_lo, s1
	s_cbranch_execnz .LBB119_92
; %bb.93:
	s_or_b32 exec_lo, exec_lo, s1
.LBB119_94:
	s_delay_alu instid0(SALU_CYCLE_1) | instskip(SKIP_4) | instid1(VALU_DEP_1)
	s_or_b32 exec_lo, exec_lo, s54
	v_mov_b32_e32 v118, 0
	ds_load_b64 v[118:119], v118 offset:368
	s_wait_dscnt 0x0
	v_pk_mul_f32 v[120:121], v[116:117], v[118:119] op_sel:[1,1] op_sel_hi:[0,1]
	v_pk_fma_f32 v[122:123], v[116:117], v[118:119], v[120:121] op_sel_hi:[1,0,1]
	v_pk_fma_f32 v[116:117], v[116:117], v[118:119], v[120:121] neg_lo:[0,0,1] neg_hi:[0,0,1]
	s_delay_alu instid0(VALU_DEP_2)
	v_mov_b32_e32 v117, v123
	scratch_store_b64 off, v[116:117], off offset:368
.LBB119_95:
	s_wait_xcnt 0x0
	s_or_b32 exec_lo, exec_lo, s53
	scratch_load_b64 v[116:117], off, off offset:360
	v_cmp_lt_u32_e64 s1, 45, v0
	s_wait_loadcnt 0x0
	ds_store_b64 v1, v[116:117]
	s_wait_storecnt_dscnt 0x0
	s_barrier_signal -1
	s_barrier_wait -1
	s_wait_xcnt 0x0
	s_and_saveexec_b32 s52, s1
	s_cbranch_execz .LBB119_105
; %bb.96:
	s_and_not1_b32 vcc_lo, exec_lo, s3
	s_cbranch_vccnz .LBB119_98
; %bb.97:
	scratch_load_b64 v[116:117], v59, off
	ds_load_b64 v[118:119], v1
	s_wait_loadcnt_dscnt 0x0
	v_pk_mul_f32 v[120:121], v[118:119], v[116:117] op_sel:[1,1] op_sel_hi:[0,1]
	s_delay_alu instid0(VALU_DEP_1) | instskip(SKIP_1) | instid1(VALU_DEP_2)
	v_pk_fma_f32 v[122:123], v[118:119], v[116:117], v[120:121] op_sel_hi:[1,0,1]
	v_pk_fma_f32 v[116:117], v[118:119], v[116:117], v[120:121] neg_lo:[0,0,1] neg_hi:[0,0,1]
	v_mov_b32_e32 v117, v123
	s_cbranch_execz .LBB119_99
	s_branch .LBB119_100
.LBB119_98:
                                        ; implicit-def: $vgpr116_vgpr117
.LBB119_99:
	ds_load_b64 v[116:117], v1
.LBB119_100:
	s_and_saveexec_b32 s53, s0
	s_cbranch_execz .LBB119_104
; %bb.101:
	v_subrev_nc_u32_e32 v118, 46, v0
	s_movk_i32 s54, 0x330
	s_mov_b32 s0, 0
.LBB119_102:                            ; =>This Inner Loop Header: Depth=1
	scratch_load_b64 v[120:121], off, s51
	v_dual_mov_b32 v119, s54 :: v_dual_add_nc_u32 v118, -1, v118
	s_add_co_i32 s54, s54, 8
	s_wait_xcnt 0x0
	s_add_co_i32 s51, s51, 8
	ds_load_b64 v[122:123], v119
	v_cmp_eq_u32_e32 vcc_lo, 0, v118
	s_or_b32 s0, vcc_lo, s0
	s_wait_loadcnt_dscnt 0x0
	v_pk_mul_f32 v[124:125], v[122:123], v[120:121] op_sel:[1,1] op_sel_hi:[0,1]
	s_delay_alu instid0(VALU_DEP_1) | instskip(SKIP_1) | instid1(VALU_DEP_2)
	v_pk_fma_f32 v[126:127], v[122:123], v[120:121], v[124:125] op_sel_hi:[1,0,1]
	v_pk_fma_f32 v[120:121], v[122:123], v[120:121], v[124:125] neg_lo:[0,0,1] neg_hi:[0,0,1]
	v_mov_b32_e32 v121, v127
	s_delay_alu instid0(VALU_DEP_1)
	v_pk_add_f32 v[116:117], v[116:117], v[120:121]
	s_and_not1_b32 exec_lo, exec_lo, s0
	s_cbranch_execnz .LBB119_102
; %bb.103:
	s_or_b32 exec_lo, exec_lo, s0
.LBB119_104:
	s_delay_alu instid0(SALU_CYCLE_1) | instskip(SKIP_4) | instid1(VALU_DEP_1)
	s_or_b32 exec_lo, exec_lo, s53
	v_mov_b32_e32 v118, 0
	ds_load_b64 v[118:119], v118 offset:360
	s_wait_dscnt 0x0
	v_pk_mul_f32 v[120:121], v[116:117], v[118:119] op_sel:[1,1] op_sel_hi:[0,1]
	v_pk_fma_f32 v[122:123], v[116:117], v[118:119], v[120:121] op_sel_hi:[1,0,1]
	v_pk_fma_f32 v[116:117], v[116:117], v[118:119], v[120:121] neg_lo:[0,0,1] neg_hi:[0,0,1]
	s_delay_alu instid0(VALU_DEP_2)
	v_mov_b32_e32 v117, v123
	scratch_store_b64 off, v[116:117], off offset:360
.LBB119_105:
	s_wait_xcnt 0x0
	s_or_b32 exec_lo, exec_lo, s52
	scratch_load_b64 v[116:117], off, off offset:352
	v_cmp_lt_u32_e64 s0, 44, v0
	s_wait_loadcnt 0x0
	ds_store_b64 v1, v[116:117]
	s_wait_storecnt_dscnt 0x0
	s_barrier_signal -1
	s_barrier_wait -1
	s_wait_xcnt 0x0
	s_and_saveexec_b32 s51, s0
	s_cbranch_execz .LBB119_115
; %bb.106:
	s_and_not1_b32 vcc_lo, exec_lo, s3
	s_cbranch_vccnz .LBB119_108
; %bb.107:
	scratch_load_b64 v[116:117], v59, off
	ds_load_b64 v[118:119], v1
	s_wait_loadcnt_dscnt 0x0
	v_pk_mul_f32 v[120:121], v[118:119], v[116:117] op_sel:[1,1] op_sel_hi:[0,1]
	s_delay_alu instid0(VALU_DEP_1) | instskip(SKIP_1) | instid1(VALU_DEP_2)
	v_pk_fma_f32 v[122:123], v[118:119], v[116:117], v[120:121] op_sel_hi:[1,0,1]
	v_pk_fma_f32 v[116:117], v[118:119], v[116:117], v[120:121] neg_lo:[0,0,1] neg_hi:[0,0,1]
	v_mov_b32_e32 v117, v123
	s_cbranch_execz .LBB119_109
	s_branch .LBB119_110
.LBB119_108:
                                        ; implicit-def: $vgpr116_vgpr117
.LBB119_109:
	ds_load_b64 v[116:117], v1
.LBB119_110:
	s_and_saveexec_b32 s52, s1
	s_cbranch_execz .LBB119_114
; %bb.111:
	v_subrev_nc_u32_e32 v118, 45, v0
	s_movk_i32 s53, 0x328
	s_mov_b32 s1, 0
.LBB119_112:                            ; =>This Inner Loop Header: Depth=1
	scratch_load_b64 v[120:121], off, s50
	v_dual_mov_b32 v119, s53 :: v_dual_add_nc_u32 v118, -1, v118
	s_add_co_i32 s53, s53, 8
	s_wait_xcnt 0x0
	s_add_co_i32 s50, s50, 8
	ds_load_b64 v[122:123], v119
	v_cmp_eq_u32_e32 vcc_lo, 0, v118
	s_or_b32 s1, vcc_lo, s1
	s_wait_loadcnt_dscnt 0x0
	v_pk_mul_f32 v[124:125], v[122:123], v[120:121] op_sel:[1,1] op_sel_hi:[0,1]
	s_delay_alu instid0(VALU_DEP_1) | instskip(SKIP_1) | instid1(VALU_DEP_2)
	v_pk_fma_f32 v[126:127], v[122:123], v[120:121], v[124:125] op_sel_hi:[1,0,1]
	v_pk_fma_f32 v[120:121], v[122:123], v[120:121], v[124:125] neg_lo:[0,0,1] neg_hi:[0,0,1]
	v_mov_b32_e32 v121, v127
	s_delay_alu instid0(VALU_DEP_1)
	v_pk_add_f32 v[116:117], v[116:117], v[120:121]
	s_and_not1_b32 exec_lo, exec_lo, s1
	s_cbranch_execnz .LBB119_112
; %bb.113:
	s_or_b32 exec_lo, exec_lo, s1
.LBB119_114:
	s_delay_alu instid0(SALU_CYCLE_1) | instskip(SKIP_4) | instid1(VALU_DEP_1)
	s_or_b32 exec_lo, exec_lo, s52
	v_mov_b32_e32 v118, 0
	ds_load_b64 v[118:119], v118 offset:352
	s_wait_dscnt 0x0
	v_pk_mul_f32 v[120:121], v[116:117], v[118:119] op_sel:[1,1] op_sel_hi:[0,1]
	v_pk_fma_f32 v[122:123], v[116:117], v[118:119], v[120:121] op_sel_hi:[1,0,1]
	v_pk_fma_f32 v[116:117], v[116:117], v[118:119], v[120:121] neg_lo:[0,0,1] neg_hi:[0,0,1]
	s_delay_alu instid0(VALU_DEP_2)
	v_mov_b32_e32 v117, v123
	scratch_store_b64 off, v[116:117], off offset:352
.LBB119_115:
	s_wait_xcnt 0x0
	s_or_b32 exec_lo, exec_lo, s51
	scratch_load_b64 v[116:117], off, off offset:344
	v_cmp_lt_u32_e64 s1, 43, v0
	s_wait_loadcnt 0x0
	ds_store_b64 v1, v[116:117]
	s_wait_storecnt_dscnt 0x0
	s_barrier_signal -1
	s_barrier_wait -1
	s_wait_xcnt 0x0
	s_and_saveexec_b32 s50, s1
	s_cbranch_execz .LBB119_125
; %bb.116:
	s_and_not1_b32 vcc_lo, exec_lo, s3
	s_cbranch_vccnz .LBB119_118
; %bb.117:
	scratch_load_b64 v[116:117], v59, off
	ds_load_b64 v[118:119], v1
	s_wait_loadcnt_dscnt 0x0
	v_pk_mul_f32 v[120:121], v[118:119], v[116:117] op_sel:[1,1] op_sel_hi:[0,1]
	s_delay_alu instid0(VALU_DEP_1) | instskip(SKIP_1) | instid1(VALU_DEP_2)
	v_pk_fma_f32 v[122:123], v[118:119], v[116:117], v[120:121] op_sel_hi:[1,0,1]
	v_pk_fma_f32 v[116:117], v[118:119], v[116:117], v[120:121] neg_lo:[0,0,1] neg_hi:[0,0,1]
	v_mov_b32_e32 v117, v123
	s_cbranch_execz .LBB119_119
	s_branch .LBB119_120
.LBB119_118:
                                        ; implicit-def: $vgpr116_vgpr117
.LBB119_119:
	ds_load_b64 v[116:117], v1
.LBB119_120:
	s_and_saveexec_b32 s51, s0
	s_cbranch_execz .LBB119_124
; %bb.121:
	v_subrev_nc_u32_e32 v118, 44, v0
	s_movk_i32 s52, 0x320
	s_mov_b32 s0, 0
.LBB119_122:                            ; =>This Inner Loop Header: Depth=1
	scratch_load_b64 v[120:121], off, s49
	v_dual_mov_b32 v119, s52 :: v_dual_add_nc_u32 v118, -1, v118
	s_add_co_i32 s52, s52, 8
	s_wait_xcnt 0x0
	s_add_co_i32 s49, s49, 8
	ds_load_b64 v[122:123], v119
	v_cmp_eq_u32_e32 vcc_lo, 0, v118
	s_or_b32 s0, vcc_lo, s0
	s_wait_loadcnt_dscnt 0x0
	v_pk_mul_f32 v[124:125], v[122:123], v[120:121] op_sel:[1,1] op_sel_hi:[0,1]
	s_delay_alu instid0(VALU_DEP_1) | instskip(SKIP_1) | instid1(VALU_DEP_2)
	v_pk_fma_f32 v[126:127], v[122:123], v[120:121], v[124:125] op_sel_hi:[1,0,1]
	v_pk_fma_f32 v[120:121], v[122:123], v[120:121], v[124:125] neg_lo:[0,0,1] neg_hi:[0,0,1]
	v_mov_b32_e32 v121, v127
	s_delay_alu instid0(VALU_DEP_1)
	v_pk_add_f32 v[116:117], v[116:117], v[120:121]
	s_and_not1_b32 exec_lo, exec_lo, s0
	s_cbranch_execnz .LBB119_122
; %bb.123:
	s_or_b32 exec_lo, exec_lo, s0
.LBB119_124:
	s_delay_alu instid0(SALU_CYCLE_1) | instskip(SKIP_4) | instid1(VALU_DEP_1)
	s_or_b32 exec_lo, exec_lo, s51
	v_mov_b32_e32 v118, 0
	ds_load_b64 v[118:119], v118 offset:344
	s_wait_dscnt 0x0
	v_pk_mul_f32 v[120:121], v[116:117], v[118:119] op_sel:[1,1] op_sel_hi:[0,1]
	v_pk_fma_f32 v[122:123], v[116:117], v[118:119], v[120:121] op_sel_hi:[1,0,1]
	v_pk_fma_f32 v[116:117], v[116:117], v[118:119], v[120:121] neg_lo:[0,0,1] neg_hi:[0,0,1]
	s_delay_alu instid0(VALU_DEP_2)
	v_mov_b32_e32 v117, v123
	scratch_store_b64 off, v[116:117], off offset:344
.LBB119_125:
	s_wait_xcnt 0x0
	s_or_b32 exec_lo, exec_lo, s50
	scratch_load_b64 v[116:117], off, off offset:336
	v_cmp_lt_u32_e64 s0, 42, v0
	s_wait_loadcnt 0x0
	ds_store_b64 v1, v[116:117]
	s_wait_storecnt_dscnt 0x0
	s_barrier_signal -1
	s_barrier_wait -1
	s_wait_xcnt 0x0
	s_and_saveexec_b32 s49, s0
	s_cbranch_execz .LBB119_135
; %bb.126:
	s_and_not1_b32 vcc_lo, exec_lo, s3
	s_cbranch_vccnz .LBB119_128
; %bb.127:
	scratch_load_b64 v[116:117], v59, off
	ds_load_b64 v[118:119], v1
	s_wait_loadcnt_dscnt 0x0
	v_pk_mul_f32 v[120:121], v[118:119], v[116:117] op_sel:[1,1] op_sel_hi:[0,1]
	s_delay_alu instid0(VALU_DEP_1) | instskip(SKIP_1) | instid1(VALU_DEP_2)
	v_pk_fma_f32 v[122:123], v[118:119], v[116:117], v[120:121] op_sel_hi:[1,0,1]
	v_pk_fma_f32 v[116:117], v[118:119], v[116:117], v[120:121] neg_lo:[0,0,1] neg_hi:[0,0,1]
	v_mov_b32_e32 v117, v123
	s_cbranch_execz .LBB119_129
	s_branch .LBB119_130
.LBB119_128:
                                        ; implicit-def: $vgpr116_vgpr117
.LBB119_129:
	ds_load_b64 v[116:117], v1
.LBB119_130:
	s_and_saveexec_b32 s50, s1
	s_cbranch_execz .LBB119_134
; %bb.131:
	v_subrev_nc_u32_e32 v118, 43, v0
	s_movk_i32 s51, 0x318
	s_mov_b32 s1, 0
.LBB119_132:                            ; =>This Inner Loop Header: Depth=1
	scratch_load_b64 v[120:121], off, s48
	v_dual_mov_b32 v119, s51 :: v_dual_add_nc_u32 v118, -1, v118
	s_add_co_i32 s51, s51, 8
	s_wait_xcnt 0x0
	s_add_co_i32 s48, s48, 8
	ds_load_b64 v[122:123], v119
	v_cmp_eq_u32_e32 vcc_lo, 0, v118
	s_or_b32 s1, vcc_lo, s1
	s_wait_loadcnt_dscnt 0x0
	v_pk_mul_f32 v[124:125], v[122:123], v[120:121] op_sel:[1,1] op_sel_hi:[0,1]
	s_delay_alu instid0(VALU_DEP_1) | instskip(SKIP_1) | instid1(VALU_DEP_2)
	v_pk_fma_f32 v[126:127], v[122:123], v[120:121], v[124:125] op_sel_hi:[1,0,1]
	v_pk_fma_f32 v[120:121], v[122:123], v[120:121], v[124:125] neg_lo:[0,0,1] neg_hi:[0,0,1]
	v_mov_b32_e32 v121, v127
	s_delay_alu instid0(VALU_DEP_1)
	v_pk_add_f32 v[116:117], v[116:117], v[120:121]
	s_and_not1_b32 exec_lo, exec_lo, s1
	s_cbranch_execnz .LBB119_132
; %bb.133:
	s_or_b32 exec_lo, exec_lo, s1
.LBB119_134:
	s_delay_alu instid0(SALU_CYCLE_1) | instskip(SKIP_4) | instid1(VALU_DEP_1)
	s_or_b32 exec_lo, exec_lo, s50
	v_mov_b32_e32 v118, 0
	ds_load_b64 v[118:119], v118 offset:336
	s_wait_dscnt 0x0
	v_pk_mul_f32 v[120:121], v[116:117], v[118:119] op_sel:[1,1] op_sel_hi:[0,1]
	v_pk_fma_f32 v[122:123], v[116:117], v[118:119], v[120:121] op_sel_hi:[1,0,1]
	v_pk_fma_f32 v[116:117], v[116:117], v[118:119], v[120:121] neg_lo:[0,0,1] neg_hi:[0,0,1]
	s_delay_alu instid0(VALU_DEP_2)
	v_mov_b32_e32 v117, v123
	scratch_store_b64 off, v[116:117], off offset:336
.LBB119_135:
	s_wait_xcnt 0x0
	s_or_b32 exec_lo, exec_lo, s49
	scratch_load_b64 v[116:117], off, off offset:328
	v_cmp_lt_u32_e64 s1, 41, v0
	s_wait_loadcnt 0x0
	ds_store_b64 v1, v[116:117]
	s_wait_storecnt_dscnt 0x0
	s_barrier_signal -1
	s_barrier_wait -1
	s_wait_xcnt 0x0
	s_and_saveexec_b32 s48, s1
	s_cbranch_execz .LBB119_145
; %bb.136:
	s_and_not1_b32 vcc_lo, exec_lo, s3
	s_cbranch_vccnz .LBB119_138
; %bb.137:
	scratch_load_b64 v[116:117], v59, off
	ds_load_b64 v[118:119], v1
	s_wait_loadcnt_dscnt 0x0
	v_pk_mul_f32 v[120:121], v[118:119], v[116:117] op_sel:[1,1] op_sel_hi:[0,1]
	s_delay_alu instid0(VALU_DEP_1) | instskip(SKIP_1) | instid1(VALU_DEP_2)
	v_pk_fma_f32 v[122:123], v[118:119], v[116:117], v[120:121] op_sel_hi:[1,0,1]
	v_pk_fma_f32 v[116:117], v[118:119], v[116:117], v[120:121] neg_lo:[0,0,1] neg_hi:[0,0,1]
	v_mov_b32_e32 v117, v123
	s_cbranch_execz .LBB119_139
	s_branch .LBB119_140
.LBB119_138:
                                        ; implicit-def: $vgpr116_vgpr117
.LBB119_139:
	ds_load_b64 v[116:117], v1
.LBB119_140:
	s_and_saveexec_b32 s49, s0
	s_cbranch_execz .LBB119_144
; %bb.141:
	v_subrev_nc_u32_e32 v118, 42, v0
	s_movk_i32 s50, 0x310
	s_mov_b32 s0, 0
.LBB119_142:                            ; =>This Inner Loop Header: Depth=1
	scratch_load_b64 v[120:121], off, s47
	v_dual_mov_b32 v119, s50 :: v_dual_add_nc_u32 v118, -1, v118
	s_add_co_i32 s50, s50, 8
	s_wait_xcnt 0x0
	s_add_co_i32 s47, s47, 8
	ds_load_b64 v[122:123], v119
	v_cmp_eq_u32_e32 vcc_lo, 0, v118
	s_or_b32 s0, vcc_lo, s0
	s_wait_loadcnt_dscnt 0x0
	v_pk_mul_f32 v[124:125], v[122:123], v[120:121] op_sel:[1,1] op_sel_hi:[0,1]
	s_delay_alu instid0(VALU_DEP_1) | instskip(SKIP_1) | instid1(VALU_DEP_2)
	v_pk_fma_f32 v[126:127], v[122:123], v[120:121], v[124:125] op_sel_hi:[1,0,1]
	v_pk_fma_f32 v[120:121], v[122:123], v[120:121], v[124:125] neg_lo:[0,0,1] neg_hi:[0,0,1]
	v_mov_b32_e32 v121, v127
	s_delay_alu instid0(VALU_DEP_1)
	v_pk_add_f32 v[116:117], v[116:117], v[120:121]
	s_and_not1_b32 exec_lo, exec_lo, s0
	s_cbranch_execnz .LBB119_142
; %bb.143:
	s_or_b32 exec_lo, exec_lo, s0
.LBB119_144:
	s_delay_alu instid0(SALU_CYCLE_1) | instskip(SKIP_4) | instid1(VALU_DEP_1)
	s_or_b32 exec_lo, exec_lo, s49
	v_mov_b32_e32 v118, 0
	ds_load_b64 v[118:119], v118 offset:328
	s_wait_dscnt 0x0
	v_pk_mul_f32 v[120:121], v[116:117], v[118:119] op_sel:[1,1] op_sel_hi:[0,1]
	v_pk_fma_f32 v[122:123], v[116:117], v[118:119], v[120:121] op_sel_hi:[1,0,1]
	v_pk_fma_f32 v[116:117], v[116:117], v[118:119], v[120:121] neg_lo:[0,0,1] neg_hi:[0,0,1]
	s_delay_alu instid0(VALU_DEP_2)
	v_mov_b32_e32 v117, v123
	scratch_store_b64 off, v[116:117], off offset:328
.LBB119_145:
	s_wait_xcnt 0x0
	s_or_b32 exec_lo, exec_lo, s48
	scratch_load_b64 v[116:117], off, off offset:320
	v_cmp_lt_u32_e64 s0, 40, v0
	s_wait_loadcnt 0x0
	ds_store_b64 v1, v[116:117]
	s_wait_storecnt_dscnt 0x0
	s_barrier_signal -1
	s_barrier_wait -1
	s_wait_xcnt 0x0
	s_and_saveexec_b32 s47, s0
	s_cbranch_execz .LBB119_155
; %bb.146:
	s_and_not1_b32 vcc_lo, exec_lo, s3
	s_cbranch_vccnz .LBB119_148
; %bb.147:
	scratch_load_b64 v[116:117], v59, off
	ds_load_b64 v[118:119], v1
	s_wait_loadcnt_dscnt 0x0
	v_pk_mul_f32 v[120:121], v[118:119], v[116:117] op_sel:[1,1] op_sel_hi:[0,1]
	s_delay_alu instid0(VALU_DEP_1) | instskip(SKIP_1) | instid1(VALU_DEP_2)
	v_pk_fma_f32 v[122:123], v[118:119], v[116:117], v[120:121] op_sel_hi:[1,0,1]
	v_pk_fma_f32 v[116:117], v[118:119], v[116:117], v[120:121] neg_lo:[0,0,1] neg_hi:[0,0,1]
	v_mov_b32_e32 v117, v123
	s_cbranch_execz .LBB119_149
	s_branch .LBB119_150
.LBB119_148:
                                        ; implicit-def: $vgpr116_vgpr117
.LBB119_149:
	ds_load_b64 v[116:117], v1
.LBB119_150:
	s_and_saveexec_b32 s48, s1
	s_cbranch_execz .LBB119_154
; %bb.151:
	v_subrev_nc_u32_e32 v118, 41, v0
	s_movk_i32 s49, 0x308
	s_mov_b32 s1, 0
.LBB119_152:                            ; =>This Inner Loop Header: Depth=1
	scratch_load_b64 v[120:121], off, s46
	v_dual_mov_b32 v119, s49 :: v_dual_add_nc_u32 v118, -1, v118
	s_add_co_i32 s49, s49, 8
	s_wait_xcnt 0x0
	s_add_co_i32 s46, s46, 8
	ds_load_b64 v[122:123], v119
	v_cmp_eq_u32_e32 vcc_lo, 0, v118
	s_or_b32 s1, vcc_lo, s1
	s_wait_loadcnt_dscnt 0x0
	v_pk_mul_f32 v[124:125], v[122:123], v[120:121] op_sel:[1,1] op_sel_hi:[0,1]
	s_delay_alu instid0(VALU_DEP_1) | instskip(SKIP_1) | instid1(VALU_DEP_2)
	v_pk_fma_f32 v[126:127], v[122:123], v[120:121], v[124:125] op_sel_hi:[1,0,1]
	v_pk_fma_f32 v[120:121], v[122:123], v[120:121], v[124:125] neg_lo:[0,0,1] neg_hi:[0,0,1]
	v_mov_b32_e32 v121, v127
	s_delay_alu instid0(VALU_DEP_1)
	v_pk_add_f32 v[116:117], v[116:117], v[120:121]
	s_and_not1_b32 exec_lo, exec_lo, s1
	s_cbranch_execnz .LBB119_152
; %bb.153:
	s_or_b32 exec_lo, exec_lo, s1
.LBB119_154:
	s_delay_alu instid0(SALU_CYCLE_1) | instskip(SKIP_4) | instid1(VALU_DEP_1)
	s_or_b32 exec_lo, exec_lo, s48
	v_mov_b32_e32 v118, 0
	ds_load_b64 v[118:119], v118 offset:320
	s_wait_dscnt 0x0
	v_pk_mul_f32 v[120:121], v[116:117], v[118:119] op_sel:[1,1] op_sel_hi:[0,1]
	v_pk_fma_f32 v[122:123], v[116:117], v[118:119], v[120:121] op_sel_hi:[1,0,1]
	v_pk_fma_f32 v[116:117], v[116:117], v[118:119], v[120:121] neg_lo:[0,0,1] neg_hi:[0,0,1]
	s_delay_alu instid0(VALU_DEP_2)
	v_mov_b32_e32 v117, v123
	scratch_store_b64 off, v[116:117], off offset:320
.LBB119_155:
	s_wait_xcnt 0x0
	s_or_b32 exec_lo, exec_lo, s47
	scratch_load_b64 v[116:117], off, off offset:312
	v_cmp_lt_u32_e64 s1, 39, v0
	s_wait_loadcnt 0x0
	ds_store_b64 v1, v[116:117]
	s_wait_storecnt_dscnt 0x0
	s_barrier_signal -1
	s_barrier_wait -1
	s_wait_xcnt 0x0
	s_and_saveexec_b32 s46, s1
	s_cbranch_execz .LBB119_165
; %bb.156:
	s_and_not1_b32 vcc_lo, exec_lo, s3
	s_cbranch_vccnz .LBB119_158
; %bb.157:
	scratch_load_b64 v[116:117], v59, off
	ds_load_b64 v[118:119], v1
	s_wait_loadcnt_dscnt 0x0
	v_pk_mul_f32 v[120:121], v[118:119], v[116:117] op_sel:[1,1] op_sel_hi:[0,1]
	s_delay_alu instid0(VALU_DEP_1) | instskip(SKIP_1) | instid1(VALU_DEP_2)
	v_pk_fma_f32 v[122:123], v[118:119], v[116:117], v[120:121] op_sel_hi:[1,0,1]
	v_pk_fma_f32 v[116:117], v[118:119], v[116:117], v[120:121] neg_lo:[0,0,1] neg_hi:[0,0,1]
	v_mov_b32_e32 v117, v123
	s_cbranch_execz .LBB119_159
	s_branch .LBB119_160
.LBB119_158:
                                        ; implicit-def: $vgpr116_vgpr117
.LBB119_159:
	ds_load_b64 v[116:117], v1
.LBB119_160:
	s_and_saveexec_b32 s47, s0
	s_cbranch_execz .LBB119_164
; %bb.161:
	v_subrev_nc_u32_e32 v118, 40, v0
	s_movk_i32 s48, 0x300
	s_mov_b32 s0, 0
.LBB119_162:                            ; =>This Inner Loop Header: Depth=1
	scratch_load_b64 v[120:121], off, s45
	v_dual_mov_b32 v119, s48 :: v_dual_add_nc_u32 v118, -1, v118
	s_add_co_i32 s48, s48, 8
	s_wait_xcnt 0x0
	s_add_co_i32 s45, s45, 8
	ds_load_b64 v[122:123], v119
	v_cmp_eq_u32_e32 vcc_lo, 0, v118
	s_or_b32 s0, vcc_lo, s0
	s_wait_loadcnt_dscnt 0x0
	v_pk_mul_f32 v[124:125], v[122:123], v[120:121] op_sel:[1,1] op_sel_hi:[0,1]
	s_delay_alu instid0(VALU_DEP_1) | instskip(SKIP_1) | instid1(VALU_DEP_2)
	v_pk_fma_f32 v[126:127], v[122:123], v[120:121], v[124:125] op_sel_hi:[1,0,1]
	v_pk_fma_f32 v[120:121], v[122:123], v[120:121], v[124:125] neg_lo:[0,0,1] neg_hi:[0,0,1]
	v_mov_b32_e32 v121, v127
	s_delay_alu instid0(VALU_DEP_1)
	v_pk_add_f32 v[116:117], v[116:117], v[120:121]
	s_and_not1_b32 exec_lo, exec_lo, s0
	s_cbranch_execnz .LBB119_162
; %bb.163:
	s_or_b32 exec_lo, exec_lo, s0
.LBB119_164:
	s_delay_alu instid0(SALU_CYCLE_1) | instskip(SKIP_4) | instid1(VALU_DEP_1)
	s_or_b32 exec_lo, exec_lo, s47
	v_mov_b32_e32 v118, 0
	ds_load_b64 v[118:119], v118 offset:312
	s_wait_dscnt 0x0
	v_pk_mul_f32 v[120:121], v[116:117], v[118:119] op_sel:[1,1] op_sel_hi:[0,1]
	v_pk_fma_f32 v[122:123], v[116:117], v[118:119], v[120:121] op_sel_hi:[1,0,1]
	v_pk_fma_f32 v[116:117], v[116:117], v[118:119], v[120:121] neg_lo:[0,0,1] neg_hi:[0,0,1]
	s_delay_alu instid0(VALU_DEP_2)
	v_mov_b32_e32 v117, v123
	scratch_store_b64 off, v[116:117], off offset:312
.LBB119_165:
	s_wait_xcnt 0x0
	s_or_b32 exec_lo, exec_lo, s46
	scratch_load_b64 v[116:117], off, off offset:304
	v_cmp_lt_u32_e64 s0, 38, v0
	s_wait_loadcnt 0x0
	ds_store_b64 v1, v[116:117]
	s_wait_storecnt_dscnt 0x0
	s_barrier_signal -1
	s_barrier_wait -1
	s_wait_xcnt 0x0
	s_and_saveexec_b32 s45, s0
	s_cbranch_execz .LBB119_175
; %bb.166:
	s_and_not1_b32 vcc_lo, exec_lo, s3
	s_cbranch_vccnz .LBB119_168
; %bb.167:
	scratch_load_b64 v[116:117], v59, off
	ds_load_b64 v[118:119], v1
	s_wait_loadcnt_dscnt 0x0
	v_pk_mul_f32 v[120:121], v[118:119], v[116:117] op_sel:[1,1] op_sel_hi:[0,1]
	s_delay_alu instid0(VALU_DEP_1) | instskip(SKIP_1) | instid1(VALU_DEP_2)
	v_pk_fma_f32 v[122:123], v[118:119], v[116:117], v[120:121] op_sel_hi:[1,0,1]
	v_pk_fma_f32 v[116:117], v[118:119], v[116:117], v[120:121] neg_lo:[0,0,1] neg_hi:[0,0,1]
	v_mov_b32_e32 v117, v123
	s_cbranch_execz .LBB119_169
	s_branch .LBB119_170
.LBB119_168:
                                        ; implicit-def: $vgpr116_vgpr117
.LBB119_169:
	ds_load_b64 v[116:117], v1
.LBB119_170:
	s_and_saveexec_b32 s46, s1
	s_cbranch_execz .LBB119_174
; %bb.171:
	v_subrev_nc_u32_e32 v118, 39, v0
	s_movk_i32 s47, 0x2f8
	s_mov_b32 s1, 0
.LBB119_172:                            ; =>This Inner Loop Header: Depth=1
	scratch_load_b64 v[120:121], off, s44
	v_dual_mov_b32 v119, s47 :: v_dual_add_nc_u32 v118, -1, v118
	s_add_co_i32 s47, s47, 8
	s_wait_xcnt 0x0
	s_add_co_i32 s44, s44, 8
	ds_load_b64 v[122:123], v119
	v_cmp_eq_u32_e32 vcc_lo, 0, v118
	s_or_b32 s1, vcc_lo, s1
	s_wait_loadcnt_dscnt 0x0
	v_pk_mul_f32 v[124:125], v[122:123], v[120:121] op_sel:[1,1] op_sel_hi:[0,1]
	s_delay_alu instid0(VALU_DEP_1) | instskip(SKIP_1) | instid1(VALU_DEP_2)
	v_pk_fma_f32 v[126:127], v[122:123], v[120:121], v[124:125] op_sel_hi:[1,0,1]
	v_pk_fma_f32 v[120:121], v[122:123], v[120:121], v[124:125] neg_lo:[0,0,1] neg_hi:[0,0,1]
	v_mov_b32_e32 v121, v127
	s_delay_alu instid0(VALU_DEP_1)
	v_pk_add_f32 v[116:117], v[116:117], v[120:121]
	s_and_not1_b32 exec_lo, exec_lo, s1
	s_cbranch_execnz .LBB119_172
; %bb.173:
	s_or_b32 exec_lo, exec_lo, s1
.LBB119_174:
	s_delay_alu instid0(SALU_CYCLE_1) | instskip(SKIP_4) | instid1(VALU_DEP_1)
	s_or_b32 exec_lo, exec_lo, s46
	v_mov_b32_e32 v118, 0
	ds_load_b64 v[118:119], v118 offset:304
	s_wait_dscnt 0x0
	v_pk_mul_f32 v[120:121], v[116:117], v[118:119] op_sel:[1,1] op_sel_hi:[0,1]
	v_pk_fma_f32 v[122:123], v[116:117], v[118:119], v[120:121] op_sel_hi:[1,0,1]
	v_pk_fma_f32 v[116:117], v[116:117], v[118:119], v[120:121] neg_lo:[0,0,1] neg_hi:[0,0,1]
	s_delay_alu instid0(VALU_DEP_2)
	v_mov_b32_e32 v117, v123
	scratch_store_b64 off, v[116:117], off offset:304
.LBB119_175:
	s_wait_xcnt 0x0
	s_or_b32 exec_lo, exec_lo, s45
	scratch_load_b64 v[116:117], off, off offset:296
	v_cmp_lt_u32_e64 s1, 37, v0
	s_wait_loadcnt 0x0
	ds_store_b64 v1, v[116:117]
	s_wait_storecnt_dscnt 0x0
	s_barrier_signal -1
	s_barrier_wait -1
	s_wait_xcnt 0x0
	s_and_saveexec_b32 s44, s1
	s_cbranch_execz .LBB119_185
; %bb.176:
	s_and_not1_b32 vcc_lo, exec_lo, s3
	s_cbranch_vccnz .LBB119_178
; %bb.177:
	scratch_load_b64 v[116:117], v59, off
	ds_load_b64 v[118:119], v1
	s_wait_loadcnt_dscnt 0x0
	v_pk_mul_f32 v[120:121], v[118:119], v[116:117] op_sel:[1,1] op_sel_hi:[0,1]
	s_delay_alu instid0(VALU_DEP_1) | instskip(SKIP_1) | instid1(VALU_DEP_2)
	v_pk_fma_f32 v[122:123], v[118:119], v[116:117], v[120:121] op_sel_hi:[1,0,1]
	v_pk_fma_f32 v[116:117], v[118:119], v[116:117], v[120:121] neg_lo:[0,0,1] neg_hi:[0,0,1]
	v_mov_b32_e32 v117, v123
	s_cbranch_execz .LBB119_179
	s_branch .LBB119_180
.LBB119_178:
                                        ; implicit-def: $vgpr116_vgpr117
.LBB119_179:
	ds_load_b64 v[116:117], v1
.LBB119_180:
	s_and_saveexec_b32 s45, s0
	s_cbranch_execz .LBB119_184
; %bb.181:
	v_subrev_nc_u32_e32 v118, 38, v0
	s_movk_i32 s46, 0x2f0
	s_mov_b32 s0, 0
.LBB119_182:                            ; =>This Inner Loop Header: Depth=1
	scratch_load_b64 v[120:121], off, s43
	v_dual_mov_b32 v119, s46 :: v_dual_add_nc_u32 v118, -1, v118
	s_add_co_i32 s46, s46, 8
	s_wait_xcnt 0x0
	s_add_co_i32 s43, s43, 8
	ds_load_b64 v[122:123], v119
	v_cmp_eq_u32_e32 vcc_lo, 0, v118
	s_or_b32 s0, vcc_lo, s0
	s_wait_loadcnt_dscnt 0x0
	v_pk_mul_f32 v[124:125], v[122:123], v[120:121] op_sel:[1,1] op_sel_hi:[0,1]
	s_delay_alu instid0(VALU_DEP_1) | instskip(SKIP_1) | instid1(VALU_DEP_2)
	v_pk_fma_f32 v[126:127], v[122:123], v[120:121], v[124:125] op_sel_hi:[1,0,1]
	v_pk_fma_f32 v[120:121], v[122:123], v[120:121], v[124:125] neg_lo:[0,0,1] neg_hi:[0,0,1]
	v_mov_b32_e32 v121, v127
	s_delay_alu instid0(VALU_DEP_1)
	v_pk_add_f32 v[116:117], v[116:117], v[120:121]
	s_and_not1_b32 exec_lo, exec_lo, s0
	s_cbranch_execnz .LBB119_182
; %bb.183:
	s_or_b32 exec_lo, exec_lo, s0
.LBB119_184:
	s_delay_alu instid0(SALU_CYCLE_1) | instskip(SKIP_4) | instid1(VALU_DEP_1)
	s_or_b32 exec_lo, exec_lo, s45
	v_mov_b32_e32 v118, 0
	ds_load_b64 v[118:119], v118 offset:296
	s_wait_dscnt 0x0
	v_pk_mul_f32 v[120:121], v[116:117], v[118:119] op_sel:[1,1] op_sel_hi:[0,1]
	v_pk_fma_f32 v[122:123], v[116:117], v[118:119], v[120:121] op_sel_hi:[1,0,1]
	v_pk_fma_f32 v[116:117], v[116:117], v[118:119], v[120:121] neg_lo:[0,0,1] neg_hi:[0,0,1]
	s_delay_alu instid0(VALU_DEP_2)
	v_mov_b32_e32 v117, v123
	scratch_store_b64 off, v[116:117], off offset:296
.LBB119_185:
	s_wait_xcnt 0x0
	s_or_b32 exec_lo, exec_lo, s44
	scratch_load_b64 v[116:117], off, off offset:288
	v_cmp_lt_u32_e64 s0, 36, v0
	s_wait_loadcnt 0x0
	ds_store_b64 v1, v[116:117]
	s_wait_storecnt_dscnt 0x0
	s_barrier_signal -1
	s_barrier_wait -1
	s_wait_xcnt 0x0
	s_and_saveexec_b32 s43, s0
	s_cbranch_execz .LBB119_195
; %bb.186:
	s_and_not1_b32 vcc_lo, exec_lo, s3
	s_cbranch_vccnz .LBB119_188
; %bb.187:
	scratch_load_b64 v[116:117], v59, off
	ds_load_b64 v[118:119], v1
	s_wait_loadcnt_dscnt 0x0
	v_pk_mul_f32 v[120:121], v[118:119], v[116:117] op_sel:[1,1] op_sel_hi:[0,1]
	s_delay_alu instid0(VALU_DEP_1) | instskip(SKIP_1) | instid1(VALU_DEP_2)
	v_pk_fma_f32 v[122:123], v[118:119], v[116:117], v[120:121] op_sel_hi:[1,0,1]
	v_pk_fma_f32 v[116:117], v[118:119], v[116:117], v[120:121] neg_lo:[0,0,1] neg_hi:[0,0,1]
	v_mov_b32_e32 v117, v123
	s_cbranch_execz .LBB119_189
	s_branch .LBB119_190
.LBB119_188:
                                        ; implicit-def: $vgpr116_vgpr117
.LBB119_189:
	ds_load_b64 v[116:117], v1
.LBB119_190:
	s_and_saveexec_b32 s44, s1
	s_cbranch_execz .LBB119_194
; %bb.191:
	v_subrev_nc_u32_e32 v118, 37, v0
	s_movk_i32 s45, 0x2e8
	s_mov_b32 s1, 0
.LBB119_192:                            ; =>This Inner Loop Header: Depth=1
	scratch_load_b64 v[120:121], off, s42
	v_dual_mov_b32 v119, s45 :: v_dual_add_nc_u32 v118, -1, v118
	s_add_co_i32 s45, s45, 8
	s_wait_xcnt 0x0
	s_add_co_i32 s42, s42, 8
	ds_load_b64 v[122:123], v119
	v_cmp_eq_u32_e32 vcc_lo, 0, v118
	s_or_b32 s1, vcc_lo, s1
	s_wait_loadcnt_dscnt 0x0
	v_pk_mul_f32 v[124:125], v[122:123], v[120:121] op_sel:[1,1] op_sel_hi:[0,1]
	s_delay_alu instid0(VALU_DEP_1) | instskip(SKIP_1) | instid1(VALU_DEP_2)
	v_pk_fma_f32 v[126:127], v[122:123], v[120:121], v[124:125] op_sel_hi:[1,0,1]
	v_pk_fma_f32 v[120:121], v[122:123], v[120:121], v[124:125] neg_lo:[0,0,1] neg_hi:[0,0,1]
	v_mov_b32_e32 v121, v127
	s_delay_alu instid0(VALU_DEP_1)
	v_pk_add_f32 v[116:117], v[116:117], v[120:121]
	s_and_not1_b32 exec_lo, exec_lo, s1
	s_cbranch_execnz .LBB119_192
; %bb.193:
	s_or_b32 exec_lo, exec_lo, s1
.LBB119_194:
	s_delay_alu instid0(SALU_CYCLE_1) | instskip(SKIP_4) | instid1(VALU_DEP_1)
	s_or_b32 exec_lo, exec_lo, s44
	v_mov_b32_e32 v118, 0
	ds_load_b64 v[118:119], v118 offset:288
	s_wait_dscnt 0x0
	v_pk_mul_f32 v[120:121], v[116:117], v[118:119] op_sel:[1,1] op_sel_hi:[0,1]
	v_pk_fma_f32 v[122:123], v[116:117], v[118:119], v[120:121] op_sel_hi:[1,0,1]
	v_pk_fma_f32 v[116:117], v[116:117], v[118:119], v[120:121] neg_lo:[0,0,1] neg_hi:[0,0,1]
	s_delay_alu instid0(VALU_DEP_2)
	v_mov_b32_e32 v117, v123
	scratch_store_b64 off, v[116:117], off offset:288
.LBB119_195:
	s_wait_xcnt 0x0
	s_or_b32 exec_lo, exec_lo, s43
	scratch_load_b64 v[116:117], off, off offset:280
	v_cmp_lt_u32_e64 s1, 35, v0
	s_wait_loadcnt 0x0
	ds_store_b64 v1, v[116:117]
	s_wait_storecnt_dscnt 0x0
	s_barrier_signal -1
	s_barrier_wait -1
	s_wait_xcnt 0x0
	s_and_saveexec_b32 s42, s1
	s_cbranch_execz .LBB119_205
; %bb.196:
	s_and_not1_b32 vcc_lo, exec_lo, s3
	s_cbranch_vccnz .LBB119_198
; %bb.197:
	scratch_load_b64 v[116:117], v59, off
	ds_load_b64 v[118:119], v1
	s_wait_loadcnt_dscnt 0x0
	v_pk_mul_f32 v[120:121], v[118:119], v[116:117] op_sel:[1,1] op_sel_hi:[0,1]
	s_delay_alu instid0(VALU_DEP_1) | instskip(SKIP_1) | instid1(VALU_DEP_2)
	v_pk_fma_f32 v[122:123], v[118:119], v[116:117], v[120:121] op_sel_hi:[1,0,1]
	v_pk_fma_f32 v[116:117], v[118:119], v[116:117], v[120:121] neg_lo:[0,0,1] neg_hi:[0,0,1]
	v_mov_b32_e32 v117, v123
	s_cbranch_execz .LBB119_199
	s_branch .LBB119_200
.LBB119_198:
                                        ; implicit-def: $vgpr116_vgpr117
.LBB119_199:
	ds_load_b64 v[116:117], v1
.LBB119_200:
	s_and_saveexec_b32 s43, s0
	s_cbranch_execz .LBB119_204
; %bb.201:
	v_subrev_nc_u32_e32 v118, 36, v0
	s_movk_i32 s44, 0x2e0
	s_mov_b32 s0, 0
.LBB119_202:                            ; =>This Inner Loop Header: Depth=1
	scratch_load_b64 v[120:121], off, s41
	v_dual_mov_b32 v119, s44 :: v_dual_add_nc_u32 v118, -1, v118
	s_add_co_i32 s44, s44, 8
	s_wait_xcnt 0x0
	s_add_co_i32 s41, s41, 8
	ds_load_b64 v[122:123], v119
	v_cmp_eq_u32_e32 vcc_lo, 0, v118
	s_or_b32 s0, vcc_lo, s0
	s_wait_loadcnt_dscnt 0x0
	v_pk_mul_f32 v[124:125], v[122:123], v[120:121] op_sel:[1,1] op_sel_hi:[0,1]
	s_delay_alu instid0(VALU_DEP_1) | instskip(SKIP_1) | instid1(VALU_DEP_2)
	v_pk_fma_f32 v[126:127], v[122:123], v[120:121], v[124:125] op_sel_hi:[1,0,1]
	v_pk_fma_f32 v[120:121], v[122:123], v[120:121], v[124:125] neg_lo:[0,0,1] neg_hi:[0,0,1]
	v_mov_b32_e32 v121, v127
	s_delay_alu instid0(VALU_DEP_1)
	v_pk_add_f32 v[116:117], v[116:117], v[120:121]
	s_and_not1_b32 exec_lo, exec_lo, s0
	s_cbranch_execnz .LBB119_202
; %bb.203:
	s_or_b32 exec_lo, exec_lo, s0
.LBB119_204:
	s_delay_alu instid0(SALU_CYCLE_1) | instskip(SKIP_4) | instid1(VALU_DEP_1)
	s_or_b32 exec_lo, exec_lo, s43
	v_mov_b32_e32 v118, 0
	ds_load_b64 v[118:119], v118 offset:280
	s_wait_dscnt 0x0
	v_pk_mul_f32 v[120:121], v[116:117], v[118:119] op_sel:[1,1] op_sel_hi:[0,1]
	v_pk_fma_f32 v[122:123], v[116:117], v[118:119], v[120:121] op_sel_hi:[1,0,1]
	v_pk_fma_f32 v[116:117], v[116:117], v[118:119], v[120:121] neg_lo:[0,0,1] neg_hi:[0,0,1]
	s_delay_alu instid0(VALU_DEP_2)
	v_mov_b32_e32 v117, v123
	scratch_store_b64 off, v[116:117], off offset:280
.LBB119_205:
	s_wait_xcnt 0x0
	s_or_b32 exec_lo, exec_lo, s42
	scratch_load_b64 v[116:117], off, off offset:272
	v_cmp_lt_u32_e64 s0, 34, v0
	s_wait_loadcnt 0x0
	ds_store_b64 v1, v[116:117]
	s_wait_storecnt_dscnt 0x0
	s_barrier_signal -1
	s_barrier_wait -1
	s_wait_xcnt 0x0
	s_and_saveexec_b32 s41, s0
	s_cbranch_execz .LBB119_215
; %bb.206:
	s_and_not1_b32 vcc_lo, exec_lo, s3
	s_cbranch_vccnz .LBB119_208
; %bb.207:
	scratch_load_b64 v[116:117], v59, off
	ds_load_b64 v[118:119], v1
	s_wait_loadcnt_dscnt 0x0
	v_pk_mul_f32 v[120:121], v[118:119], v[116:117] op_sel:[1,1] op_sel_hi:[0,1]
	s_delay_alu instid0(VALU_DEP_1) | instskip(SKIP_1) | instid1(VALU_DEP_2)
	v_pk_fma_f32 v[122:123], v[118:119], v[116:117], v[120:121] op_sel_hi:[1,0,1]
	v_pk_fma_f32 v[116:117], v[118:119], v[116:117], v[120:121] neg_lo:[0,0,1] neg_hi:[0,0,1]
	v_mov_b32_e32 v117, v123
	s_cbranch_execz .LBB119_209
	s_branch .LBB119_210
.LBB119_208:
                                        ; implicit-def: $vgpr116_vgpr117
.LBB119_209:
	ds_load_b64 v[116:117], v1
.LBB119_210:
	s_and_saveexec_b32 s42, s1
	s_cbranch_execz .LBB119_214
; %bb.211:
	v_subrev_nc_u32_e32 v118, 35, v0
	s_movk_i32 s43, 0x2d8
	s_mov_b32 s1, 0
.LBB119_212:                            ; =>This Inner Loop Header: Depth=1
	scratch_load_b64 v[120:121], off, s40
	v_dual_mov_b32 v119, s43 :: v_dual_add_nc_u32 v118, -1, v118
	s_add_co_i32 s43, s43, 8
	s_wait_xcnt 0x0
	s_add_co_i32 s40, s40, 8
	ds_load_b64 v[122:123], v119
	v_cmp_eq_u32_e32 vcc_lo, 0, v118
	s_or_b32 s1, vcc_lo, s1
	s_wait_loadcnt_dscnt 0x0
	v_pk_mul_f32 v[124:125], v[122:123], v[120:121] op_sel:[1,1] op_sel_hi:[0,1]
	s_delay_alu instid0(VALU_DEP_1) | instskip(SKIP_1) | instid1(VALU_DEP_2)
	v_pk_fma_f32 v[126:127], v[122:123], v[120:121], v[124:125] op_sel_hi:[1,0,1]
	v_pk_fma_f32 v[120:121], v[122:123], v[120:121], v[124:125] neg_lo:[0,0,1] neg_hi:[0,0,1]
	v_mov_b32_e32 v121, v127
	s_delay_alu instid0(VALU_DEP_1)
	v_pk_add_f32 v[116:117], v[116:117], v[120:121]
	s_and_not1_b32 exec_lo, exec_lo, s1
	s_cbranch_execnz .LBB119_212
; %bb.213:
	s_or_b32 exec_lo, exec_lo, s1
.LBB119_214:
	s_delay_alu instid0(SALU_CYCLE_1) | instskip(SKIP_4) | instid1(VALU_DEP_1)
	s_or_b32 exec_lo, exec_lo, s42
	v_mov_b32_e32 v118, 0
	ds_load_b64 v[118:119], v118 offset:272
	s_wait_dscnt 0x0
	v_pk_mul_f32 v[120:121], v[116:117], v[118:119] op_sel:[1,1] op_sel_hi:[0,1]
	v_pk_fma_f32 v[122:123], v[116:117], v[118:119], v[120:121] op_sel_hi:[1,0,1]
	v_pk_fma_f32 v[116:117], v[116:117], v[118:119], v[120:121] neg_lo:[0,0,1] neg_hi:[0,0,1]
	s_delay_alu instid0(VALU_DEP_2)
	v_mov_b32_e32 v117, v123
	scratch_store_b64 off, v[116:117], off offset:272
.LBB119_215:
	s_wait_xcnt 0x0
	s_or_b32 exec_lo, exec_lo, s41
	scratch_load_b64 v[116:117], off, off offset:264
	v_cmp_lt_u32_e64 s1, 33, v0
	s_wait_loadcnt 0x0
	ds_store_b64 v1, v[116:117]
	s_wait_storecnt_dscnt 0x0
	s_barrier_signal -1
	s_barrier_wait -1
	s_wait_xcnt 0x0
	s_and_saveexec_b32 s40, s1
	s_cbranch_execz .LBB119_225
; %bb.216:
	s_and_not1_b32 vcc_lo, exec_lo, s3
	s_cbranch_vccnz .LBB119_218
; %bb.217:
	scratch_load_b64 v[116:117], v59, off
	ds_load_b64 v[118:119], v1
	s_wait_loadcnt_dscnt 0x0
	v_pk_mul_f32 v[120:121], v[118:119], v[116:117] op_sel:[1,1] op_sel_hi:[0,1]
	s_delay_alu instid0(VALU_DEP_1) | instskip(SKIP_1) | instid1(VALU_DEP_2)
	v_pk_fma_f32 v[122:123], v[118:119], v[116:117], v[120:121] op_sel_hi:[1,0,1]
	v_pk_fma_f32 v[116:117], v[118:119], v[116:117], v[120:121] neg_lo:[0,0,1] neg_hi:[0,0,1]
	v_mov_b32_e32 v117, v123
	s_cbranch_execz .LBB119_219
	s_branch .LBB119_220
.LBB119_218:
                                        ; implicit-def: $vgpr116_vgpr117
.LBB119_219:
	ds_load_b64 v[116:117], v1
.LBB119_220:
	s_and_saveexec_b32 s41, s0
	s_cbranch_execz .LBB119_224
; %bb.221:
	v_subrev_nc_u32_e32 v118, 34, v0
	s_movk_i32 s42, 0x2d0
	s_mov_b32 s0, 0
.LBB119_222:                            ; =>This Inner Loop Header: Depth=1
	scratch_load_b64 v[120:121], off, s39
	v_dual_mov_b32 v119, s42 :: v_dual_add_nc_u32 v118, -1, v118
	s_add_co_i32 s42, s42, 8
	s_wait_xcnt 0x0
	s_add_co_i32 s39, s39, 8
	ds_load_b64 v[122:123], v119
	v_cmp_eq_u32_e32 vcc_lo, 0, v118
	s_or_b32 s0, vcc_lo, s0
	s_wait_loadcnt_dscnt 0x0
	v_pk_mul_f32 v[124:125], v[122:123], v[120:121] op_sel:[1,1] op_sel_hi:[0,1]
	s_delay_alu instid0(VALU_DEP_1) | instskip(SKIP_1) | instid1(VALU_DEP_2)
	v_pk_fma_f32 v[126:127], v[122:123], v[120:121], v[124:125] op_sel_hi:[1,0,1]
	v_pk_fma_f32 v[120:121], v[122:123], v[120:121], v[124:125] neg_lo:[0,0,1] neg_hi:[0,0,1]
	v_mov_b32_e32 v121, v127
	s_delay_alu instid0(VALU_DEP_1)
	v_pk_add_f32 v[116:117], v[116:117], v[120:121]
	s_and_not1_b32 exec_lo, exec_lo, s0
	s_cbranch_execnz .LBB119_222
; %bb.223:
	s_or_b32 exec_lo, exec_lo, s0
.LBB119_224:
	s_delay_alu instid0(SALU_CYCLE_1) | instskip(SKIP_4) | instid1(VALU_DEP_1)
	s_or_b32 exec_lo, exec_lo, s41
	v_mov_b32_e32 v118, 0
	ds_load_b64 v[118:119], v118 offset:264
	s_wait_dscnt 0x0
	v_pk_mul_f32 v[120:121], v[116:117], v[118:119] op_sel:[1,1] op_sel_hi:[0,1]
	v_pk_fma_f32 v[122:123], v[116:117], v[118:119], v[120:121] op_sel_hi:[1,0,1]
	v_pk_fma_f32 v[116:117], v[116:117], v[118:119], v[120:121] neg_lo:[0,0,1] neg_hi:[0,0,1]
	s_delay_alu instid0(VALU_DEP_2)
	v_mov_b32_e32 v117, v123
	scratch_store_b64 off, v[116:117], off offset:264
.LBB119_225:
	s_wait_xcnt 0x0
	s_or_b32 exec_lo, exec_lo, s40
	scratch_load_b64 v[116:117], off, off offset:256
	v_cmp_lt_u32_e64 s0, 32, v0
	s_wait_loadcnt 0x0
	ds_store_b64 v1, v[116:117]
	s_wait_storecnt_dscnt 0x0
	s_barrier_signal -1
	s_barrier_wait -1
	s_wait_xcnt 0x0
	s_and_saveexec_b32 s39, s0
	s_cbranch_execz .LBB119_235
; %bb.226:
	s_and_not1_b32 vcc_lo, exec_lo, s3
	s_cbranch_vccnz .LBB119_228
; %bb.227:
	scratch_load_b64 v[116:117], v59, off
	ds_load_b64 v[118:119], v1
	s_wait_loadcnt_dscnt 0x0
	v_pk_mul_f32 v[120:121], v[118:119], v[116:117] op_sel:[1,1] op_sel_hi:[0,1]
	s_delay_alu instid0(VALU_DEP_1) | instskip(SKIP_1) | instid1(VALU_DEP_2)
	v_pk_fma_f32 v[122:123], v[118:119], v[116:117], v[120:121] op_sel_hi:[1,0,1]
	v_pk_fma_f32 v[116:117], v[118:119], v[116:117], v[120:121] neg_lo:[0,0,1] neg_hi:[0,0,1]
	v_mov_b32_e32 v117, v123
	s_cbranch_execz .LBB119_229
	s_branch .LBB119_230
.LBB119_228:
                                        ; implicit-def: $vgpr116_vgpr117
.LBB119_229:
	ds_load_b64 v[116:117], v1
.LBB119_230:
	s_and_saveexec_b32 s40, s1
	s_cbranch_execz .LBB119_234
; %bb.231:
	v_subrev_nc_u32_e32 v118, 33, v0
	s_movk_i32 s41, 0x2c8
	s_mov_b32 s1, 0
.LBB119_232:                            ; =>This Inner Loop Header: Depth=1
	scratch_load_b64 v[120:121], off, s38
	v_dual_mov_b32 v119, s41 :: v_dual_add_nc_u32 v118, -1, v118
	s_add_co_i32 s41, s41, 8
	s_wait_xcnt 0x0
	s_add_co_i32 s38, s38, 8
	ds_load_b64 v[122:123], v119
	v_cmp_eq_u32_e32 vcc_lo, 0, v118
	s_or_b32 s1, vcc_lo, s1
	s_wait_loadcnt_dscnt 0x0
	v_pk_mul_f32 v[124:125], v[122:123], v[120:121] op_sel:[1,1] op_sel_hi:[0,1]
	s_delay_alu instid0(VALU_DEP_1) | instskip(SKIP_1) | instid1(VALU_DEP_2)
	v_pk_fma_f32 v[126:127], v[122:123], v[120:121], v[124:125] op_sel_hi:[1,0,1]
	v_pk_fma_f32 v[120:121], v[122:123], v[120:121], v[124:125] neg_lo:[0,0,1] neg_hi:[0,0,1]
	v_mov_b32_e32 v121, v127
	s_delay_alu instid0(VALU_DEP_1)
	v_pk_add_f32 v[116:117], v[116:117], v[120:121]
	s_and_not1_b32 exec_lo, exec_lo, s1
	s_cbranch_execnz .LBB119_232
; %bb.233:
	s_or_b32 exec_lo, exec_lo, s1
.LBB119_234:
	s_delay_alu instid0(SALU_CYCLE_1) | instskip(SKIP_4) | instid1(VALU_DEP_1)
	s_or_b32 exec_lo, exec_lo, s40
	v_mov_b32_e32 v118, 0
	ds_load_b64 v[118:119], v118 offset:256
	s_wait_dscnt 0x0
	v_pk_mul_f32 v[120:121], v[116:117], v[118:119] op_sel:[1,1] op_sel_hi:[0,1]
	v_pk_fma_f32 v[122:123], v[116:117], v[118:119], v[120:121] op_sel_hi:[1,0,1]
	v_pk_fma_f32 v[116:117], v[116:117], v[118:119], v[120:121] neg_lo:[0,0,1] neg_hi:[0,0,1]
	s_delay_alu instid0(VALU_DEP_2)
	v_mov_b32_e32 v117, v123
	scratch_store_b64 off, v[116:117], off offset:256
.LBB119_235:
	s_wait_xcnt 0x0
	s_or_b32 exec_lo, exec_lo, s39
	scratch_load_b64 v[116:117], off, off offset:248
	v_cmp_lt_u32_e64 s1, 31, v0
	s_wait_loadcnt 0x0
	ds_store_b64 v1, v[116:117]
	s_wait_storecnt_dscnt 0x0
	s_barrier_signal -1
	s_barrier_wait -1
	s_wait_xcnt 0x0
	s_and_saveexec_b32 s38, s1
	s_cbranch_execz .LBB119_245
; %bb.236:
	s_and_not1_b32 vcc_lo, exec_lo, s3
	s_cbranch_vccnz .LBB119_238
; %bb.237:
	scratch_load_b64 v[116:117], v59, off
	ds_load_b64 v[118:119], v1
	s_wait_loadcnt_dscnt 0x0
	v_pk_mul_f32 v[120:121], v[118:119], v[116:117] op_sel:[1,1] op_sel_hi:[0,1]
	s_delay_alu instid0(VALU_DEP_1) | instskip(SKIP_1) | instid1(VALU_DEP_2)
	v_pk_fma_f32 v[122:123], v[118:119], v[116:117], v[120:121] op_sel_hi:[1,0,1]
	v_pk_fma_f32 v[116:117], v[118:119], v[116:117], v[120:121] neg_lo:[0,0,1] neg_hi:[0,0,1]
	v_mov_b32_e32 v117, v123
	s_cbranch_execz .LBB119_239
	s_branch .LBB119_240
.LBB119_238:
                                        ; implicit-def: $vgpr116_vgpr117
.LBB119_239:
	ds_load_b64 v[116:117], v1
.LBB119_240:
	s_and_saveexec_b32 s39, s0
	s_cbranch_execz .LBB119_244
; %bb.241:
	v_subrev_nc_u32_e32 v118, 32, v0
	s_movk_i32 s40, 0x2c0
	s_mov_b32 s0, 0
.LBB119_242:                            ; =>This Inner Loop Header: Depth=1
	scratch_load_b64 v[120:121], off, s37
	v_dual_mov_b32 v119, s40 :: v_dual_add_nc_u32 v118, -1, v118
	s_add_co_i32 s40, s40, 8
	s_wait_xcnt 0x0
	s_add_co_i32 s37, s37, 8
	ds_load_b64 v[122:123], v119
	v_cmp_eq_u32_e32 vcc_lo, 0, v118
	s_or_b32 s0, vcc_lo, s0
	s_wait_loadcnt_dscnt 0x0
	v_pk_mul_f32 v[124:125], v[122:123], v[120:121] op_sel:[1,1] op_sel_hi:[0,1]
	s_delay_alu instid0(VALU_DEP_1) | instskip(SKIP_1) | instid1(VALU_DEP_2)
	v_pk_fma_f32 v[126:127], v[122:123], v[120:121], v[124:125] op_sel_hi:[1,0,1]
	v_pk_fma_f32 v[120:121], v[122:123], v[120:121], v[124:125] neg_lo:[0,0,1] neg_hi:[0,0,1]
	v_mov_b32_e32 v121, v127
	s_delay_alu instid0(VALU_DEP_1)
	v_pk_add_f32 v[116:117], v[116:117], v[120:121]
	s_and_not1_b32 exec_lo, exec_lo, s0
	s_cbranch_execnz .LBB119_242
; %bb.243:
	s_or_b32 exec_lo, exec_lo, s0
.LBB119_244:
	s_delay_alu instid0(SALU_CYCLE_1) | instskip(SKIP_4) | instid1(VALU_DEP_1)
	s_or_b32 exec_lo, exec_lo, s39
	v_mov_b32_e32 v118, 0
	ds_load_b64 v[118:119], v118 offset:248
	s_wait_dscnt 0x0
	v_pk_mul_f32 v[120:121], v[116:117], v[118:119] op_sel:[1,1] op_sel_hi:[0,1]
	v_pk_fma_f32 v[122:123], v[116:117], v[118:119], v[120:121] op_sel_hi:[1,0,1]
	v_pk_fma_f32 v[116:117], v[116:117], v[118:119], v[120:121] neg_lo:[0,0,1] neg_hi:[0,0,1]
	s_delay_alu instid0(VALU_DEP_2)
	v_mov_b32_e32 v117, v123
	scratch_store_b64 off, v[116:117], off offset:248
.LBB119_245:
	s_wait_xcnt 0x0
	s_or_b32 exec_lo, exec_lo, s38
	scratch_load_b64 v[116:117], off, off offset:240
	v_cmp_lt_u32_e64 s0, 30, v0
	s_wait_loadcnt 0x0
	ds_store_b64 v1, v[116:117]
	s_wait_storecnt_dscnt 0x0
	s_barrier_signal -1
	s_barrier_wait -1
	s_wait_xcnt 0x0
	s_and_saveexec_b32 s37, s0
	s_cbranch_execz .LBB119_255
; %bb.246:
	s_and_not1_b32 vcc_lo, exec_lo, s3
	s_cbranch_vccnz .LBB119_248
; %bb.247:
	scratch_load_b64 v[116:117], v59, off
	ds_load_b64 v[118:119], v1
	s_wait_loadcnt_dscnt 0x0
	v_pk_mul_f32 v[120:121], v[118:119], v[116:117] op_sel:[1,1] op_sel_hi:[0,1]
	s_delay_alu instid0(VALU_DEP_1) | instskip(SKIP_1) | instid1(VALU_DEP_2)
	v_pk_fma_f32 v[122:123], v[118:119], v[116:117], v[120:121] op_sel_hi:[1,0,1]
	v_pk_fma_f32 v[116:117], v[118:119], v[116:117], v[120:121] neg_lo:[0,0,1] neg_hi:[0,0,1]
	v_mov_b32_e32 v117, v123
	s_cbranch_execz .LBB119_249
	s_branch .LBB119_250
.LBB119_248:
                                        ; implicit-def: $vgpr116_vgpr117
.LBB119_249:
	ds_load_b64 v[116:117], v1
.LBB119_250:
	s_and_saveexec_b32 s38, s1
	s_cbranch_execz .LBB119_254
; %bb.251:
	v_subrev_nc_u32_e32 v118, 31, v0
	s_movk_i32 s39, 0x2b8
	s_mov_b32 s1, 0
.LBB119_252:                            ; =>This Inner Loop Header: Depth=1
	scratch_load_b64 v[120:121], off, s36
	v_dual_mov_b32 v119, s39 :: v_dual_add_nc_u32 v118, -1, v118
	s_add_co_i32 s39, s39, 8
	s_wait_xcnt 0x0
	s_add_co_i32 s36, s36, 8
	ds_load_b64 v[122:123], v119
	v_cmp_eq_u32_e32 vcc_lo, 0, v118
	s_or_b32 s1, vcc_lo, s1
	s_wait_loadcnt_dscnt 0x0
	v_pk_mul_f32 v[124:125], v[122:123], v[120:121] op_sel:[1,1] op_sel_hi:[0,1]
	s_delay_alu instid0(VALU_DEP_1) | instskip(SKIP_1) | instid1(VALU_DEP_2)
	v_pk_fma_f32 v[126:127], v[122:123], v[120:121], v[124:125] op_sel_hi:[1,0,1]
	v_pk_fma_f32 v[120:121], v[122:123], v[120:121], v[124:125] neg_lo:[0,0,1] neg_hi:[0,0,1]
	v_mov_b32_e32 v121, v127
	s_delay_alu instid0(VALU_DEP_1)
	v_pk_add_f32 v[116:117], v[116:117], v[120:121]
	s_and_not1_b32 exec_lo, exec_lo, s1
	s_cbranch_execnz .LBB119_252
; %bb.253:
	s_or_b32 exec_lo, exec_lo, s1
.LBB119_254:
	s_delay_alu instid0(SALU_CYCLE_1) | instskip(SKIP_4) | instid1(VALU_DEP_1)
	s_or_b32 exec_lo, exec_lo, s38
	v_mov_b32_e32 v118, 0
	ds_load_b64 v[118:119], v118 offset:240
	s_wait_dscnt 0x0
	v_pk_mul_f32 v[120:121], v[116:117], v[118:119] op_sel:[1,1] op_sel_hi:[0,1]
	v_pk_fma_f32 v[122:123], v[116:117], v[118:119], v[120:121] op_sel_hi:[1,0,1]
	v_pk_fma_f32 v[116:117], v[116:117], v[118:119], v[120:121] neg_lo:[0,0,1] neg_hi:[0,0,1]
	s_delay_alu instid0(VALU_DEP_2)
	v_mov_b32_e32 v117, v123
	scratch_store_b64 off, v[116:117], off offset:240
.LBB119_255:
	s_wait_xcnt 0x0
	s_or_b32 exec_lo, exec_lo, s37
	scratch_load_b64 v[116:117], off, off offset:232
	v_cmp_lt_u32_e64 s1, 29, v0
	s_wait_loadcnt 0x0
	ds_store_b64 v1, v[116:117]
	s_wait_storecnt_dscnt 0x0
	s_barrier_signal -1
	s_barrier_wait -1
	s_wait_xcnt 0x0
	s_and_saveexec_b32 s36, s1
	s_cbranch_execz .LBB119_265
; %bb.256:
	s_and_not1_b32 vcc_lo, exec_lo, s3
	s_cbranch_vccnz .LBB119_258
; %bb.257:
	scratch_load_b64 v[116:117], v59, off
	ds_load_b64 v[118:119], v1
	s_wait_loadcnt_dscnt 0x0
	v_pk_mul_f32 v[120:121], v[118:119], v[116:117] op_sel:[1,1] op_sel_hi:[0,1]
	s_delay_alu instid0(VALU_DEP_1) | instskip(SKIP_1) | instid1(VALU_DEP_2)
	v_pk_fma_f32 v[122:123], v[118:119], v[116:117], v[120:121] op_sel_hi:[1,0,1]
	v_pk_fma_f32 v[116:117], v[118:119], v[116:117], v[120:121] neg_lo:[0,0,1] neg_hi:[0,0,1]
	v_mov_b32_e32 v117, v123
	s_cbranch_execz .LBB119_259
	s_branch .LBB119_260
.LBB119_258:
                                        ; implicit-def: $vgpr116_vgpr117
.LBB119_259:
	ds_load_b64 v[116:117], v1
.LBB119_260:
	s_and_saveexec_b32 s37, s0
	s_cbranch_execz .LBB119_264
; %bb.261:
	v_subrev_nc_u32_e32 v118, 30, v0
	s_movk_i32 s38, 0x2b0
	s_mov_b32 s0, 0
.LBB119_262:                            ; =>This Inner Loop Header: Depth=1
	scratch_load_b64 v[120:121], off, s35
	v_dual_mov_b32 v119, s38 :: v_dual_add_nc_u32 v118, -1, v118
	s_add_co_i32 s38, s38, 8
	s_wait_xcnt 0x0
	s_add_co_i32 s35, s35, 8
	ds_load_b64 v[122:123], v119
	v_cmp_eq_u32_e32 vcc_lo, 0, v118
	s_or_b32 s0, vcc_lo, s0
	s_wait_loadcnt_dscnt 0x0
	v_pk_mul_f32 v[124:125], v[122:123], v[120:121] op_sel:[1,1] op_sel_hi:[0,1]
	s_delay_alu instid0(VALU_DEP_1) | instskip(SKIP_1) | instid1(VALU_DEP_2)
	v_pk_fma_f32 v[126:127], v[122:123], v[120:121], v[124:125] op_sel_hi:[1,0,1]
	v_pk_fma_f32 v[120:121], v[122:123], v[120:121], v[124:125] neg_lo:[0,0,1] neg_hi:[0,0,1]
	v_mov_b32_e32 v121, v127
	s_delay_alu instid0(VALU_DEP_1)
	v_pk_add_f32 v[116:117], v[116:117], v[120:121]
	s_and_not1_b32 exec_lo, exec_lo, s0
	s_cbranch_execnz .LBB119_262
; %bb.263:
	s_or_b32 exec_lo, exec_lo, s0
.LBB119_264:
	s_delay_alu instid0(SALU_CYCLE_1) | instskip(SKIP_4) | instid1(VALU_DEP_1)
	s_or_b32 exec_lo, exec_lo, s37
	v_mov_b32_e32 v118, 0
	ds_load_b64 v[118:119], v118 offset:232
	s_wait_dscnt 0x0
	v_pk_mul_f32 v[120:121], v[116:117], v[118:119] op_sel:[1,1] op_sel_hi:[0,1]
	v_pk_fma_f32 v[122:123], v[116:117], v[118:119], v[120:121] op_sel_hi:[1,0,1]
	v_pk_fma_f32 v[116:117], v[116:117], v[118:119], v[120:121] neg_lo:[0,0,1] neg_hi:[0,0,1]
	s_delay_alu instid0(VALU_DEP_2)
	v_mov_b32_e32 v117, v123
	scratch_store_b64 off, v[116:117], off offset:232
.LBB119_265:
	s_wait_xcnt 0x0
	s_or_b32 exec_lo, exec_lo, s36
	scratch_load_b64 v[116:117], off, off offset:224
	v_cmp_lt_u32_e64 s0, 28, v0
	s_wait_loadcnt 0x0
	ds_store_b64 v1, v[116:117]
	s_wait_storecnt_dscnt 0x0
	s_barrier_signal -1
	s_barrier_wait -1
	s_wait_xcnt 0x0
	s_and_saveexec_b32 s35, s0
	s_cbranch_execz .LBB119_275
; %bb.266:
	s_and_not1_b32 vcc_lo, exec_lo, s3
	s_cbranch_vccnz .LBB119_268
; %bb.267:
	scratch_load_b64 v[116:117], v59, off
	ds_load_b64 v[118:119], v1
	s_wait_loadcnt_dscnt 0x0
	v_pk_mul_f32 v[120:121], v[118:119], v[116:117] op_sel:[1,1] op_sel_hi:[0,1]
	s_delay_alu instid0(VALU_DEP_1) | instskip(SKIP_1) | instid1(VALU_DEP_2)
	v_pk_fma_f32 v[122:123], v[118:119], v[116:117], v[120:121] op_sel_hi:[1,0,1]
	v_pk_fma_f32 v[116:117], v[118:119], v[116:117], v[120:121] neg_lo:[0,0,1] neg_hi:[0,0,1]
	v_mov_b32_e32 v117, v123
	s_cbranch_execz .LBB119_269
	s_branch .LBB119_270
.LBB119_268:
                                        ; implicit-def: $vgpr116_vgpr117
.LBB119_269:
	ds_load_b64 v[116:117], v1
.LBB119_270:
	s_and_saveexec_b32 s36, s1
	s_cbranch_execz .LBB119_274
; %bb.271:
	v_subrev_nc_u32_e32 v118, 29, v0
	s_movk_i32 s37, 0x2a8
	s_mov_b32 s1, 0
.LBB119_272:                            ; =>This Inner Loop Header: Depth=1
	scratch_load_b64 v[120:121], off, s34
	v_dual_mov_b32 v119, s37 :: v_dual_add_nc_u32 v118, -1, v118
	s_add_co_i32 s37, s37, 8
	s_wait_xcnt 0x0
	s_add_co_i32 s34, s34, 8
	ds_load_b64 v[122:123], v119
	v_cmp_eq_u32_e32 vcc_lo, 0, v118
	s_or_b32 s1, vcc_lo, s1
	s_wait_loadcnt_dscnt 0x0
	v_pk_mul_f32 v[124:125], v[122:123], v[120:121] op_sel:[1,1] op_sel_hi:[0,1]
	s_delay_alu instid0(VALU_DEP_1) | instskip(SKIP_1) | instid1(VALU_DEP_2)
	v_pk_fma_f32 v[126:127], v[122:123], v[120:121], v[124:125] op_sel_hi:[1,0,1]
	v_pk_fma_f32 v[120:121], v[122:123], v[120:121], v[124:125] neg_lo:[0,0,1] neg_hi:[0,0,1]
	v_mov_b32_e32 v121, v127
	s_delay_alu instid0(VALU_DEP_1)
	v_pk_add_f32 v[116:117], v[116:117], v[120:121]
	s_and_not1_b32 exec_lo, exec_lo, s1
	s_cbranch_execnz .LBB119_272
; %bb.273:
	s_or_b32 exec_lo, exec_lo, s1
.LBB119_274:
	s_delay_alu instid0(SALU_CYCLE_1) | instskip(SKIP_4) | instid1(VALU_DEP_1)
	s_or_b32 exec_lo, exec_lo, s36
	v_mov_b32_e32 v118, 0
	ds_load_b64 v[118:119], v118 offset:224
	s_wait_dscnt 0x0
	v_pk_mul_f32 v[120:121], v[116:117], v[118:119] op_sel:[1,1] op_sel_hi:[0,1]
	v_pk_fma_f32 v[122:123], v[116:117], v[118:119], v[120:121] op_sel_hi:[1,0,1]
	v_pk_fma_f32 v[116:117], v[116:117], v[118:119], v[120:121] neg_lo:[0,0,1] neg_hi:[0,0,1]
	s_delay_alu instid0(VALU_DEP_2)
	v_mov_b32_e32 v117, v123
	scratch_store_b64 off, v[116:117], off offset:224
.LBB119_275:
	s_wait_xcnt 0x0
	s_or_b32 exec_lo, exec_lo, s35
	scratch_load_b64 v[116:117], off, off offset:216
	v_cmp_lt_u32_e64 s1, 27, v0
	s_wait_loadcnt 0x0
	ds_store_b64 v1, v[116:117]
	s_wait_storecnt_dscnt 0x0
	s_barrier_signal -1
	s_barrier_wait -1
	s_wait_xcnt 0x0
	s_and_saveexec_b32 s34, s1
	s_cbranch_execz .LBB119_285
; %bb.276:
	s_and_not1_b32 vcc_lo, exec_lo, s3
	s_cbranch_vccnz .LBB119_278
; %bb.277:
	scratch_load_b64 v[116:117], v59, off
	ds_load_b64 v[118:119], v1
	s_wait_loadcnt_dscnt 0x0
	v_pk_mul_f32 v[120:121], v[118:119], v[116:117] op_sel:[1,1] op_sel_hi:[0,1]
	s_delay_alu instid0(VALU_DEP_1) | instskip(SKIP_1) | instid1(VALU_DEP_2)
	v_pk_fma_f32 v[122:123], v[118:119], v[116:117], v[120:121] op_sel_hi:[1,0,1]
	v_pk_fma_f32 v[116:117], v[118:119], v[116:117], v[120:121] neg_lo:[0,0,1] neg_hi:[0,0,1]
	v_mov_b32_e32 v117, v123
	s_cbranch_execz .LBB119_279
	s_branch .LBB119_280
.LBB119_278:
                                        ; implicit-def: $vgpr116_vgpr117
.LBB119_279:
	ds_load_b64 v[116:117], v1
.LBB119_280:
	s_and_saveexec_b32 s35, s0
	s_cbranch_execz .LBB119_284
; %bb.281:
	v_subrev_nc_u32_e32 v118, 28, v0
	s_movk_i32 s36, 0x2a0
	s_mov_b32 s0, 0
.LBB119_282:                            ; =>This Inner Loop Header: Depth=1
	scratch_load_b64 v[120:121], off, s33
	v_dual_mov_b32 v119, s36 :: v_dual_add_nc_u32 v118, -1, v118
	s_add_co_i32 s36, s36, 8
	s_wait_xcnt 0x0
	s_add_co_i32 s33, s33, 8
	ds_load_b64 v[122:123], v119
	v_cmp_eq_u32_e32 vcc_lo, 0, v118
	s_or_b32 s0, vcc_lo, s0
	s_wait_loadcnt_dscnt 0x0
	v_pk_mul_f32 v[124:125], v[122:123], v[120:121] op_sel:[1,1] op_sel_hi:[0,1]
	s_delay_alu instid0(VALU_DEP_1) | instskip(SKIP_1) | instid1(VALU_DEP_2)
	v_pk_fma_f32 v[126:127], v[122:123], v[120:121], v[124:125] op_sel_hi:[1,0,1]
	v_pk_fma_f32 v[120:121], v[122:123], v[120:121], v[124:125] neg_lo:[0,0,1] neg_hi:[0,0,1]
	v_mov_b32_e32 v121, v127
	s_delay_alu instid0(VALU_DEP_1)
	v_pk_add_f32 v[116:117], v[116:117], v[120:121]
	s_and_not1_b32 exec_lo, exec_lo, s0
	s_cbranch_execnz .LBB119_282
; %bb.283:
	s_or_b32 exec_lo, exec_lo, s0
.LBB119_284:
	s_delay_alu instid0(SALU_CYCLE_1) | instskip(SKIP_4) | instid1(VALU_DEP_1)
	s_or_b32 exec_lo, exec_lo, s35
	v_mov_b32_e32 v118, 0
	ds_load_b64 v[118:119], v118 offset:216
	s_wait_dscnt 0x0
	v_pk_mul_f32 v[120:121], v[116:117], v[118:119] op_sel:[1,1] op_sel_hi:[0,1]
	v_pk_fma_f32 v[122:123], v[116:117], v[118:119], v[120:121] op_sel_hi:[1,0,1]
	v_pk_fma_f32 v[116:117], v[116:117], v[118:119], v[120:121] neg_lo:[0,0,1] neg_hi:[0,0,1]
	s_delay_alu instid0(VALU_DEP_2)
	v_mov_b32_e32 v117, v123
	scratch_store_b64 off, v[116:117], off offset:216
.LBB119_285:
	s_wait_xcnt 0x0
	s_or_b32 exec_lo, exec_lo, s34
	scratch_load_b64 v[116:117], off, off offset:208
	v_cmp_lt_u32_e64 s0, 26, v0
	s_wait_loadcnt 0x0
	ds_store_b64 v1, v[116:117]
	s_wait_storecnt_dscnt 0x0
	s_barrier_signal -1
	s_barrier_wait -1
	s_wait_xcnt 0x0
	s_and_saveexec_b32 s33, s0
	s_cbranch_execz .LBB119_295
; %bb.286:
	s_and_not1_b32 vcc_lo, exec_lo, s3
	s_cbranch_vccnz .LBB119_288
; %bb.287:
	scratch_load_b64 v[116:117], v59, off
	ds_load_b64 v[118:119], v1
	s_wait_loadcnt_dscnt 0x0
	v_pk_mul_f32 v[120:121], v[118:119], v[116:117] op_sel:[1,1] op_sel_hi:[0,1]
	s_delay_alu instid0(VALU_DEP_1) | instskip(SKIP_1) | instid1(VALU_DEP_2)
	v_pk_fma_f32 v[122:123], v[118:119], v[116:117], v[120:121] op_sel_hi:[1,0,1]
	v_pk_fma_f32 v[116:117], v[118:119], v[116:117], v[120:121] neg_lo:[0,0,1] neg_hi:[0,0,1]
	v_mov_b32_e32 v117, v123
	s_cbranch_execz .LBB119_289
	s_branch .LBB119_290
.LBB119_288:
                                        ; implicit-def: $vgpr116_vgpr117
.LBB119_289:
	ds_load_b64 v[116:117], v1
.LBB119_290:
	s_and_saveexec_b32 s34, s1
	s_cbranch_execz .LBB119_294
; %bb.291:
	v_subrev_nc_u32_e32 v118, 27, v0
	s_movk_i32 s35, 0x298
	s_mov_b32 s1, 0
.LBB119_292:                            ; =>This Inner Loop Header: Depth=1
	scratch_load_b64 v[120:121], off, s31
	v_dual_mov_b32 v119, s35 :: v_dual_add_nc_u32 v118, -1, v118
	s_add_co_i32 s35, s35, 8
	s_wait_xcnt 0x0
	s_add_co_i32 s31, s31, 8
	ds_load_b64 v[122:123], v119
	v_cmp_eq_u32_e32 vcc_lo, 0, v118
	s_or_b32 s1, vcc_lo, s1
	s_wait_loadcnt_dscnt 0x0
	v_pk_mul_f32 v[124:125], v[122:123], v[120:121] op_sel:[1,1] op_sel_hi:[0,1]
	s_delay_alu instid0(VALU_DEP_1) | instskip(SKIP_1) | instid1(VALU_DEP_2)
	v_pk_fma_f32 v[126:127], v[122:123], v[120:121], v[124:125] op_sel_hi:[1,0,1]
	v_pk_fma_f32 v[120:121], v[122:123], v[120:121], v[124:125] neg_lo:[0,0,1] neg_hi:[0,0,1]
	v_mov_b32_e32 v121, v127
	s_delay_alu instid0(VALU_DEP_1)
	v_pk_add_f32 v[116:117], v[116:117], v[120:121]
	s_and_not1_b32 exec_lo, exec_lo, s1
	s_cbranch_execnz .LBB119_292
; %bb.293:
	s_or_b32 exec_lo, exec_lo, s1
.LBB119_294:
	s_delay_alu instid0(SALU_CYCLE_1) | instskip(SKIP_4) | instid1(VALU_DEP_1)
	s_or_b32 exec_lo, exec_lo, s34
	v_mov_b32_e32 v118, 0
	ds_load_b64 v[118:119], v118 offset:208
	s_wait_dscnt 0x0
	v_pk_mul_f32 v[120:121], v[116:117], v[118:119] op_sel:[1,1] op_sel_hi:[0,1]
	v_pk_fma_f32 v[122:123], v[116:117], v[118:119], v[120:121] op_sel_hi:[1,0,1]
	v_pk_fma_f32 v[116:117], v[116:117], v[118:119], v[120:121] neg_lo:[0,0,1] neg_hi:[0,0,1]
	s_delay_alu instid0(VALU_DEP_2)
	v_mov_b32_e32 v117, v123
	scratch_store_b64 off, v[116:117], off offset:208
.LBB119_295:
	s_wait_xcnt 0x0
	s_or_b32 exec_lo, exec_lo, s33
	scratch_load_b64 v[116:117], off, off offset:200
	v_cmp_lt_u32_e64 s1, 25, v0
	s_wait_loadcnt 0x0
	ds_store_b64 v1, v[116:117]
	s_wait_storecnt_dscnt 0x0
	s_barrier_signal -1
	s_barrier_wait -1
	s_wait_xcnt 0x0
	s_and_saveexec_b32 s31, s1
	s_cbranch_execz .LBB119_305
; %bb.296:
	s_and_not1_b32 vcc_lo, exec_lo, s3
	s_cbranch_vccnz .LBB119_298
; %bb.297:
	scratch_load_b64 v[116:117], v59, off
	ds_load_b64 v[118:119], v1
	s_wait_loadcnt_dscnt 0x0
	v_pk_mul_f32 v[120:121], v[118:119], v[116:117] op_sel:[1,1] op_sel_hi:[0,1]
	s_delay_alu instid0(VALU_DEP_1) | instskip(SKIP_1) | instid1(VALU_DEP_2)
	v_pk_fma_f32 v[122:123], v[118:119], v[116:117], v[120:121] op_sel_hi:[1,0,1]
	v_pk_fma_f32 v[116:117], v[118:119], v[116:117], v[120:121] neg_lo:[0,0,1] neg_hi:[0,0,1]
	v_mov_b32_e32 v117, v123
	s_cbranch_execz .LBB119_299
	s_branch .LBB119_300
.LBB119_298:
                                        ; implicit-def: $vgpr116_vgpr117
.LBB119_299:
	ds_load_b64 v[116:117], v1
.LBB119_300:
	s_and_saveexec_b32 s33, s0
	s_cbranch_execz .LBB119_304
; %bb.301:
	v_subrev_nc_u32_e32 v118, 26, v0
	s_movk_i32 s34, 0x290
	s_mov_b32 s0, 0
.LBB119_302:                            ; =>This Inner Loop Header: Depth=1
	scratch_load_b64 v[120:121], off, s30
	v_dual_mov_b32 v119, s34 :: v_dual_add_nc_u32 v118, -1, v118
	s_add_co_i32 s34, s34, 8
	s_wait_xcnt 0x0
	s_add_co_i32 s30, s30, 8
	ds_load_b64 v[122:123], v119
	v_cmp_eq_u32_e32 vcc_lo, 0, v118
	s_or_b32 s0, vcc_lo, s0
	s_wait_loadcnt_dscnt 0x0
	v_pk_mul_f32 v[124:125], v[122:123], v[120:121] op_sel:[1,1] op_sel_hi:[0,1]
	s_delay_alu instid0(VALU_DEP_1) | instskip(SKIP_1) | instid1(VALU_DEP_2)
	v_pk_fma_f32 v[126:127], v[122:123], v[120:121], v[124:125] op_sel_hi:[1,0,1]
	v_pk_fma_f32 v[120:121], v[122:123], v[120:121], v[124:125] neg_lo:[0,0,1] neg_hi:[0,0,1]
	v_mov_b32_e32 v121, v127
	s_delay_alu instid0(VALU_DEP_1)
	v_pk_add_f32 v[116:117], v[116:117], v[120:121]
	s_and_not1_b32 exec_lo, exec_lo, s0
	s_cbranch_execnz .LBB119_302
; %bb.303:
	s_or_b32 exec_lo, exec_lo, s0
.LBB119_304:
	s_delay_alu instid0(SALU_CYCLE_1) | instskip(SKIP_4) | instid1(VALU_DEP_1)
	s_or_b32 exec_lo, exec_lo, s33
	v_mov_b32_e32 v118, 0
	ds_load_b64 v[118:119], v118 offset:200
	s_wait_dscnt 0x0
	v_pk_mul_f32 v[120:121], v[116:117], v[118:119] op_sel:[1,1] op_sel_hi:[0,1]
	v_pk_fma_f32 v[122:123], v[116:117], v[118:119], v[120:121] op_sel_hi:[1,0,1]
	v_pk_fma_f32 v[116:117], v[116:117], v[118:119], v[120:121] neg_lo:[0,0,1] neg_hi:[0,0,1]
	s_delay_alu instid0(VALU_DEP_2)
	v_mov_b32_e32 v117, v123
	scratch_store_b64 off, v[116:117], off offset:200
.LBB119_305:
	s_wait_xcnt 0x0
	s_or_b32 exec_lo, exec_lo, s31
	scratch_load_b64 v[116:117], off, off offset:192
	v_cmp_lt_u32_e64 s0, 24, v0
	s_wait_loadcnt 0x0
	ds_store_b64 v1, v[116:117]
	s_wait_storecnt_dscnt 0x0
	s_barrier_signal -1
	s_barrier_wait -1
	s_wait_xcnt 0x0
	s_and_saveexec_b32 s30, s0
	s_cbranch_execz .LBB119_315
; %bb.306:
	s_and_not1_b32 vcc_lo, exec_lo, s3
	s_cbranch_vccnz .LBB119_308
; %bb.307:
	scratch_load_b64 v[116:117], v59, off
	ds_load_b64 v[118:119], v1
	s_wait_loadcnt_dscnt 0x0
	v_pk_mul_f32 v[120:121], v[118:119], v[116:117] op_sel:[1,1] op_sel_hi:[0,1]
	s_delay_alu instid0(VALU_DEP_1) | instskip(SKIP_1) | instid1(VALU_DEP_2)
	v_pk_fma_f32 v[122:123], v[118:119], v[116:117], v[120:121] op_sel_hi:[1,0,1]
	v_pk_fma_f32 v[116:117], v[118:119], v[116:117], v[120:121] neg_lo:[0,0,1] neg_hi:[0,0,1]
	v_mov_b32_e32 v117, v123
	s_cbranch_execz .LBB119_309
	s_branch .LBB119_310
.LBB119_308:
                                        ; implicit-def: $vgpr116_vgpr117
.LBB119_309:
	ds_load_b64 v[116:117], v1
.LBB119_310:
	s_and_saveexec_b32 s31, s1
	s_cbranch_execz .LBB119_314
; %bb.311:
	v_subrev_nc_u32_e32 v118, 25, v0
	s_movk_i32 s33, 0x288
	s_mov_b32 s1, 0
.LBB119_312:                            ; =>This Inner Loop Header: Depth=1
	scratch_load_b64 v[120:121], off, s29
	v_dual_mov_b32 v119, s33 :: v_dual_add_nc_u32 v118, -1, v118
	s_add_co_i32 s33, s33, 8
	s_wait_xcnt 0x0
	s_add_co_i32 s29, s29, 8
	ds_load_b64 v[122:123], v119
	v_cmp_eq_u32_e32 vcc_lo, 0, v118
	s_or_b32 s1, vcc_lo, s1
	s_wait_loadcnt_dscnt 0x0
	v_pk_mul_f32 v[124:125], v[122:123], v[120:121] op_sel:[1,1] op_sel_hi:[0,1]
	s_delay_alu instid0(VALU_DEP_1) | instskip(SKIP_1) | instid1(VALU_DEP_2)
	v_pk_fma_f32 v[126:127], v[122:123], v[120:121], v[124:125] op_sel_hi:[1,0,1]
	v_pk_fma_f32 v[120:121], v[122:123], v[120:121], v[124:125] neg_lo:[0,0,1] neg_hi:[0,0,1]
	v_mov_b32_e32 v121, v127
	s_delay_alu instid0(VALU_DEP_1)
	v_pk_add_f32 v[116:117], v[116:117], v[120:121]
	s_and_not1_b32 exec_lo, exec_lo, s1
	s_cbranch_execnz .LBB119_312
; %bb.313:
	s_or_b32 exec_lo, exec_lo, s1
.LBB119_314:
	s_delay_alu instid0(SALU_CYCLE_1) | instskip(SKIP_4) | instid1(VALU_DEP_1)
	s_or_b32 exec_lo, exec_lo, s31
	v_mov_b32_e32 v118, 0
	ds_load_b64 v[118:119], v118 offset:192
	s_wait_dscnt 0x0
	v_pk_mul_f32 v[120:121], v[116:117], v[118:119] op_sel:[1,1] op_sel_hi:[0,1]
	v_pk_fma_f32 v[122:123], v[116:117], v[118:119], v[120:121] op_sel_hi:[1,0,1]
	v_pk_fma_f32 v[116:117], v[116:117], v[118:119], v[120:121] neg_lo:[0,0,1] neg_hi:[0,0,1]
	s_delay_alu instid0(VALU_DEP_2)
	v_mov_b32_e32 v117, v123
	scratch_store_b64 off, v[116:117], off offset:192
.LBB119_315:
	s_wait_xcnt 0x0
	s_or_b32 exec_lo, exec_lo, s30
	scratch_load_b64 v[116:117], off, off offset:184
	v_cmp_lt_u32_e64 s1, 23, v0
	s_wait_loadcnt 0x0
	ds_store_b64 v1, v[116:117]
	s_wait_storecnt_dscnt 0x0
	s_barrier_signal -1
	s_barrier_wait -1
	s_wait_xcnt 0x0
	s_and_saveexec_b32 s29, s1
	s_cbranch_execz .LBB119_325
; %bb.316:
	s_and_not1_b32 vcc_lo, exec_lo, s3
	s_cbranch_vccnz .LBB119_318
; %bb.317:
	scratch_load_b64 v[116:117], v59, off
	ds_load_b64 v[118:119], v1
	s_wait_loadcnt_dscnt 0x0
	v_pk_mul_f32 v[120:121], v[118:119], v[116:117] op_sel:[1,1] op_sel_hi:[0,1]
	s_delay_alu instid0(VALU_DEP_1) | instskip(SKIP_1) | instid1(VALU_DEP_2)
	v_pk_fma_f32 v[122:123], v[118:119], v[116:117], v[120:121] op_sel_hi:[1,0,1]
	v_pk_fma_f32 v[116:117], v[118:119], v[116:117], v[120:121] neg_lo:[0,0,1] neg_hi:[0,0,1]
	v_mov_b32_e32 v117, v123
	s_cbranch_execz .LBB119_319
	s_branch .LBB119_320
.LBB119_318:
                                        ; implicit-def: $vgpr116_vgpr117
.LBB119_319:
	ds_load_b64 v[116:117], v1
.LBB119_320:
	s_and_saveexec_b32 s30, s0
	s_cbranch_execz .LBB119_324
; %bb.321:
	v_subrev_nc_u32_e32 v118, 24, v0
	s_movk_i32 s31, 0x280
	s_mov_b32 s0, 0
.LBB119_322:                            ; =>This Inner Loop Header: Depth=1
	scratch_load_b64 v[120:121], off, s28
	v_dual_mov_b32 v119, s31 :: v_dual_add_nc_u32 v118, -1, v118
	s_add_co_i32 s31, s31, 8
	s_wait_xcnt 0x0
	s_add_co_i32 s28, s28, 8
	ds_load_b64 v[122:123], v119
	v_cmp_eq_u32_e32 vcc_lo, 0, v118
	s_or_b32 s0, vcc_lo, s0
	s_wait_loadcnt_dscnt 0x0
	v_pk_mul_f32 v[124:125], v[122:123], v[120:121] op_sel:[1,1] op_sel_hi:[0,1]
	s_delay_alu instid0(VALU_DEP_1) | instskip(SKIP_1) | instid1(VALU_DEP_2)
	v_pk_fma_f32 v[126:127], v[122:123], v[120:121], v[124:125] op_sel_hi:[1,0,1]
	v_pk_fma_f32 v[120:121], v[122:123], v[120:121], v[124:125] neg_lo:[0,0,1] neg_hi:[0,0,1]
	v_mov_b32_e32 v121, v127
	s_delay_alu instid0(VALU_DEP_1)
	v_pk_add_f32 v[116:117], v[116:117], v[120:121]
	s_and_not1_b32 exec_lo, exec_lo, s0
	s_cbranch_execnz .LBB119_322
; %bb.323:
	s_or_b32 exec_lo, exec_lo, s0
.LBB119_324:
	s_delay_alu instid0(SALU_CYCLE_1) | instskip(SKIP_4) | instid1(VALU_DEP_1)
	s_or_b32 exec_lo, exec_lo, s30
	v_mov_b32_e32 v118, 0
	ds_load_b64 v[118:119], v118 offset:184
	s_wait_dscnt 0x0
	v_pk_mul_f32 v[120:121], v[116:117], v[118:119] op_sel:[1,1] op_sel_hi:[0,1]
	v_pk_fma_f32 v[122:123], v[116:117], v[118:119], v[120:121] op_sel_hi:[1,0,1]
	v_pk_fma_f32 v[116:117], v[116:117], v[118:119], v[120:121] neg_lo:[0,0,1] neg_hi:[0,0,1]
	s_delay_alu instid0(VALU_DEP_2)
	v_mov_b32_e32 v117, v123
	scratch_store_b64 off, v[116:117], off offset:184
.LBB119_325:
	s_wait_xcnt 0x0
	s_or_b32 exec_lo, exec_lo, s29
	scratch_load_b64 v[116:117], off, off offset:176
	v_cmp_lt_u32_e64 s0, 22, v0
	s_wait_loadcnt 0x0
	ds_store_b64 v1, v[116:117]
	s_wait_storecnt_dscnt 0x0
	s_barrier_signal -1
	s_barrier_wait -1
	s_wait_xcnt 0x0
	s_and_saveexec_b32 s28, s0
	s_cbranch_execz .LBB119_335
; %bb.326:
	s_and_not1_b32 vcc_lo, exec_lo, s3
	s_cbranch_vccnz .LBB119_328
; %bb.327:
	scratch_load_b64 v[116:117], v59, off
	ds_load_b64 v[118:119], v1
	s_wait_loadcnt_dscnt 0x0
	v_pk_mul_f32 v[120:121], v[118:119], v[116:117] op_sel:[1,1] op_sel_hi:[0,1]
	s_delay_alu instid0(VALU_DEP_1) | instskip(SKIP_1) | instid1(VALU_DEP_2)
	v_pk_fma_f32 v[122:123], v[118:119], v[116:117], v[120:121] op_sel_hi:[1,0,1]
	v_pk_fma_f32 v[116:117], v[118:119], v[116:117], v[120:121] neg_lo:[0,0,1] neg_hi:[0,0,1]
	v_mov_b32_e32 v117, v123
	s_cbranch_execz .LBB119_329
	s_branch .LBB119_330
.LBB119_328:
                                        ; implicit-def: $vgpr116_vgpr117
.LBB119_329:
	ds_load_b64 v[116:117], v1
.LBB119_330:
	s_and_saveexec_b32 s29, s1
	s_cbranch_execz .LBB119_334
; %bb.331:
	v_subrev_nc_u32_e32 v118, 23, v0
	s_movk_i32 s30, 0x278
	s_mov_b32 s1, 0
.LBB119_332:                            ; =>This Inner Loop Header: Depth=1
	scratch_load_b64 v[120:121], off, s27
	v_dual_mov_b32 v119, s30 :: v_dual_add_nc_u32 v118, -1, v118
	s_add_co_i32 s30, s30, 8
	s_wait_xcnt 0x0
	s_add_co_i32 s27, s27, 8
	ds_load_b64 v[122:123], v119
	v_cmp_eq_u32_e32 vcc_lo, 0, v118
	s_or_b32 s1, vcc_lo, s1
	s_wait_loadcnt_dscnt 0x0
	v_pk_mul_f32 v[124:125], v[122:123], v[120:121] op_sel:[1,1] op_sel_hi:[0,1]
	s_delay_alu instid0(VALU_DEP_1) | instskip(SKIP_1) | instid1(VALU_DEP_2)
	v_pk_fma_f32 v[126:127], v[122:123], v[120:121], v[124:125] op_sel_hi:[1,0,1]
	v_pk_fma_f32 v[120:121], v[122:123], v[120:121], v[124:125] neg_lo:[0,0,1] neg_hi:[0,0,1]
	v_mov_b32_e32 v121, v127
	s_delay_alu instid0(VALU_DEP_1)
	v_pk_add_f32 v[116:117], v[116:117], v[120:121]
	s_and_not1_b32 exec_lo, exec_lo, s1
	s_cbranch_execnz .LBB119_332
; %bb.333:
	s_or_b32 exec_lo, exec_lo, s1
.LBB119_334:
	s_delay_alu instid0(SALU_CYCLE_1) | instskip(SKIP_4) | instid1(VALU_DEP_1)
	s_or_b32 exec_lo, exec_lo, s29
	v_mov_b32_e32 v118, 0
	ds_load_b64 v[118:119], v118 offset:176
	s_wait_dscnt 0x0
	v_pk_mul_f32 v[120:121], v[116:117], v[118:119] op_sel:[1,1] op_sel_hi:[0,1]
	v_pk_fma_f32 v[122:123], v[116:117], v[118:119], v[120:121] op_sel_hi:[1,0,1]
	v_pk_fma_f32 v[116:117], v[116:117], v[118:119], v[120:121] neg_lo:[0,0,1] neg_hi:[0,0,1]
	s_delay_alu instid0(VALU_DEP_2)
	v_mov_b32_e32 v117, v123
	scratch_store_b64 off, v[116:117], off offset:176
.LBB119_335:
	s_wait_xcnt 0x0
	s_or_b32 exec_lo, exec_lo, s28
	scratch_load_b64 v[116:117], off, off offset:168
	v_cmp_lt_u32_e64 s1, 21, v0
	s_wait_loadcnt 0x0
	ds_store_b64 v1, v[116:117]
	s_wait_storecnt_dscnt 0x0
	s_barrier_signal -1
	s_barrier_wait -1
	s_wait_xcnt 0x0
	s_and_saveexec_b32 s27, s1
	s_cbranch_execz .LBB119_345
; %bb.336:
	s_and_not1_b32 vcc_lo, exec_lo, s3
	s_cbranch_vccnz .LBB119_338
; %bb.337:
	scratch_load_b64 v[116:117], v59, off
	ds_load_b64 v[118:119], v1
	s_wait_loadcnt_dscnt 0x0
	v_pk_mul_f32 v[120:121], v[118:119], v[116:117] op_sel:[1,1] op_sel_hi:[0,1]
	s_delay_alu instid0(VALU_DEP_1) | instskip(SKIP_1) | instid1(VALU_DEP_2)
	v_pk_fma_f32 v[122:123], v[118:119], v[116:117], v[120:121] op_sel_hi:[1,0,1]
	v_pk_fma_f32 v[116:117], v[118:119], v[116:117], v[120:121] neg_lo:[0,0,1] neg_hi:[0,0,1]
	v_mov_b32_e32 v117, v123
	s_cbranch_execz .LBB119_339
	s_branch .LBB119_340
.LBB119_338:
                                        ; implicit-def: $vgpr116_vgpr117
.LBB119_339:
	ds_load_b64 v[116:117], v1
.LBB119_340:
	s_and_saveexec_b32 s28, s0
	s_cbranch_execz .LBB119_344
; %bb.341:
	v_subrev_nc_u32_e32 v118, 22, v0
	s_movk_i32 s29, 0x270
	s_mov_b32 s0, 0
.LBB119_342:                            ; =>This Inner Loop Header: Depth=1
	scratch_load_b64 v[120:121], off, s26
	v_dual_mov_b32 v119, s29 :: v_dual_add_nc_u32 v118, -1, v118
	s_add_co_i32 s29, s29, 8
	s_wait_xcnt 0x0
	s_add_co_i32 s26, s26, 8
	ds_load_b64 v[122:123], v119
	v_cmp_eq_u32_e32 vcc_lo, 0, v118
	s_or_b32 s0, vcc_lo, s0
	s_wait_loadcnt_dscnt 0x0
	v_pk_mul_f32 v[124:125], v[122:123], v[120:121] op_sel:[1,1] op_sel_hi:[0,1]
	s_delay_alu instid0(VALU_DEP_1) | instskip(SKIP_1) | instid1(VALU_DEP_2)
	v_pk_fma_f32 v[126:127], v[122:123], v[120:121], v[124:125] op_sel_hi:[1,0,1]
	v_pk_fma_f32 v[120:121], v[122:123], v[120:121], v[124:125] neg_lo:[0,0,1] neg_hi:[0,0,1]
	v_mov_b32_e32 v121, v127
	s_delay_alu instid0(VALU_DEP_1)
	v_pk_add_f32 v[116:117], v[116:117], v[120:121]
	s_and_not1_b32 exec_lo, exec_lo, s0
	s_cbranch_execnz .LBB119_342
; %bb.343:
	s_or_b32 exec_lo, exec_lo, s0
.LBB119_344:
	s_delay_alu instid0(SALU_CYCLE_1) | instskip(SKIP_4) | instid1(VALU_DEP_1)
	s_or_b32 exec_lo, exec_lo, s28
	v_mov_b32_e32 v118, 0
	ds_load_b64 v[118:119], v118 offset:168
	s_wait_dscnt 0x0
	v_pk_mul_f32 v[120:121], v[116:117], v[118:119] op_sel:[1,1] op_sel_hi:[0,1]
	v_pk_fma_f32 v[122:123], v[116:117], v[118:119], v[120:121] op_sel_hi:[1,0,1]
	v_pk_fma_f32 v[116:117], v[116:117], v[118:119], v[120:121] neg_lo:[0,0,1] neg_hi:[0,0,1]
	s_delay_alu instid0(VALU_DEP_2)
	v_mov_b32_e32 v117, v123
	scratch_store_b64 off, v[116:117], off offset:168
.LBB119_345:
	s_wait_xcnt 0x0
	s_or_b32 exec_lo, exec_lo, s27
	scratch_load_b64 v[116:117], off, off offset:160
	v_cmp_lt_u32_e64 s0, 20, v0
	s_wait_loadcnt 0x0
	ds_store_b64 v1, v[116:117]
	s_wait_storecnt_dscnt 0x0
	s_barrier_signal -1
	s_barrier_wait -1
	s_wait_xcnt 0x0
	s_and_saveexec_b32 s26, s0
	s_cbranch_execz .LBB119_355
; %bb.346:
	s_and_not1_b32 vcc_lo, exec_lo, s3
	s_cbranch_vccnz .LBB119_348
; %bb.347:
	scratch_load_b64 v[116:117], v59, off
	ds_load_b64 v[118:119], v1
	s_wait_loadcnt_dscnt 0x0
	v_pk_mul_f32 v[120:121], v[118:119], v[116:117] op_sel:[1,1] op_sel_hi:[0,1]
	s_delay_alu instid0(VALU_DEP_1) | instskip(SKIP_1) | instid1(VALU_DEP_2)
	v_pk_fma_f32 v[122:123], v[118:119], v[116:117], v[120:121] op_sel_hi:[1,0,1]
	v_pk_fma_f32 v[116:117], v[118:119], v[116:117], v[120:121] neg_lo:[0,0,1] neg_hi:[0,0,1]
	v_mov_b32_e32 v117, v123
	s_cbranch_execz .LBB119_349
	s_branch .LBB119_350
.LBB119_348:
                                        ; implicit-def: $vgpr116_vgpr117
.LBB119_349:
	ds_load_b64 v[116:117], v1
.LBB119_350:
	s_and_saveexec_b32 s27, s1
	s_cbranch_execz .LBB119_354
; %bb.351:
	v_subrev_nc_u32_e32 v118, 21, v0
	s_movk_i32 s28, 0x268
	s_mov_b32 s1, 0
.LBB119_352:                            ; =>This Inner Loop Header: Depth=1
	scratch_load_b64 v[120:121], off, s25
	v_dual_mov_b32 v119, s28 :: v_dual_add_nc_u32 v118, -1, v118
	s_add_co_i32 s28, s28, 8
	s_wait_xcnt 0x0
	s_add_co_i32 s25, s25, 8
	ds_load_b64 v[122:123], v119
	v_cmp_eq_u32_e32 vcc_lo, 0, v118
	s_or_b32 s1, vcc_lo, s1
	s_wait_loadcnt_dscnt 0x0
	v_pk_mul_f32 v[124:125], v[122:123], v[120:121] op_sel:[1,1] op_sel_hi:[0,1]
	s_delay_alu instid0(VALU_DEP_1) | instskip(SKIP_1) | instid1(VALU_DEP_2)
	v_pk_fma_f32 v[126:127], v[122:123], v[120:121], v[124:125] op_sel_hi:[1,0,1]
	v_pk_fma_f32 v[120:121], v[122:123], v[120:121], v[124:125] neg_lo:[0,0,1] neg_hi:[0,0,1]
	v_mov_b32_e32 v121, v127
	s_delay_alu instid0(VALU_DEP_1)
	v_pk_add_f32 v[116:117], v[116:117], v[120:121]
	s_and_not1_b32 exec_lo, exec_lo, s1
	s_cbranch_execnz .LBB119_352
; %bb.353:
	s_or_b32 exec_lo, exec_lo, s1
.LBB119_354:
	s_delay_alu instid0(SALU_CYCLE_1) | instskip(SKIP_4) | instid1(VALU_DEP_1)
	s_or_b32 exec_lo, exec_lo, s27
	v_mov_b32_e32 v118, 0
	ds_load_b64 v[118:119], v118 offset:160
	s_wait_dscnt 0x0
	v_pk_mul_f32 v[120:121], v[116:117], v[118:119] op_sel:[1,1] op_sel_hi:[0,1]
	v_pk_fma_f32 v[122:123], v[116:117], v[118:119], v[120:121] op_sel_hi:[1,0,1]
	v_pk_fma_f32 v[116:117], v[116:117], v[118:119], v[120:121] neg_lo:[0,0,1] neg_hi:[0,0,1]
	s_delay_alu instid0(VALU_DEP_2)
	v_mov_b32_e32 v117, v123
	scratch_store_b64 off, v[116:117], off offset:160
.LBB119_355:
	s_wait_xcnt 0x0
	s_or_b32 exec_lo, exec_lo, s26
	scratch_load_b64 v[116:117], off, off offset:152
	v_cmp_lt_u32_e64 s1, 19, v0
	s_wait_loadcnt 0x0
	ds_store_b64 v1, v[116:117]
	s_wait_storecnt_dscnt 0x0
	s_barrier_signal -1
	s_barrier_wait -1
	s_wait_xcnt 0x0
	s_and_saveexec_b32 s25, s1
	s_cbranch_execz .LBB119_365
; %bb.356:
	s_and_not1_b32 vcc_lo, exec_lo, s3
	s_cbranch_vccnz .LBB119_358
; %bb.357:
	scratch_load_b64 v[116:117], v59, off
	ds_load_b64 v[118:119], v1
	s_wait_loadcnt_dscnt 0x0
	v_pk_mul_f32 v[120:121], v[118:119], v[116:117] op_sel:[1,1] op_sel_hi:[0,1]
	s_delay_alu instid0(VALU_DEP_1) | instskip(SKIP_1) | instid1(VALU_DEP_2)
	v_pk_fma_f32 v[122:123], v[118:119], v[116:117], v[120:121] op_sel_hi:[1,0,1]
	v_pk_fma_f32 v[116:117], v[118:119], v[116:117], v[120:121] neg_lo:[0,0,1] neg_hi:[0,0,1]
	v_mov_b32_e32 v117, v123
	s_cbranch_execz .LBB119_359
	s_branch .LBB119_360
.LBB119_358:
                                        ; implicit-def: $vgpr116_vgpr117
.LBB119_359:
	ds_load_b64 v[116:117], v1
.LBB119_360:
	s_and_saveexec_b32 s26, s0
	s_cbranch_execz .LBB119_364
; %bb.361:
	v_subrev_nc_u32_e32 v118, 20, v0
	s_movk_i32 s27, 0x260
	s_mov_b32 s0, 0
.LBB119_362:                            ; =>This Inner Loop Header: Depth=1
	scratch_load_b64 v[120:121], off, s24
	v_dual_mov_b32 v119, s27 :: v_dual_add_nc_u32 v118, -1, v118
	s_add_co_i32 s27, s27, 8
	s_wait_xcnt 0x0
	s_add_co_i32 s24, s24, 8
	ds_load_b64 v[122:123], v119
	v_cmp_eq_u32_e32 vcc_lo, 0, v118
	s_or_b32 s0, vcc_lo, s0
	s_wait_loadcnt_dscnt 0x0
	v_pk_mul_f32 v[124:125], v[122:123], v[120:121] op_sel:[1,1] op_sel_hi:[0,1]
	s_delay_alu instid0(VALU_DEP_1) | instskip(SKIP_1) | instid1(VALU_DEP_2)
	v_pk_fma_f32 v[126:127], v[122:123], v[120:121], v[124:125] op_sel_hi:[1,0,1]
	v_pk_fma_f32 v[120:121], v[122:123], v[120:121], v[124:125] neg_lo:[0,0,1] neg_hi:[0,0,1]
	v_mov_b32_e32 v121, v127
	s_delay_alu instid0(VALU_DEP_1)
	v_pk_add_f32 v[116:117], v[116:117], v[120:121]
	s_and_not1_b32 exec_lo, exec_lo, s0
	s_cbranch_execnz .LBB119_362
; %bb.363:
	s_or_b32 exec_lo, exec_lo, s0
.LBB119_364:
	s_delay_alu instid0(SALU_CYCLE_1) | instskip(SKIP_4) | instid1(VALU_DEP_1)
	s_or_b32 exec_lo, exec_lo, s26
	v_mov_b32_e32 v118, 0
	ds_load_b64 v[118:119], v118 offset:152
	s_wait_dscnt 0x0
	v_pk_mul_f32 v[120:121], v[116:117], v[118:119] op_sel:[1,1] op_sel_hi:[0,1]
	v_pk_fma_f32 v[122:123], v[116:117], v[118:119], v[120:121] op_sel_hi:[1,0,1]
	v_pk_fma_f32 v[116:117], v[116:117], v[118:119], v[120:121] neg_lo:[0,0,1] neg_hi:[0,0,1]
	s_delay_alu instid0(VALU_DEP_2)
	v_mov_b32_e32 v117, v123
	scratch_store_b64 off, v[116:117], off offset:152
.LBB119_365:
	s_wait_xcnt 0x0
	s_or_b32 exec_lo, exec_lo, s25
	scratch_load_b64 v[116:117], off, off offset:144
	v_cmp_lt_u32_e64 s0, 18, v0
	s_wait_loadcnt 0x0
	ds_store_b64 v1, v[116:117]
	s_wait_storecnt_dscnt 0x0
	s_barrier_signal -1
	s_barrier_wait -1
	s_wait_xcnt 0x0
	s_and_saveexec_b32 s24, s0
	s_cbranch_execz .LBB119_375
; %bb.366:
	s_and_not1_b32 vcc_lo, exec_lo, s3
	s_cbranch_vccnz .LBB119_368
; %bb.367:
	scratch_load_b64 v[116:117], v59, off
	ds_load_b64 v[118:119], v1
	s_wait_loadcnt_dscnt 0x0
	v_pk_mul_f32 v[120:121], v[118:119], v[116:117] op_sel:[1,1] op_sel_hi:[0,1]
	s_delay_alu instid0(VALU_DEP_1) | instskip(SKIP_1) | instid1(VALU_DEP_2)
	v_pk_fma_f32 v[122:123], v[118:119], v[116:117], v[120:121] op_sel_hi:[1,0,1]
	v_pk_fma_f32 v[116:117], v[118:119], v[116:117], v[120:121] neg_lo:[0,0,1] neg_hi:[0,0,1]
	v_mov_b32_e32 v117, v123
	s_cbranch_execz .LBB119_369
	s_branch .LBB119_370
.LBB119_368:
                                        ; implicit-def: $vgpr116_vgpr117
.LBB119_369:
	ds_load_b64 v[116:117], v1
.LBB119_370:
	s_and_saveexec_b32 s25, s1
	s_cbranch_execz .LBB119_374
; %bb.371:
	v_subrev_nc_u32_e32 v118, 19, v0
	s_movk_i32 s26, 0x258
	s_mov_b32 s1, 0
.LBB119_372:                            ; =>This Inner Loop Header: Depth=1
	scratch_load_b64 v[120:121], off, s23
	v_dual_mov_b32 v119, s26 :: v_dual_add_nc_u32 v118, -1, v118
	s_add_co_i32 s26, s26, 8
	s_wait_xcnt 0x0
	s_add_co_i32 s23, s23, 8
	ds_load_b64 v[122:123], v119
	v_cmp_eq_u32_e32 vcc_lo, 0, v118
	s_or_b32 s1, vcc_lo, s1
	s_wait_loadcnt_dscnt 0x0
	v_pk_mul_f32 v[124:125], v[122:123], v[120:121] op_sel:[1,1] op_sel_hi:[0,1]
	s_delay_alu instid0(VALU_DEP_1) | instskip(SKIP_1) | instid1(VALU_DEP_2)
	v_pk_fma_f32 v[126:127], v[122:123], v[120:121], v[124:125] op_sel_hi:[1,0,1]
	v_pk_fma_f32 v[120:121], v[122:123], v[120:121], v[124:125] neg_lo:[0,0,1] neg_hi:[0,0,1]
	v_mov_b32_e32 v121, v127
	s_delay_alu instid0(VALU_DEP_1)
	v_pk_add_f32 v[116:117], v[116:117], v[120:121]
	s_and_not1_b32 exec_lo, exec_lo, s1
	s_cbranch_execnz .LBB119_372
; %bb.373:
	s_or_b32 exec_lo, exec_lo, s1
.LBB119_374:
	s_delay_alu instid0(SALU_CYCLE_1) | instskip(SKIP_4) | instid1(VALU_DEP_1)
	s_or_b32 exec_lo, exec_lo, s25
	v_mov_b32_e32 v118, 0
	ds_load_b64 v[118:119], v118 offset:144
	s_wait_dscnt 0x0
	v_pk_mul_f32 v[120:121], v[116:117], v[118:119] op_sel:[1,1] op_sel_hi:[0,1]
	v_pk_fma_f32 v[122:123], v[116:117], v[118:119], v[120:121] op_sel_hi:[1,0,1]
	v_pk_fma_f32 v[116:117], v[116:117], v[118:119], v[120:121] neg_lo:[0,0,1] neg_hi:[0,0,1]
	s_delay_alu instid0(VALU_DEP_2)
	v_mov_b32_e32 v117, v123
	scratch_store_b64 off, v[116:117], off offset:144
.LBB119_375:
	s_wait_xcnt 0x0
	s_or_b32 exec_lo, exec_lo, s24
	scratch_load_b64 v[116:117], off, off offset:136
	v_cmp_lt_u32_e64 s1, 17, v0
	s_wait_loadcnt 0x0
	ds_store_b64 v1, v[116:117]
	s_wait_storecnt_dscnt 0x0
	s_barrier_signal -1
	s_barrier_wait -1
	s_wait_xcnt 0x0
	s_and_saveexec_b32 s23, s1
	s_cbranch_execz .LBB119_385
; %bb.376:
	s_and_not1_b32 vcc_lo, exec_lo, s3
	s_cbranch_vccnz .LBB119_378
; %bb.377:
	scratch_load_b64 v[116:117], v59, off
	ds_load_b64 v[118:119], v1
	s_wait_loadcnt_dscnt 0x0
	v_pk_mul_f32 v[120:121], v[118:119], v[116:117] op_sel:[1,1] op_sel_hi:[0,1]
	s_delay_alu instid0(VALU_DEP_1) | instskip(SKIP_1) | instid1(VALU_DEP_2)
	v_pk_fma_f32 v[122:123], v[118:119], v[116:117], v[120:121] op_sel_hi:[1,0,1]
	v_pk_fma_f32 v[116:117], v[118:119], v[116:117], v[120:121] neg_lo:[0,0,1] neg_hi:[0,0,1]
	v_mov_b32_e32 v117, v123
	s_cbranch_execz .LBB119_379
	s_branch .LBB119_380
.LBB119_378:
                                        ; implicit-def: $vgpr116_vgpr117
.LBB119_379:
	ds_load_b64 v[116:117], v1
.LBB119_380:
	s_and_saveexec_b32 s24, s0
	s_cbranch_execz .LBB119_384
; %bb.381:
	v_subrev_nc_u32_e32 v118, 18, v0
	s_movk_i32 s25, 0x250
	s_mov_b32 s0, 0
.LBB119_382:                            ; =>This Inner Loop Header: Depth=1
	scratch_load_b64 v[120:121], off, s22
	v_dual_mov_b32 v119, s25 :: v_dual_add_nc_u32 v118, -1, v118
	s_add_co_i32 s25, s25, 8
	s_wait_xcnt 0x0
	s_add_co_i32 s22, s22, 8
	ds_load_b64 v[122:123], v119
	v_cmp_eq_u32_e32 vcc_lo, 0, v118
	s_or_b32 s0, vcc_lo, s0
	s_wait_loadcnt_dscnt 0x0
	v_pk_mul_f32 v[124:125], v[122:123], v[120:121] op_sel:[1,1] op_sel_hi:[0,1]
	s_delay_alu instid0(VALU_DEP_1) | instskip(SKIP_1) | instid1(VALU_DEP_2)
	v_pk_fma_f32 v[126:127], v[122:123], v[120:121], v[124:125] op_sel_hi:[1,0,1]
	v_pk_fma_f32 v[120:121], v[122:123], v[120:121], v[124:125] neg_lo:[0,0,1] neg_hi:[0,0,1]
	v_mov_b32_e32 v121, v127
	s_delay_alu instid0(VALU_DEP_1)
	v_pk_add_f32 v[116:117], v[116:117], v[120:121]
	s_and_not1_b32 exec_lo, exec_lo, s0
	s_cbranch_execnz .LBB119_382
; %bb.383:
	s_or_b32 exec_lo, exec_lo, s0
.LBB119_384:
	s_delay_alu instid0(SALU_CYCLE_1) | instskip(SKIP_4) | instid1(VALU_DEP_1)
	s_or_b32 exec_lo, exec_lo, s24
	v_mov_b32_e32 v118, 0
	ds_load_b64 v[118:119], v118 offset:136
	s_wait_dscnt 0x0
	v_pk_mul_f32 v[120:121], v[116:117], v[118:119] op_sel:[1,1] op_sel_hi:[0,1]
	v_pk_fma_f32 v[122:123], v[116:117], v[118:119], v[120:121] op_sel_hi:[1,0,1]
	v_pk_fma_f32 v[116:117], v[116:117], v[118:119], v[120:121] neg_lo:[0,0,1] neg_hi:[0,0,1]
	s_delay_alu instid0(VALU_DEP_2)
	v_mov_b32_e32 v117, v123
	scratch_store_b64 off, v[116:117], off offset:136
.LBB119_385:
	s_wait_xcnt 0x0
	s_or_b32 exec_lo, exec_lo, s23
	scratch_load_b64 v[116:117], off, off offset:128
	v_cmp_lt_u32_e64 s0, 16, v0
	s_wait_loadcnt 0x0
	ds_store_b64 v1, v[116:117]
	s_wait_storecnt_dscnt 0x0
	s_barrier_signal -1
	s_barrier_wait -1
	s_wait_xcnt 0x0
	s_and_saveexec_b32 s22, s0
	s_cbranch_execz .LBB119_395
; %bb.386:
	s_and_not1_b32 vcc_lo, exec_lo, s3
	s_cbranch_vccnz .LBB119_388
; %bb.387:
	scratch_load_b64 v[116:117], v59, off
	ds_load_b64 v[118:119], v1
	s_wait_loadcnt_dscnt 0x0
	v_pk_mul_f32 v[120:121], v[118:119], v[116:117] op_sel:[1,1] op_sel_hi:[0,1]
	s_delay_alu instid0(VALU_DEP_1) | instskip(SKIP_1) | instid1(VALU_DEP_2)
	v_pk_fma_f32 v[122:123], v[118:119], v[116:117], v[120:121] op_sel_hi:[1,0,1]
	v_pk_fma_f32 v[116:117], v[118:119], v[116:117], v[120:121] neg_lo:[0,0,1] neg_hi:[0,0,1]
	v_mov_b32_e32 v117, v123
	s_cbranch_execz .LBB119_389
	s_branch .LBB119_390
.LBB119_388:
                                        ; implicit-def: $vgpr116_vgpr117
.LBB119_389:
	ds_load_b64 v[116:117], v1
.LBB119_390:
	s_and_saveexec_b32 s23, s1
	s_cbranch_execz .LBB119_394
; %bb.391:
	v_subrev_nc_u32_e32 v118, 17, v0
	s_movk_i32 s24, 0x248
	s_mov_b32 s1, 0
.LBB119_392:                            ; =>This Inner Loop Header: Depth=1
	scratch_load_b64 v[120:121], off, s21
	v_dual_mov_b32 v119, s24 :: v_dual_add_nc_u32 v118, -1, v118
	s_add_co_i32 s24, s24, 8
	s_wait_xcnt 0x0
	s_add_co_i32 s21, s21, 8
	ds_load_b64 v[122:123], v119
	v_cmp_eq_u32_e32 vcc_lo, 0, v118
	s_or_b32 s1, vcc_lo, s1
	s_wait_loadcnt_dscnt 0x0
	v_pk_mul_f32 v[124:125], v[122:123], v[120:121] op_sel:[1,1] op_sel_hi:[0,1]
	s_delay_alu instid0(VALU_DEP_1) | instskip(SKIP_1) | instid1(VALU_DEP_2)
	v_pk_fma_f32 v[126:127], v[122:123], v[120:121], v[124:125] op_sel_hi:[1,0,1]
	v_pk_fma_f32 v[120:121], v[122:123], v[120:121], v[124:125] neg_lo:[0,0,1] neg_hi:[0,0,1]
	v_mov_b32_e32 v121, v127
	s_delay_alu instid0(VALU_DEP_1)
	v_pk_add_f32 v[116:117], v[116:117], v[120:121]
	s_and_not1_b32 exec_lo, exec_lo, s1
	s_cbranch_execnz .LBB119_392
; %bb.393:
	s_or_b32 exec_lo, exec_lo, s1
.LBB119_394:
	s_delay_alu instid0(SALU_CYCLE_1) | instskip(SKIP_4) | instid1(VALU_DEP_1)
	s_or_b32 exec_lo, exec_lo, s23
	v_mov_b32_e32 v118, 0
	ds_load_b64 v[118:119], v118 offset:128
	s_wait_dscnt 0x0
	v_pk_mul_f32 v[120:121], v[116:117], v[118:119] op_sel:[1,1] op_sel_hi:[0,1]
	v_pk_fma_f32 v[122:123], v[116:117], v[118:119], v[120:121] op_sel_hi:[1,0,1]
	v_pk_fma_f32 v[116:117], v[116:117], v[118:119], v[120:121] neg_lo:[0,0,1] neg_hi:[0,0,1]
	s_delay_alu instid0(VALU_DEP_2)
	v_mov_b32_e32 v117, v123
	scratch_store_b64 off, v[116:117], off offset:128
.LBB119_395:
	s_wait_xcnt 0x0
	s_or_b32 exec_lo, exec_lo, s22
	scratch_load_b64 v[116:117], off, off offset:120
	v_cmp_lt_u32_e64 s1, 15, v0
	s_wait_loadcnt 0x0
	ds_store_b64 v1, v[116:117]
	s_wait_storecnt_dscnt 0x0
	s_barrier_signal -1
	s_barrier_wait -1
	s_wait_xcnt 0x0
	s_and_saveexec_b32 s21, s1
	s_cbranch_execz .LBB119_405
; %bb.396:
	s_and_not1_b32 vcc_lo, exec_lo, s3
	s_cbranch_vccnz .LBB119_398
; %bb.397:
	scratch_load_b64 v[116:117], v59, off
	ds_load_b64 v[118:119], v1
	s_wait_loadcnt_dscnt 0x0
	v_pk_mul_f32 v[120:121], v[118:119], v[116:117] op_sel:[1,1] op_sel_hi:[0,1]
	s_delay_alu instid0(VALU_DEP_1) | instskip(SKIP_1) | instid1(VALU_DEP_2)
	v_pk_fma_f32 v[122:123], v[118:119], v[116:117], v[120:121] op_sel_hi:[1,0,1]
	v_pk_fma_f32 v[116:117], v[118:119], v[116:117], v[120:121] neg_lo:[0,0,1] neg_hi:[0,0,1]
	v_mov_b32_e32 v117, v123
	s_cbranch_execz .LBB119_399
	s_branch .LBB119_400
.LBB119_398:
                                        ; implicit-def: $vgpr116_vgpr117
.LBB119_399:
	ds_load_b64 v[116:117], v1
.LBB119_400:
	s_and_saveexec_b32 s22, s0
	s_cbranch_execz .LBB119_404
; %bb.401:
	v_add_nc_u32_e32 v118, -16, v0
	s_movk_i32 s23, 0x240
	s_mov_b32 s0, 0
.LBB119_402:                            ; =>This Inner Loop Header: Depth=1
	scratch_load_b64 v[120:121], off, s20
	v_dual_mov_b32 v119, s23 :: v_dual_add_nc_u32 v118, -1, v118
	s_add_co_i32 s23, s23, 8
	s_wait_xcnt 0x0
	s_add_co_i32 s20, s20, 8
	ds_load_b64 v[122:123], v119
	v_cmp_eq_u32_e32 vcc_lo, 0, v118
	s_or_b32 s0, vcc_lo, s0
	s_wait_loadcnt_dscnt 0x0
	v_pk_mul_f32 v[124:125], v[122:123], v[120:121] op_sel:[1,1] op_sel_hi:[0,1]
	s_delay_alu instid0(VALU_DEP_1) | instskip(SKIP_1) | instid1(VALU_DEP_2)
	v_pk_fma_f32 v[126:127], v[122:123], v[120:121], v[124:125] op_sel_hi:[1,0,1]
	v_pk_fma_f32 v[120:121], v[122:123], v[120:121], v[124:125] neg_lo:[0,0,1] neg_hi:[0,0,1]
	v_mov_b32_e32 v121, v127
	s_delay_alu instid0(VALU_DEP_1)
	v_pk_add_f32 v[116:117], v[116:117], v[120:121]
	s_and_not1_b32 exec_lo, exec_lo, s0
	s_cbranch_execnz .LBB119_402
; %bb.403:
	s_or_b32 exec_lo, exec_lo, s0
.LBB119_404:
	s_delay_alu instid0(SALU_CYCLE_1) | instskip(SKIP_4) | instid1(VALU_DEP_1)
	s_or_b32 exec_lo, exec_lo, s22
	v_mov_b32_e32 v118, 0
	ds_load_b64 v[118:119], v118 offset:120
	s_wait_dscnt 0x0
	v_pk_mul_f32 v[120:121], v[116:117], v[118:119] op_sel:[1,1] op_sel_hi:[0,1]
	v_pk_fma_f32 v[122:123], v[116:117], v[118:119], v[120:121] op_sel_hi:[1,0,1]
	v_pk_fma_f32 v[116:117], v[116:117], v[118:119], v[120:121] neg_lo:[0,0,1] neg_hi:[0,0,1]
	s_delay_alu instid0(VALU_DEP_2)
	v_mov_b32_e32 v117, v123
	scratch_store_b64 off, v[116:117], off offset:120
.LBB119_405:
	s_wait_xcnt 0x0
	s_or_b32 exec_lo, exec_lo, s21
	scratch_load_b64 v[116:117], off, off offset:112
	v_cmp_lt_u32_e64 s0, 14, v0
	s_wait_loadcnt 0x0
	ds_store_b64 v1, v[116:117]
	s_wait_storecnt_dscnt 0x0
	s_barrier_signal -1
	s_barrier_wait -1
	s_wait_xcnt 0x0
	s_and_saveexec_b32 s20, s0
	s_cbranch_execz .LBB119_415
; %bb.406:
	s_and_not1_b32 vcc_lo, exec_lo, s3
	s_cbranch_vccnz .LBB119_408
; %bb.407:
	scratch_load_b64 v[116:117], v59, off
	ds_load_b64 v[118:119], v1
	s_wait_loadcnt_dscnt 0x0
	v_pk_mul_f32 v[120:121], v[118:119], v[116:117] op_sel:[1,1] op_sel_hi:[0,1]
	s_delay_alu instid0(VALU_DEP_1) | instskip(SKIP_1) | instid1(VALU_DEP_2)
	v_pk_fma_f32 v[122:123], v[118:119], v[116:117], v[120:121] op_sel_hi:[1,0,1]
	v_pk_fma_f32 v[116:117], v[118:119], v[116:117], v[120:121] neg_lo:[0,0,1] neg_hi:[0,0,1]
	v_mov_b32_e32 v117, v123
	s_cbranch_execz .LBB119_409
	s_branch .LBB119_410
.LBB119_408:
                                        ; implicit-def: $vgpr116_vgpr117
.LBB119_409:
	ds_load_b64 v[116:117], v1
.LBB119_410:
	s_and_saveexec_b32 s21, s1
	s_cbranch_execz .LBB119_414
; %bb.411:
	v_add_nc_u32_e32 v118, -15, v0
	s_movk_i32 s22, 0x238
	s_mov_b32 s1, 0
.LBB119_412:                            ; =>This Inner Loop Header: Depth=1
	scratch_load_b64 v[120:121], off, s19
	v_dual_mov_b32 v119, s22 :: v_dual_add_nc_u32 v118, -1, v118
	s_add_co_i32 s22, s22, 8
	s_wait_xcnt 0x0
	s_add_co_i32 s19, s19, 8
	ds_load_b64 v[122:123], v119
	v_cmp_eq_u32_e32 vcc_lo, 0, v118
	s_or_b32 s1, vcc_lo, s1
	s_wait_loadcnt_dscnt 0x0
	v_pk_mul_f32 v[124:125], v[122:123], v[120:121] op_sel:[1,1] op_sel_hi:[0,1]
	s_delay_alu instid0(VALU_DEP_1) | instskip(SKIP_1) | instid1(VALU_DEP_2)
	v_pk_fma_f32 v[126:127], v[122:123], v[120:121], v[124:125] op_sel_hi:[1,0,1]
	v_pk_fma_f32 v[120:121], v[122:123], v[120:121], v[124:125] neg_lo:[0,0,1] neg_hi:[0,0,1]
	v_mov_b32_e32 v121, v127
	s_delay_alu instid0(VALU_DEP_1)
	v_pk_add_f32 v[116:117], v[116:117], v[120:121]
	s_and_not1_b32 exec_lo, exec_lo, s1
	s_cbranch_execnz .LBB119_412
; %bb.413:
	s_or_b32 exec_lo, exec_lo, s1
.LBB119_414:
	s_delay_alu instid0(SALU_CYCLE_1) | instskip(SKIP_4) | instid1(VALU_DEP_1)
	s_or_b32 exec_lo, exec_lo, s21
	v_mov_b32_e32 v118, 0
	ds_load_b64 v[118:119], v118 offset:112
	s_wait_dscnt 0x0
	v_pk_mul_f32 v[120:121], v[116:117], v[118:119] op_sel:[1,1] op_sel_hi:[0,1]
	v_pk_fma_f32 v[122:123], v[116:117], v[118:119], v[120:121] op_sel_hi:[1,0,1]
	v_pk_fma_f32 v[116:117], v[116:117], v[118:119], v[120:121] neg_lo:[0,0,1] neg_hi:[0,0,1]
	s_delay_alu instid0(VALU_DEP_2)
	v_mov_b32_e32 v117, v123
	scratch_store_b64 off, v[116:117], off offset:112
.LBB119_415:
	s_wait_xcnt 0x0
	s_or_b32 exec_lo, exec_lo, s20
	scratch_load_b64 v[116:117], off, off offset:104
	v_cmp_lt_u32_e64 s1, 13, v0
	s_wait_loadcnt 0x0
	ds_store_b64 v1, v[116:117]
	s_wait_storecnt_dscnt 0x0
	s_barrier_signal -1
	s_barrier_wait -1
	s_wait_xcnt 0x0
	s_and_saveexec_b32 s19, s1
	s_cbranch_execz .LBB119_425
; %bb.416:
	s_and_not1_b32 vcc_lo, exec_lo, s3
	s_cbranch_vccnz .LBB119_418
; %bb.417:
	scratch_load_b64 v[116:117], v59, off
	ds_load_b64 v[118:119], v1
	s_wait_loadcnt_dscnt 0x0
	v_pk_mul_f32 v[120:121], v[118:119], v[116:117] op_sel:[1,1] op_sel_hi:[0,1]
	s_delay_alu instid0(VALU_DEP_1) | instskip(SKIP_1) | instid1(VALU_DEP_2)
	v_pk_fma_f32 v[122:123], v[118:119], v[116:117], v[120:121] op_sel_hi:[1,0,1]
	v_pk_fma_f32 v[116:117], v[118:119], v[116:117], v[120:121] neg_lo:[0,0,1] neg_hi:[0,0,1]
	v_mov_b32_e32 v117, v123
	s_cbranch_execz .LBB119_419
	s_branch .LBB119_420
.LBB119_418:
                                        ; implicit-def: $vgpr116_vgpr117
.LBB119_419:
	ds_load_b64 v[116:117], v1
.LBB119_420:
	s_and_saveexec_b32 s20, s0
	s_cbranch_execz .LBB119_424
; %bb.421:
	v_add_nc_u32_e32 v118, -14, v0
	s_movk_i32 s21, 0x230
	s_mov_b32 s0, 0
.LBB119_422:                            ; =>This Inner Loop Header: Depth=1
	scratch_load_b64 v[120:121], off, s18
	v_dual_mov_b32 v119, s21 :: v_dual_add_nc_u32 v118, -1, v118
	s_add_co_i32 s21, s21, 8
	s_wait_xcnt 0x0
	s_add_co_i32 s18, s18, 8
	ds_load_b64 v[122:123], v119
	v_cmp_eq_u32_e32 vcc_lo, 0, v118
	s_or_b32 s0, vcc_lo, s0
	s_wait_loadcnt_dscnt 0x0
	v_pk_mul_f32 v[124:125], v[122:123], v[120:121] op_sel:[1,1] op_sel_hi:[0,1]
	s_delay_alu instid0(VALU_DEP_1) | instskip(SKIP_1) | instid1(VALU_DEP_2)
	v_pk_fma_f32 v[126:127], v[122:123], v[120:121], v[124:125] op_sel_hi:[1,0,1]
	v_pk_fma_f32 v[120:121], v[122:123], v[120:121], v[124:125] neg_lo:[0,0,1] neg_hi:[0,0,1]
	v_mov_b32_e32 v121, v127
	s_delay_alu instid0(VALU_DEP_1)
	v_pk_add_f32 v[116:117], v[116:117], v[120:121]
	s_and_not1_b32 exec_lo, exec_lo, s0
	s_cbranch_execnz .LBB119_422
; %bb.423:
	s_or_b32 exec_lo, exec_lo, s0
.LBB119_424:
	s_delay_alu instid0(SALU_CYCLE_1) | instskip(SKIP_4) | instid1(VALU_DEP_1)
	s_or_b32 exec_lo, exec_lo, s20
	v_mov_b32_e32 v118, 0
	ds_load_b64 v[118:119], v118 offset:104
	s_wait_dscnt 0x0
	v_pk_mul_f32 v[120:121], v[116:117], v[118:119] op_sel:[1,1] op_sel_hi:[0,1]
	v_pk_fma_f32 v[122:123], v[116:117], v[118:119], v[120:121] op_sel_hi:[1,0,1]
	v_pk_fma_f32 v[116:117], v[116:117], v[118:119], v[120:121] neg_lo:[0,0,1] neg_hi:[0,0,1]
	s_delay_alu instid0(VALU_DEP_2)
	v_mov_b32_e32 v117, v123
	scratch_store_b64 off, v[116:117], off offset:104
.LBB119_425:
	s_wait_xcnt 0x0
	s_or_b32 exec_lo, exec_lo, s19
	scratch_load_b64 v[116:117], off, off offset:96
	v_cmp_lt_u32_e64 s0, 12, v0
	s_wait_loadcnt 0x0
	ds_store_b64 v1, v[116:117]
	s_wait_storecnt_dscnt 0x0
	s_barrier_signal -1
	s_barrier_wait -1
	s_wait_xcnt 0x0
	s_and_saveexec_b32 s18, s0
	s_cbranch_execz .LBB119_435
; %bb.426:
	s_and_not1_b32 vcc_lo, exec_lo, s3
	s_cbranch_vccnz .LBB119_428
; %bb.427:
	scratch_load_b64 v[116:117], v59, off
	ds_load_b64 v[118:119], v1
	s_wait_loadcnt_dscnt 0x0
	v_pk_mul_f32 v[120:121], v[118:119], v[116:117] op_sel:[1,1] op_sel_hi:[0,1]
	s_delay_alu instid0(VALU_DEP_1) | instskip(SKIP_1) | instid1(VALU_DEP_2)
	v_pk_fma_f32 v[122:123], v[118:119], v[116:117], v[120:121] op_sel_hi:[1,0,1]
	v_pk_fma_f32 v[116:117], v[118:119], v[116:117], v[120:121] neg_lo:[0,0,1] neg_hi:[0,0,1]
	v_mov_b32_e32 v117, v123
	s_cbranch_execz .LBB119_429
	s_branch .LBB119_430
.LBB119_428:
                                        ; implicit-def: $vgpr116_vgpr117
.LBB119_429:
	ds_load_b64 v[116:117], v1
.LBB119_430:
	s_and_saveexec_b32 s19, s1
	s_cbranch_execz .LBB119_434
; %bb.431:
	v_add_nc_u32_e32 v118, -13, v0
	s_movk_i32 s20, 0x228
	s_mov_b32 s1, 0
.LBB119_432:                            ; =>This Inner Loop Header: Depth=1
	scratch_load_b64 v[120:121], off, s17
	v_dual_mov_b32 v119, s20 :: v_dual_add_nc_u32 v118, -1, v118
	s_add_co_i32 s20, s20, 8
	s_wait_xcnt 0x0
	s_add_co_i32 s17, s17, 8
	ds_load_b64 v[122:123], v119
	v_cmp_eq_u32_e32 vcc_lo, 0, v118
	s_or_b32 s1, vcc_lo, s1
	s_wait_loadcnt_dscnt 0x0
	v_pk_mul_f32 v[124:125], v[122:123], v[120:121] op_sel:[1,1] op_sel_hi:[0,1]
	s_delay_alu instid0(VALU_DEP_1) | instskip(SKIP_1) | instid1(VALU_DEP_2)
	v_pk_fma_f32 v[126:127], v[122:123], v[120:121], v[124:125] op_sel_hi:[1,0,1]
	v_pk_fma_f32 v[120:121], v[122:123], v[120:121], v[124:125] neg_lo:[0,0,1] neg_hi:[0,0,1]
	v_mov_b32_e32 v121, v127
	s_delay_alu instid0(VALU_DEP_1)
	v_pk_add_f32 v[116:117], v[116:117], v[120:121]
	s_and_not1_b32 exec_lo, exec_lo, s1
	s_cbranch_execnz .LBB119_432
; %bb.433:
	s_or_b32 exec_lo, exec_lo, s1
.LBB119_434:
	s_delay_alu instid0(SALU_CYCLE_1) | instskip(SKIP_4) | instid1(VALU_DEP_1)
	s_or_b32 exec_lo, exec_lo, s19
	v_mov_b32_e32 v118, 0
	ds_load_b64 v[118:119], v118 offset:96
	s_wait_dscnt 0x0
	v_pk_mul_f32 v[120:121], v[116:117], v[118:119] op_sel:[1,1] op_sel_hi:[0,1]
	v_pk_fma_f32 v[122:123], v[116:117], v[118:119], v[120:121] op_sel_hi:[1,0,1]
	v_pk_fma_f32 v[116:117], v[116:117], v[118:119], v[120:121] neg_lo:[0,0,1] neg_hi:[0,0,1]
	s_delay_alu instid0(VALU_DEP_2)
	v_mov_b32_e32 v117, v123
	scratch_store_b64 off, v[116:117], off offset:96
.LBB119_435:
	s_wait_xcnt 0x0
	s_or_b32 exec_lo, exec_lo, s18
	scratch_load_b64 v[116:117], off, off offset:88
	v_cmp_lt_u32_e64 s1, 11, v0
	s_wait_loadcnt 0x0
	ds_store_b64 v1, v[116:117]
	s_wait_storecnt_dscnt 0x0
	s_barrier_signal -1
	s_barrier_wait -1
	s_wait_xcnt 0x0
	s_and_saveexec_b32 s17, s1
	s_cbranch_execz .LBB119_445
; %bb.436:
	s_and_not1_b32 vcc_lo, exec_lo, s3
	s_cbranch_vccnz .LBB119_438
; %bb.437:
	scratch_load_b64 v[116:117], v59, off
	ds_load_b64 v[118:119], v1
	s_wait_loadcnt_dscnt 0x0
	v_pk_mul_f32 v[120:121], v[118:119], v[116:117] op_sel:[1,1] op_sel_hi:[0,1]
	s_delay_alu instid0(VALU_DEP_1) | instskip(SKIP_1) | instid1(VALU_DEP_2)
	v_pk_fma_f32 v[122:123], v[118:119], v[116:117], v[120:121] op_sel_hi:[1,0,1]
	v_pk_fma_f32 v[116:117], v[118:119], v[116:117], v[120:121] neg_lo:[0,0,1] neg_hi:[0,0,1]
	v_mov_b32_e32 v117, v123
	s_cbranch_execz .LBB119_439
	s_branch .LBB119_440
.LBB119_438:
                                        ; implicit-def: $vgpr116_vgpr117
.LBB119_439:
	ds_load_b64 v[116:117], v1
.LBB119_440:
	s_and_saveexec_b32 s18, s0
	s_cbranch_execz .LBB119_444
; %bb.441:
	v_add_nc_u32_e32 v118, -12, v0
	s_movk_i32 s19, 0x220
	s_mov_b32 s0, 0
.LBB119_442:                            ; =>This Inner Loop Header: Depth=1
	scratch_load_b64 v[120:121], off, s16
	v_dual_mov_b32 v119, s19 :: v_dual_add_nc_u32 v118, -1, v118
	s_add_co_i32 s19, s19, 8
	s_wait_xcnt 0x0
	s_add_co_i32 s16, s16, 8
	ds_load_b64 v[122:123], v119
	v_cmp_eq_u32_e32 vcc_lo, 0, v118
	s_or_b32 s0, vcc_lo, s0
	s_wait_loadcnt_dscnt 0x0
	v_pk_mul_f32 v[124:125], v[122:123], v[120:121] op_sel:[1,1] op_sel_hi:[0,1]
	s_delay_alu instid0(VALU_DEP_1) | instskip(SKIP_1) | instid1(VALU_DEP_2)
	v_pk_fma_f32 v[126:127], v[122:123], v[120:121], v[124:125] op_sel_hi:[1,0,1]
	v_pk_fma_f32 v[120:121], v[122:123], v[120:121], v[124:125] neg_lo:[0,0,1] neg_hi:[0,0,1]
	v_mov_b32_e32 v121, v127
	s_delay_alu instid0(VALU_DEP_1)
	v_pk_add_f32 v[116:117], v[116:117], v[120:121]
	s_and_not1_b32 exec_lo, exec_lo, s0
	s_cbranch_execnz .LBB119_442
; %bb.443:
	s_or_b32 exec_lo, exec_lo, s0
.LBB119_444:
	s_delay_alu instid0(SALU_CYCLE_1) | instskip(SKIP_4) | instid1(VALU_DEP_1)
	s_or_b32 exec_lo, exec_lo, s18
	v_mov_b32_e32 v118, 0
	ds_load_b64 v[118:119], v118 offset:88
	s_wait_dscnt 0x0
	v_pk_mul_f32 v[120:121], v[116:117], v[118:119] op_sel:[1,1] op_sel_hi:[0,1]
	v_pk_fma_f32 v[122:123], v[116:117], v[118:119], v[120:121] op_sel_hi:[1,0,1]
	v_pk_fma_f32 v[116:117], v[116:117], v[118:119], v[120:121] neg_lo:[0,0,1] neg_hi:[0,0,1]
	s_delay_alu instid0(VALU_DEP_2)
	v_mov_b32_e32 v117, v123
	scratch_store_b64 off, v[116:117], off offset:88
.LBB119_445:
	s_wait_xcnt 0x0
	s_or_b32 exec_lo, exec_lo, s17
	scratch_load_b64 v[116:117], off, off offset:80
	v_cmp_lt_u32_e64 s0, 10, v0
	s_wait_loadcnt 0x0
	ds_store_b64 v1, v[116:117]
	s_wait_storecnt_dscnt 0x0
	s_barrier_signal -1
	s_barrier_wait -1
	s_wait_xcnt 0x0
	s_and_saveexec_b32 s16, s0
	s_cbranch_execz .LBB119_455
; %bb.446:
	s_and_not1_b32 vcc_lo, exec_lo, s3
	s_cbranch_vccnz .LBB119_448
; %bb.447:
	scratch_load_b64 v[116:117], v59, off
	ds_load_b64 v[118:119], v1
	s_wait_loadcnt_dscnt 0x0
	v_pk_mul_f32 v[120:121], v[118:119], v[116:117] op_sel:[1,1] op_sel_hi:[0,1]
	s_delay_alu instid0(VALU_DEP_1) | instskip(SKIP_1) | instid1(VALU_DEP_2)
	v_pk_fma_f32 v[122:123], v[118:119], v[116:117], v[120:121] op_sel_hi:[1,0,1]
	v_pk_fma_f32 v[116:117], v[118:119], v[116:117], v[120:121] neg_lo:[0,0,1] neg_hi:[0,0,1]
	v_mov_b32_e32 v117, v123
	s_cbranch_execz .LBB119_449
	s_branch .LBB119_450
.LBB119_448:
                                        ; implicit-def: $vgpr116_vgpr117
.LBB119_449:
	ds_load_b64 v[116:117], v1
.LBB119_450:
	s_and_saveexec_b32 s17, s1
	s_cbranch_execz .LBB119_454
; %bb.451:
	v_add_nc_u32_e32 v118, -11, v0
	s_movk_i32 s18, 0x218
	s_mov_b32 s1, 0
.LBB119_452:                            ; =>This Inner Loop Header: Depth=1
	scratch_load_b64 v[120:121], off, s15
	v_dual_mov_b32 v119, s18 :: v_dual_add_nc_u32 v118, -1, v118
	s_add_co_i32 s18, s18, 8
	s_wait_xcnt 0x0
	s_add_co_i32 s15, s15, 8
	ds_load_b64 v[122:123], v119
	v_cmp_eq_u32_e32 vcc_lo, 0, v118
	s_or_b32 s1, vcc_lo, s1
	s_wait_loadcnt_dscnt 0x0
	v_pk_mul_f32 v[124:125], v[122:123], v[120:121] op_sel:[1,1] op_sel_hi:[0,1]
	s_delay_alu instid0(VALU_DEP_1) | instskip(SKIP_1) | instid1(VALU_DEP_2)
	v_pk_fma_f32 v[126:127], v[122:123], v[120:121], v[124:125] op_sel_hi:[1,0,1]
	v_pk_fma_f32 v[120:121], v[122:123], v[120:121], v[124:125] neg_lo:[0,0,1] neg_hi:[0,0,1]
	v_mov_b32_e32 v121, v127
	s_delay_alu instid0(VALU_DEP_1)
	v_pk_add_f32 v[116:117], v[116:117], v[120:121]
	s_and_not1_b32 exec_lo, exec_lo, s1
	s_cbranch_execnz .LBB119_452
; %bb.453:
	s_or_b32 exec_lo, exec_lo, s1
.LBB119_454:
	s_delay_alu instid0(SALU_CYCLE_1) | instskip(SKIP_4) | instid1(VALU_DEP_1)
	s_or_b32 exec_lo, exec_lo, s17
	v_mov_b32_e32 v118, 0
	ds_load_b64 v[118:119], v118 offset:80
	s_wait_dscnt 0x0
	v_pk_mul_f32 v[120:121], v[116:117], v[118:119] op_sel:[1,1] op_sel_hi:[0,1]
	v_pk_fma_f32 v[122:123], v[116:117], v[118:119], v[120:121] op_sel_hi:[1,0,1]
	v_pk_fma_f32 v[116:117], v[116:117], v[118:119], v[120:121] neg_lo:[0,0,1] neg_hi:[0,0,1]
	s_delay_alu instid0(VALU_DEP_2)
	v_mov_b32_e32 v117, v123
	scratch_store_b64 off, v[116:117], off offset:80
.LBB119_455:
	s_wait_xcnt 0x0
	s_or_b32 exec_lo, exec_lo, s16
	scratch_load_b64 v[116:117], off, off offset:72
	v_cmp_lt_u32_e64 s1, 9, v0
	s_wait_loadcnt 0x0
	ds_store_b64 v1, v[116:117]
	s_wait_storecnt_dscnt 0x0
	s_barrier_signal -1
	s_barrier_wait -1
	s_wait_xcnt 0x0
	s_and_saveexec_b32 s15, s1
	s_cbranch_execz .LBB119_465
; %bb.456:
	s_and_not1_b32 vcc_lo, exec_lo, s3
	s_cbranch_vccnz .LBB119_458
; %bb.457:
	scratch_load_b64 v[116:117], v59, off
	ds_load_b64 v[118:119], v1
	s_wait_loadcnt_dscnt 0x0
	v_pk_mul_f32 v[120:121], v[118:119], v[116:117] op_sel:[1,1] op_sel_hi:[0,1]
	s_delay_alu instid0(VALU_DEP_1) | instskip(SKIP_1) | instid1(VALU_DEP_2)
	v_pk_fma_f32 v[122:123], v[118:119], v[116:117], v[120:121] op_sel_hi:[1,0,1]
	v_pk_fma_f32 v[116:117], v[118:119], v[116:117], v[120:121] neg_lo:[0,0,1] neg_hi:[0,0,1]
	v_mov_b32_e32 v117, v123
	s_cbranch_execz .LBB119_459
	s_branch .LBB119_460
.LBB119_458:
                                        ; implicit-def: $vgpr116_vgpr117
.LBB119_459:
	ds_load_b64 v[116:117], v1
.LBB119_460:
	s_and_saveexec_b32 s16, s0
	s_cbranch_execz .LBB119_464
; %bb.461:
	v_add_nc_u32_e32 v118, -10, v0
	s_movk_i32 s17, 0x210
	s_mov_b32 s0, 0
.LBB119_462:                            ; =>This Inner Loop Header: Depth=1
	scratch_load_b64 v[120:121], off, s14
	v_dual_mov_b32 v119, s17 :: v_dual_add_nc_u32 v118, -1, v118
	s_add_co_i32 s17, s17, 8
	s_wait_xcnt 0x0
	s_add_co_i32 s14, s14, 8
	ds_load_b64 v[122:123], v119
	v_cmp_eq_u32_e32 vcc_lo, 0, v118
	s_or_b32 s0, vcc_lo, s0
	s_wait_loadcnt_dscnt 0x0
	v_pk_mul_f32 v[124:125], v[122:123], v[120:121] op_sel:[1,1] op_sel_hi:[0,1]
	s_delay_alu instid0(VALU_DEP_1) | instskip(SKIP_1) | instid1(VALU_DEP_2)
	v_pk_fma_f32 v[126:127], v[122:123], v[120:121], v[124:125] op_sel_hi:[1,0,1]
	v_pk_fma_f32 v[120:121], v[122:123], v[120:121], v[124:125] neg_lo:[0,0,1] neg_hi:[0,0,1]
	v_mov_b32_e32 v121, v127
	s_delay_alu instid0(VALU_DEP_1)
	v_pk_add_f32 v[116:117], v[116:117], v[120:121]
	s_and_not1_b32 exec_lo, exec_lo, s0
	s_cbranch_execnz .LBB119_462
; %bb.463:
	s_or_b32 exec_lo, exec_lo, s0
.LBB119_464:
	s_delay_alu instid0(SALU_CYCLE_1) | instskip(SKIP_4) | instid1(VALU_DEP_1)
	s_or_b32 exec_lo, exec_lo, s16
	v_mov_b32_e32 v118, 0
	ds_load_b64 v[118:119], v118 offset:72
	s_wait_dscnt 0x0
	v_pk_mul_f32 v[120:121], v[116:117], v[118:119] op_sel:[1,1] op_sel_hi:[0,1]
	v_pk_fma_f32 v[122:123], v[116:117], v[118:119], v[120:121] op_sel_hi:[1,0,1]
	v_pk_fma_f32 v[116:117], v[116:117], v[118:119], v[120:121] neg_lo:[0,0,1] neg_hi:[0,0,1]
	s_delay_alu instid0(VALU_DEP_2)
	v_mov_b32_e32 v117, v123
	scratch_store_b64 off, v[116:117], off offset:72
.LBB119_465:
	s_wait_xcnt 0x0
	s_or_b32 exec_lo, exec_lo, s15
	scratch_load_b64 v[116:117], off, off offset:64
	v_cmp_lt_u32_e64 s0, 8, v0
	s_wait_loadcnt 0x0
	ds_store_b64 v1, v[116:117]
	s_wait_storecnt_dscnt 0x0
	s_barrier_signal -1
	s_barrier_wait -1
	s_wait_xcnt 0x0
	s_and_saveexec_b32 s14, s0
	s_cbranch_execz .LBB119_475
; %bb.466:
	s_and_not1_b32 vcc_lo, exec_lo, s3
	s_cbranch_vccnz .LBB119_468
; %bb.467:
	scratch_load_b64 v[116:117], v59, off
	ds_load_b64 v[118:119], v1
	s_wait_loadcnt_dscnt 0x0
	v_pk_mul_f32 v[120:121], v[118:119], v[116:117] op_sel:[1,1] op_sel_hi:[0,1]
	s_delay_alu instid0(VALU_DEP_1) | instskip(SKIP_1) | instid1(VALU_DEP_2)
	v_pk_fma_f32 v[122:123], v[118:119], v[116:117], v[120:121] op_sel_hi:[1,0,1]
	v_pk_fma_f32 v[116:117], v[118:119], v[116:117], v[120:121] neg_lo:[0,0,1] neg_hi:[0,0,1]
	v_mov_b32_e32 v117, v123
	s_cbranch_execz .LBB119_469
	s_branch .LBB119_470
.LBB119_468:
                                        ; implicit-def: $vgpr116_vgpr117
.LBB119_469:
	ds_load_b64 v[116:117], v1
.LBB119_470:
	s_and_saveexec_b32 s15, s1
	s_cbranch_execz .LBB119_474
; %bb.471:
	v_add_nc_u32_e32 v118, -9, v0
	s_movk_i32 s16, 0x208
	s_mov_b32 s1, 0
.LBB119_472:                            ; =>This Inner Loop Header: Depth=1
	scratch_load_b64 v[120:121], off, s13
	v_dual_mov_b32 v119, s16 :: v_dual_add_nc_u32 v118, -1, v118
	s_add_co_i32 s16, s16, 8
	s_wait_xcnt 0x0
	s_add_co_i32 s13, s13, 8
	ds_load_b64 v[122:123], v119
	v_cmp_eq_u32_e32 vcc_lo, 0, v118
	s_or_b32 s1, vcc_lo, s1
	s_wait_loadcnt_dscnt 0x0
	v_pk_mul_f32 v[124:125], v[122:123], v[120:121] op_sel:[1,1] op_sel_hi:[0,1]
	s_delay_alu instid0(VALU_DEP_1) | instskip(SKIP_1) | instid1(VALU_DEP_2)
	v_pk_fma_f32 v[126:127], v[122:123], v[120:121], v[124:125] op_sel_hi:[1,0,1]
	v_pk_fma_f32 v[120:121], v[122:123], v[120:121], v[124:125] neg_lo:[0,0,1] neg_hi:[0,0,1]
	v_mov_b32_e32 v121, v127
	s_delay_alu instid0(VALU_DEP_1)
	v_pk_add_f32 v[116:117], v[116:117], v[120:121]
	s_and_not1_b32 exec_lo, exec_lo, s1
	s_cbranch_execnz .LBB119_472
; %bb.473:
	s_or_b32 exec_lo, exec_lo, s1
.LBB119_474:
	s_delay_alu instid0(SALU_CYCLE_1) | instskip(SKIP_4) | instid1(VALU_DEP_1)
	s_or_b32 exec_lo, exec_lo, s15
	v_mov_b32_e32 v118, 0
	ds_load_b64 v[118:119], v118 offset:64
	s_wait_dscnt 0x0
	v_pk_mul_f32 v[120:121], v[116:117], v[118:119] op_sel:[1,1] op_sel_hi:[0,1]
	v_pk_fma_f32 v[122:123], v[116:117], v[118:119], v[120:121] op_sel_hi:[1,0,1]
	v_pk_fma_f32 v[116:117], v[116:117], v[118:119], v[120:121] neg_lo:[0,0,1] neg_hi:[0,0,1]
	s_delay_alu instid0(VALU_DEP_2)
	v_mov_b32_e32 v117, v123
	scratch_store_b64 off, v[116:117], off offset:64
.LBB119_475:
	s_wait_xcnt 0x0
	s_or_b32 exec_lo, exec_lo, s14
	scratch_load_b64 v[116:117], off, off offset:56
	v_cmp_lt_u32_e64 s1, 7, v0
	s_wait_loadcnt 0x0
	ds_store_b64 v1, v[116:117]
	s_wait_storecnt_dscnt 0x0
	s_barrier_signal -1
	s_barrier_wait -1
	s_wait_xcnt 0x0
	s_and_saveexec_b32 s13, s1
	s_cbranch_execz .LBB119_485
; %bb.476:
	s_and_not1_b32 vcc_lo, exec_lo, s3
	s_cbranch_vccnz .LBB119_478
; %bb.477:
	scratch_load_b64 v[116:117], v59, off
	ds_load_b64 v[118:119], v1
	s_wait_loadcnt_dscnt 0x0
	v_pk_mul_f32 v[120:121], v[118:119], v[116:117] op_sel:[1,1] op_sel_hi:[0,1]
	s_delay_alu instid0(VALU_DEP_1) | instskip(SKIP_1) | instid1(VALU_DEP_2)
	v_pk_fma_f32 v[122:123], v[118:119], v[116:117], v[120:121] op_sel_hi:[1,0,1]
	v_pk_fma_f32 v[116:117], v[118:119], v[116:117], v[120:121] neg_lo:[0,0,1] neg_hi:[0,0,1]
	v_mov_b32_e32 v117, v123
	s_cbranch_execz .LBB119_479
	s_branch .LBB119_480
.LBB119_478:
                                        ; implicit-def: $vgpr116_vgpr117
.LBB119_479:
	ds_load_b64 v[116:117], v1
.LBB119_480:
	s_and_saveexec_b32 s14, s0
	s_cbranch_execz .LBB119_484
; %bb.481:
	v_add_nc_u32_e32 v118, -8, v0
	s_movk_i32 s15, 0x200
	s_mov_b32 s0, 0
.LBB119_482:                            ; =>This Inner Loop Header: Depth=1
	scratch_load_b64 v[120:121], off, s12
	v_dual_mov_b32 v119, s15 :: v_dual_add_nc_u32 v118, -1, v118
	s_add_co_i32 s15, s15, 8
	s_wait_xcnt 0x0
	s_add_co_i32 s12, s12, 8
	ds_load_b64 v[122:123], v119
	v_cmp_eq_u32_e32 vcc_lo, 0, v118
	s_or_b32 s0, vcc_lo, s0
	s_wait_loadcnt_dscnt 0x0
	v_pk_mul_f32 v[124:125], v[122:123], v[120:121] op_sel:[1,1] op_sel_hi:[0,1]
	s_delay_alu instid0(VALU_DEP_1) | instskip(SKIP_1) | instid1(VALU_DEP_2)
	v_pk_fma_f32 v[126:127], v[122:123], v[120:121], v[124:125] op_sel_hi:[1,0,1]
	v_pk_fma_f32 v[120:121], v[122:123], v[120:121], v[124:125] neg_lo:[0,0,1] neg_hi:[0,0,1]
	v_mov_b32_e32 v121, v127
	s_delay_alu instid0(VALU_DEP_1)
	v_pk_add_f32 v[116:117], v[116:117], v[120:121]
	s_and_not1_b32 exec_lo, exec_lo, s0
	s_cbranch_execnz .LBB119_482
; %bb.483:
	s_or_b32 exec_lo, exec_lo, s0
.LBB119_484:
	s_delay_alu instid0(SALU_CYCLE_1) | instskip(SKIP_4) | instid1(VALU_DEP_1)
	s_or_b32 exec_lo, exec_lo, s14
	v_mov_b32_e32 v118, 0
	ds_load_b64 v[118:119], v118 offset:56
	s_wait_dscnt 0x0
	v_pk_mul_f32 v[120:121], v[116:117], v[118:119] op_sel:[1,1] op_sel_hi:[0,1]
	v_pk_fma_f32 v[122:123], v[116:117], v[118:119], v[120:121] op_sel_hi:[1,0,1]
	v_pk_fma_f32 v[116:117], v[116:117], v[118:119], v[120:121] neg_lo:[0,0,1] neg_hi:[0,0,1]
	s_delay_alu instid0(VALU_DEP_2)
	v_mov_b32_e32 v117, v123
	scratch_store_b64 off, v[116:117], off offset:56
.LBB119_485:
	s_wait_xcnt 0x0
	s_or_b32 exec_lo, exec_lo, s13
	scratch_load_b64 v[116:117], off, off offset:48
	v_cmp_lt_u32_e64 s0, 6, v0
	s_wait_loadcnt 0x0
	ds_store_b64 v1, v[116:117]
	s_wait_storecnt_dscnt 0x0
	s_barrier_signal -1
	s_barrier_wait -1
	s_wait_xcnt 0x0
	s_and_saveexec_b32 s12, s0
	s_cbranch_execz .LBB119_495
; %bb.486:
	s_and_not1_b32 vcc_lo, exec_lo, s3
	s_cbranch_vccnz .LBB119_488
; %bb.487:
	scratch_load_b64 v[116:117], v59, off
	ds_load_b64 v[118:119], v1
	s_wait_loadcnt_dscnt 0x0
	v_pk_mul_f32 v[120:121], v[118:119], v[116:117] op_sel:[1,1] op_sel_hi:[0,1]
	s_delay_alu instid0(VALU_DEP_1) | instskip(SKIP_1) | instid1(VALU_DEP_2)
	v_pk_fma_f32 v[122:123], v[118:119], v[116:117], v[120:121] op_sel_hi:[1,0,1]
	v_pk_fma_f32 v[116:117], v[118:119], v[116:117], v[120:121] neg_lo:[0,0,1] neg_hi:[0,0,1]
	v_mov_b32_e32 v117, v123
	s_cbranch_execz .LBB119_489
	s_branch .LBB119_490
.LBB119_488:
                                        ; implicit-def: $vgpr116_vgpr117
.LBB119_489:
	ds_load_b64 v[116:117], v1
.LBB119_490:
	s_and_saveexec_b32 s13, s1
	s_cbranch_execz .LBB119_494
; %bb.491:
	v_add_nc_u32_e32 v118, -7, v0
	s_movk_i32 s14, 0x1f8
	s_mov_b32 s1, 0
.LBB119_492:                            ; =>This Inner Loop Header: Depth=1
	scratch_load_b64 v[120:121], off, s11
	v_dual_mov_b32 v119, s14 :: v_dual_add_nc_u32 v118, -1, v118
	s_add_co_i32 s14, s14, 8
	s_wait_xcnt 0x0
	s_add_co_i32 s11, s11, 8
	ds_load_b64 v[122:123], v119
	v_cmp_eq_u32_e32 vcc_lo, 0, v118
	s_or_b32 s1, vcc_lo, s1
	s_wait_loadcnt_dscnt 0x0
	v_pk_mul_f32 v[124:125], v[122:123], v[120:121] op_sel:[1,1] op_sel_hi:[0,1]
	s_delay_alu instid0(VALU_DEP_1) | instskip(SKIP_1) | instid1(VALU_DEP_2)
	v_pk_fma_f32 v[126:127], v[122:123], v[120:121], v[124:125] op_sel_hi:[1,0,1]
	v_pk_fma_f32 v[120:121], v[122:123], v[120:121], v[124:125] neg_lo:[0,0,1] neg_hi:[0,0,1]
	v_mov_b32_e32 v121, v127
	s_delay_alu instid0(VALU_DEP_1)
	v_pk_add_f32 v[116:117], v[116:117], v[120:121]
	s_and_not1_b32 exec_lo, exec_lo, s1
	s_cbranch_execnz .LBB119_492
; %bb.493:
	s_or_b32 exec_lo, exec_lo, s1
.LBB119_494:
	s_delay_alu instid0(SALU_CYCLE_1) | instskip(SKIP_4) | instid1(VALU_DEP_1)
	s_or_b32 exec_lo, exec_lo, s13
	v_mov_b32_e32 v118, 0
	ds_load_b64 v[118:119], v118 offset:48
	s_wait_dscnt 0x0
	v_pk_mul_f32 v[120:121], v[116:117], v[118:119] op_sel:[1,1] op_sel_hi:[0,1]
	v_pk_fma_f32 v[122:123], v[116:117], v[118:119], v[120:121] op_sel_hi:[1,0,1]
	v_pk_fma_f32 v[116:117], v[116:117], v[118:119], v[120:121] neg_lo:[0,0,1] neg_hi:[0,0,1]
	s_delay_alu instid0(VALU_DEP_2)
	v_mov_b32_e32 v117, v123
	scratch_store_b64 off, v[116:117], off offset:48
.LBB119_495:
	s_wait_xcnt 0x0
	s_or_b32 exec_lo, exec_lo, s12
	scratch_load_b64 v[116:117], off, off offset:40
	v_cmp_lt_u32_e64 s1, 5, v0
	s_wait_loadcnt 0x0
	ds_store_b64 v1, v[116:117]
	s_wait_storecnt_dscnt 0x0
	s_barrier_signal -1
	s_barrier_wait -1
	s_wait_xcnt 0x0
	s_and_saveexec_b32 s11, s1
	s_cbranch_execz .LBB119_505
; %bb.496:
	s_and_not1_b32 vcc_lo, exec_lo, s3
	s_cbranch_vccnz .LBB119_498
; %bb.497:
	scratch_load_b64 v[116:117], v59, off
	ds_load_b64 v[118:119], v1
	s_wait_loadcnt_dscnt 0x0
	v_pk_mul_f32 v[120:121], v[118:119], v[116:117] op_sel:[1,1] op_sel_hi:[0,1]
	s_delay_alu instid0(VALU_DEP_1) | instskip(SKIP_1) | instid1(VALU_DEP_2)
	v_pk_fma_f32 v[122:123], v[118:119], v[116:117], v[120:121] op_sel_hi:[1,0,1]
	v_pk_fma_f32 v[116:117], v[118:119], v[116:117], v[120:121] neg_lo:[0,0,1] neg_hi:[0,0,1]
	v_mov_b32_e32 v117, v123
	s_cbranch_execz .LBB119_499
	s_branch .LBB119_500
.LBB119_498:
                                        ; implicit-def: $vgpr116_vgpr117
.LBB119_499:
	ds_load_b64 v[116:117], v1
.LBB119_500:
	s_and_saveexec_b32 s12, s0
	s_cbranch_execz .LBB119_504
; %bb.501:
	v_add_nc_u32_e32 v118, -6, v0
	s_movk_i32 s13, 0x1f0
	s_mov_b32 s0, 0
.LBB119_502:                            ; =>This Inner Loop Header: Depth=1
	scratch_load_b64 v[120:121], off, s10
	v_dual_mov_b32 v119, s13 :: v_dual_add_nc_u32 v118, -1, v118
	s_add_co_i32 s13, s13, 8
	s_wait_xcnt 0x0
	s_add_co_i32 s10, s10, 8
	ds_load_b64 v[122:123], v119
	v_cmp_eq_u32_e32 vcc_lo, 0, v118
	s_or_b32 s0, vcc_lo, s0
	s_wait_loadcnt_dscnt 0x0
	v_pk_mul_f32 v[124:125], v[122:123], v[120:121] op_sel:[1,1] op_sel_hi:[0,1]
	s_delay_alu instid0(VALU_DEP_1) | instskip(SKIP_1) | instid1(VALU_DEP_2)
	v_pk_fma_f32 v[126:127], v[122:123], v[120:121], v[124:125] op_sel_hi:[1,0,1]
	v_pk_fma_f32 v[120:121], v[122:123], v[120:121], v[124:125] neg_lo:[0,0,1] neg_hi:[0,0,1]
	v_mov_b32_e32 v121, v127
	s_delay_alu instid0(VALU_DEP_1)
	v_pk_add_f32 v[116:117], v[116:117], v[120:121]
	s_and_not1_b32 exec_lo, exec_lo, s0
	s_cbranch_execnz .LBB119_502
; %bb.503:
	s_or_b32 exec_lo, exec_lo, s0
.LBB119_504:
	s_delay_alu instid0(SALU_CYCLE_1) | instskip(SKIP_4) | instid1(VALU_DEP_1)
	s_or_b32 exec_lo, exec_lo, s12
	v_mov_b32_e32 v118, 0
	ds_load_b64 v[118:119], v118 offset:40
	s_wait_dscnt 0x0
	v_pk_mul_f32 v[120:121], v[116:117], v[118:119] op_sel:[1,1] op_sel_hi:[0,1]
	v_pk_fma_f32 v[122:123], v[116:117], v[118:119], v[120:121] op_sel_hi:[1,0,1]
	v_pk_fma_f32 v[116:117], v[116:117], v[118:119], v[120:121] neg_lo:[0,0,1] neg_hi:[0,0,1]
	s_delay_alu instid0(VALU_DEP_2)
	v_mov_b32_e32 v117, v123
	scratch_store_b64 off, v[116:117], off offset:40
.LBB119_505:
	s_wait_xcnt 0x0
	s_or_b32 exec_lo, exec_lo, s11
	scratch_load_b64 v[116:117], off, off offset:32
	v_cmp_lt_u32_e64 s0, 4, v0
	s_wait_loadcnt 0x0
	ds_store_b64 v1, v[116:117]
	s_wait_storecnt_dscnt 0x0
	s_barrier_signal -1
	s_barrier_wait -1
	s_wait_xcnt 0x0
	s_and_saveexec_b32 s10, s0
	s_cbranch_execz .LBB119_515
; %bb.506:
	s_and_not1_b32 vcc_lo, exec_lo, s3
	s_cbranch_vccnz .LBB119_508
; %bb.507:
	scratch_load_b64 v[116:117], v59, off
	ds_load_b64 v[118:119], v1
	s_wait_loadcnt_dscnt 0x0
	v_pk_mul_f32 v[120:121], v[118:119], v[116:117] op_sel:[1,1] op_sel_hi:[0,1]
	s_delay_alu instid0(VALU_DEP_1) | instskip(SKIP_1) | instid1(VALU_DEP_2)
	v_pk_fma_f32 v[122:123], v[118:119], v[116:117], v[120:121] op_sel_hi:[1,0,1]
	v_pk_fma_f32 v[116:117], v[118:119], v[116:117], v[120:121] neg_lo:[0,0,1] neg_hi:[0,0,1]
	v_mov_b32_e32 v117, v123
	s_cbranch_execz .LBB119_509
	s_branch .LBB119_510
.LBB119_508:
                                        ; implicit-def: $vgpr116_vgpr117
.LBB119_509:
	ds_load_b64 v[116:117], v1
.LBB119_510:
	s_and_saveexec_b32 s11, s1
	s_cbranch_execz .LBB119_514
; %bb.511:
	v_add_nc_u32_e32 v118, -5, v0
	s_movk_i32 s12, 0x1e8
	s_mov_b32 s1, 0
.LBB119_512:                            ; =>This Inner Loop Header: Depth=1
	scratch_load_b64 v[120:121], off, s9
	v_dual_mov_b32 v119, s12 :: v_dual_add_nc_u32 v118, -1, v118
	s_add_co_i32 s12, s12, 8
	s_wait_xcnt 0x0
	s_add_co_i32 s9, s9, 8
	ds_load_b64 v[122:123], v119
	v_cmp_eq_u32_e32 vcc_lo, 0, v118
	s_or_b32 s1, vcc_lo, s1
	s_wait_loadcnt_dscnt 0x0
	v_pk_mul_f32 v[124:125], v[122:123], v[120:121] op_sel:[1,1] op_sel_hi:[0,1]
	s_delay_alu instid0(VALU_DEP_1) | instskip(SKIP_1) | instid1(VALU_DEP_2)
	v_pk_fma_f32 v[126:127], v[122:123], v[120:121], v[124:125] op_sel_hi:[1,0,1]
	v_pk_fma_f32 v[120:121], v[122:123], v[120:121], v[124:125] neg_lo:[0,0,1] neg_hi:[0,0,1]
	v_mov_b32_e32 v121, v127
	s_delay_alu instid0(VALU_DEP_1)
	v_pk_add_f32 v[116:117], v[116:117], v[120:121]
	s_and_not1_b32 exec_lo, exec_lo, s1
	s_cbranch_execnz .LBB119_512
; %bb.513:
	s_or_b32 exec_lo, exec_lo, s1
.LBB119_514:
	s_delay_alu instid0(SALU_CYCLE_1) | instskip(SKIP_4) | instid1(VALU_DEP_1)
	s_or_b32 exec_lo, exec_lo, s11
	v_mov_b32_e32 v118, 0
	ds_load_b64 v[118:119], v118 offset:32
	s_wait_dscnt 0x0
	v_pk_mul_f32 v[120:121], v[116:117], v[118:119] op_sel:[1,1] op_sel_hi:[0,1]
	v_pk_fma_f32 v[122:123], v[116:117], v[118:119], v[120:121] op_sel_hi:[1,0,1]
	v_pk_fma_f32 v[116:117], v[116:117], v[118:119], v[120:121] neg_lo:[0,0,1] neg_hi:[0,0,1]
	s_delay_alu instid0(VALU_DEP_2)
	v_mov_b32_e32 v117, v123
	scratch_store_b64 off, v[116:117], off offset:32
.LBB119_515:
	s_wait_xcnt 0x0
	s_or_b32 exec_lo, exec_lo, s10
	scratch_load_b64 v[116:117], off, off offset:24
	v_cmp_lt_u32_e64 s1, 3, v0
	s_wait_loadcnt 0x0
	ds_store_b64 v1, v[116:117]
	s_wait_storecnt_dscnt 0x0
	s_barrier_signal -1
	s_barrier_wait -1
	s_wait_xcnt 0x0
	s_and_saveexec_b32 s9, s1
	s_cbranch_execz .LBB119_525
; %bb.516:
	s_and_not1_b32 vcc_lo, exec_lo, s3
	s_cbranch_vccnz .LBB119_518
; %bb.517:
	scratch_load_b64 v[116:117], v59, off
	ds_load_b64 v[118:119], v1
	s_wait_loadcnt_dscnt 0x0
	v_pk_mul_f32 v[120:121], v[118:119], v[116:117] op_sel:[1,1] op_sel_hi:[0,1]
	s_delay_alu instid0(VALU_DEP_1) | instskip(SKIP_1) | instid1(VALU_DEP_2)
	v_pk_fma_f32 v[122:123], v[118:119], v[116:117], v[120:121] op_sel_hi:[1,0,1]
	v_pk_fma_f32 v[116:117], v[118:119], v[116:117], v[120:121] neg_lo:[0,0,1] neg_hi:[0,0,1]
	v_mov_b32_e32 v117, v123
	s_cbranch_execz .LBB119_519
	s_branch .LBB119_520
.LBB119_518:
                                        ; implicit-def: $vgpr116_vgpr117
.LBB119_519:
	ds_load_b64 v[116:117], v1
.LBB119_520:
	s_and_saveexec_b32 s10, s0
	s_cbranch_execz .LBB119_524
; %bb.521:
	v_add_nc_u32_e32 v118, -4, v0
	s_movk_i32 s11, 0x1e0
	s_mov_b32 s0, 0
.LBB119_522:                            ; =>This Inner Loop Header: Depth=1
	scratch_load_b64 v[120:121], off, s2
	v_dual_mov_b32 v119, s11 :: v_dual_add_nc_u32 v118, -1, v118
	s_add_co_i32 s11, s11, 8
	s_wait_xcnt 0x0
	s_add_co_i32 s2, s2, 8
	ds_load_b64 v[122:123], v119
	v_cmp_eq_u32_e32 vcc_lo, 0, v118
	s_or_b32 s0, vcc_lo, s0
	s_wait_loadcnt_dscnt 0x0
	v_pk_mul_f32 v[124:125], v[122:123], v[120:121] op_sel:[1,1] op_sel_hi:[0,1]
	s_delay_alu instid0(VALU_DEP_1) | instskip(SKIP_1) | instid1(VALU_DEP_2)
	v_pk_fma_f32 v[126:127], v[122:123], v[120:121], v[124:125] op_sel_hi:[1,0,1]
	v_pk_fma_f32 v[120:121], v[122:123], v[120:121], v[124:125] neg_lo:[0,0,1] neg_hi:[0,0,1]
	v_mov_b32_e32 v121, v127
	s_delay_alu instid0(VALU_DEP_1)
	v_pk_add_f32 v[116:117], v[116:117], v[120:121]
	s_and_not1_b32 exec_lo, exec_lo, s0
	s_cbranch_execnz .LBB119_522
; %bb.523:
	s_or_b32 exec_lo, exec_lo, s0
.LBB119_524:
	s_delay_alu instid0(SALU_CYCLE_1) | instskip(SKIP_4) | instid1(VALU_DEP_1)
	s_or_b32 exec_lo, exec_lo, s10
	v_mov_b32_e32 v118, 0
	ds_load_b64 v[118:119], v118 offset:24
	s_wait_dscnt 0x0
	v_pk_mul_f32 v[120:121], v[116:117], v[118:119] op_sel:[1,1] op_sel_hi:[0,1]
	v_pk_fma_f32 v[122:123], v[116:117], v[118:119], v[120:121] op_sel_hi:[1,0,1]
	v_pk_fma_f32 v[116:117], v[116:117], v[118:119], v[120:121] neg_lo:[0,0,1] neg_hi:[0,0,1]
	s_delay_alu instid0(VALU_DEP_2)
	v_mov_b32_e32 v117, v123
	scratch_store_b64 off, v[116:117], off offset:24
.LBB119_525:
	s_wait_xcnt 0x0
	s_or_b32 exec_lo, exec_lo, s9
	scratch_load_b64 v[116:117], off, off offset:16
	v_cmp_lt_u32_e64 s2, 2, v0
	s_wait_loadcnt 0x0
	ds_store_b64 v1, v[116:117]
	s_wait_storecnt_dscnt 0x0
	s_barrier_signal -1
	s_barrier_wait -1
	s_wait_xcnt 0x0
	s_and_saveexec_b32 s0, s2
	s_cbranch_execz .LBB119_535
; %bb.526:
	s_and_not1_b32 vcc_lo, exec_lo, s3
	s_cbranch_vccnz .LBB119_528
; %bb.527:
	scratch_load_b64 v[116:117], v59, off
	ds_load_b64 v[118:119], v1
	s_wait_loadcnt_dscnt 0x0
	v_pk_mul_f32 v[120:121], v[118:119], v[116:117] op_sel:[1,1] op_sel_hi:[0,1]
	s_delay_alu instid0(VALU_DEP_1) | instskip(SKIP_1) | instid1(VALU_DEP_2)
	v_pk_fma_f32 v[122:123], v[118:119], v[116:117], v[120:121] op_sel_hi:[1,0,1]
	v_pk_fma_f32 v[116:117], v[118:119], v[116:117], v[120:121] neg_lo:[0,0,1] neg_hi:[0,0,1]
	v_mov_b32_e32 v117, v123
	s_cbranch_execz .LBB119_529
	s_branch .LBB119_530
.LBB119_528:
                                        ; implicit-def: $vgpr116_vgpr117
.LBB119_529:
	ds_load_b64 v[116:117], v1
.LBB119_530:
	s_and_saveexec_b32 s9, s1
	s_cbranch_execz .LBB119_534
; %bb.531:
	v_add_nc_u32_e32 v118, -3, v0
	s_movk_i32 s10, 0x1d8
	s_mov_b32 s1, 0
.LBB119_532:                            ; =>This Inner Loop Header: Depth=1
	scratch_load_b64 v[120:121], off, s8
	v_dual_mov_b32 v119, s10 :: v_dual_add_nc_u32 v118, -1, v118
	s_add_co_i32 s10, s10, 8
	s_wait_xcnt 0x0
	s_add_co_i32 s8, s8, 8
	ds_load_b64 v[122:123], v119
	v_cmp_eq_u32_e32 vcc_lo, 0, v118
	s_or_b32 s1, vcc_lo, s1
	s_wait_loadcnt_dscnt 0x0
	v_pk_mul_f32 v[124:125], v[122:123], v[120:121] op_sel:[1,1] op_sel_hi:[0,1]
	s_delay_alu instid0(VALU_DEP_1) | instskip(SKIP_1) | instid1(VALU_DEP_2)
	v_pk_fma_f32 v[126:127], v[122:123], v[120:121], v[124:125] op_sel_hi:[1,0,1]
	v_pk_fma_f32 v[120:121], v[122:123], v[120:121], v[124:125] neg_lo:[0,0,1] neg_hi:[0,0,1]
	v_mov_b32_e32 v121, v127
	s_delay_alu instid0(VALU_DEP_1)
	v_pk_add_f32 v[116:117], v[116:117], v[120:121]
	s_and_not1_b32 exec_lo, exec_lo, s1
	s_cbranch_execnz .LBB119_532
; %bb.533:
	s_or_b32 exec_lo, exec_lo, s1
.LBB119_534:
	s_delay_alu instid0(SALU_CYCLE_1) | instskip(SKIP_4) | instid1(VALU_DEP_1)
	s_or_b32 exec_lo, exec_lo, s9
	v_mov_b32_e32 v118, 0
	ds_load_b64 v[118:119], v118 offset:16
	s_wait_dscnt 0x0
	v_pk_mul_f32 v[120:121], v[116:117], v[118:119] op_sel:[1,1] op_sel_hi:[0,1]
	v_pk_fma_f32 v[122:123], v[116:117], v[118:119], v[120:121] op_sel_hi:[1,0,1]
	v_pk_fma_f32 v[116:117], v[116:117], v[118:119], v[120:121] neg_lo:[0,0,1] neg_hi:[0,0,1]
	s_delay_alu instid0(VALU_DEP_2)
	v_mov_b32_e32 v117, v123
	scratch_store_b64 off, v[116:117], off offset:16
.LBB119_535:
	s_wait_xcnt 0x0
	s_or_b32 exec_lo, exec_lo, s0
	scratch_load_b64 v[116:117], off, off offset:8
	v_cmp_lt_u32_e64 s0, 1, v0
	s_wait_loadcnt 0x0
	ds_store_b64 v1, v[116:117]
	s_wait_storecnt_dscnt 0x0
	s_barrier_signal -1
	s_barrier_wait -1
	s_wait_xcnt 0x0
	s_and_saveexec_b32 s1, s0
	s_cbranch_execz .LBB119_545
; %bb.536:
	s_and_not1_b32 vcc_lo, exec_lo, s3
	s_cbranch_vccnz .LBB119_538
; %bb.537:
	scratch_load_b64 v[116:117], v59, off
	ds_load_b64 v[118:119], v1
	s_wait_loadcnt_dscnt 0x0
	v_pk_mul_f32 v[120:121], v[118:119], v[116:117] op_sel:[1,1] op_sel_hi:[0,1]
	s_delay_alu instid0(VALU_DEP_1) | instskip(SKIP_1) | instid1(VALU_DEP_2)
	v_pk_fma_f32 v[122:123], v[118:119], v[116:117], v[120:121] op_sel_hi:[1,0,1]
	v_pk_fma_f32 v[116:117], v[118:119], v[116:117], v[120:121] neg_lo:[0,0,1] neg_hi:[0,0,1]
	v_mov_b32_e32 v117, v123
	s_cbranch_execz .LBB119_539
	s_branch .LBB119_540
.LBB119_538:
                                        ; implicit-def: $vgpr116_vgpr117
.LBB119_539:
	ds_load_b64 v[116:117], v1
.LBB119_540:
	s_and_saveexec_b32 s8, s2
	s_cbranch_execz .LBB119_544
; %bb.541:
	v_add_nc_u32_e32 v118, -2, v0
	s_movk_i32 s9, 0x1d0
	s_mov_b32 s2, 0
.LBB119_542:                            ; =>This Inner Loop Header: Depth=1
	scratch_load_b64 v[120:121], off, s5
	v_dual_mov_b32 v119, s9 :: v_dual_add_nc_u32 v118, -1, v118
	s_add_co_i32 s9, s9, 8
	s_wait_xcnt 0x0
	s_add_co_i32 s5, s5, 8
	ds_load_b64 v[122:123], v119
	v_cmp_eq_u32_e32 vcc_lo, 0, v118
	s_or_b32 s2, vcc_lo, s2
	s_wait_loadcnt_dscnt 0x0
	v_pk_mul_f32 v[124:125], v[122:123], v[120:121] op_sel:[1,1] op_sel_hi:[0,1]
	s_delay_alu instid0(VALU_DEP_1) | instskip(SKIP_1) | instid1(VALU_DEP_2)
	v_pk_fma_f32 v[126:127], v[122:123], v[120:121], v[124:125] op_sel_hi:[1,0,1]
	v_pk_fma_f32 v[120:121], v[122:123], v[120:121], v[124:125] neg_lo:[0,0,1] neg_hi:[0,0,1]
	v_mov_b32_e32 v121, v127
	s_delay_alu instid0(VALU_DEP_1)
	v_pk_add_f32 v[116:117], v[116:117], v[120:121]
	s_and_not1_b32 exec_lo, exec_lo, s2
	s_cbranch_execnz .LBB119_542
; %bb.543:
	s_or_b32 exec_lo, exec_lo, s2
.LBB119_544:
	s_delay_alu instid0(SALU_CYCLE_1) | instskip(SKIP_4) | instid1(VALU_DEP_1)
	s_or_b32 exec_lo, exec_lo, s8
	v_mov_b32_e32 v118, 0
	ds_load_b64 v[118:119], v118 offset:8
	s_wait_dscnt 0x0
	v_pk_mul_f32 v[120:121], v[116:117], v[118:119] op_sel:[1,1] op_sel_hi:[0,1]
	v_pk_fma_f32 v[122:123], v[116:117], v[118:119], v[120:121] op_sel_hi:[1,0,1]
	v_pk_fma_f32 v[116:117], v[116:117], v[118:119], v[120:121] neg_lo:[0,0,1] neg_hi:[0,0,1]
	s_delay_alu instid0(VALU_DEP_2)
	v_mov_b32_e32 v117, v123
	scratch_store_b64 off, v[116:117], off offset:8
.LBB119_545:
	s_wait_xcnt 0x0
	s_or_b32 exec_lo, exec_lo, s1
	scratch_load_b64 v[116:117], off, off
	s_mov_b32 s2, 0
	s_mov_b32 s1, 0
	s_mov_b32 s8, exec_lo
                                        ; implicit-def: $vgpr168
                                        ; implicit-def: $sgpr5
	s_wait_loadcnt 0x0
	ds_store_b64 v1, v[116:117]
	s_wait_storecnt_dscnt 0x0
	s_barrier_signal -1
	s_barrier_wait -1
	s_wait_xcnt 0x0
	v_cmpx_ne_u32_e32 0, v0
	s_cbranch_execz .LBB119_555
; %bb.546:
	s_and_not1_b32 vcc_lo, exec_lo, s3
	s_cbranch_vccnz .LBB119_548
; %bb.547:
	scratch_load_b64 v[118:119], v59, off
	ds_load_b64 v[120:121], v1
	s_wait_loadcnt_dscnt 0x0
	v_dual_mul_f32 v116, v121, v119 :: v_dual_mul_f32 v117, v120, v119
	s_delay_alu instid0(VALU_DEP_1)
	v_dual_fma_f32 v116, v120, v118, -v116 :: v_dual_fmac_f32 v117, v121, v118
	s_and_not1_b32 vcc_lo, exec_lo, s1
	s_cbranch_vccz .LBB119_549
	s_branch .LBB119_550
.LBB119_548:
                                        ; implicit-def: $vgpr116
.LBB119_549:
	ds_load_b64 v[116:117], v1
.LBB119_550:
	s_and_saveexec_b32 s1, s0
	s_cbranch_execz .LBB119_554
; %bb.551:
	v_add_nc_u32_e32 v118, -1, v0
	s_movk_i32 s5, 0x1c8
	s_mov_b32 s0, 0
.LBB119_552:                            ; =>This Inner Loop Header: Depth=1
	scratch_load_b64 v[120:121], off, s4
	v_mov_b32_e32 v119, s5
	s_add_co_i32 s5, s5, 8
	s_wait_xcnt 0x0
	s_add_co_i32 s4, s4, 8
	v_add_nc_u32_e32 v118, -1, v118
	ds_load_b64 v[122:123], v119
	v_cmp_eq_u32_e32 vcc_lo, 0, v118
	s_or_b32 s0, vcc_lo, s0
	s_wait_loadcnt_dscnt 0x0
	v_dual_mul_f32 v119, v123, v121 :: v_dual_mul_f32 v121, v122, v121
	s_delay_alu instid0(VALU_DEP_1) | instskip(NEXT) | instid1(VALU_DEP_1)
	v_dual_fma_f32 v119, v122, v120, -v119 :: v_dual_fmac_f32 v121, v123, v120
	v_dual_add_f32 v116, v116, v119 :: v_dual_add_f32 v117, v117, v121
	s_and_not1_b32 exec_lo, exec_lo, s0
	s_cbranch_execnz .LBB119_552
; %bb.553:
	s_or_b32 exec_lo, exec_lo, s0
.LBB119_554:
	s_delay_alu instid0(SALU_CYCLE_1)
	s_or_b32 exec_lo, exec_lo, s1
	v_mov_b32_e32 v118, 0
	s_mov_b32 s1, exec_lo
	s_or_b32 s5, 0, 4
	ds_load_b64 v[118:119], v118
	s_wait_dscnt 0x0
	v_dual_mul_f32 v120, v117, v119 :: v_dual_mul_f32 v168, v116, v119
	s_delay_alu instid0(VALU_DEP_1) | instskip(NEXT) | instid1(VALU_DEP_2)
	v_fma_f32 v116, v116, v118, -v120
	v_fmac_f32_e32 v168, v117, v118
	scratch_store_b32 off, v116, off
.LBB119_555:
	s_wait_xcnt 0x0
	s_or_b32 exec_lo, exec_lo, s8
	s_delay_alu instid0(SALU_CYCLE_1)
	s_and_b32 vcc_lo, exec_lo, s2
	s_cbranch_vccz .LBB119_1101
.LBB119_556:
	scratch_load_b64 v[116:117], off, off offset:8
	v_cmp_eq_u32_e64 s0, 0, v0
	s_wait_loadcnt 0x0
	ds_store_b64 v1, v[116:117]
	s_wait_storecnt_dscnt 0x0
	s_barrier_signal -1
	s_barrier_wait -1
	s_wait_xcnt 0x0
	s_and_saveexec_b32 s2, s0
	s_cbranch_execz .LBB119_562
; %bb.557:
	s_and_b32 vcc_lo, exec_lo, s3
	s_cbranch_vccz .LBB119_559
; %bb.558:
	scratch_load_b64 v[116:117], v59, off
	ds_load_b64 v[118:119], v1
	s_wait_loadcnt_dscnt 0x0
	v_pk_mul_f32 v[120:121], v[118:119], v[116:117] op_sel:[1,1] op_sel_hi:[0,1]
	v_pk_mul_f32 v[122:123], v[118:119], v[116:117] op_sel_hi:[1,0]
	s_delay_alu instid0(VALU_DEP_2) | instskip(NEXT) | instid1(VALU_DEP_2)
	v_pk_fma_f32 v[116:117], v[118:119], v[116:117], v[120:121] op_sel_hi:[1,0,1]
	v_sub_f32_e32 v116, v122, v120
	s_cbranch_execz .LBB119_560
	s_branch .LBB119_561
.LBB119_559:
                                        ; implicit-def: $vgpr117
.LBB119_560:
	ds_load_b64 v[116:117], v1
.LBB119_561:
	s_wait_dscnt 0x0
	v_dual_mov_b32 v118, 0 :: v_dual_mov_b32 v120, v117
	v_mov_b32_e32 v121, v116
	ds_load_b64 v[118:119], v118 offset:8
	s_wait_dscnt 0x0
	v_pk_mul_f32 v[120:121], v[120:121], v[118:119] op_sel:[0,1]
	s_delay_alu instid0(VALU_DEP_1) | instskip(SKIP_1) | instid1(VALU_DEP_2)
	v_pk_fma_f32 v[122:123], v[116:117], v[118:119], v[120:121] op_sel_hi:[1,0,1]
	v_pk_fma_f32 v[116:117], v[116:117], v[118:119], v[120:121] neg_lo:[0,0,1] neg_hi:[0,0,1]
	v_mov_b32_e32 v117, v123
	scratch_store_b64 off, v[116:117], off offset:8
.LBB119_562:
	s_wait_xcnt 0x0
	s_or_b32 exec_lo, exec_lo, s2
	scratch_load_b64 v[116:117], off, off offset:16
	v_cndmask_b32_e64 v118, 0, 1, s3
	s_mov_b32 s2, exec_lo
	s_wait_loadcnt 0x0
	ds_store_b64 v1, v[116:117]
	s_wait_storecnt_dscnt 0x0
	s_barrier_signal -1
	s_barrier_wait -1
	s_wait_xcnt 0x0
	v_cmpx_gt_u32_e32 2, v0
	s_cbranch_execz .LBB119_570
; %bb.563:
	s_and_not1_b32 vcc_lo, exec_lo, s3
	s_cbranch_vccnz .LBB119_565
; %bb.564:
	scratch_load_b64 v[116:117], v59, off
	ds_load_b64 v[120:121], v1
	s_wait_loadcnt_dscnt 0x0
	v_pk_mul_f32 v[122:123], v[120:121], v[116:117] op_sel:[1,1] op_sel_hi:[0,1]
	s_delay_alu instid0(VALU_DEP_1) | instskip(SKIP_1) | instid1(VALU_DEP_2)
	v_pk_fma_f32 v[124:125], v[120:121], v[116:117], v[122:123] op_sel_hi:[1,0,1]
	v_pk_fma_f32 v[116:117], v[120:121], v[116:117], v[122:123] neg_lo:[0,0,1] neg_hi:[0,0,1]
	v_mov_b32_e32 v117, v125
	s_cbranch_execz .LBB119_566
	s_branch .LBB119_567
.LBB119_565:
                                        ; implicit-def: $vgpr116_vgpr117
.LBB119_566:
	ds_load_b64 v[116:117], v1
.LBB119_567:
	s_and_saveexec_b32 s3, s0
	s_cbranch_execz .LBB119_569
; %bb.568:
	scratch_load_b64 v[120:121], off, off offset:8
	v_mov_b32_e32 v119, 0
	ds_load_b64 v[122:123], v119 offset:456
	s_wait_loadcnt_dscnt 0x0
	v_pk_mul_f32 v[124:125], v[122:123], v[120:121] op_sel:[1,1] op_sel_hi:[0,1]
	s_delay_alu instid0(VALU_DEP_1) | instskip(SKIP_1) | instid1(VALU_DEP_2)
	v_pk_fma_f32 v[126:127], v[122:123], v[120:121], v[124:125] op_sel_hi:[1,0,1]
	v_pk_fma_f32 v[120:121], v[122:123], v[120:121], v[124:125] neg_lo:[0,0,1] neg_hi:[0,0,1]
	v_mov_b32_e32 v121, v127
	s_delay_alu instid0(VALU_DEP_1)
	v_pk_add_f32 v[116:117], v[116:117], v[120:121]
.LBB119_569:
	s_or_b32 exec_lo, exec_lo, s3
	v_mov_b32_e32 v119, 0
	ds_load_b64 v[120:121], v119 offset:16
	s_wait_dscnt 0x0
	v_pk_mul_f32 v[122:123], v[116:117], v[120:121] op_sel:[1,1] op_sel_hi:[0,1]
	s_delay_alu instid0(VALU_DEP_1) | instskip(SKIP_1) | instid1(VALU_DEP_2)
	v_pk_fma_f32 v[124:125], v[116:117], v[120:121], v[122:123] op_sel_hi:[1,0,1]
	v_pk_fma_f32 v[116:117], v[116:117], v[120:121], v[122:123] neg_lo:[0,0,1] neg_hi:[0,0,1]
	v_mov_b32_e32 v117, v125
	scratch_store_b64 off, v[116:117], off offset:16
.LBB119_570:
	s_wait_xcnt 0x0
	s_or_b32 exec_lo, exec_lo, s2
	scratch_load_b64 v[116:117], off, off offset:24
	s_mov_b32 s2, exec_lo
	s_wait_loadcnt 0x0
	ds_store_b64 v1, v[116:117]
	s_wait_storecnt_dscnt 0x0
	s_barrier_signal -1
	s_barrier_wait -1
	s_wait_xcnt 0x0
	v_cmpx_gt_u32_e32 3, v0
	s_cbranch_execz .LBB119_580
; %bb.571:
	v_cmp_ne_u32_e32 vcc_lo, 1, v118
	s_cbranch_vccnz .LBB119_573
; %bb.572:
	scratch_load_b64 v[116:117], v59, off
	ds_load_b64 v[120:121], v1
	s_wait_loadcnt_dscnt 0x0
	v_pk_mul_f32 v[122:123], v[120:121], v[116:117] op_sel:[1,1] op_sel_hi:[0,1]
	s_delay_alu instid0(VALU_DEP_1) | instskip(SKIP_1) | instid1(VALU_DEP_2)
	v_pk_fma_f32 v[124:125], v[120:121], v[116:117], v[122:123] op_sel_hi:[1,0,1]
	v_pk_fma_f32 v[116:117], v[120:121], v[116:117], v[122:123] neg_lo:[0,0,1] neg_hi:[0,0,1]
	v_mov_b32_e32 v117, v125
	s_cbranch_execz .LBB119_574
	s_branch .LBB119_575
.LBB119_573:
                                        ; implicit-def: $vgpr116_vgpr117
.LBB119_574:
	ds_load_b64 v[116:117], v1
.LBB119_575:
	s_mov_b32 s3, exec_lo
	v_cmpx_ne_u32_e32 2, v0
	s_cbranch_execz .LBB119_579
; %bb.576:
	scratch_load_b64 v[120:121], v59, off offset:8
	ds_load_b64 v[122:123], v1 offset:8
	s_wait_loadcnt_dscnt 0x0
	v_pk_mul_f32 v[124:125], v[122:123], v[120:121] op_sel:[1,1] op_sel_hi:[0,1]
	s_delay_alu instid0(VALU_DEP_1) | instskip(SKIP_1) | instid1(VALU_DEP_2)
	v_pk_fma_f32 v[126:127], v[122:123], v[120:121], v[124:125] op_sel_hi:[1,0,1]
	v_pk_fma_f32 v[120:121], v[122:123], v[120:121], v[124:125] neg_lo:[0,0,1] neg_hi:[0,0,1]
	v_mov_b32_e32 v121, v127
	s_delay_alu instid0(VALU_DEP_1)
	v_pk_add_f32 v[116:117], v[116:117], v[120:121]
	s_and_saveexec_b32 s4, s0
	s_cbranch_execz .LBB119_578
; %bb.577:
	scratch_load_b64 v[120:121], off, off offset:16
	v_mov_b32_e32 v119, 0
	ds_load_b64 v[122:123], v119 offset:464
	s_wait_loadcnt_dscnt 0x0
	v_pk_mul_f32 v[124:125], v[122:123], v[120:121] op_sel:[1,1] op_sel_hi:[0,1]
	s_delay_alu instid0(VALU_DEP_1) | instskip(SKIP_1) | instid1(VALU_DEP_2)
	v_pk_fma_f32 v[126:127], v[122:123], v[120:121], v[124:125] op_sel_hi:[1,0,1]
	v_pk_fma_f32 v[120:121], v[122:123], v[120:121], v[124:125] neg_lo:[0,0,1] neg_hi:[0,0,1]
	v_mov_b32_e32 v121, v127
	s_delay_alu instid0(VALU_DEP_1)
	v_pk_add_f32 v[116:117], v[116:117], v[120:121]
.LBB119_578:
	s_or_b32 exec_lo, exec_lo, s4
.LBB119_579:
	s_delay_alu instid0(SALU_CYCLE_1) | instskip(SKIP_4) | instid1(VALU_DEP_1)
	s_or_b32 exec_lo, exec_lo, s3
	v_mov_b32_e32 v119, 0
	ds_load_b64 v[120:121], v119 offset:24
	s_wait_dscnt 0x0
	v_pk_mul_f32 v[122:123], v[116:117], v[120:121] op_sel:[1,1] op_sel_hi:[0,1]
	v_pk_fma_f32 v[124:125], v[116:117], v[120:121], v[122:123] op_sel_hi:[1,0,1]
	v_pk_fma_f32 v[116:117], v[116:117], v[120:121], v[122:123] neg_lo:[0,0,1] neg_hi:[0,0,1]
	s_delay_alu instid0(VALU_DEP_2)
	v_mov_b32_e32 v117, v125
	scratch_store_b64 off, v[116:117], off offset:24
.LBB119_580:
	s_wait_xcnt 0x0
	s_or_b32 exec_lo, exec_lo, s2
	scratch_load_b64 v[116:117], off, off offset:32
	s_mov_b32 s0, exec_lo
	s_wait_loadcnt 0x0
	ds_store_b64 v1, v[116:117]
	s_wait_storecnt_dscnt 0x0
	s_barrier_signal -1
	s_barrier_wait -1
	s_wait_xcnt 0x0
	v_cmpx_gt_u32_e32 4, v0
	s_cbranch_execz .LBB119_590
; %bb.581:
	v_cmp_ne_u32_e32 vcc_lo, 1, v118
	s_cbranch_vccnz .LBB119_583
; %bb.582:
	scratch_load_b64 v[116:117], v59, off
	ds_load_b64 v[120:121], v1
	s_wait_loadcnt_dscnt 0x0
	v_pk_mul_f32 v[122:123], v[120:121], v[116:117] op_sel:[1,1] op_sel_hi:[0,1]
	s_delay_alu instid0(VALU_DEP_1) | instskip(SKIP_1) | instid1(VALU_DEP_2)
	v_pk_fma_f32 v[124:125], v[120:121], v[116:117], v[122:123] op_sel_hi:[1,0,1]
	v_pk_fma_f32 v[116:117], v[120:121], v[116:117], v[122:123] neg_lo:[0,0,1] neg_hi:[0,0,1]
	v_mov_b32_e32 v117, v125
	s_cbranch_execz .LBB119_584
	s_branch .LBB119_585
.LBB119_583:
                                        ; implicit-def: $vgpr116_vgpr117
.LBB119_584:
	ds_load_b64 v[116:117], v1
.LBB119_585:
	s_mov_b32 s2, exec_lo
	v_cmpx_ne_u32_e32 3, v0
	s_cbranch_execz .LBB119_589
; %bb.586:
	v_add_nc_u32_e32 v119, 0x1c8, v58
	v_add3_u32 v120, 0, v58, 8
	v_mov_b32_e32 v121, v0
	s_mov_b32 s3, 0
.LBB119_587:                            ; =>This Inner Loop Header: Depth=1
	scratch_load_b64 v[122:123], v120, off
	ds_load_b64 v[124:125], v119
	s_wait_xcnt 0x0
	v_dual_add_nc_u32 v119, 8, v119 :: v_dual_add_nc_u32 v120, 8, v120
	s_wait_loadcnt_dscnt 0x0
	v_pk_mul_f32 v[126:127], v[124:125], v[122:123] op_sel:[1,1] op_sel_hi:[0,1]
	s_delay_alu instid0(VALU_DEP_1) | instskip(SKIP_2) | instid1(VALU_DEP_3)
	v_pk_fma_f32 v[128:129], v[124:125], v[122:123], v[126:127] op_sel_hi:[1,0,1]
	v_add_nc_u32_e32 v121, 1, v121
	v_pk_fma_f32 v[122:123], v[124:125], v[122:123], v[126:127] neg_lo:[0,0,1] neg_hi:[0,0,1]
	v_mov_b32_e32 v123, v129
	s_delay_alu instid0(VALU_DEP_3) | instskip(NEXT) | instid1(VALU_DEP_2)
	v_cmp_lt_u32_e32 vcc_lo, 2, v121
	v_pk_add_f32 v[116:117], v[116:117], v[122:123]
	s_or_b32 s3, vcc_lo, s3
	s_delay_alu instid0(SALU_CYCLE_1)
	s_and_not1_b32 exec_lo, exec_lo, s3
	s_cbranch_execnz .LBB119_587
; %bb.588:
	s_or_b32 exec_lo, exec_lo, s3
.LBB119_589:
	s_delay_alu instid0(SALU_CYCLE_1) | instskip(SKIP_4) | instid1(VALU_DEP_1)
	s_or_b32 exec_lo, exec_lo, s2
	v_mov_b32_e32 v119, 0
	ds_load_b64 v[120:121], v119 offset:32
	s_wait_dscnt 0x0
	v_pk_mul_f32 v[122:123], v[116:117], v[120:121] op_sel:[1,1] op_sel_hi:[0,1]
	v_pk_fma_f32 v[124:125], v[116:117], v[120:121], v[122:123] op_sel_hi:[1,0,1]
	v_pk_fma_f32 v[116:117], v[116:117], v[120:121], v[122:123] neg_lo:[0,0,1] neg_hi:[0,0,1]
	s_delay_alu instid0(VALU_DEP_2)
	v_mov_b32_e32 v117, v125
	scratch_store_b64 off, v[116:117], off offset:32
.LBB119_590:
	s_wait_xcnt 0x0
	s_or_b32 exec_lo, exec_lo, s0
	scratch_load_b64 v[116:117], off, off offset:40
	s_mov_b32 s0, exec_lo
	s_wait_loadcnt 0x0
	ds_store_b64 v1, v[116:117]
	s_wait_storecnt_dscnt 0x0
	s_barrier_signal -1
	s_barrier_wait -1
	s_wait_xcnt 0x0
	v_cmpx_gt_u32_e32 5, v0
	s_cbranch_execz .LBB119_600
; %bb.591:
	v_cmp_ne_u32_e32 vcc_lo, 1, v118
	s_cbranch_vccnz .LBB119_593
; %bb.592:
	scratch_load_b64 v[116:117], v59, off
	ds_load_b64 v[120:121], v1
	s_wait_loadcnt_dscnt 0x0
	v_pk_mul_f32 v[122:123], v[120:121], v[116:117] op_sel:[1,1] op_sel_hi:[0,1]
	s_delay_alu instid0(VALU_DEP_1) | instskip(SKIP_1) | instid1(VALU_DEP_2)
	v_pk_fma_f32 v[124:125], v[120:121], v[116:117], v[122:123] op_sel_hi:[1,0,1]
	v_pk_fma_f32 v[116:117], v[120:121], v[116:117], v[122:123] neg_lo:[0,0,1] neg_hi:[0,0,1]
	v_mov_b32_e32 v117, v125
	s_cbranch_execz .LBB119_594
	s_branch .LBB119_595
.LBB119_593:
                                        ; implicit-def: $vgpr116_vgpr117
.LBB119_594:
	ds_load_b64 v[116:117], v1
.LBB119_595:
	s_mov_b32 s2, exec_lo
	v_cmpx_ne_u32_e32 4, v0
	s_cbranch_execz .LBB119_599
; %bb.596:
	v_add_nc_u32_e32 v119, 0x1c8, v58
	v_add3_u32 v120, 0, v58, 8
	v_mov_b32_e32 v121, v0
	s_mov_b32 s3, 0
.LBB119_597:                            ; =>This Inner Loop Header: Depth=1
	scratch_load_b64 v[122:123], v120, off
	ds_load_b64 v[124:125], v119
	s_wait_xcnt 0x0
	v_dual_add_nc_u32 v119, 8, v119 :: v_dual_add_nc_u32 v120, 8, v120
	s_wait_loadcnt_dscnt 0x0
	v_pk_mul_f32 v[126:127], v[124:125], v[122:123] op_sel:[1,1] op_sel_hi:[0,1]
	s_delay_alu instid0(VALU_DEP_1) | instskip(SKIP_2) | instid1(VALU_DEP_3)
	v_pk_fma_f32 v[128:129], v[124:125], v[122:123], v[126:127] op_sel_hi:[1,0,1]
	v_add_nc_u32_e32 v121, 1, v121
	v_pk_fma_f32 v[122:123], v[124:125], v[122:123], v[126:127] neg_lo:[0,0,1] neg_hi:[0,0,1]
	v_mov_b32_e32 v123, v129
	s_delay_alu instid0(VALU_DEP_3) | instskip(NEXT) | instid1(VALU_DEP_2)
	v_cmp_lt_u32_e32 vcc_lo, 3, v121
	v_pk_add_f32 v[116:117], v[116:117], v[122:123]
	s_or_b32 s3, vcc_lo, s3
	s_delay_alu instid0(SALU_CYCLE_1)
	s_and_not1_b32 exec_lo, exec_lo, s3
	s_cbranch_execnz .LBB119_597
; %bb.598:
	s_or_b32 exec_lo, exec_lo, s3
.LBB119_599:
	s_delay_alu instid0(SALU_CYCLE_1) | instskip(SKIP_4) | instid1(VALU_DEP_1)
	s_or_b32 exec_lo, exec_lo, s2
	v_mov_b32_e32 v119, 0
	ds_load_b64 v[120:121], v119 offset:40
	s_wait_dscnt 0x0
	v_pk_mul_f32 v[122:123], v[116:117], v[120:121] op_sel:[1,1] op_sel_hi:[0,1]
	v_pk_fma_f32 v[124:125], v[116:117], v[120:121], v[122:123] op_sel_hi:[1,0,1]
	v_pk_fma_f32 v[116:117], v[116:117], v[120:121], v[122:123] neg_lo:[0,0,1] neg_hi:[0,0,1]
	s_delay_alu instid0(VALU_DEP_2)
	v_mov_b32_e32 v117, v125
	scratch_store_b64 off, v[116:117], off offset:40
.LBB119_600:
	s_wait_xcnt 0x0
	s_or_b32 exec_lo, exec_lo, s0
	scratch_load_b64 v[116:117], off, off offset:48
	s_mov_b32 s0, exec_lo
	s_wait_loadcnt 0x0
	ds_store_b64 v1, v[116:117]
	s_wait_storecnt_dscnt 0x0
	s_barrier_signal -1
	s_barrier_wait -1
	s_wait_xcnt 0x0
	v_cmpx_gt_u32_e32 6, v0
	s_cbranch_execz .LBB119_610
; %bb.601:
	v_cmp_ne_u32_e32 vcc_lo, 1, v118
	s_cbranch_vccnz .LBB119_603
; %bb.602:
	scratch_load_b64 v[116:117], v59, off
	ds_load_b64 v[120:121], v1
	s_wait_loadcnt_dscnt 0x0
	v_pk_mul_f32 v[122:123], v[120:121], v[116:117] op_sel:[1,1] op_sel_hi:[0,1]
	s_delay_alu instid0(VALU_DEP_1) | instskip(SKIP_1) | instid1(VALU_DEP_2)
	v_pk_fma_f32 v[124:125], v[120:121], v[116:117], v[122:123] op_sel_hi:[1,0,1]
	v_pk_fma_f32 v[116:117], v[120:121], v[116:117], v[122:123] neg_lo:[0,0,1] neg_hi:[0,0,1]
	v_mov_b32_e32 v117, v125
	s_cbranch_execz .LBB119_604
	s_branch .LBB119_605
.LBB119_603:
                                        ; implicit-def: $vgpr116_vgpr117
.LBB119_604:
	ds_load_b64 v[116:117], v1
.LBB119_605:
	s_mov_b32 s2, exec_lo
	v_cmpx_ne_u32_e32 5, v0
	s_cbranch_execz .LBB119_609
; %bb.606:
	v_add_nc_u32_e32 v119, 0x1c8, v58
	v_add3_u32 v120, 0, v58, 8
	v_mov_b32_e32 v121, v0
	s_mov_b32 s3, 0
.LBB119_607:                            ; =>This Inner Loop Header: Depth=1
	scratch_load_b64 v[122:123], v120, off
	ds_load_b64 v[124:125], v119
	s_wait_xcnt 0x0
	v_dual_add_nc_u32 v119, 8, v119 :: v_dual_add_nc_u32 v120, 8, v120
	s_wait_loadcnt_dscnt 0x0
	v_pk_mul_f32 v[126:127], v[124:125], v[122:123] op_sel:[1,1] op_sel_hi:[0,1]
	s_delay_alu instid0(VALU_DEP_1) | instskip(SKIP_2) | instid1(VALU_DEP_3)
	v_pk_fma_f32 v[128:129], v[124:125], v[122:123], v[126:127] op_sel_hi:[1,0,1]
	v_add_nc_u32_e32 v121, 1, v121
	v_pk_fma_f32 v[122:123], v[124:125], v[122:123], v[126:127] neg_lo:[0,0,1] neg_hi:[0,0,1]
	v_mov_b32_e32 v123, v129
	s_delay_alu instid0(VALU_DEP_3) | instskip(NEXT) | instid1(VALU_DEP_2)
	v_cmp_lt_u32_e32 vcc_lo, 4, v121
	v_pk_add_f32 v[116:117], v[116:117], v[122:123]
	s_or_b32 s3, vcc_lo, s3
	s_delay_alu instid0(SALU_CYCLE_1)
	s_and_not1_b32 exec_lo, exec_lo, s3
	s_cbranch_execnz .LBB119_607
; %bb.608:
	s_or_b32 exec_lo, exec_lo, s3
.LBB119_609:
	s_delay_alu instid0(SALU_CYCLE_1) | instskip(SKIP_4) | instid1(VALU_DEP_1)
	s_or_b32 exec_lo, exec_lo, s2
	v_mov_b32_e32 v119, 0
	ds_load_b64 v[120:121], v119 offset:48
	s_wait_dscnt 0x0
	v_pk_mul_f32 v[122:123], v[116:117], v[120:121] op_sel:[1,1] op_sel_hi:[0,1]
	v_pk_fma_f32 v[124:125], v[116:117], v[120:121], v[122:123] op_sel_hi:[1,0,1]
	v_pk_fma_f32 v[116:117], v[116:117], v[120:121], v[122:123] neg_lo:[0,0,1] neg_hi:[0,0,1]
	s_delay_alu instid0(VALU_DEP_2)
	v_mov_b32_e32 v117, v125
	scratch_store_b64 off, v[116:117], off offset:48
.LBB119_610:
	s_wait_xcnt 0x0
	s_or_b32 exec_lo, exec_lo, s0
	scratch_load_b64 v[116:117], off, off offset:56
	s_mov_b32 s0, exec_lo
	s_wait_loadcnt 0x0
	ds_store_b64 v1, v[116:117]
	s_wait_storecnt_dscnt 0x0
	s_barrier_signal -1
	s_barrier_wait -1
	s_wait_xcnt 0x0
	v_cmpx_gt_u32_e32 7, v0
	s_cbranch_execz .LBB119_620
; %bb.611:
	v_cmp_ne_u32_e32 vcc_lo, 1, v118
	s_cbranch_vccnz .LBB119_613
; %bb.612:
	scratch_load_b64 v[116:117], v59, off
	ds_load_b64 v[120:121], v1
	s_wait_loadcnt_dscnt 0x0
	v_pk_mul_f32 v[122:123], v[120:121], v[116:117] op_sel:[1,1] op_sel_hi:[0,1]
	s_delay_alu instid0(VALU_DEP_1) | instskip(SKIP_1) | instid1(VALU_DEP_2)
	v_pk_fma_f32 v[124:125], v[120:121], v[116:117], v[122:123] op_sel_hi:[1,0,1]
	v_pk_fma_f32 v[116:117], v[120:121], v[116:117], v[122:123] neg_lo:[0,0,1] neg_hi:[0,0,1]
	v_mov_b32_e32 v117, v125
	s_cbranch_execz .LBB119_614
	s_branch .LBB119_615
.LBB119_613:
                                        ; implicit-def: $vgpr116_vgpr117
.LBB119_614:
	ds_load_b64 v[116:117], v1
.LBB119_615:
	s_mov_b32 s2, exec_lo
	v_cmpx_ne_u32_e32 6, v0
	s_cbranch_execz .LBB119_619
; %bb.616:
	v_add_nc_u32_e32 v119, 0x1c8, v58
	v_add3_u32 v120, 0, v58, 8
	v_mov_b32_e32 v121, v0
	s_mov_b32 s3, 0
.LBB119_617:                            ; =>This Inner Loop Header: Depth=1
	scratch_load_b64 v[122:123], v120, off
	ds_load_b64 v[124:125], v119
	s_wait_xcnt 0x0
	v_dual_add_nc_u32 v119, 8, v119 :: v_dual_add_nc_u32 v120, 8, v120
	s_wait_loadcnt_dscnt 0x0
	v_pk_mul_f32 v[126:127], v[124:125], v[122:123] op_sel:[1,1] op_sel_hi:[0,1]
	s_delay_alu instid0(VALU_DEP_1) | instskip(SKIP_2) | instid1(VALU_DEP_3)
	v_pk_fma_f32 v[128:129], v[124:125], v[122:123], v[126:127] op_sel_hi:[1,0,1]
	v_add_nc_u32_e32 v121, 1, v121
	v_pk_fma_f32 v[122:123], v[124:125], v[122:123], v[126:127] neg_lo:[0,0,1] neg_hi:[0,0,1]
	v_mov_b32_e32 v123, v129
	s_delay_alu instid0(VALU_DEP_3) | instskip(NEXT) | instid1(VALU_DEP_2)
	v_cmp_lt_u32_e32 vcc_lo, 5, v121
	v_pk_add_f32 v[116:117], v[116:117], v[122:123]
	s_or_b32 s3, vcc_lo, s3
	s_delay_alu instid0(SALU_CYCLE_1)
	s_and_not1_b32 exec_lo, exec_lo, s3
	s_cbranch_execnz .LBB119_617
; %bb.618:
	s_or_b32 exec_lo, exec_lo, s3
.LBB119_619:
	s_delay_alu instid0(SALU_CYCLE_1) | instskip(SKIP_4) | instid1(VALU_DEP_1)
	s_or_b32 exec_lo, exec_lo, s2
	v_mov_b32_e32 v119, 0
	ds_load_b64 v[120:121], v119 offset:56
	s_wait_dscnt 0x0
	v_pk_mul_f32 v[122:123], v[116:117], v[120:121] op_sel:[1,1] op_sel_hi:[0,1]
	v_pk_fma_f32 v[124:125], v[116:117], v[120:121], v[122:123] op_sel_hi:[1,0,1]
	v_pk_fma_f32 v[116:117], v[116:117], v[120:121], v[122:123] neg_lo:[0,0,1] neg_hi:[0,0,1]
	s_delay_alu instid0(VALU_DEP_2)
	v_mov_b32_e32 v117, v125
	scratch_store_b64 off, v[116:117], off offset:56
.LBB119_620:
	s_wait_xcnt 0x0
	s_or_b32 exec_lo, exec_lo, s0
	scratch_load_b64 v[116:117], off, off offset:64
	s_mov_b32 s0, exec_lo
	s_wait_loadcnt 0x0
	ds_store_b64 v1, v[116:117]
	s_wait_storecnt_dscnt 0x0
	s_barrier_signal -1
	s_barrier_wait -1
	s_wait_xcnt 0x0
	v_cmpx_gt_u32_e32 8, v0
	s_cbranch_execz .LBB119_630
; %bb.621:
	v_cmp_ne_u32_e32 vcc_lo, 1, v118
	s_cbranch_vccnz .LBB119_623
; %bb.622:
	scratch_load_b64 v[116:117], v59, off
	ds_load_b64 v[120:121], v1
	s_wait_loadcnt_dscnt 0x0
	v_pk_mul_f32 v[122:123], v[120:121], v[116:117] op_sel:[1,1] op_sel_hi:[0,1]
	s_delay_alu instid0(VALU_DEP_1) | instskip(SKIP_1) | instid1(VALU_DEP_2)
	v_pk_fma_f32 v[124:125], v[120:121], v[116:117], v[122:123] op_sel_hi:[1,0,1]
	v_pk_fma_f32 v[116:117], v[120:121], v[116:117], v[122:123] neg_lo:[0,0,1] neg_hi:[0,0,1]
	v_mov_b32_e32 v117, v125
	s_cbranch_execz .LBB119_624
	s_branch .LBB119_625
.LBB119_623:
                                        ; implicit-def: $vgpr116_vgpr117
.LBB119_624:
	ds_load_b64 v[116:117], v1
.LBB119_625:
	s_mov_b32 s2, exec_lo
	v_cmpx_ne_u32_e32 7, v0
	s_cbranch_execz .LBB119_629
; %bb.626:
	v_add_nc_u32_e32 v119, 0x1c8, v58
	v_add3_u32 v120, 0, v58, 8
	v_mov_b32_e32 v121, v0
	s_mov_b32 s3, 0
.LBB119_627:                            ; =>This Inner Loop Header: Depth=1
	scratch_load_b64 v[122:123], v120, off
	ds_load_b64 v[124:125], v119
	s_wait_xcnt 0x0
	v_dual_add_nc_u32 v119, 8, v119 :: v_dual_add_nc_u32 v120, 8, v120
	s_wait_loadcnt_dscnt 0x0
	v_pk_mul_f32 v[126:127], v[124:125], v[122:123] op_sel:[1,1] op_sel_hi:[0,1]
	s_delay_alu instid0(VALU_DEP_1) | instskip(SKIP_2) | instid1(VALU_DEP_3)
	v_pk_fma_f32 v[128:129], v[124:125], v[122:123], v[126:127] op_sel_hi:[1,0,1]
	v_add_nc_u32_e32 v121, 1, v121
	v_pk_fma_f32 v[122:123], v[124:125], v[122:123], v[126:127] neg_lo:[0,0,1] neg_hi:[0,0,1]
	v_mov_b32_e32 v123, v129
	s_delay_alu instid0(VALU_DEP_3) | instskip(NEXT) | instid1(VALU_DEP_2)
	v_cmp_lt_u32_e32 vcc_lo, 6, v121
	v_pk_add_f32 v[116:117], v[116:117], v[122:123]
	s_or_b32 s3, vcc_lo, s3
	s_delay_alu instid0(SALU_CYCLE_1)
	s_and_not1_b32 exec_lo, exec_lo, s3
	s_cbranch_execnz .LBB119_627
; %bb.628:
	s_or_b32 exec_lo, exec_lo, s3
.LBB119_629:
	s_delay_alu instid0(SALU_CYCLE_1) | instskip(SKIP_4) | instid1(VALU_DEP_1)
	s_or_b32 exec_lo, exec_lo, s2
	v_mov_b32_e32 v119, 0
	ds_load_b64 v[120:121], v119 offset:64
	s_wait_dscnt 0x0
	v_pk_mul_f32 v[122:123], v[116:117], v[120:121] op_sel:[1,1] op_sel_hi:[0,1]
	v_pk_fma_f32 v[124:125], v[116:117], v[120:121], v[122:123] op_sel_hi:[1,0,1]
	v_pk_fma_f32 v[116:117], v[116:117], v[120:121], v[122:123] neg_lo:[0,0,1] neg_hi:[0,0,1]
	s_delay_alu instid0(VALU_DEP_2)
	v_mov_b32_e32 v117, v125
	scratch_store_b64 off, v[116:117], off offset:64
.LBB119_630:
	s_wait_xcnt 0x0
	s_or_b32 exec_lo, exec_lo, s0
	scratch_load_b64 v[116:117], off, off offset:72
	s_mov_b32 s0, exec_lo
	s_wait_loadcnt 0x0
	ds_store_b64 v1, v[116:117]
	s_wait_storecnt_dscnt 0x0
	s_barrier_signal -1
	s_barrier_wait -1
	s_wait_xcnt 0x0
	v_cmpx_gt_u32_e32 9, v0
	s_cbranch_execz .LBB119_640
; %bb.631:
	v_cmp_ne_u32_e32 vcc_lo, 1, v118
	s_cbranch_vccnz .LBB119_633
; %bb.632:
	scratch_load_b64 v[116:117], v59, off
	ds_load_b64 v[120:121], v1
	s_wait_loadcnt_dscnt 0x0
	v_pk_mul_f32 v[122:123], v[120:121], v[116:117] op_sel:[1,1] op_sel_hi:[0,1]
	s_delay_alu instid0(VALU_DEP_1) | instskip(SKIP_1) | instid1(VALU_DEP_2)
	v_pk_fma_f32 v[124:125], v[120:121], v[116:117], v[122:123] op_sel_hi:[1,0,1]
	v_pk_fma_f32 v[116:117], v[120:121], v[116:117], v[122:123] neg_lo:[0,0,1] neg_hi:[0,0,1]
	v_mov_b32_e32 v117, v125
	s_cbranch_execz .LBB119_634
	s_branch .LBB119_635
.LBB119_633:
                                        ; implicit-def: $vgpr116_vgpr117
.LBB119_634:
	ds_load_b64 v[116:117], v1
.LBB119_635:
	s_mov_b32 s2, exec_lo
	v_cmpx_ne_u32_e32 8, v0
	s_cbranch_execz .LBB119_639
; %bb.636:
	v_add_nc_u32_e32 v119, 0x1c8, v58
	v_add3_u32 v120, 0, v58, 8
	v_mov_b32_e32 v121, v0
	s_mov_b32 s3, 0
.LBB119_637:                            ; =>This Inner Loop Header: Depth=1
	scratch_load_b64 v[122:123], v120, off
	ds_load_b64 v[124:125], v119
	s_wait_xcnt 0x0
	v_dual_add_nc_u32 v119, 8, v119 :: v_dual_add_nc_u32 v120, 8, v120
	s_wait_loadcnt_dscnt 0x0
	v_pk_mul_f32 v[126:127], v[124:125], v[122:123] op_sel:[1,1] op_sel_hi:[0,1]
	s_delay_alu instid0(VALU_DEP_1) | instskip(SKIP_2) | instid1(VALU_DEP_3)
	v_pk_fma_f32 v[128:129], v[124:125], v[122:123], v[126:127] op_sel_hi:[1,0,1]
	v_add_nc_u32_e32 v121, 1, v121
	v_pk_fma_f32 v[122:123], v[124:125], v[122:123], v[126:127] neg_lo:[0,0,1] neg_hi:[0,0,1]
	v_mov_b32_e32 v123, v129
	s_delay_alu instid0(VALU_DEP_3) | instskip(NEXT) | instid1(VALU_DEP_2)
	v_cmp_lt_u32_e32 vcc_lo, 7, v121
	v_pk_add_f32 v[116:117], v[116:117], v[122:123]
	s_or_b32 s3, vcc_lo, s3
	s_delay_alu instid0(SALU_CYCLE_1)
	s_and_not1_b32 exec_lo, exec_lo, s3
	s_cbranch_execnz .LBB119_637
; %bb.638:
	s_or_b32 exec_lo, exec_lo, s3
.LBB119_639:
	s_delay_alu instid0(SALU_CYCLE_1) | instskip(SKIP_4) | instid1(VALU_DEP_1)
	s_or_b32 exec_lo, exec_lo, s2
	v_mov_b32_e32 v119, 0
	ds_load_b64 v[120:121], v119 offset:72
	s_wait_dscnt 0x0
	v_pk_mul_f32 v[122:123], v[116:117], v[120:121] op_sel:[1,1] op_sel_hi:[0,1]
	v_pk_fma_f32 v[124:125], v[116:117], v[120:121], v[122:123] op_sel_hi:[1,0,1]
	v_pk_fma_f32 v[116:117], v[116:117], v[120:121], v[122:123] neg_lo:[0,0,1] neg_hi:[0,0,1]
	s_delay_alu instid0(VALU_DEP_2)
	v_mov_b32_e32 v117, v125
	scratch_store_b64 off, v[116:117], off offset:72
.LBB119_640:
	s_wait_xcnt 0x0
	s_or_b32 exec_lo, exec_lo, s0
	scratch_load_b64 v[116:117], off, off offset:80
	s_mov_b32 s0, exec_lo
	s_wait_loadcnt 0x0
	ds_store_b64 v1, v[116:117]
	s_wait_storecnt_dscnt 0x0
	s_barrier_signal -1
	s_barrier_wait -1
	s_wait_xcnt 0x0
	v_cmpx_gt_u32_e32 10, v0
	s_cbranch_execz .LBB119_650
; %bb.641:
	v_cmp_ne_u32_e32 vcc_lo, 1, v118
	s_cbranch_vccnz .LBB119_643
; %bb.642:
	scratch_load_b64 v[116:117], v59, off
	ds_load_b64 v[120:121], v1
	s_wait_loadcnt_dscnt 0x0
	v_pk_mul_f32 v[122:123], v[120:121], v[116:117] op_sel:[1,1] op_sel_hi:[0,1]
	s_delay_alu instid0(VALU_DEP_1) | instskip(SKIP_1) | instid1(VALU_DEP_2)
	v_pk_fma_f32 v[124:125], v[120:121], v[116:117], v[122:123] op_sel_hi:[1,0,1]
	v_pk_fma_f32 v[116:117], v[120:121], v[116:117], v[122:123] neg_lo:[0,0,1] neg_hi:[0,0,1]
	v_mov_b32_e32 v117, v125
	s_cbranch_execz .LBB119_644
	s_branch .LBB119_645
.LBB119_643:
                                        ; implicit-def: $vgpr116_vgpr117
.LBB119_644:
	ds_load_b64 v[116:117], v1
.LBB119_645:
	s_mov_b32 s2, exec_lo
	v_cmpx_ne_u32_e32 9, v0
	s_cbranch_execz .LBB119_649
; %bb.646:
	v_add_nc_u32_e32 v119, 0x1c8, v58
	v_add3_u32 v120, 0, v58, 8
	v_mov_b32_e32 v121, v0
	s_mov_b32 s3, 0
.LBB119_647:                            ; =>This Inner Loop Header: Depth=1
	scratch_load_b64 v[122:123], v120, off
	ds_load_b64 v[124:125], v119
	s_wait_xcnt 0x0
	v_dual_add_nc_u32 v119, 8, v119 :: v_dual_add_nc_u32 v120, 8, v120
	s_wait_loadcnt_dscnt 0x0
	v_pk_mul_f32 v[126:127], v[124:125], v[122:123] op_sel:[1,1] op_sel_hi:[0,1]
	s_delay_alu instid0(VALU_DEP_1) | instskip(SKIP_2) | instid1(VALU_DEP_3)
	v_pk_fma_f32 v[128:129], v[124:125], v[122:123], v[126:127] op_sel_hi:[1,0,1]
	v_add_nc_u32_e32 v121, 1, v121
	v_pk_fma_f32 v[122:123], v[124:125], v[122:123], v[126:127] neg_lo:[0,0,1] neg_hi:[0,0,1]
	v_mov_b32_e32 v123, v129
	s_delay_alu instid0(VALU_DEP_3) | instskip(NEXT) | instid1(VALU_DEP_2)
	v_cmp_lt_u32_e32 vcc_lo, 8, v121
	v_pk_add_f32 v[116:117], v[116:117], v[122:123]
	s_or_b32 s3, vcc_lo, s3
	s_delay_alu instid0(SALU_CYCLE_1)
	s_and_not1_b32 exec_lo, exec_lo, s3
	s_cbranch_execnz .LBB119_647
; %bb.648:
	s_or_b32 exec_lo, exec_lo, s3
.LBB119_649:
	s_delay_alu instid0(SALU_CYCLE_1) | instskip(SKIP_4) | instid1(VALU_DEP_1)
	s_or_b32 exec_lo, exec_lo, s2
	v_mov_b32_e32 v119, 0
	ds_load_b64 v[120:121], v119 offset:80
	s_wait_dscnt 0x0
	v_pk_mul_f32 v[122:123], v[116:117], v[120:121] op_sel:[1,1] op_sel_hi:[0,1]
	v_pk_fma_f32 v[124:125], v[116:117], v[120:121], v[122:123] op_sel_hi:[1,0,1]
	v_pk_fma_f32 v[116:117], v[116:117], v[120:121], v[122:123] neg_lo:[0,0,1] neg_hi:[0,0,1]
	s_delay_alu instid0(VALU_DEP_2)
	v_mov_b32_e32 v117, v125
	scratch_store_b64 off, v[116:117], off offset:80
.LBB119_650:
	s_wait_xcnt 0x0
	s_or_b32 exec_lo, exec_lo, s0
	scratch_load_b64 v[116:117], off, off offset:88
	s_mov_b32 s0, exec_lo
	s_wait_loadcnt 0x0
	ds_store_b64 v1, v[116:117]
	s_wait_storecnt_dscnt 0x0
	s_barrier_signal -1
	s_barrier_wait -1
	s_wait_xcnt 0x0
	v_cmpx_gt_u32_e32 11, v0
	s_cbranch_execz .LBB119_660
; %bb.651:
	v_cmp_ne_u32_e32 vcc_lo, 1, v118
	s_cbranch_vccnz .LBB119_653
; %bb.652:
	scratch_load_b64 v[116:117], v59, off
	ds_load_b64 v[120:121], v1
	s_wait_loadcnt_dscnt 0x0
	v_pk_mul_f32 v[122:123], v[120:121], v[116:117] op_sel:[1,1] op_sel_hi:[0,1]
	s_delay_alu instid0(VALU_DEP_1) | instskip(SKIP_1) | instid1(VALU_DEP_2)
	v_pk_fma_f32 v[124:125], v[120:121], v[116:117], v[122:123] op_sel_hi:[1,0,1]
	v_pk_fma_f32 v[116:117], v[120:121], v[116:117], v[122:123] neg_lo:[0,0,1] neg_hi:[0,0,1]
	v_mov_b32_e32 v117, v125
	s_cbranch_execz .LBB119_654
	s_branch .LBB119_655
.LBB119_653:
                                        ; implicit-def: $vgpr116_vgpr117
.LBB119_654:
	ds_load_b64 v[116:117], v1
.LBB119_655:
	s_mov_b32 s2, exec_lo
	v_cmpx_ne_u32_e32 10, v0
	s_cbranch_execz .LBB119_659
; %bb.656:
	v_add_nc_u32_e32 v119, 0x1c8, v58
	v_add3_u32 v120, 0, v58, 8
	v_mov_b32_e32 v121, v0
	s_mov_b32 s3, 0
.LBB119_657:                            ; =>This Inner Loop Header: Depth=1
	scratch_load_b64 v[122:123], v120, off
	ds_load_b64 v[124:125], v119
	s_wait_xcnt 0x0
	v_dual_add_nc_u32 v119, 8, v119 :: v_dual_add_nc_u32 v120, 8, v120
	s_wait_loadcnt_dscnt 0x0
	v_pk_mul_f32 v[126:127], v[124:125], v[122:123] op_sel:[1,1] op_sel_hi:[0,1]
	s_delay_alu instid0(VALU_DEP_1) | instskip(SKIP_2) | instid1(VALU_DEP_3)
	v_pk_fma_f32 v[128:129], v[124:125], v[122:123], v[126:127] op_sel_hi:[1,0,1]
	v_add_nc_u32_e32 v121, 1, v121
	v_pk_fma_f32 v[122:123], v[124:125], v[122:123], v[126:127] neg_lo:[0,0,1] neg_hi:[0,0,1]
	v_mov_b32_e32 v123, v129
	s_delay_alu instid0(VALU_DEP_3) | instskip(NEXT) | instid1(VALU_DEP_2)
	v_cmp_lt_u32_e32 vcc_lo, 9, v121
	v_pk_add_f32 v[116:117], v[116:117], v[122:123]
	s_or_b32 s3, vcc_lo, s3
	s_delay_alu instid0(SALU_CYCLE_1)
	s_and_not1_b32 exec_lo, exec_lo, s3
	s_cbranch_execnz .LBB119_657
; %bb.658:
	s_or_b32 exec_lo, exec_lo, s3
.LBB119_659:
	s_delay_alu instid0(SALU_CYCLE_1) | instskip(SKIP_4) | instid1(VALU_DEP_1)
	s_or_b32 exec_lo, exec_lo, s2
	v_mov_b32_e32 v119, 0
	ds_load_b64 v[120:121], v119 offset:88
	s_wait_dscnt 0x0
	v_pk_mul_f32 v[122:123], v[116:117], v[120:121] op_sel:[1,1] op_sel_hi:[0,1]
	v_pk_fma_f32 v[124:125], v[116:117], v[120:121], v[122:123] op_sel_hi:[1,0,1]
	v_pk_fma_f32 v[116:117], v[116:117], v[120:121], v[122:123] neg_lo:[0,0,1] neg_hi:[0,0,1]
	s_delay_alu instid0(VALU_DEP_2)
	v_mov_b32_e32 v117, v125
	scratch_store_b64 off, v[116:117], off offset:88
.LBB119_660:
	s_wait_xcnt 0x0
	s_or_b32 exec_lo, exec_lo, s0
	scratch_load_b64 v[116:117], off, off offset:96
	s_mov_b32 s0, exec_lo
	s_wait_loadcnt 0x0
	ds_store_b64 v1, v[116:117]
	s_wait_storecnt_dscnt 0x0
	s_barrier_signal -1
	s_barrier_wait -1
	s_wait_xcnt 0x0
	v_cmpx_gt_u32_e32 12, v0
	s_cbranch_execz .LBB119_670
; %bb.661:
	v_cmp_ne_u32_e32 vcc_lo, 1, v118
	s_cbranch_vccnz .LBB119_663
; %bb.662:
	scratch_load_b64 v[116:117], v59, off
	ds_load_b64 v[120:121], v1
	s_wait_loadcnt_dscnt 0x0
	v_pk_mul_f32 v[122:123], v[120:121], v[116:117] op_sel:[1,1] op_sel_hi:[0,1]
	s_delay_alu instid0(VALU_DEP_1) | instskip(SKIP_1) | instid1(VALU_DEP_2)
	v_pk_fma_f32 v[124:125], v[120:121], v[116:117], v[122:123] op_sel_hi:[1,0,1]
	v_pk_fma_f32 v[116:117], v[120:121], v[116:117], v[122:123] neg_lo:[0,0,1] neg_hi:[0,0,1]
	v_mov_b32_e32 v117, v125
	s_cbranch_execz .LBB119_664
	s_branch .LBB119_665
.LBB119_663:
                                        ; implicit-def: $vgpr116_vgpr117
.LBB119_664:
	ds_load_b64 v[116:117], v1
.LBB119_665:
	s_mov_b32 s2, exec_lo
	v_cmpx_ne_u32_e32 11, v0
	s_cbranch_execz .LBB119_669
; %bb.666:
	v_add_nc_u32_e32 v119, 0x1c8, v58
	v_add3_u32 v120, 0, v58, 8
	v_mov_b32_e32 v121, v0
	s_mov_b32 s3, 0
.LBB119_667:                            ; =>This Inner Loop Header: Depth=1
	scratch_load_b64 v[122:123], v120, off
	ds_load_b64 v[124:125], v119
	s_wait_xcnt 0x0
	v_dual_add_nc_u32 v119, 8, v119 :: v_dual_add_nc_u32 v120, 8, v120
	s_wait_loadcnt_dscnt 0x0
	v_pk_mul_f32 v[126:127], v[124:125], v[122:123] op_sel:[1,1] op_sel_hi:[0,1]
	s_delay_alu instid0(VALU_DEP_1) | instskip(SKIP_2) | instid1(VALU_DEP_3)
	v_pk_fma_f32 v[128:129], v[124:125], v[122:123], v[126:127] op_sel_hi:[1,0,1]
	v_add_nc_u32_e32 v121, 1, v121
	v_pk_fma_f32 v[122:123], v[124:125], v[122:123], v[126:127] neg_lo:[0,0,1] neg_hi:[0,0,1]
	v_mov_b32_e32 v123, v129
	s_delay_alu instid0(VALU_DEP_3) | instskip(NEXT) | instid1(VALU_DEP_2)
	v_cmp_lt_u32_e32 vcc_lo, 10, v121
	v_pk_add_f32 v[116:117], v[116:117], v[122:123]
	s_or_b32 s3, vcc_lo, s3
	s_delay_alu instid0(SALU_CYCLE_1)
	s_and_not1_b32 exec_lo, exec_lo, s3
	s_cbranch_execnz .LBB119_667
; %bb.668:
	s_or_b32 exec_lo, exec_lo, s3
.LBB119_669:
	s_delay_alu instid0(SALU_CYCLE_1) | instskip(SKIP_4) | instid1(VALU_DEP_1)
	s_or_b32 exec_lo, exec_lo, s2
	v_mov_b32_e32 v119, 0
	ds_load_b64 v[120:121], v119 offset:96
	s_wait_dscnt 0x0
	v_pk_mul_f32 v[122:123], v[116:117], v[120:121] op_sel:[1,1] op_sel_hi:[0,1]
	v_pk_fma_f32 v[124:125], v[116:117], v[120:121], v[122:123] op_sel_hi:[1,0,1]
	v_pk_fma_f32 v[116:117], v[116:117], v[120:121], v[122:123] neg_lo:[0,0,1] neg_hi:[0,0,1]
	s_delay_alu instid0(VALU_DEP_2)
	v_mov_b32_e32 v117, v125
	scratch_store_b64 off, v[116:117], off offset:96
.LBB119_670:
	s_wait_xcnt 0x0
	s_or_b32 exec_lo, exec_lo, s0
	scratch_load_b64 v[116:117], off, off offset:104
	s_mov_b32 s0, exec_lo
	s_wait_loadcnt 0x0
	ds_store_b64 v1, v[116:117]
	s_wait_storecnt_dscnt 0x0
	s_barrier_signal -1
	s_barrier_wait -1
	s_wait_xcnt 0x0
	v_cmpx_gt_u32_e32 13, v0
	s_cbranch_execz .LBB119_680
; %bb.671:
	v_cmp_ne_u32_e32 vcc_lo, 1, v118
	s_cbranch_vccnz .LBB119_673
; %bb.672:
	scratch_load_b64 v[116:117], v59, off
	ds_load_b64 v[120:121], v1
	s_wait_loadcnt_dscnt 0x0
	v_pk_mul_f32 v[122:123], v[120:121], v[116:117] op_sel:[1,1] op_sel_hi:[0,1]
	s_delay_alu instid0(VALU_DEP_1) | instskip(SKIP_1) | instid1(VALU_DEP_2)
	v_pk_fma_f32 v[124:125], v[120:121], v[116:117], v[122:123] op_sel_hi:[1,0,1]
	v_pk_fma_f32 v[116:117], v[120:121], v[116:117], v[122:123] neg_lo:[0,0,1] neg_hi:[0,0,1]
	v_mov_b32_e32 v117, v125
	s_cbranch_execz .LBB119_674
	s_branch .LBB119_675
.LBB119_673:
                                        ; implicit-def: $vgpr116_vgpr117
.LBB119_674:
	ds_load_b64 v[116:117], v1
.LBB119_675:
	s_mov_b32 s2, exec_lo
	v_cmpx_ne_u32_e32 12, v0
	s_cbranch_execz .LBB119_679
; %bb.676:
	v_add_nc_u32_e32 v119, 0x1c8, v58
	v_add3_u32 v120, 0, v58, 8
	v_mov_b32_e32 v121, v0
	s_mov_b32 s3, 0
.LBB119_677:                            ; =>This Inner Loop Header: Depth=1
	scratch_load_b64 v[122:123], v120, off
	ds_load_b64 v[124:125], v119
	s_wait_xcnt 0x0
	v_dual_add_nc_u32 v119, 8, v119 :: v_dual_add_nc_u32 v120, 8, v120
	s_wait_loadcnt_dscnt 0x0
	v_pk_mul_f32 v[126:127], v[124:125], v[122:123] op_sel:[1,1] op_sel_hi:[0,1]
	s_delay_alu instid0(VALU_DEP_1) | instskip(SKIP_2) | instid1(VALU_DEP_3)
	v_pk_fma_f32 v[128:129], v[124:125], v[122:123], v[126:127] op_sel_hi:[1,0,1]
	v_add_nc_u32_e32 v121, 1, v121
	v_pk_fma_f32 v[122:123], v[124:125], v[122:123], v[126:127] neg_lo:[0,0,1] neg_hi:[0,0,1]
	v_mov_b32_e32 v123, v129
	s_delay_alu instid0(VALU_DEP_3) | instskip(NEXT) | instid1(VALU_DEP_2)
	v_cmp_lt_u32_e32 vcc_lo, 11, v121
	v_pk_add_f32 v[116:117], v[116:117], v[122:123]
	s_or_b32 s3, vcc_lo, s3
	s_delay_alu instid0(SALU_CYCLE_1)
	s_and_not1_b32 exec_lo, exec_lo, s3
	s_cbranch_execnz .LBB119_677
; %bb.678:
	s_or_b32 exec_lo, exec_lo, s3
.LBB119_679:
	s_delay_alu instid0(SALU_CYCLE_1) | instskip(SKIP_4) | instid1(VALU_DEP_1)
	s_or_b32 exec_lo, exec_lo, s2
	v_mov_b32_e32 v119, 0
	ds_load_b64 v[120:121], v119 offset:104
	s_wait_dscnt 0x0
	v_pk_mul_f32 v[122:123], v[116:117], v[120:121] op_sel:[1,1] op_sel_hi:[0,1]
	v_pk_fma_f32 v[124:125], v[116:117], v[120:121], v[122:123] op_sel_hi:[1,0,1]
	v_pk_fma_f32 v[116:117], v[116:117], v[120:121], v[122:123] neg_lo:[0,0,1] neg_hi:[0,0,1]
	s_delay_alu instid0(VALU_DEP_2)
	v_mov_b32_e32 v117, v125
	scratch_store_b64 off, v[116:117], off offset:104
.LBB119_680:
	s_wait_xcnt 0x0
	s_or_b32 exec_lo, exec_lo, s0
	scratch_load_b64 v[116:117], off, off offset:112
	s_mov_b32 s0, exec_lo
	s_wait_loadcnt 0x0
	ds_store_b64 v1, v[116:117]
	s_wait_storecnt_dscnt 0x0
	s_barrier_signal -1
	s_barrier_wait -1
	s_wait_xcnt 0x0
	v_cmpx_gt_u32_e32 14, v0
	s_cbranch_execz .LBB119_690
; %bb.681:
	v_cmp_ne_u32_e32 vcc_lo, 1, v118
	s_cbranch_vccnz .LBB119_683
; %bb.682:
	scratch_load_b64 v[116:117], v59, off
	ds_load_b64 v[120:121], v1
	s_wait_loadcnt_dscnt 0x0
	v_pk_mul_f32 v[122:123], v[120:121], v[116:117] op_sel:[1,1] op_sel_hi:[0,1]
	s_delay_alu instid0(VALU_DEP_1) | instskip(SKIP_1) | instid1(VALU_DEP_2)
	v_pk_fma_f32 v[124:125], v[120:121], v[116:117], v[122:123] op_sel_hi:[1,0,1]
	v_pk_fma_f32 v[116:117], v[120:121], v[116:117], v[122:123] neg_lo:[0,0,1] neg_hi:[0,0,1]
	v_mov_b32_e32 v117, v125
	s_cbranch_execz .LBB119_684
	s_branch .LBB119_685
.LBB119_683:
                                        ; implicit-def: $vgpr116_vgpr117
.LBB119_684:
	ds_load_b64 v[116:117], v1
.LBB119_685:
	s_mov_b32 s2, exec_lo
	v_cmpx_ne_u32_e32 13, v0
	s_cbranch_execz .LBB119_689
; %bb.686:
	v_add_nc_u32_e32 v119, 0x1c8, v58
	v_add3_u32 v120, 0, v58, 8
	v_mov_b32_e32 v121, v0
	s_mov_b32 s3, 0
.LBB119_687:                            ; =>This Inner Loop Header: Depth=1
	scratch_load_b64 v[122:123], v120, off
	ds_load_b64 v[124:125], v119
	s_wait_xcnt 0x0
	v_dual_add_nc_u32 v119, 8, v119 :: v_dual_add_nc_u32 v120, 8, v120
	s_wait_loadcnt_dscnt 0x0
	v_pk_mul_f32 v[126:127], v[124:125], v[122:123] op_sel:[1,1] op_sel_hi:[0,1]
	s_delay_alu instid0(VALU_DEP_1) | instskip(SKIP_2) | instid1(VALU_DEP_3)
	v_pk_fma_f32 v[128:129], v[124:125], v[122:123], v[126:127] op_sel_hi:[1,0,1]
	v_add_nc_u32_e32 v121, 1, v121
	v_pk_fma_f32 v[122:123], v[124:125], v[122:123], v[126:127] neg_lo:[0,0,1] neg_hi:[0,0,1]
	v_mov_b32_e32 v123, v129
	s_delay_alu instid0(VALU_DEP_3) | instskip(NEXT) | instid1(VALU_DEP_2)
	v_cmp_lt_u32_e32 vcc_lo, 12, v121
	v_pk_add_f32 v[116:117], v[116:117], v[122:123]
	s_or_b32 s3, vcc_lo, s3
	s_delay_alu instid0(SALU_CYCLE_1)
	s_and_not1_b32 exec_lo, exec_lo, s3
	s_cbranch_execnz .LBB119_687
; %bb.688:
	s_or_b32 exec_lo, exec_lo, s3
.LBB119_689:
	s_delay_alu instid0(SALU_CYCLE_1) | instskip(SKIP_4) | instid1(VALU_DEP_1)
	s_or_b32 exec_lo, exec_lo, s2
	v_mov_b32_e32 v119, 0
	ds_load_b64 v[120:121], v119 offset:112
	s_wait_dscnt 0x0
	v_pk_mul_f32 v[122:123], v[116:117], v[120:121] op_sel:[1,1] op_sel_hi:[0,1]
	v_pk_fma_f32 v[124:125], v[116:117], v[120:121], v[122:123] op_sel_hi:[1,0,1]
	v_pk_fma_f32 v[116:117], v[116:117], v[120:121], v[122:123] neg_lo:[0,0,1] neg_hi:[0,0,1]
	s_delay_alu instid0(VALU_DEP_2)
	v_mov_b32_e32 v117, v125
	scratch_store_b64 off, v[116:117], off offset:112
.LBB119_690:
	s_wait_xcnt 0x0
	s_or_b32 exec_lo, exec_lo, s0
	scratch_load_b64 v[116:117], off, off offset:120
	s_mov_b32 s0, exec_lo
	s_wait_loadcnt 0x0
	ds_store_b64 v1, v[116:117]
	s_wait_storecnt_dscnt 0x0
	s_barrier_signal -1
	s_barrier_wait -1
	s_wait_xcnt 0x0
	v_cmpx_gt_u32_e32 15, v0
	s_cbranch_execz .LBB119_700
; %bb.691:
	v_cmp_ne_u32_e32 vcc_lo, 1, v118
	s_cbranch_vccnz .LBB119_693
; %bb.692:
	scratch_load_b64 v[116:117], v59, off
	ds_load_b64 v[120:121], v1
	s_wait_loadcnt_dscnt 0x0
	v_pk_mul_f32 v[122:123], v[120:121], v[116:117] op_sel:[1,1] op_sel_hi:[0,1]
	s_delay_alu instid0(VALU_DEP_1) | instskip(SKIP_1) | instid1(VALU_DEP_2)
	v_pk_fma_f32 v[124:125], v[120:121], v[116:117], v[122:123] op_sel_hi:[1,0,1]
	v_pk_fma_f32 v[116:117], v[120:121], v[116:117], v[122:123] neg_lo:[0,0,1] neg_hi:[0,0,1]
	v_mov_b32_e32 v117, v125
	s_cbranch_execz .LBB119_694
	s_branch .LBB119_695
.LBB119_693:
                                        ; implicit-def: $vgpr116_vgpr117
.LBB119_694:
	ds_load_b64 v[116:117], v1
.LBB119_695:
	s_mov_b32 s2, exec_lo
	v_cmpx_ne_u32_e32 14, v0
	s_cbranch_execz .LBB119_699
; %bb.696:
	v_add_nc_u32_e32 v119, 0x1c8, v58
	v_add3_u32 v120, 0, v58, 8
	v_mov_b32_e32 v121, v0
	s_mov_b32 s3, 0
.LBB119_697:                            ; =>This Inner Loop Header: Depth=1
	scratch_load_b64 v[122:123], v120, off
	ds_load_b64 v[124:125], v119
	s_wait_xcnt 0x0
	v_dual_add_nc_u32 v119, 8, v119 :: v_dual_add_nc_u32 v120, 8, v120
	s_wait_loadcnt_dscnt 0x0
	v_pk_mul_f32 v[126:127], v[124:125], v[122:123] op_sel:[1,1] op_sel_hi:[0,1]
	s_delay_alu instid0(VALU_DEP_1) | instskip(SKIP_2) | instid1(VALU_DEP_3)
	v_pk_fma_f32 v[128:129], v[124:125], v[122:123], v[126:127] op_sel_hi:[1,0,1]
	v_add_nc_u32_e32 v121, 1, v121
	v_pk_fma_f32 v[122:123], v[124:125], v[122:123], v[126:127] neg_lo:[0,0,1] neg_hi:[0,0,1]
	v_mov_b32_e32 v123, v129
	s_delay_alu instid0(VALU_DEP_3) | instskip(NEXT) | instid1(VALU_DEP_2)
	v_cmp_lt_u32_e32 vcc_lo, 13, v121
	v_pk_add_f32 v[116:117], v[116:117], v[122:123]
	s_or_b32 s3, vcc_lo, s3
	s_delay_alu instid0(SALU_CYCLE_1)
	s_and_not1_b32 exec_lo, exec_lo, s3
	s_cbranch_execnz .LBB119_697
; %bb.698:
	s_or_b32 exec_lo, exec_lo, s3
.LBB119_699:
	s_delay_alu instid0(SALU_CYCLE_1) | instskip(SKIP_4) | instid1(VALU_DEP_1)
	s_or_b32 exec_lo, exec_lo, s2
	v_mov_b32_e32 v119, 0
	ds_load_b64 v[120:121], v119 offset:120
	s_wait_dscnt 0x0
	v_pk_mul_f32 v[122:123], v[116:117], v[120:121] op_sel:[1,1] op_sel_hi:[0,1]
	v_pk_fma_f32 v[124:125], v[116:117], v[120:121], v[122:123] op_sel_hi:[1,0,1]
	v_pk_fma_f32 v[116:117], v[116:117], v[120:121], v[122:123] neg_lo:[0,0,1] neg_hi:[0,0,1]
	s_delay_alu instid0(VALU_DEP_2)
	v_mov_b32_e32 v117, v125
	scratch_store_b64 off, v[116:117], off offset:120
.LBB119_700:
	s_wait_xcnt 0x0
	s_or_b32 exec_lo, exec_lo, s0
	scratch_load_b64 v[116:117], off, off offset:128
	s_mov_b32 s0, exec_lo
	s_wait_loadcnt 0x0
	ds_store_b64 v1, v[116:117]
	s_wait_storecnt_dscnt 0x0
	s_barrier_signal -1
	s_barrier_wait -1
	s_wait_xcnt 0x0
	v_cmpx_gt_u32_e32 16, v0
	s_cbranch_execz .LBB119_710
; %bb.701:
	v_cmp_ne_u32_e32 vcc_lo, 1, v118
	s_cbranch_vccnz .LBB119_703
; %bb.702:
	scratch_load_b64 v[116:117], v59, off
	ds_load_b64 v[120:121], v1
	s_wait_loadcnt_dscnt 0x0
	v_pk_mul_f32 v[122:123], v[120:121], v[116:117] op_sel:[1,1] op_sel_hi:[0,1]
	s_delay_alu instid0(VALU_DEP_1) | instskip(SKIP_1) | instid1(VALU_DEP_2)
	v_pk_fma_f32 v[124:125], v[120:121], v[116:117], v[122:123] op_sel_hi:[1,0,1]
	v_pk_fma_f32 v[116:117], v[120:121], v[116:117], v[122:123] neg_lo:[0,0,1] neg_hi:[0,0,1]
	v_mov_b32_e32 v117, v125
	s_cbranch_execz .LBB119_704
	s_branch .LBB119_705
.LBB119_703:
                                        ; implicit-def: $vgpr116_vgpr117
.LBB119_704:
	ds_load_b64 v[116:117], v1
.LBB119_705:
	s_mov_b32 s2, exec_lo
	v_cmpx_ne_u32_e32 15, v0
	s_cbranch_execz .LBB119_709
; %bb.706:
	v_add_nc_u32_e32 v119, 0x1c8, v58
	v_add3_u32 v120, 0, v58, 8
	v_mov_b32_e32 v121, v0
	s_mov_b32 s3, 0
.LBB119_707:                            ; =>This Inner Loop Header: Depth=1
	scratch_load_b64 v[122:123], v120, off
	ds_load_b64 v[124:125], v119
	s_wait_xcnt 0x0
	v_dual_add_nc_u32 v119, 8, v119 :: v_dual_add_nc_u32 v120, 8, v120
	s_wait_loadcnt_dscnt 0x0
	v_pk_mul_f32 v[126:127], v[124:125], v[122:123] op_sel:[1,1] op_sel_hi:[0,1]
	s_delay_alu instid0(VALU_DEP_1) | instskip(SKIP_2) | instid1(VALU_DEP_3)
	v_pk_fma_f32 v[128:129], v[124:125], v[122:123], v[126:127] op_sel_hi:[1,0,1]
	v_add_nc_u32_e32 v121, 1, v121
	v_pk_fma_f32 v[122:123], v[124:125], v[122:123], v[126:127] neg_lo:[0,0,1] neg_hi:[0,0,1]
	v_mov_b32_e32 v123, v129
	s_delay_alu instid0(VALU_DEP_3) | instskip(NEXT) | instid1(VALU_DEP_2)
	v_cmp_lt_u32_e32 vcc_lo, 14, v121
	v_pk_add_f32 v[116:117], v[116:117], v[122:123]
	s_or_b32 s3, vcc_lo, s3
	s_delay_alu instid0(SALU_CYCLE_1)
	s_and_not1_b32 exec_lo, exec_lo, s3
	s_cbranch_execnz .LBB119_707
; %bb.708:
	s_or_b32 exec_lo, exec_lo, s3
.LBB119_709:
	s_delay_alu instid0(SALU_CYCLE_1) | instskip(SKIP_4) | instid1(VALU_DEP_1)
	s_or_b32 exec_lo, exec_lo, s2
	v_mov_b32_e32 v119, 0
	ds_load_b64 v[120:121], v119 offset:128
	s_wait_dscnt 0x0
	v_pk_mul_f32 v[122:123], v[116:117], v[120:121] op_sel:[1,1] op_sel_hi:[0,1]
	v_pk_fma_f32 v[124:125], v[116:117], v[120:121], v[122:123] op_sel_hi:[1,0,1]
	v_pk_fma_f32 v[116:117], v[116:117], v[120:121], v[122:123] neg_lo:[0,0,1] neg_hi:[0,0,1]
	s_delay_alu instid0(VALU_DEP_2)
	v_mov_b32_e32 v117, v125
	scratch_store_b64 off, v[116:117], off offset:128
.LBB119_710:
	s_wait_xcnt 0x0
	s_or_b32 exec_lo, exec_lo, s0
	scratch_load_b64 v[116:117], off, off offset:136
	s_mov_b32 s0, exec_lo
	s_wait_loadcnt 0x0
	ds_store_b64 v1, v[116:117]
	s_wait_storecnt_dscnt 0x0
	s_barrier_signal -1
	s_barrier_wait -1
	s_wait_xcnt 0x0
	v_cmpx_gt_u32_e32 17, v0
	s_cbranch_execz .LBB119_720
; %bb.711:
	v_cmp_ne_u32_e32 vcc_lo, 1, v118
	s_cbranch_vccnz .LBB119_713
; %bb.712:
	scratch_load_b64 v[116:117], v59, off
	ds_load_b64 v[120:121], v1
	s_wait_loadcnt_dscnt 0x0
	v_pk_mul_f32 v[122:123], v[120:121], v[116:117] op_sel:[1,1] op_sel_hi:[0,1]
	s_delay_alu instid0(VALU_DEP_1) | instskip(SKIP_1) | instid1(VALU_DEP_2)
	v_pk_fma_f32 v[124:125], v[120:121], v[116:117], v[122:123] op_sel_hi:[1,0,1]
	v_pk_fma_f32 v[116:117], v[120:121], v[116:117], v[122:123] neg_lo:[0,0,1] neg_hi:[0,0,1]
	v_mov_b32_e32 v117, v125
	s_cbranch_execz .LBB119_714
	s_branch .LBB119_715
.LBB119_713:
                                        ; implicit-def: $vgpr116_vgpr117
.LBB119_714:
	ds_load_b64 v[116:117], v1
.LBB119_715:
	s_mov_b32 s2, exec_lo
	v_cmpx_ne_u32_e32 16, v0
	s_cbranch_execz .LBB119_719
; %bb.716:
	v_add_nc_u32_e32 v119, 0x1c8, v58
	v_add3_u32 v120, 0, v58, 8
	v_mov_b32_e32 v121, v0
	s_mov_b32 s3, 0
.LBB119_717:                            ; =>This Inner Loop Header: Depth=1
	scratch_load_b64 v[122:123], v120, off
	ds_load_b64 v[124:125], v119
	s_wait_xcnt 0x0
	v_dual_add_nc_u32 v119, 8, v119 :: v_dual_add_nc_u32 v120, 8, v120
	s_wait_loadcnt_dscnt 0x0
	v_pk_mul_f32 v[126:127], v[124:125], v[122:123] op_sel:[1,1] op_sel_hi:[0,1]
	s_delay_alu instid0(VALU_DEP_1) | instskip(SKIP_2) | instid1(VALU_DEP_3)
	v_pk_fma_f32 v[128:129], v[124:125], v[122:123], v[126:127] op_sel_hi:[1,0,1]
	v_add_nc_u32_e32 v121, 1, v121
	v_pk_fma_f32 v[122:123], v[124:125], v[122:123], v[126:127] neg_lo:[0,0,1] neg_hi:[0,0,1]
	v_mov_b32_e32 v123, v129
	s_delay_alu instid0(VALU_DEP_3) | instskip(NEXT) | instid1(VALU_DEP_2)
	v_cmp_lt_u32_e32 vcc_lo, 15, v121
	v_pk_add_f32 v[116:117], v[116:117], v[122:123]
	s_or_b32 s3, vcc_lo, s3
	s_delay_alu instid0(SALU_CYCLE_1)
	s_and_not1_b32 exec_lo, exec_lo, s3
	s_cbranch_execnz .LBB119_717
; %bb.718:
	s_or_b32 exec_lo, exec_lo, s3
.LBB119_719:
	s_delay_alu instid0(SALU_CYCLE_1) | instskip(SKIP_4) | instid1(VALU_DEP_1)
	s_or_b32 exec_lo, exec_lo, s2
	v_mov_b32_e32 v119, 0
	ds_load_b64 v[120:121], v119 offset:136
	s_wait_dscnt 0x0
	v_pk_mul_f32 v[122:123], v[116:117], v[120:121] op_sel:[1,1] op_sel_hi:[0,1]
	v_pk_fma_f32 v[124:125], v[116:117], v[120:121], v[122:123] op_sel_hi:[1,0,1]
	v_pk_fma_f32 v[116:117], v[116:117], v[120:121], v[122:123] neg_lo:[0,0,1] neg_hi:[0,0,1]
	s_delay_alu instid0(VALU_DEP_2)
	v_mov_b32_e32 v117, v125
	scratch_store_b64 off, v[116:117], off offset:136
.LBB119_720:
	s_wait_xcnt 0x0
	s_or_b32 exec_lo, exec_lo, s0
	scratch_load_b64 v[116:117], off, off offset:144
	s_mov_b32 s0, exec_lo
	s_wait_loadcnt 0x0
	ds_store_b64 v1, v[116:117]
	s_wait_storecnt_dscnt 0x0
	s_barrier_signal -1
	s_barrier_wait -1
	s_wait_xcnt 0x0
	v_cmpx_gt_u32_e32 18, v0
	s_cbranch_execz .LBB119_730
; %bb.721:
	v_cmp_ne_u32_e32 vcc_lo, 1, v118
	s_cbranch_vccnz .LBB119_723
; %bb.722:
	scratch_load_b64 v[116:117], v59, off
	ds_load_b64 v[120:121], v1
	s_wait_loadcnt_dscnt 0x0
	v_pk_mul_f32 v[122:123], v[120:121], v[116:117] op_sel:[1,1] op_sel_hi:[0,1]
	s_delay_alu instid0(VALU_DEP_1) | instskip(SKIP_1) | instid1(VALU_DEP_2)
	v_pk_fma_f32 v[124:125], v[120:121], v[116:117], v[122:123] op_sel_hi:[1,0,1]
	v_pk_fma_f32 v[116:117], v[120:121], v[116:117], v[122:123] neg_lo:[0,0,1] neg_hi:[0,0,1]
	v_mov_b32_e32 v117, v125
	s_cbranch_execz .LBB119_724
	s_branch .LBB119_725
.LBB119_723:
                                        ; implicit-def: $vgpr116_vgpr117
.LBB119_724:
	ds_load_b64 v[116:117], v1
.LBB119_725:
	s_mov_b32 s2, exec_lo
	v_cmpx_ne_u32_e32 17, v0
	s_cbranch_execz .LBB119_729
; %bb.726:
	v_add_nc_u32_e32 v119, 0x1c8, v58
	v_add3_u32 v120, 0, v58, 8
	v_mov_b32_e32 v121, v0
	s_mov_b32 s3, 0
.LBB119_727:                            ; =>This Inner Loop Header: Depth=1
	scratch_load_b64 v[122:123], v120, off
	ds_load_b64 v[124:125], v119
	s_wait_xcnt 0x0
	v_dual_add_nc_u32 v119, 8, v119 :: v_dual_add_nc_u32 v120, 8, v120
	s_wait_loadcnt_dscnt 0x0
	v_pk_mul_f32 v[126:127], v[124:125], v[122:123] op_sel:[1,1] op_sel_hi:[0,1]
	s_delay_alu instid0(VALU_DEP_1) | instskip(SKIP_2) | instid1(VALU_DEP_3)
	v_pk_fma_f32 v[128:129], v[124:125], v[122:123], v[126:127] op_sel_hi:[1,0,1]
	v_add_nc_u32_e32 v121, 1, v121
	v_pk_fma_f32 v[122:123], v[124:125], v[122:123], v[126:127] neg_lo:[0,0,1] neg_hi:[0,0,1]
	v_mov_b32_e32 v123, v129
	s_delay_alu instid0(VALU_DEP_3) | instskip(NEXT) | instid1(VALU_DEP_2)
	v_cmp_lt_u32_e32 vcc_lo, 16, v121
	v_pk_add_f32 v[116:117], v[116:117], v[122:123]
	s_or_b32 s3, vcc_lo, s3
	s_delay_alu instid0(SALU_CYCLE_1)
	s_and_not1_b32 exec_lo, exec_lo, s3
	s_cbranch_execnz .LBB119_727
; %bb.728:
	s_or_b32 exec_lo, exec_lo, s3
.LBB119_729:
	s_delay_alu instid0(SALU_CYCLE_1) | instskip(SKIP_4) | instid1(VALU_DEP_1)
	s_or_b32 exec_lo, exec_lo, s2
	v_mov_b32_e32 v119, 0
	ds_load_b64 v[120:121], v119 offset:144
	s_wait_dscnt 0x0
	v_pk_mul_f32 v[122:123], v[116:117], v[120:121] op_sel:[1,1] op_sel_hi:[0,1]
	v_pk_fma_f32 v[124:125], v[116:117], v[120:121], v[122:123] op_sel_hi:[1,0,1]
	v_pk_fma_f32 v[116:117], v[116:117], v[120:121], v[122:123] neg_lo:[0,0,1] neg_hi:[0,0,1]
	s_delay_alu instid0(VALU_DEP_2)
	v_mov_b32_e32 v117, v125
	scratch_store_b64 off, v[116:117], off offset:144
.LBB119_730:
	s_wait_xcnt 0x0
	s_or_b32 exec_lo, exec_lo, s0
	scratch_load_b64 v[116:117], off, off offset:152
	s_mov_b32 s0, exec_lo
	s_wait_loadcnt 0x0
	ds_store_b64 v1, v[116:117]
	s_wait_storecnt_dscnt 0x0
	s_barrier_signal -1
	s_barrier_wait -1
	s_wait_xcnt 0x0
	v_cmpx_gt_u32_e32 19, v0
	s_cbranch_execz .LBB119_740
; %bb.731:
	v_cmp_ne_u32_e32 vcc_lo, 1, v118
	s_cbranch_vccnz .LBB119_733
; %bb.732:
	scratch_load_b64 v[116:117], v59, off
	ds_load_b64 v[120:121], v1
	s_wait_loadcnt_dscnt 0x0
	v_pk_mul_f32 v[122:123], v[120:121], v[116:117] op_sel:[1,1] op_sel_hi:[0,1]
	s_delay_alu instid0(VALU_DEP_1) | instskip(SKIP_1) | instid1(VALU_DEP_2)
	v_pk_fma_f32 v[124:125], v[120:121], v[116:117], v[122:123] op_sel_hi:[1,0,1]
	v_pk_fma_f32 v[116:117], v[120:121], v[116:117], v[122:123] neg_lo:[0,0,1] neg_hi:[0,0,1]
	v_mov_b32_e32 v117, v125
	s_cbranch_execz .LBB119_734
	s_branch .LBB119_735
.LBB119_733:
                                        ; implicit-def: $vgpr116_vgpr117
.LBB119_734:
	ds_load_b64 v[116:117], v1
.LBB119_735:
	s_mov_b32 s2, exec_lo
	v_cmpx_ne_u32_e32 18, v0
	s_cbranch_execz .LBB119_739
; %bb.736:
	v_add_nc_u32_e32 v119, 0x1c8, v58
	v_add3_u32 v120, 0, v58, 8
	v_mov_b32_e32 v121, v0
	s_mov_b32 s3, 0
.LBB119_737:                            ; =>This Inner Loop Header: Depth=1
	scratch_load_b64 v[122:123], v120, off
	ds_load_b64 v[124:125], v119
	s_wait_xcnt 0x0
	v_dual_add_nc_u32 v119, 8, v119 :: v_dual_add_nc_u32 v120, 8, v120
	s_wait_loadcnt_dscnt 0x0
	v_pk_mul_f32 v[126:127], v[124:125], v[122:123] op_sel:[1,1] op_sel_hi:[0,1]
	s_delay_alu instid0(VALU_DEP_1) | instskip(SKIP_2) | instid1(VALU_DEP_3)
	v_pk_fma_f32 v[128:129], v[124:125], v[122:123], v[126:127] op_sel_hi:[1,0,1]
	v_add_nc_u32_e32 v121, 1, v121
	v_pk_fma_f32 v[122:123], v[124:125], v[122:123], v[126:127] neg_lo:[0,0,1] neg_hi:[0,0,1]
	v_mov_b32_e32 v123, v129
	s_delay_alu instid0(VALU_DEP_3) | instskip(NEXT) | instid1(VALU_DEP_2)
	v_cmp_lt_u32_e32 vcc_lo, 17, v121
	v_pk_add_f32 v[116:117], v[116:117], v[122:123]
	s_or_b32 s3, vcc_lo, s3
	s_delay_alu instid0(SALU_CYCLE_1)
	s_and_not1_b32 exec_lo, exec_lo, s3
	s_cbranch_execnz .LBB119_737
; %bb.738:
	s_or_b32 exec_lo, exec_lo, s3
.LBB119_739:
	s_delay_alu instid0(SALU_CYCLE_1) | instskip(SKIP_4) | instid1(VALU_DEP_1)
	s_or_b32 exec_lo, exec_lo, s2
	v_mov_b32_e32 v119, 0
	ds_load_b64 v[120:121], v119 offset:152
	s_wait_dscnt 0x0
	v_pk_mul_f32 v[122:123], v[116:117], v[120:121] op_sel:[1,1] op_sel_hi:[0,1]
	v_pk_fma_f32 v[124:125], v[116:117], v[120:121], v[122:123] op_sel_hi:[1,0,1]
	v_pk_fma_f32 v[116:117], v[116:117], v[120:121], v[122:123] neg_lo:[0,0,1] neg_hi:[0,0,1]
	s_delay_alu instid0(VALU_DEP_2)
	v_mov_b32_e32 v117, v125
	scratch_store_b64 off, v[116:117], off offset:152
.LBB119_740:
	s_wait_xcnt 0x0
	s_or_b32 exec_lo, exec_lo, s0
	scratch_load_b64 v[116:117], off, off offset:160
	s_mov_b32 s0, exec_lo
	s_wait_loadcnt 0x0
	ds_store_b64 v1, v[116:117]
	s_wait_storecnt_dscnt 0x0
	s_barrier_signal -1
	s_barrier_wait -1
	s_wait_xcnt 0x0
	v_cmpx_gt_u32_e32 20, v0
	s_cbranch_execz .LBB119_750
; %bb.741:
	v_cmp_ne_u32_e32 vcc_lo, 1, v118
	s_cbranch_vccnz .LBB119_743
; %bb.742:
	scratch_load_b64 v[116:117], v59, off
	ds_load_b64 v[120:121], v1
	s_wait_loadcnt_dscnt 0x0
	v_pk_mul_f32 v[122:123], v[120:121], v[116:117] op_sel:[1,1] op_sel_hi:[0,1]
	s_delay_alu instid0(VALU_DEP_1) | instskip(SKIP_1) | instid1(VALU_DEP_2)
	v_pk_fma_f32 v[124:125], v[120:121], v[116:117], v[122:123] op_sel_hi:[1,0,1]
	v_pk_fma_f32 v[116:117], v[120:121], v[116:117], v[122:123] neg_lo:[0,0,1] neg_hi:[0,0,1]
	v_mov_b32_e32 v117, v125
	s_cbranch_execz .LBB119_744
	s_branch .LBB119_745
.LBB119_743:
                                        ; implicit-def: $vgpr116_vgpr117
.LBB119_744:
	ds_load_b64 v[116:117], v1
.LBB119_745:
	s_mov_b32 s2, exec_lo
	v_cmpx_ne_u32_e32 19, v0
	s_cbranch_execz .LBB119_749
; %bb.746:
	v_add_nc_u32_e32 v119, 0x1c8, v58
	v_add3_u32 v120, 0, v58, 8
	v_mov_b32_e32 v121, v0
	s_mov_b32 s3, 0
.LBB119_747:                            ; =>This Inner Loop Header: Depth=1
	scratch_load_b64 v[122:123], v120, off
	ds_load_b64 v[124:125], v119
	s_wait_xcnt 0x0
	v_dual_add_nc_u32 v119, 8, v119 :: v_dual_add_nc_u32 v120, 8, v120
	s_wait_loadcnt_dscnt 0x0
	v_pk_mul_f32 v[126:127], v[124:125], v[122:123] op_sel:[1,1] op_sel_hi:[0,1]
	s_delay_alu instid0(VALU_DEP_1) | instskip(SKIP_2) | instid1(VALU_DEP_3)
	v_pk_fma_f32 v[128:129], v[124:125], v[122:123], v[126:127] op_sel_hi:[1,0,1]
	v_add_nc_u32_e32 v121, 1, v121
	v_pk_fma_f32 v[122:123], v[124:125], v[122:123], v[126:127] neg_lo:[0,0,1] neg_hi:[0,0,1]
	v_mov_b32_e32 v123, v129
	s_delay_alu instid0(VALU_DEP_3) | instskip(NEXT) | instid1(VALU_DEP_2)
	v_cmp_lt_u32_e32 vcc_lo, 18, v121
	v_pk_add_f32 v[116:117], v[116:117], v[122:123]
	s_or_b32 s3, vcc_lo, s3
	s_delay_alu instid0(SALU_CYCLE_1)
	s_and_not1_b32 exec_lo, exec_lo, s3
	s_cbranch_execnz .LBB119_747
; %bb.748:
	s_or_b32 exec_lo, exec_lo, s3
.LBB119_749:
	s_delay_alu instid0(SALU_CYCLE_1) | instskip(SKIP_4) | instid1(VALU_DEP_1)
	s_or_b32 exec_lo, exec_lo, s2
	v_mov_b32_e32 v119, 0
	ds_load_b64 v[120:121], v119 offset:160
	s_wait_dscnt 0x0
	v_pk_mul_f32 v[122:123], v[116:117], v[120:121] op_sel:[1,1] op_sel_hi:[0,1]
	v_pk_fma_f32 v[124:125], v[116:117], v[120:121], v[122:123] op_sel_hi:[1,0,1]
	v_pk_fma_f32 v[116:117], v[116:117], v[120:121], v[122:123] neg_lo:[0,0,1] neg_hi:[0,0,1]
	s_delay_alu instid0(VALU_DEP_2)
	v_mov_b32_e32 v117, v125
	scratch_store_b64 off, v[116:117], off offset:160
.LBB119_750:
	s_wait_xcnt 0x0
	s_or_b32 exec_lo, exec_lo, s0
	scratch_load_b64 v[116:117], off, off offset:168
	s_mov_b32 s0, exec_lo
	s_wait_loadcnt 0x0
	ds_store_b64 v1, v[116:117]
	s_wait_storecnt_dscnt 0x0
	s_barrier_signal -1
	s_barrier_wait -1
	s_wait_xcnt 0x0
	v_cmpx_gt_u32_e32 21, v0
	s_cbranch_execz .LBB119_760
; %bb.751:
	v_cmp_ne_u32_e32 vcc_lo, 1, v118
	s_cbranch_vccnz .LBB119_753
; %bb.752:
	scratch_load_b64 v[116:117], v59, off
	ds_load_b64 v[120:121], v1
	s_wait_loadcnt_dscnt 0x0
	v_pk_mul_f32 v[122:123], v[120:121], v[116:117] op_sel:[1,1] op_sel_hi:[0,1]
	s_delay_alu instid0(VALU_DEP_1) | instskip(SKIP_1) | instid1(VALU_DEP_2)
	v_pk_fma_f32 v[124:125], v[120:121], v[116:117], v[122:123] op_sel_hi:[1,0,1]
	v_pk_fma_f32 v[116:117], v[120:121], v[116:117], v[122:123] neg_lo:[0,0,1] neg_hi:[0,0,1]
	v_mov_b32_e32 v117, v125
	s_cbranch_execz .LBB119_754
	s_branch .LBB119_755
.LBB119_753:
                                        ; implicit-def: $vgpr116_vgpr117
.LBB119_754:
	ds_load_b64 v[116:117], v1
.LBB119_755:
	s_mov_b32 s2, exec_lo
	v_cmpx_ne_u32_e32 20, v0
	s_cbranch_execz .LBB119_759
; %bb.756:
	v_add_nc_u32_e32 v119, 0x1c8, v58
	v_add3_u32 v120, 0, v58, 8
	v_mov_b32_e32 v121, v0
	s_mov_b32 s3, 0
.LBB119_757:                            ; =>This Inner Loop Header: Depth=1
	scratch_load_b64 v[122:123], v120, off
	ds_load_b64 v[124:125], v119
	s_wait_xcnt 0x0
	v_dual_add_nc_u32 v119, 8, v119 :: v_dual_add_nc_u32 v120, 8, v120
	s_wait_loadcnt_dscnt 0x0
	v_pk_mul_f32 v[126:127], v[124:125], v[122:123] op_sel:[1,1] op_sel_hi:[0,1]
	s_delay_alu instid0(VALU_DEP_1) | instskip(SKIP_2) | instid1(VALU_DEP_3)
	v_pk_fma_f32 v[128:129], v[124:125], v[122:123], v[126:127] op_sel_hi:[1,0,1]
	v_add_nc_u32_e32 v121, 1, v121
	v_pk_fma_f32 v[122:123], v[124:125], v[122:123], v[126:127] neg_lo:[0,0,1] neg_hi:[0,0,1]
	v_mov_b32_e32 v123, v129
	s_delay_alu instid0(VALU_DEP_3) | instskip(NEXT) | instid1(VALU_DEP_2)
	v_cmp_lt_u32_e32 vcc_lo, 19, v121
	v_pk_add_f32 v[116:117], v[116:117], v[122:123]
	s_or_b32 s3, vcc_lo, s3
	s_delay_alu instid0(SALU_CYCLE_1)
	s_and_not1_b32 exec_lo, exec_lo, s3
	s_cbranch_execnz .LBB119_757
; %bb.758:
	s_or_b32 exec_lo, exec_lo, s3
.LBB119_759:
	s_delay_alu instid0(SALU_CYCLE_1) | instskip(SKIP_4) | instid1(VALU_DEP_1)
	s_or_b32 exec_lo, exec_lo, s2
	v_mov_b32_e32 v119, 0
	ds_load_b64 v[120:121], v119 offset:168
	s_wait_dscnt 0x0
	v_pk_mul_f32 v[122:123], v[116:117], v[120:121] op_sel:[1,1] op_sel_hi:[0,1]
	v_pk_fma_f32 v[124:125], v[116:117], v[120:121], v[122:123] op_sel_hi:[1,0,1]
	v_pk_fma_f32 v[116:117], v[116:117], v[120:121], v[122:123] neg_lo:[0,0,1] neg_hi:[0,0,1]
	s_delay_alu instid0(VALU_DEP_2)
	v_mov_b32_e32 v117, v125
	scratch_store_b64 off, v[116:117], off offset:168
.LBB119_760:
	s_wait_xcnt 0x0
	s_or_b32 exec_lo, exec_lo, s0
	scratch_load_b64 v[116:117], off, off offset:176
	s_mov_b32 s0, exec_lo
	s_wait_loadcnt 0x0
	ds_store_b64 v1, v[116:117]
	s_wait_storecnt_dscnt 0x0
	s_barrier_signal -1
	s_barrier_wait -1
	s_wait_xcnt 0x0
	v_cmpx_gt_u32_e32 22, v0
	s_cbranch_execz .LBB119_770
; %bb.761:
	v_cmp_ne_u32_e32 vcc_lo, 1, v118
	s_cbranch_vccnz .LBB119_763
; %bb.762:
	scratch_load_b64 v[116:117], v59, off
	ds_load_b64 v[120:121], v1
	s_wait_loadcnt_dscnt 0x0
	v_pk_mul_f32 v[122:123], v[120:121], v[116:117] op_sel:[1,1] op_sel_hi:[0,1]
	s_delay_alu instid0(VALU_DEP_1) | instskip(SKIP_1) | instid1(VALU_DEP_2)
	v_pk_fma_f32 v[124:125], v[120:121], v[116:117], v[122:123] op_sel_hi:[1,0,1]
	v_pk_fma_f32 v[116:117], v[120:121], v[116:117], v[122:123] neg_lo:[0,0,1] neg_hi:[0,0,1]
	v_mov_b32_e32 v117, v125
	s_cbranch_execz .LBB119_764
	s_branch .LBB119_765
.LBB119_763:
                                        ; implicit-def: $vgpr116_vgpr117
.LBB119_764:
	ds_load_b64 v[116:117], v1
.LBB119_765:
	s_mov_b32 s2, exec_lo
	v_cmpx_ne_u32_e32 21, v0
	s_cbranch_execz .LBB119_769
; %bb.766:
	v_add_nc_u32_e32 v119, 0x1c8, v58
	v_add3_u32 v120, 0, v58, 8
	v_mov_b32_e32 v121, v0
	s_mov_b32 s3, 0
.LBB119_767:                            ; =>This Inner Loop Header: Depth=1
	scratch_load_b64 v[122:123], v120, off
	ds_load_b64 v[124:125], v119
	s_wait_xcnt 0x0
	v_dual_add_nc_u32 v119, 8, v119 :: v_dual_add_nc_u32 v120, 8, v120
	s_wait_loadcnt_dscnt 0x0
	v_pk_mul_f32 v[126:127], v[124:125], v[122:123] op_sel:[1,1] op_sel_hi:[0,1]
	s_delay_alu instid0(VALU_DEP_1) | instskip(SKIP_2) | instid1(VALU_DEP_3)
	v_pk_fma_f32 v[128:129], v[124:125], v[122:123], v[126:127] op_sel_hi:[1,0,1]
	v_add_nc_u32_e32 v121, 1, v121
	v_pk_fma_f32 v[122:123], v[124:125], v[122:123], v[126:127] neg_lo:[0,0,1] neg_hi:[0,0,1]
	v_mov_b32_e32 v123, v129
	s_delay_alu instid0(VALU_DEP_3) | instskip(NEXT) | instid1(VALU_DEP_2)
	v_cmp_lt_u32_e32 vcc_lo, 20, v121
	v_pk_add_f32 v[116:117], v[116:117], v[122:123]
	s_or_b32 s3, vcc_lo, s3
	s_delay_alu instid0(SALU_CYCLE_1)
	s_and_not1_b32 exec_lo, exec_lo, s3
	s_cbranch_execnz .LBB119_767
; %bb.768:
	s_or_b32 exec_lo, exec_lo, s3
.LBB119_769:
	s_delay_alu instid0(SALU_CYCLE_1) | instskip(SKIP_4) | instid1(VALU_DEP_1)
	s_or_b32 exec_lo, exec_lo, s2
	v_mov_b32_e32 v119, 0
	ds_load_b64 v[120:121], v119 offset:176
	s_wait_dscnt 0x0
	v_pk_mul_f32 v[122:123], v[116:117], v[120:121] op_sel:[1,1] op_sel_hi:[0,1]
	v_pk_fma_f32 v[124:125], v[116:117], v[120:121], v[122:123] op_sel_hi:[1,0,1]
	v_pk_fma_f32 v[116:117], v[116:117], v[120:121], v[122:123] neg_lo:[0,0,1] neg_hi:[0,0,1]
	s_delay_alu instid0(VALU_DEP_2)
	v_mov_b32_e32 v117, v125
	scratch_store_b64 off, v[116:117], off offset:176
.LBB119_770:
	s_wait_xcnt 0x0
	s_or_b32 exec_lo, exec_lo, s0
	scratch_load_b64 v[116:117], off, off offset:184
	s_mov_b32 s0, exec_lo
	s_wait_loadcnt 0x0
	ds_store_b64 v1, v[116:117]
	s_wait_storecnt_dscnt 0x0
	s_barrier_signal -1
	s_barrier_wait -1
	s_wait_xcnt 0x0
	v_cmpx_gt_u32_e32 23, v0
	s_cbranch_execz .LBB119_780
; %bb.771:
	v_cmp_ne_u32_e32 vcc_lo, 1, v118
	s_cbranch_vccnz .LBB119_773
; %bb.772:
	scratch_load_b64 v[116:117], v59, off
	ds_load_b64 v[120:121], v1
	s_wait_loadcnt_dscnt 0x0
	v_pk_mul_f32 v[122:123], v[120:121], v[116:117] op_sel:[1,1] op_sel_hi:[0,1]
	s_delay_alu instid0(VALU_DEP_1) | instskip(SKIP_1) | instid1(VALU_DEP_2)
	v_pk_fma_f32 v[124:125], v[120:121], v[116:117], v[122:123] op_sel_hi:[1,0,1]
	v_pk_fma_f32 v[116:117], v[120:121], v[116:117], v[122:123] neg_lo:[0,0,1] neg_hi:[0,0,1]
	v_mov_b32_e32 v117, v125
	s_cbranch_execz .LBB119_774
	s_branch .LBB119_775
.LBB119_773:
                                        ; implicit-def: $vgpr116_vgpr117
.LBB119_774:
	ds_load_b64 v[116:117], v1
.LBB119_775:
	s_mov_b32 s2, exec_lo
	v_cmpx_ne_u32_e32 22, v0
	s_cbranch_execz .LBB119_779
; %bb.776:
	v_add_nc_u32_e32 v119, 0x1c8, v58
	v_add3_u32 v120, 0, v58, 8
	v_mov_b32_e32 v121, v0
	s_mov_b32 s3, 0
.LBB119_777:                            ; =>This Inner Loop Header: Depth=1
	scratch_load_b64 v[122:123], v120, off
	ds_load_b64 v[124:125], v119
	s_wait_xcnt 0x0
	v_dual_add_nc_u32 v119, 8, v119 :: v_dual_add_nc_u32 v120, 8, v120
	s_wait_loadcnt_dscnt 0x0
	v_pk_mul_f32 v[126:127], v[124:125], v[122:123] op_sel:[1,1] op_sel_hi:[0,1]
	s_delay_alu instid0(VALU_DEP_1) | instskip(SKIP_2) | instid1(VALU_DEP_3)
	v_pk_fma_f32 v[128:129], v[124:125], v[122:123], v[126:127] op_sel_hi:[1,0,1]
	v_add_nc_u32_e32 v121, 1, v121
	v_pk_fma_f32 v[122:123], v[124:125], v[122:123], v[126:127] neg_lo:[0,0,1] neg_hi:[0,0,1]
	v_mov_b32_e32 v123, v129
	s_delay_alu instid0(VALU_DEP_3) | instskip(NEXT) | instid1(VALU_DEP_2)
	v_cmp_lt_u32_e32 vcc_lo, 21, v121
	v_pk_add_f32 v[116:117], v[116:117], v[122:123]
	s_or_b32 s3, vcc_lo, s3
	s_delay_alu instid0(SALU_CYCLE_1)
	s_and_not1_b32 exec_lo, exec_lo, s3
	s_cbranch_execnz .LBB119_777
; %bb.778:
	s_or_b32 exec_lo, exec_lo, s3
.LBB119_779:
	s_delay_alu instid0(SALU_CYCLE_1) | instskip(SKIP_4) | instid1(VALU_DEP_1)
	s_or_b32 exec_lo, exec_lo, s2
	v_mov_b32_e32 v119, 0
	ds_load_b64 v[120:121], v119 offset:184
	s_wait_dscnt 0x0
	v_pk_mul_f32 v[122:123], v[116:117], v[120:121] op_sel:[1,1] op_sel_hi:[0,1]
	v_pk_fma_f32 v[124:125], v[116:117], v[120:121], v[122:123] op_sel_hi:[1,0,1]
	v_pk_fma_f32 v[116:117], v[116:117], v[120:121], v[122:123] neg_lo:[0,0,1] neg_hi:[0,0,1]
	s_delay_alu instid0(VALU_DEP_2)
	v_mov_b32_e32 v117, v125
	scratch_store_b64 off, v[116:117], off offset:184
.LBB119_780:
	s_wait_xcnt 0x0
	s_or_b32 exec_lo, exec_lo, s0
	scratch_load_b64 v[116:117], off, off offset:192
	s_mov_b32 s0, exec_lo
	s_wait_loadcnt 0x0
	ds_store_b64 v1, v[116:117]
	s_wait_storecnt_dscnt 0x0
	s_barrier_signal -1
	s_barrier_wait -1
	s_wait_xcnt 0x0
	v_cmpx_gt_u32_e32 24, v0
	s_cbranch_execz .LBB119_790
; %bb.781:
	v_cmp_ne_u32_e32 vcc_lo, 1, v118
	s_cbranch_vccnz .LBB119_783
; %bb.782:
	scratch_load_b64 v[116:117], v59, off
	ds_load_b64 v[120:121], v1
	s_wait_loadcnt_dscnt 0x0
	v_pk_mul_f32 v[122:123], v[120:121], v[116:117] op_sel:[1,1] op_sel_hi:[0,1]
	s_delay_alu instid0(VALU_DEP_1) | instskip(SKIP_1) | instid1(VALU_DEP_2)
	v_pk_fma_f32 v[124:125], v[120:121], v[116:117], v[122:123] op_sel_hi:[1,0,1]
	v_pk_fma_f32 v[116:117], v[120:121], v[116:117], v[122:123] neg_lo:[0,0,1] neg_hi:[0,0,1]
	v_mov_b32_e32 v117, v125
	s_cbranch_execz .LBB119_784
	s_branch .LBB119_785
.LBB119_783:
                                        ; implicit-def: $vgpr116_vgpr117
.LBB119_784:
	ds_load_b64 v[116:117], v1
.LBB119_785:
	s_mov_b32 s2, exec_lo
	v_cmpx_ne_u32_e32 23, v0
	s_cbranch_execz .LBB119_789
; %bb.786:
	v_add_nc_u32_e32 v119, 0x1c8, v58
	v_add3_u32 v120, 0, v58, 8
	v_mov_b32_e32 v121, v0
	s_mov_b32 s3, 0
.LBB119_787:                            ; =>This Inner Loop Header: Depth=1
	scratch_load_b64 v[122:123], v120, off
	ds_load_b64 v[124:125], v119
	s_wait_xcnt 0x0
	v_dual_add_nc_u32 v119, 8, v119 :: v_dual_add_nc_u32 v120, 8, v120
	s_wait_loadcnt_dscnt 0x0
	v_pk_mul_f32 v[126:127], v[124:125], v[122:123] op_sel:[1,1] op_sel_hi:[0,1]
	s_delay_alu instid0(VALU_DEP_1) | instskip(SKIP_2) | instid1(VALU_DEP_3)
	v_pk_fma_f32 v[128:129], v[124:125], v[122:123], v[126:127] op_sel_hi:[1,0,1]
	v_add_nc_u32_e32 v121, 1, v121
	v_pk_fma_f32 v[122:123], v[124:125], v[122:123], v[126:127] neg_lo:[0,0,1] neg_hi:[0,0,1]
	v_mov_b32_e32 v123, v129
	s_delay_alu instid0(VALU_DEP_3) | instskip(NEXT) | instid1(VALU_DEP_2)
	v_cmp_lt_u32_e32 vcc_lo, 22, v121
	v_pk_add_f32 v[116:117], v[116:117], v[122:123]
	s_or_b32 s3, vcc_lo, s3
	s_delay_alu instid0(SALU_CYCLE_1)
	s_and_not1_b32 exec_lo, exec_lo, s3
	s_cbranch_execnz .LBB119_787
; %bb.788:
	s_or_b32 exec_lo, exec_lo, s3
.LBB119_789:
	s_delay_alu instid0(SALU_CYCLE_1) | instskip(SKIP_4) | instid1(VALU_DEP_1)
	s_or_b32 exec_lo, exec_lo, s2
	v_mov_b32_e32 v119, 0
	ds_load_b64 v[120:121], v119 offset:192
	s_wait_dscnt 0x0
	v_pk_mul_f32 v[122:123], v[116:117], v[120:121] op_sel:[1,1] op_sel_hi:[0,1]
	v_pk_fma_f32 v[124:125], v[116:117], v[120:121], v[122:123] op_sel_hi:[1,0,1]
	v_pk_fma_f32 v[116:117], v[116:117], v[120:121], v[122:123] neg_lo:[0,0,1] neg_hi:[0,0,1]
	s_delay_alu instid0(VALU_DEP_2)
	v_mov_b32_e32 v117, v125
	scratch_store_b64 off, v[116:117], off offset:192
.LBB119_790:
	s_wait_xcnt 0x0
	s_or_b32 exec_lo, exec_lo, s0
	scratch_load_b64 v[116:117], off, off offset:200
	s_mov_b32 s0, exec_lo
	s_wait_loadcnt 0x0
	ds_store_b64 v1, v[116:117]
	s_wait_storecnt_dscnt 0x0
	s_barrier_signal -1
	s_barrier_wait -1
	s_wait_xcnt 0x0
	v_cmpx_gt_u32_e32 25, v0
	s_cbranch_execz .LBB119_800
; %bb.791:
	v_cmp_ne_u32_e32 vcc_lo, 1, v118
	s_cbranch_vccnz .LBB119_793
; %bb.792:
	scratch_load_b64 v[116:117], v59, off
	ds_load_b64 v[120:121], v1
	s_wait_loadcnt_dscnt 0x0
	v_pk_mul_f32 v[122:123], v[120:121], v[116:117] op_sel:[1,1] op_sel_hi:[0,1]
	s_delay_alu instid0(VALU_DEP_1) | instskip(SKIP_1) | instid1(VALU_DEP_2)
	v_pk_fma_f32 v[124:125], v[120:121], v[116:117], v[122:123] op_sel_hi:[1,0,1]
	v_pk_fma_f32 v[116:117], v[120:121], v[116:117], v[122:123] neg_lo:[0,0,1] neg_hi:[0,0,1]
	v_mov_b32_e32 v117, v125
	s_cbranch_execz .LBB119_794
	s_branch .LBB119_795
.LBB119_793:
                                        ; implicit-def: $vgpr116_vgpr117
.LBB119_794:
	ds_load_b64 v[116:117], v1
.LBB119_795:
	s_mov_b32 s2, exec_lo
	v_cmpx_ne_u32_e32 24, v0
	s_cbranch_execz .LBB119_799
; %bb.796:
	v_add_nc_u32_e32 v119, 0x1c8, v58
	v_add3_u32 v120, 0, v58, 8
	v_mov_b32_e32 v121, v0
	s_mov_b32 s3, 0
.LBB119_797:                            ; =>This Inner Loop Header: Depth=1
	scratch_load_b64 v[122:123], v120, off
	ds_load_b64 v[124:125], v119
	s_wait_xcnt 0x0
	v_dual_add_nc_u32 v119, 8, v119 :: v_dual_add_nc_u32 v120, 8, v120
	s_wait_loadcnt_dscnt 0x0
	v_pk_mul_f32 v[126:127], v[124:125], v[122:123] op_sel:[1,1] op_sel_hi:[0,1]
	s_delay_alu instid0(VALU_DEP_1) | instskip(SKIP_2) | instid1(VALU_DEP_3)
	v_pk_fma_f32 v[128:129], v[124:125], v[122:123], v[126:127] op_sel_hi:[1,0,1]
	v_add_nc_u32_e32 v121, 1, v121
	v_pk_fma_f32 v[122:123], v[124:125], v[122:123], v[126:127] neg_lo:[0,0,1] neg_hi:[0,0,1]
	v_mov_b32_e32 v123, v129
	s_delay_alu instid0(VALU_DEP_3) | instskip(NEXT) | instid1(VALU_DEP_2)
	v_cmp_lt_u32_e32 vcc_lo, 23, v121
	v_pk_add_f32 v[116:117], v[116:117], v[122:123]
	s_or_b32 s3, vcc_lo, s3
	s_delay_alu instid0(SALU_CYCLE_1)
	s_and_not1_b32 exec_lo, exec_lo, s3
	s_cbranch_execnz .LBB119_797
; %bb.798:
	s_or_b32 exec_lo, exec_lo, s3
.LBB119_799:
	s_delay_alu instid0(SALU_CYCLE_1) | instskip(SKIP_4) | instid1(VALU_DEP_1)
	s_or_b32 exec_lo, exec_lo, s2
	v_mov_b32_e32 v119, 0
	ds_load_b64 v[120:121], v119 offset:200
	s_wait_dscnt 0x0
	v_pk_mul_f32 v[122:123], v[116:117], v[120:121] op_sel:[1,1] op_sel_hi:[0,1]
	v_pk_fma_f32 v[124:125], v[116:117], v[120:121], v[122:123] op_sel_hi:[1,0,1]
	v_pk_fma_f32 v[116:117], v[116:117], v[120:121], v[122:123] neg_lo:[0,0,1] neg_hi:[0,0,1]
	s_delay_alu instid0(VALU_DEP_2)
	v_mov_b32_e32 v117, v125
	scratch_store_b64 off, v[116:117], off offset:200
.LBB119_800:
	s_wait_xcnt 0x0
	s_or_b32 exec_lo, exec_lo, s0
	scratch_load_b64 v[116:117], off, off offset:208
	s_mov_b32 s0, exec_lo
	s_wait_loadcnt 0x0
	ds_store_b64 v1, v[116:117]
	s_wait_storecnt_dscnt 0x0
	s_barrier_signal -1
	s_barrier_wait -1
	s_wait_xcnt 0x0
	v_cmpx_gt_u32_e32 26, v0
	s_cbranch_execz .LBB119_810
; %bb.801:
	v_cmp_ne_u32_e32 vcc_lo, 1, v118
	s_cbranch_vccnz .LBB119_803
; %bb.802:
	scratch_load_b64 v[116:117], v59, off
	ds_load_b64 v[120:121], v1
	s_wait_loadcnt_dscnt 0x0
	v_pk_mul_f32 v[122:123], v[120:121], v[116:117] op_sel:[1,1] op_sel_hi:[0,1]
	s_delay_alu instid0(VALU_DEP_1) | instskip(SKIP_1) | instid1(VALU_DEP_2)
	v_pk_fma_f32 v[124:125], v[120:121], v[116:117], v[122:123] op_sel_hi:[1,0,1]
	v_pk_fma_f32 v[116:117], v[120:121], v[116:117], v[122:123] neg_lo:[0,0,1] neg_hi:[0,0,1]
	v_mov_b32_e32 v117, v125
	s_cbranch_execz .LBB119_804
	s_branch .LBB119_805
.LBB119_803:
                                        ; implicit-def: $vgpr116_vgpr117
.LBB119_804:
	ds_load_b64 v[116:117], v1
.LBB119_805:
	s_mov_b32 s2, exec_lo
	v_cmpx_ne_u32_e32 25, v0
	s_cbranch_execz .LBB119_809
; %bb.806:
	v_add_nc_u32_e32 v119, 0x1c8, v58
	v_add3_u32 v120, 0, v58, 8
	v_mov_b32_e32 v121, v0
	s_mov_b32 s3, 0
.LBB119_807:                            ; =>This Inner Loop Header: Depth=1
	scratch_load_b64 v[122:123], v120, off
	ds_load_b64 v[124:125], v119
	s_wait_xcnt 0x0
	v_dual_add_nc_u32 v119, 8, v119 :: v_dual_add_nc_u32 v120, 8, v120
	s_wait_loadcnt_dscnt 0x0
	v_pk_mul_f32 v[126:127], v[124:125], v[122:123] op_sel:[1,1] op_sel_hi:[0,1]
	s_delay_alu instid0(VALU_DEP_1) | instskip(SKIP_2) | instid1(VALU_DEP_3)
	v_pk_fma_f32 v[128:129], v[124:125], v[122:123], v[126:127] op_sel_hi:[1,0,1]
	v_add_nc_u32_e32 v121, 1, v121
	v_pk_fma_f32 v[122:123], v[124:125], v[122:123], v[126:127] neg_lo:[0,0,1] neg_hi:[0,0,1]
	v_mov_b32_e32 v123, v129
	s_delay_alu instid0(VALU_DEP_3) | instskip(NEXT) | instid1(VALU_DEP_2)
	v_cmp_lt_u32_e32 vcc_lo, 24, v121
	v_pk_add_f32 v[116:117], v[116:117], v[122:123]
	s_or_b32 s3, vcc_lo, s3
	s_delay_alu instid0(SALU_CYCLE_1)
	s_and_not1_b32 exec_lo, exec_lo, s3
	s_cbranch_execnz .LBB119_807
; %bb.808:
	s_or_b32 exec_lo, exec_lo, s3
.LBB119_809:
	s_delay_alu instid0(SALU_CYCLE_1) | instskip(SKIP_4) | instid1(VALU_DEP_1)
	s_or_b32 exec_lo, exec_lo, s2
	v_mov_b32_e32 v119, 0
	ds_load_b64 v[120:121], v119 offset:208
	s_wait_dscnt 0x0
	v_pk_mul_f32 v[122:123], v[116:117], v[120:121] op_sel:[1,1] op_sel_hi:[0,1]
	v_pk_fma_f32 v[124:125], v[116:117], v[120:121], v[122:123] op_sel_hi:[1,0,1]
	v_pk_fma_f32 v[116:117], v[116:117], v[120:121], v[122:123] neg_lo:[0,0,1] neg_hi:[0,0,1]
	s_delay_alu instid0(VALU_DEP_2)
	v_mov_b32_e32 v117, v125
	scratch_store_b64 off, v[116:117], off offset:208
.LBB119_810:
	s_wait_xcnt 0x0
	s_or_b32 exec_lo, exec_lo, s0
	scratch_load_b64 v[116:117], off, off offset:216
	s_mov_b32 s0, exec_lo
	s_wait_loadcnt 0x0
	ds_store_b64 v1, v[116:117]
	s_wait_storecnt_dscnt 0x0
	s_barrier_signal -1
	s_barrier_wait -1
	s_wait_xcnt 0x0
	v_cmpx_gt_u32_e32 27, v0
	s_cbranch_execz .LBB119_820
; %bb.811:
	v_cmp_ne_u32_e32 vcc_lo, 1, v118
	s_cbranch_vccnz .LBB119_813
; %bb.812:
	scratch_load_b64 v[116:117], v59, off
	ds_load_b64 v[120:121], v1
	s_wait_loadcnt_dscnt 0x0
	v_pk_mul_f32 v[122:123], v[120:121], v[116:117] op_sel:[1,1] op_sel_hi:[0,1]
	s_delay_alu instid0(VALU_DEP_1) | instskip(SKIP_1) | instid1(VALU_DEP_2)
	v_pk_fma_f32 v[124:125], v[120:121], v[116:117], v[122:123] op_sel_hi:[1,0,1]
	v_pk_fma_f32 v[116:117], v[120:121], v[116:117], v[122:123] neg_lo:[0,0,1] neg_hi:[0,0,1]
	v_mov_b32_e32 v117, v125
	s_cbranch_execz .LBB119_814
	s_branch .LBB119_815
.LBB119_813:
                                        ; implicit-def: $vgpr116_vgpr117
.LBB119_814:
	ds_load_b64 v[116:117], v1
.LBB119_815:
	s_mov_b32 s2, exec_lo
	v_cmpx_ne_u32_e32 26, v0
	s_cbranch_execz .LBB119_819
; %bb.816:
	v_add_nc_u32_e32 v119, 0x1c8, v58
	v_add3_u32 v120, 0, v58, 8
	v_mov_b32_e32 v121, v0
	s_mov_b32 s3, 0
.LBB119_817:                            ; =>This Inner Loop Header: Depth=1
	scratch_load_b64 v[122:123], v120, off
	ds_load_b64 v[124:125], v119
	s_wait_xcnt 0x0
	v_dual_add_nc_u32 v119, 8, v119 :: v_dual_add_nc_u32 v120, 8, v120
	s_wait_loadcnt_dscnt 0x0
	v_pk_mul_f32 v[126:127], v[124:125], v[122:123] op_sel:[1,1] op_sel_hi:[0,1]
	s_delay_alu instid0(VALU_DEP_1) | instskip(SKIP_2) | instid1(VALU_DEP_3)
	v_pk_fma_f32 v[128:129], v[124:125], v[122:123], v[126:127] op_sel_hi:[1,0,1]
	v_add_nc_u32_e32 v121, 1, v121
	v_pk_fma_f32 v[122:123], v[124:125], v[122:123], v[126:127] neg_lo:[0,0,1] neg_hi:[0,0,1]
	v_mov_b32_e32 v123, v129
	s_delay_alu instid0(VALU_DEP_3) | instskip(NEXT) | instid1(VALU_DEP_2)
	v_cmp_lt_u32_e32 vcc_lo, 25, v121
	v_pk_add_f32 v[116:117], v[116:117], v[122:123]
	s_or_b32 s3, vcc_lo, s3
	s_delay_alu instid0(SALU_CYCLE_1)
	s_and_not1_b32 exec_lo, exec_lo, s3
	s_cbranch_execnz .LBB119_817
; %bb.818:
	s_or_b32 exec_lo, exec_lo, s3
.LBB119_819:
	s_delay_alu instid0(SALU_CYCLE_1) | instskip(SKIP_4) | instid1(VALU_DEP_1)
	s_or_b32 exec_lo, exec_lo, s2
	v_mov_b32_e32 v119, 0
	ds_load_b64 v[120:121], v119 offset:216
	s_wait_dscnt 0x0
	v_pk_mul_f32 v[122:123], v[116:117], v[120:121] op_sel:[1,1] op_sel_hi:[0,1]
	v_pk_fma_f32 v[124:125], v[116:117], v[120:121], v[122:123] op_sel_hi:[1,0,1]
	v_pk_fma_f32 v[116:117], v[116:117], v[120:121], v[122:123] neg_lo:[0,0,1] neg_hi:[0,0,1]
	s_delay_alu instid0(VALU_DEP_2)
	v_mov_b32_e32 v117, v125
	scratch_store_b64 off, v[116:117], off offset:216
.LBB119_820:
	s_wait_xcnt 0x0
	s_or_b32 exec_lo, exec_lo, s0
	scratch_load_b64 v[116:117], off, off offset:224
	s_mov_b32 s0, exec_lo
	s_wait_loadcnt 0x0
	ds_store_b64 v1, v[116:117]
	s_wait_storecnt_dscnt 0x0
	s_barrier_signal -1
	s_barrier_wait -1
	s_wait_xcnt 0x0
	v_cmpx_gt_u32_e32 28, v0
	s_cbranch_execz .LBB119_830
; %bb.821:
	v_cmp_ne_u32_e32 vcc_lo, 1, v118
	s_cbranch_vccnz .LBB119_823
; %bb.822:
	scratch_load_b64 v[116:117], v59, off
	ds_load_b64 v[120:121], v1
	s_wait_loadcnt_dscnt 0x0
	v_pk_mul_f32 v[122:123], v[120:121], v[116:117] op_sel:[1,1] op_sel_hi:[0,1]
	s_delay_alu instid0(VALU_DEP_1) | instskip(SKIP_1) | instid1(VALU_DEP_2)
	v_pk_fma_f32 v[124:125], v[120:121], v[116:117], v[122:123] op_sel_hi:[1,0,1]
	v_pk_fma_f32 v[116:117], v[120:121], v[116:117], v[122:123] neg_lo:[0,0,1] neg_hi:[0,0,1]
	v_mov_b32_e32 v117, v125
	s_cbranch_execz .LBB119_824
	s_branch .LBB119_825
.LBB119_823:
                                        ; implicit-def: $vgpr116_vgpr117
.LBB119_824:
	ds_load_b64 v[116:117], v1
.LBB119_825:
	s_mov_b32 s2, exec_lo
	v_cmpx_ne_u32_e32 27, v0
	s_cbranch_execz .LBB119_829
; %bb.826:
	v_add_nc_u32_e32 v119, 0x1c8, v58
	v_add3_u32 v120, 0, v58, 8
	v_mov_b32_e32 v121, v0
	s_mov_b32 s3, 0
.LBB119_827:                            ; =>This Inner Loop Header: Depth=1
	scratch_load_b64 v[122:123], v120, off
	ds_load_b64 v[124:125], v119
	s_wait_xcnt 0x0
	v_dual_add_nc_u32 v119, 8, v119 :: v_dual_add_nc_u32 v120, 8, v120
	s_wait_loadcnt_dscnt 0x0
	v_pk_mul_f32 v[126:127], v[124:125], v[122:123] op_sel:[1,1] op_sel_hi:[0,1]
	s_delay_alu instid0(VALU_DEP_1) | instskip(SKIP_2) | instid1(VALU_DEP_3)
	v_pk_fma_f32 v[128:129], v[124:125], v[122:123], v[126:127] op_sel_hi:[1,0,1]
	v_add_nc_u32_e32 v121, 1, v121
	v_pk_fma_f32 v[122:123], v[124:125], v[122:123], v[126:127] neg_lo:[0,0,1] neg_hi:[0,0,1]
	v_mov_b32_e32 v123, v129
	s_delay_alu instid0(VALU_DEP_3) | instskip(NEXT) | instid1(VALU_DEP_2)
	v_cmp_lt_u32_e32 vcc_lo, 26, v121
	v_pk_add_f32 v[116:117], v[116:117], v[122:123]
	s_or_b32 s3, vcc_lo, s3
	s_delay_alu instid0(SALU_CYCLE_1)
	s_and_not1_b32 exec_lo, exec_lo, s3
	s_cbranch_execnz .LBB119_827
; %bb.828:
	s_or_b32 exec_lo, exec_lo, s3
.LBB119_829:
	s_delay_alu instid0(SALU_CYCLE_1) | instskip(SKIP_4) | instid1(VALU_DEP_1)
	s_or_b32 exec_lo, exec_lo, s2
	v_mov_b32_e32 v119, 0
	ds_load_b64 v[120:121], v119 offset:224
	s_wait_dscnt 0x0
	v_pk_mul_f32 v[122:123], v[116:117], v[120:121] op_sel:[1,1] op_sel_hi:[0,1]
	v_pk_fma_f32 v[124:125], v[116:117], v[120:121], v[122:123] op_sel_hi:[1,0,1]
	v_pk_fma_f32 v[116:117], v[116:117], v[120:121], v[122:123] neg_lo:[0,0,1] neg_hi:[0,0,1]
	s_delay_alu instid0(VALU_DEP_2)
	v_mov_b32_e32 v117, v125
	scratch_store_b64 off, v[116:117], off offset:224
.LBB119_830:
	s_wait_xcnt 0x0
	s_or_b32 exec_lo, exec_lo, s0
	scratch_load_b64 v[116:117], off, off offset:232
	s_mov_b32 s0, exec_lo
	s_wait_loadcnt 0x0
	ds_store_b64 v1, v[116:117]
	s_wait_storecnt_dscnt 0x0
	s_barrier_signal -1
	s_barrier_wait -1
	s_wait_xcnt 0x0
	v_cmpx_gt_u32_e32 29, v0
	s_cbranch_execz .LBB119_840
; %bb.831:
	v_cmp_ne_u32_e32 vcc_lo, 1, v118
	s_cbranch_vccnz .LBB119_833
; %bb.832:
	scratch_load_b64 v[116:117], v59, off
	ds_load_b64 v[120:121], v1
	s_wait_loadcnt_dscnt 0x0
	v_pk_mul_f32 v[122:123], v[120:121], v[116:117] op_sel:[1,1] op_sel_hi:[0,1]
	s_delay_alu instid0(VALU_DEP_1) | instskip(SKIP_1) | instid1(VALU_DEP_2)
	v_pk_fma_f32 v[124:125], v[120:121], v[116:117], v[122:123] op_sel_hi:[1,0,1]
	v_pk_fma_f32 v[116:117], v[120:121], v[116:117], v[122:123] neg_lo:[0,0,1] neg_hi:[0,0,1]
	v_mov_b32_e32 v117, v125
	s_cbranch_execz .LBB119_834
	s_branch .LBB119_835
.LBB119_833:
                                        ; implicit-def: $vgpr116_vgpr117
.LBB119_834:
	ds_load_b64 v[116:117], v1
.LBB119_835:
	s_mov_b32 s2, exec_lo
	v_cmpx_ne_u32_e32 28, v0
	s_cbranch_execz .LBB119_839
; %bb.836:
	v_add_nc_u32_e32 v119, 0x1c8, v58
	v_add3_u32 v120, 0, v58, 8
	v_mov_b32_e32 v121, v0
	s_mov_b32 s3, 0
.LBB119_837:                            ; =>This Inner Loop Header: Depth=1
	scratch_load_b64 v[122:123], v120, off
	ds_load_b64 v[124:125], v119
	s_wait_xcnt 0x0
	v_dual_add_nc_u32 v119, 8, v119 :: v_dual_add_nc_u32 v120, 8, v120
	s_wait_loadcnt_dscnt 0x0
	v_pk_mul_f32 v[126:127], v[124:125], v[122:123] op_sel:[1,1] op_sel_hi:[0,1]
	s_delay_alu instid0(VALU_DEP_1) | instskip(SKIP_2) | instid1(VALU_DEP_3)
	v_pk_fma_f32 v[128:129], v[124:125], v[122:123], v[126:127] op_sel_hi:[1,0,1]
	v_add_nc_u32_e32 v121, 1, v121
	v_pk_fma_f32 v[122:123], v[124:125], v[122:123], v[126:127] neg_lo:[0,0,1] neg_hi:[0,0,1]
	v_mov_b32_e32 v123, v129
	s_delay_alu instid0(VALU_DEP_3) | instskip(NEXT) | instid1(VALU_DEP_2)
	v_cmp_lt_u32_e32 vcc_lo, 27, v121
	v_pk_add_f32 v[116:117], v[116:117], v[122:123]
	s_or_b32 s3, vcc_lo, s3
	s_delay_alu instid0(SALU_CYCLE_1)
	s_and_not1_b32 exec_lo, exec_lo, s3
	s_cbranch_execnz .LBB119_837
; %bb.838:
	s_or_b32 exec_lo, exec_lo, s3
.LBB119_839:
	s_delay_alu instid0(SALU_CYCLE_1) | instskip(SKIP_4) | instid1(VALU_DEP_1)
	s_or_b32 exec_lo, exec_lo, s2
	v_mov_b32_e32 v119, 0
	ds_load_b64 v[120:121], v119 offset:232
	s_wait_dscnt 0x0
	v_pk_mul_f32 v[122:123], v[116:117], v[120:121] op_sel:[1,1] op_sel_hi:[0,1]
	v_pk_fma_f32 v[124:125], v[116:117], v[120:121], v[122:123] op_sel_hi:[1,0,1]
	v_pk_fma_f32 v[116:117], v[116:117], v[120:121], v[122:123] neg_lo:[0,0,1] neg_hi:[0,0,1]
	s_delay_alu instid0(VALU_DEP_2)
	v_mov_b32_e32 v117, v125
	scratch_store_b64 off, v[116:117], off offset:232
.LBB119_840:
	s_wait_xcnt 0x0
	s_or_b32 exec_lo, exec_lo, s0
	scratch_load_b64 v[116:117], off, off offset:240
	s_mov_b32 s0, exec_lo
	s_wait_loadcnt 0x0
	ds_store_b64 v1, v[116:117]
	s_wait_storecnt_dscnt 0x0
	s_barrier_signal -1
	s_barrier_wait -1
	s_wait_xcnt 0x0
	v_cmpx_gt_u32_e32 30, v0
	s_cbranch_execz .LBB119_850
; %bb.841:
	v_cmp_ne_u32_e32 vcc_lo, 1, v118
	s_cbranch_vccnz .LBB119_843
; %bb.842:
	scratch_load_b64 v[116:117], v59, off
	ds_load_b64 v[120:121], v1
	s_wait_loadcnt_dscnt 0x0
	v_pk_mul_f32 v[122:123], v[120:121], v[116:117] op_sel:[1,1] op_sel_hi:[0,1]
	s_delay_alu instid0(VALU_DEP_1) | instskip(SKIP_1) | instid1(VALU_DEP_2)
	v_pk_fma_f32 v[124:125], v[120:121], v[116:117], v[122:123] op_sel_hi:[1,0,1]
	v_pk_fma_f32 v[116:117], v[120:121], v[116:117], v[122:123] neg_lo:[0,0,1] neg_hi:[0,0,1]
	v_mov_b32_e32 v117, v125
	s_cbranch_execz .LBB119_844
	s_branch .LBB119_845
.LBB119_843:
                                        ; implicit-def: $vgpr116_vgpr117
.LBB119_844:
	ds_load_b64 v[116:117], v1
.LBB119_845:
	s_mov_b32 s2, exec_lo
	v_cmpx_ne_u32_e32 29, v0
	s_cbranch_execz .LBB119_849
; %bb.846:
	v_add_nc_u32_e32 v119, 0x1c8, v58
	v_add3_u32 v120, 0, v58, 8
	v_mov_b32_e32 v121, v0
	s_mov_b32 s3, 0
.LBB119_847:                            ; =>This Inner Loop Header: Depth=1
	scratch_load_b64 v[122:123], v120, off
	ds_load_b64 v[124:125], v119
	s_wait_xcnt 0x0
	v_dual_add_nc_u32 v119, 8, v119 :: v_dual_add_nc_u32 v120, 8, v120
	s_wait_loadcnt_dscnt 0x0
	v_pk_mul_f32 v[126:127], v[124:125], v[122:123] op_sel:[1,1] op_sel_hi:[0,1]
	s_delay_alu instid0(VALU_DEP_1) | instskip(SKIP_2) | instid1(VALU_DEP_3)
	v_pk_fma_f32 v[128:129], v[124:125], v[122:123], v[126:127] op_sel_hi:[1,0,1]
	v_add_nc_u32_e32 v121, 1, v121
	v_pk_fma_f32 v[122:123], v[124:125], v[122:123], v[126:127] neg_lo:[0,0,1] neg_hi:[0,0,1]
	v_mov_b32_e32 v123, v129
	s_delay_alu instid0(VALU_DEP_3) | instskip(NEXT) | instid1(VALU_DEP_2)
	v_cmp_lt_u32_e32 vcc_lo, 28, v121
	v_pk_add_f32 v[116:117], v[116:117], v[122:123]
	s_or_b32 s3, vcc_lo, s3
	s_delay_alu instid0(SALU_CYCLE_1)
	s_and_not1_b32 exec_lo, exec_lo, s3
	s_cbranch_execnz .LBB119_847
; %bb.848:
	s_or_b32 exec_lo, exec_lo, s3
.LBB119_849:
	s_delay_alu instid0(SALU_CYCLE_1) | instskip(SKIP_4) | instid1(VALU_DEP_1)
	s_or_b32 exec_lo, exec_lo, s2
	v_mov_b32_e32 v119, 0
	ds_load_b64 v[120:121], v119 offset:240
	s_wait_dscnt 0x0
	v_pk_mul_f32 v[122:123], v[116:117], v[120:121] op_sel:[1,1] op_sel_hi:[0,1]
	v_pk_fma_f32 v[124:125], v[116:117], v[120:121], v[122:123] op_sel_hi:[1,0,1]
	v_pk_fma_f32 v[116:117], v[116:117], v[120:121], v[122:123] neg_lo:[0,0,1] neg_hi:[0,0,1]
	s_delay_alu instid0(VALU_DEP_2)
	v_mov_b32_e32 v117, v125
	scratch_store_b64 off, v[116:117], off offset:240
.LBB119_850:
	s_wait_xcnt 0x0
	s_or_b32 exec_lo, exec_lo, s0
	scratch_load_b64 v[116:117], off, off offset:248
	s_mov_b32 s0, exec_lo
	s_wait_loadcnt 0x0
	ds_store_b64 v1, v[116:117]
	s_wait_storecnt_dscnt 0x0
	s_barrier_signal -1
	s_barrier_wait -1
	s_wait_xcnt 0x0
	v_cmpx_gt_u32_e32 31, v0
	s_cbranch_execz .LBB119_860
; %bb.851:
	v_cmp_ne_u32_e32 vcc_lo, 1, v118
	s_cbranch_vccnz .LBB119_853
; %bb.852:
	scratch_load_b64 v[116:117], v59, off
	ds_load_b64 v[120:121], v1
	s_wait_loadcnt_dscnt 0x0
	v_pk_mul_f32 v[122:123], v[120:121], v[116:117] op_sel:[1,1] op_sel_hi:[0,1]
	s_delay_alu instid0(VALU_DEP_1) | instskip(SKIP_1) | instid1(VALU_DEP_2)
	v_pk_fma_f32 v[124:125], v[120:121], v[116:117], v[122:123] op_sel_hi:[1,0,1]
	v_pk_fma_f32 v[116:117], v[120:121], v[116:117], v[122:123] neg_lo:[0,0,1] neg_hi:[0,0,1]
	v_mov_b32_e32 v117, v125
	s_cbranch_execz .LBB119_854
	s_branch .LBB119_855
.LBB119_853:
                                        ; implicit-def: $vgpr116_vgpr117
.LBB119_854:
	ds_load_b64 v[116:117], v1
.LBB119_855:
	s_mov_b32 s2, exec_lo
	v_cmpx_ne_u32_e32 30, v0
	s_cbranch_execz .LBB119_859
; %bb.856:
	v_add_nc_u32_e32 v119, 0x1c8, v58
	v_add3_u32 v120, 0, v58, 8
	v_mov_b32_e32 v121, v0
	s_mov_b32 s3, 0
.LBB119_857:                            ; =>This Inner Loop Header: Depth=1
	scratch_load_b64 v[122:123], v120, off
	ds_load_b64 v[124:125], v119
	s_wait_xcnt 0x0
	v_dual_add_nc_u32 v119, 8, v119 :: v_dual_add_nc_u32 v120, 8, v120
	s_wait_loadcnt_dscnt 0x0
	v_pk_mul_f32 v[126:127], v[124:125], v[122:123] op_sel:[1,1] op_sel_hi:[0,1]
	s_delay_alu instid0(VALU_DEP_1) | instskip(SKIP_2) | instid1(VALU_DEP_3)
	v_pk_fma_f32 v[128:129], v[124:125], v[122:123], v[126:127] op_sel_hi:[1,0,1]
	v_add_nc_u32_e32 v121, 1, v121
	v_pk_fma_f32 v[122:123], v[124:125], v[122:123], v[126:127] neg_lo:[0,0,1] neg_hi:[0,0,1]
	v_mov_b32_e32 v123, v129
	s_delay_alu instid0(VALU_DEP_3) | instskip(NEXT) | instid1(VALU_DEP_2)
	v_cmp_lt_u32_e32 vcc_lo, 29, v121
	v_pk_add_f32 v[116:117], v[116:117], v[122:123]
	s_or_b32 s3, vcc_lo, s3
	s_delay_alu instid0(SALU_CYCLE_1)
	s_and_not1_b32 exec_lo, exec_lo, s3
	s_cbranch_execnz .LBB119_857
; %bb.858:
	s_or_b32 exec_lo, exec_lo, s3
.LBB119_859:
	s_delay_alu instid0(SALU_CYCLE_1) | instskip(SKIP_4) | instid1(VALU_DEP_1)
	s_or_b32 exec_lo, exec_lo, s2
	v_mov_b32_e32 v119, 0
	ds_load_b64 v[120:121], v119 offset:248
	s_wait_dscnt 0x0
	v_pk_mul_f32 v[122:123], v[116:117], v[120:121] op_sel:[1,1] op_sel_hi:[0,1]
	v_pk_fma_f32 v[124:125], v[116:117], v[120:121], v[122:123] op_sel_hi:[1,0,1]
	v_pk_fma_f32 v[116:117], v[116:117], v[120:121], v[122:123] neg_lo:[0,0,1] neg_hi:[0,0,1]
	s_delay_alu instid0(VALU_DEP_2)
	v_mov_b32_e32 v117, v125
	scratch_store_b64 off, v[116:117], off offset:248
.LBB119_860:
	s_wait_xcnt 0x0
	s_or_b32 exec_lo, exec_lo, s0
	scratch_load_b64 v[116:117], off, off offset:256
	s_mov_b32 s0, exec_lo
	s_wait_loadcnt 0x0
	ds_store_b64 v1, v[116:117]
	s_wait_storecnt_dscnt 0x0
	s_barrier_signal -1
	s_barrier_wait -1
	s_wait_xcnt 0x0
	v_cmpx_gt_u32_e32 32, v0
	s_cbranch_execz .LBB119_870
; %bb.861:
	v_cmp_ne_u32_e32 vcc_lo, 1, v118
	s_cbranch_vccnz .LBB119_863
; %bb.862:
	scratch_load_b64 v[116:117], v59, off
	ds_load_b64 v[120:121], v1
	s_wait_loadcnt_dscnt 0x0
	v_pk_mul_f32 v[122:123], v[120:121], v[116:117] op_sel:[1,1] op_sel_hi:[0,1]
	s_delay_alu instid0(VALU_DEP_1) | instskip(SKIP_1) | instid1(VALU_DEP_2)
	v_pk_fma_f32 v[124:125], v[120:121], v[116:117], v[122:123] op_sel_hi:[1,0,1]
	v_pk_fma_f32 v[116:117], v[120:121], v[116:117], v[122:123] neg_lo:[0,0,1] neg_hi:[0,0,1]
	v_mov_b32_e32 v117, v125
	s_cbranch_execz .LBB119_864
	s_branch .LBB119_865
.LBB119_863:
                                        ; implicit-def: $vgpr116_vgpr117
.LBB119_864:
	ds_load_b64 v[116:117], v1
.LBB119_865:
	s_mov_b32 s2, exec_lo
	v_cmpx_ne_u32_e32 31, v0
	s_cbranch_execz .LBB119_869
; %bb.866:
	v_add_nc_u32_e32 v119, 0x1c8, v58
	v_add3_u32 v120, 0, v58, 8
	v_mov_b32_e32 v121, v0
	s_mov_b32 s3, 0
.LBB119_867:                            ; =>This Inner Loop Header: Depth=1
	scratch_load_b64 v[122:123], v120, off
	ds_load_b64 v[124:125], v119
	s_wait_xcnt 0x0
	v_dual_add_nc_u32 v119, 8, v119 :: v_dual_add_nc_u32 v120, 8, v120
	s_wait_loadcnt_dscnt 0x0
	v_pk_mul_f32 v[126:127], v[124:125], v[122:123] op_sel:[1,1] op_sel_hi:[0,1]
	s_delay_alu instid0(VALU_DEP_1) | instskip(SKIP_2) | instid1(VALU_DEP_3)
	v_pk_fma_f32 v[128:129], v[124:125], v[122:123], v[126:127] op_sel_hi:[1,0,1]
	v_add_nc_u32_e32 v121, 1, v121
	v_pk_fma_f32 v[122:123], v[124:125], v[122:123], v[126:127] neg_lo:[0,0,1] neg_hi:[0,0,1]
	v_mov_b32_e32 v123, v129
	s_delay_alu instid0(VALU_DEP_3) | instskip(NEXT) | instid1(VALU_DEP_2)
	v_cmp_lt_u32_e32 vcc_lo, 30, v121
	v_pk_add_f32 v[116:117], v[116:117], v[122:123]
	s_or_b32 s3, vcc_lo, s3
	s_delay_alu instid0(SALU_CYCLE_1)
	s_and_not1_b32 exec_lo, exec_lo, s3
	s_cbranch_execnz .LBB119_867
; %bb.868:
	s_or_b32 exec_lo, exec_lo, s3
.LBB119_869:
	s_delay_alu instid0(SALU_CYCLE_1) | instskip(SKIP_4) | instid1(VALU_DEP_1)
	s_or_b32 exec_lo, exec_lo, s2
	v_mov_b32_e32 v119, 0
	ds_load_b64 v[120:121], v119 offset:256
	s_wait_dscnt 0x0
	v_pk_mul_f32 v[122:123], v[116:117], v[120:121] op_sel:[1,1] op_sel_hi:[0,1]
	v_pk_fma_f32 v[124:125], v[116:117], v[120:121], v[122:123] op_sel_hi:[1,0,1]
	v_pk_fma_f32 v[116:117], v[116:117], v[120:121], v[122:123] neg_lo:[0,0,1] neg_hi:[0,0,1]
	s_delay_alu instid0(VALU_DEP_2)
	v_mov_b32_e32 v117, v125
	scratch_store_b64 off, v[116:117], off offset:256
.LBB119_870:
	s_wait_xcnt 0x0
	s_or_b32 exec_lo, exec_lo, s0
	scratch_load_b64 v[116:117], off, off offset:264
	s_mov_b32 s0, exec_lo
	s_wait_loadcnt 0x0
	ds_store_b64 v1, v[116:117]
	s_wait_storecnt_dscnt 0x0
	s_barrier_signal -1
	s_barrier_wait -1
	s_wait_xcnt 0x0
	v_cmpx_gt_u32_e32 33, v0
	s_cbranch_execz .LBB119_880
; %bb.871:
	v_cmp_ne_u32_e32 vcc_lo, 1, v118
	s_cbranch_vccnz .LBB119_873
; %bb.872:
	scratch_load_b64 v[116:117], v59, off
	ds_load_b64 v[120:121], v1
	s_wait_loadcnt_dscnt 0x0
	v_pk_mul_f32 v[122:123], v[120:121], v[116:117] op_sel:[1,1] op_sel_hi:[0,1]
	s_delay_alu instid0(VALU_DEP_1) | instskip(SKIP_1) | instid1(VALU_DEP_2)
	v_pk_fma_f32 v[124:125], v[120:121], v[116:117], v[122:123] op_sel_hi:[1,0,1]
	v_pk_fma_f32 v[116:117], v[120:121], v[116:117], v[122:123] neg_lo:[0,0,1] neg_hi:[0,0,1]
	v_mov_b32_e32 v117, v125
	s_cbranch_execz .LBB119_874
	s_branch .LBB119_875
.LBB119_873:
                                        ; implicit-def: $vgpr116_vgpr117
.LBB119_874:
	ds_load_b64 v[116:117], v1
.LBB119_875:
	s_mov_b32 s2, exec_lo
	v_cmpx_ne_u32_e32 32, v0
	s_cbranch_execz .LBB119_879
; %bb.876:
	v_add_nc_u32_e32 v119, 0x1c8, v58
	v_add3_u32 v120, 0, v58, 8
	v_mov_b32_e32 v121, v0
	s_mov_b32 s3, 0
.LBB119_877:                            ; =>This Inner Loop Header: Depth=1
	scratch_load_b64 v[122:123], v120, off
	ds_load_b64 v[124:125], v119
	s_wait_xcnt 0x0
	v_dual_add_nc_u32 v119, 8, v119 :: v_dual_add_nc_u32 v120, 8, v120
	s_wait_loadcnt_dscnt 0x0
	v_pk_mul_f32 v[126:127], v[124:125], v[122:123] op_sel:[1,1] op_sel_hi:[0,1]
	s_delay_alu instid0(VALU_DEP_1) | instskip(SKIP_2) | instid1(VALU_DEP_3)
	v_pk_fma_f32 v[128:129], v[124:125], v[122:123], v[126:127] op_sel_hi:[1,0,1]
	v_add_nc_u32_e32 v121, 1, v121
	v_pk_fma_f32 v[122:123], v[124:125], v[122:123], v[126:127] neg_lo:[0,0,1] neg_hi:[0,0,1]
	v_mov_b32_e32 v123, v129
	s_delay_alu instid0(VALU_DEP_3) | instskip(NEXT) | instid1(VALU_DEP_2)
	v_cmp_lt_u32_e32 vcc_lo, 31, v121
	v_pk_add_f32 v[116:117], v[116:117], v[122:123]
	s_or_b32 s3, vcc_lo, s3
	s_delay_alu instid0(SALU_CYCLE_1)
	s_and_not1_b32 exec_lo, exec_lo, s3
	s_cbranch_execnz .LBB119_877
; %bb.878:
	s_or_b32 exec_lo, exec_lo, s3
.LBB119_879:
	s_delay_alu instid0(SALU_CYCLE_1) | instskip(SKIP_4) | instid1(VALU_DEP_1)
	s_or_b32 exec_lo, exec_lo, s2
	v_mov_b32_e32 v119, 0
	ds_load_b64 v[120:121], v119 offset:264
	s_wait_dscnt 0x0
	v_pk_mul_f32 v[122:123], v[116:117], v[120:121] op_sel:[1,1] op_sel_hi:[0,1]
	v_pk_fma_f32 v[124:125], v[116:117], v[120:121], v[122:123] op_sel_hi:[1,0,1]
	v_pk_fma_f32 v[116:117], v[116:117], v[120:121], v[122:123] neg_lo:[0,0,1] neg_hi:[0,0,1]
	s_delay_alu instid0(VALU_DEP_2)
	v_mov_b32_e32 v117, v125
	scratch_store_b64 off, v[116:117], off offset:264
.LBB119_880:
	s_wait_xcnt 0x0
	s_or_b32 exec_lo, exec_lo, s0
	scratch_load_b64 v[116:117], off, off offset:272
	s_mov_b32 s0, exec_lo
	s_wait_loadcnt 0x0
	ds_store_b64 v1, v[116:117]
	s_wait_storecnt_dscnt 0x0
	s_barrier_signal -1
	s_barrier_wait -1
	s_wait_xcnt 0x0
	v_cmpx_gt_u32_e32 34, v0
	s_cbranch_execz .LBB119_890
; %bb.881:
	v_cmp_ne_u32_e32 vcc_lo, 1, v118
	s_cbranch_vccnz .LBB119_883
; %bb.882:
	scratch_load_b64 v[116:117], v59, off
	ds_load_b64 v[120:121], v1
	s_wait_loadcnt_dscnt 0x0
	v_pk_mul_f32 v[122:123], v[120:121], v[116:117] op_sel:[1,1] op_sel_hi:[0,1]
	s_delay_alu instid0(VALU_DEP_1) | instskip(SKIP_1) | instid1(VALU_DEP_2)
	v_pk_fma_f32 v[124:125], v[120:121], v[116:117], v[122:123] op_sel_hi:[1,0,1]
	v_pk_fma_f32 v[116:117], v[120:121], v[116:117], v[122:123] neg_lo:[0,0,1] neg_hi:[0,0,1]
	v_mov_b32_e32 v117, v125
	s_cbranch_execz .LBB119_884
	s_branch .LBB119_885
.LBB119_883:
                                        ; implicit-def: $vgpr116_vgpr117
.LBB119_884:
	ds_load_b64 v[116:117], v1
.LBB119_885:
	s_mov_b32 s2, exec_lo
	v_cmpx_ne_u32_e32 33, v0
	s_cbranch_execz .LBB119_889
; %bb.886:
	v_add_nc_u32_e32 v119, 0x1c8, v58
	v_add3_u32 v120, 0, v58, 8
	v_mov_b32_e32 v121, v0
	s_mov_b32 s3, 0
.LBB119_887:                            ; =>This Inner Loop Header: Depth=1
	scratch_load_b64 v[122:123], v120, off
	ds_load_b64 v[124:125], v119
	s_wait_xcnt 0x0
	v_dual_add_nc_u32 v119, 8, v119 :: v_dual_add_nc_u32 v120, 8, v120
	s_wait_loadcnt_dscnt 0x0
	v_pk_mul_f32 v[126:127], v[124:125], v[122:123] op_sel:[1,1] op_sel_hi:[0,1]
	s_delay_alu instid0(VALU_DEP_1) | instskip(SKIP_2) | instid1(VALU_DEP_3)
	v_pk_fma_f32 v[128:129], v[124:125], v[122:123], v[126:127] op_sel_hi:[1,0,1]
	v_add_nc_u32_e32 v121, 1, v121
	v_pk_fma_f32 v[122:123], v[124:125], v[122:123], v[126:127] neg_lo:[0,0,1] neg_hi:[0,0,1]
	v_mov_b32_e32 v123, v129
	s_delay_alu instid0(VALU_DEP_3) | instskip(NEXT) | instid1(VALU_DEP_2)
	v_cmp_lt_u32_e32 vcc_lo, 32, v121
	v_pk_add_f32 v[116:117], v[116:117], v[122:123]
	s_or_b32 s3, vcc_lo, s3
	s_delay_alu instid0(SALU_CYCLE_1)
	s_and_not1_b32 exec_lo, exec_lo, s3
	s_cbranch_execnz .LBB119_887
; %bb.888:
	s_or_b32 exec_lo, exec_lo, s3
.LBB119_889:
	s_delay_alu instid0(SALU_CYCLE_1) | instskip(SKIP_4) | instid1(VALU_DEP_1)
	s_or_b32 exec_lo, exec_lo, s2
	v_mov_b32_e32 v119, 0
	ds_load_b64 v[120:121], v119 offset:272
	s_wait_dscnt 0x0
	v_pk_mul_f32 v[122:123], v[116:117], v[120:121] op_sel:[1,1] op_sel_hi:[0,1]
	v_pk_fma_f32 v[124:125], v[116:117], v[120:121], v[122:123] op_sel_hi:[1,0,1]
	v_pk_fma_f32 v[116:117], v[116:117], v[120:121], v[122:123] neg_lo:[0,0,1] neg_hi:[0,0,1]
	s_delay_alu instid0(VALU_DEP_2)
	v_mov_b32_e32 v117, v125
	scratch_store_b64 off, v[116:117], off offset:272
.LBB119_890:
	s_wait_xcnt 0x0
	s_or_b32 exec_lo, exec_lo, s0
	scratch_load_b64 v[116:117], off, off offset:280
	s_mov_b32 s0, exec_lo
	s_wait_loadcnt 0x0
	ds_store_b64 v1, v[116:117]
	s_wait_storecnt_dscnt 0x0
	s_barrier_signal -1
	s_barrier_wait -1
	s_wait_xcnt 0x0
	v_cmpx_gt_u32_e32 35, v0
	s_cbranch_execz .LBB119_900
; %bb.891:
	v_cmp_ne_u32_e32 vcc_lo, 1, v118
	s_cbranch_vccnz .LBB119_893
; %bb.892:
	scratch_load_b64 v[116:117], v59, off
	ds_load_b64 v[120:121], v1
	s_wait_loadcnt_dscnt 0x0
	v_pk_mul_f32 v[122:123], v[120:121], v[116:117] op_sel:[1,1] op_sel_hi:[0,1]
	s_delay_alu instid0(VALU_DEP_1) | instskip(SKIP_1) | instid1(VALU_DEP_2)
	v_pk_fma_f32 v[124:125], v[120:121], v[116:117], v[122:123] op_sel_hi:[1,0,1]
	v_pk_fma_f32 v[116:117], v[120:121], v[116:117], v[122:123] neg_lo:[0,0,1] neg_hi:[0,0,1]
	v_mov_b32_e32 v117, v125
	s_cbranch_execz .LBB119_894
	s_branch .LBB119_895
.LBB119_893:
                                        ; implicit-def: $vgpr116_vgpr117
.LBB119_894:
	ds_load_b64 v[116:117], v1
.LBB119_895:
	s_mov_b32 s2, exec_lo
	v_cmpx_ne_u32_e32 34, v0
	s_cbranch_execz .LBB119_899
; %bb.896:
	v_add_nc_u32_e32 v119, 0x1c8, v58
	v_add3_u32 v120, 0, v58, 8
	v_mov_b32_e32 v121, v0
	s_mov_b32 s3, 0
.LBB119_897:                            ; =>This Inner Loop Header: Depth=1
	scratch_load_b64 v[122:123], v120, off
	ds_load_b64 v[124:125], v119
	s_wait_xcnt 0x0
	v_dual_add_nc_u32 v119, 8, v119 :: v_dual_add_nc_u32 v120, 8, v120
	s_wait_loadcnt_dscnt 0x0
	v_pk_mul_f32 v[126:127], v[124:125], v[122:123] op_sel:[1,1] op_sel_hi:[0,1]
	s_delay_alu instid0(VALU_DEP_1) | instskip(SKIP_2) | instid1(VALU_DEP_3)
	v_pk_fma_f32 v[128:129], v[124:125], v[122:123], v[126:127] op_sel_hi:[1,0,1]
	v_add_nc_u32_e32 v121, 1, v121
	v_pk_fma_f32 v[122:123], v[124:125], v[122:123], v[126:127] neg_lo:[0,0,1] neg_hi:[0,0,1]
	v_mov_b32_e32 v123, v129
	s_delay_alu instid0(VALU_DEP_3) | instskip(NEXT) | instid1(VALU_DEP_2)
	v_cmp_lt_u32_e32 vcc_lo, 33, v121
	v_pk_add_f32 v[116:117], v[116:117], v[122:123]
	s_or_b32 s3, vcc_lo, s3
	s_delay_alu instid0(SALU_CYCLE_1)
	s_and_not1_b32 exec_lo, exec_lo, s3
	s_cbranch_execnz .LBB119_897
; %bb.898:
	s_or_b32 exec_lo, exec_lo, s3
.LBB119_899:
	s_delay_alu instid0(SALU_CYCLE_1) | instskip(SKIP_4) | instid1(VALU_DEP_1)
	s_or_b32 exec_lo, exec_lo, s2
	v_mov_b32_e32 v119, 0
	ds_load_b64 v[120:121], v119 offset:280
	s_wait_dscnt 0x0
	v_pk_mul_f32 v[122:123], v[116:117], v[120:121] op_sel:[1,1] op_sel_hi:[0,1]
	v_pk_fma_f32 v[124:125], v[116:117], v[120:121], v[122:123] op_sel_hi:[1,0,1]
	v_pk_fma_f32 v[116:117], v[116:117], v[120:121], v[122:123] neg_lo:[0,0,1] neg_hi:[0,0,1]
	s_delay_alu instid0(VALU_DEP_2)
	v_mov_b32_e32 v117, v125
	scratch_store_b64 off, v[116:117], off offset:280
.LBB119_900:
	s_wait_xcnt 0x0
	s_or_b32 exec_lo, exec_lo, s0
	scratch_load_b64 v[116:117], off, off offset:288
	s_mov_b32 s0, exec_lo
	s_wait_loadcnt 0x0
	ds_store_b64 v1, v[116:117]
	s_wait_storecnt_dscnt 0x0
	s_barrier_signal -1
	s_barrier_wait -1
	s_wait_xcnt 0x0
	v_cmpx_gt_u32_e32 36, v0
	s_cbranch_execz .LBB119_910
; %bb.901:
	v_cmp_ne_u32_e32 vcc_lo, 1, v118
	s_cbranch_vccnz .LBB119_903
; %bb.902:
	scratch_load_b64 v[116:117], v59, off
	ds_load_b64 v[120:121], v1
	s_wait_loadcnt_dscnt 0x0
	v_pk_mul_f32 v[122:123], v[120:121], v[116:117] op_sel:[1,1] op_sel_hi:[0,1]
	s_delay_alu instid0(VALU_DEP_1) | instskip(SKIP_1) | instid1(VALU_DEP_2)
	v_pk_fma_f32 v[124:125], v[120:121], v[116:117], v[122:123] op_sel_hi:[1,0,1]
	v_pk_fma_f32 v[116:117], v[120:121], v[116:117], v[122:123] neg_lo:[0,0,1] neg_hi:[0,0,1]
	v_mov_b32_e32 v117, v125
	s_cbranch_execz .LBB119_904
	s_branch .LBB119_905
.LBB119_903:
                                        ; implicit-def: $vgpr116_vgpr117
.LBB119_904:
	ds_load_b64 v[116:117], v1
.LBB119_905:
	s_mov_b32 s2, exec_lo
	v_cmpx_ne_u32_e32 35, v0
	s_cbranch_execz .LBB119_909
; %bb.906:
	v_add_nc_u32_e32 v119, 0x1c8, v58
	v_add3_u32 v120, 0, v58, 8
	v_mov_b32_e32 v121, v0
	s_mov_b32 s3, 0
.LBB119_907:                            ; =>This Inner Loop Header: Depth=1
	scratch_load_b64 v[122:123], v120, off
	ds_load_b64 v[124:125], v119
	s_wait_xcnt 0x0
	v_dual_add_nc_u32 v119, 8, v119 :: v_dual_add_nc_u32 v120, 8, v120
	s_wait_loadcnt_dscnt 0x0
	v_pk_mul_f32 v[126:127], v[124:125], v[122:123] op_sel:[1,1] op_sel_hi:[0,1]
	s_delay_alu instid0(VALU_DEP_1) | instskip(SKIP_2) | instid1(VALU_DEP_3)
	v_pk_fma_f32 v[128:129], v[124:125], v[122:123], v[126:127] op_sel_hi:[1,0,1]
	v_add_nc_u32_e32 v121, 1, v121
	v_pk_fma_f32 v[122:123], v[124:125], v[122:123], v[126:127] neg_lo:[0,0,1] neg_hi:[0,0,1]
	v_mov_b32_e32 v123, v129
	s_delay_alu instid0(VALU_DEP_3) | instskip(NEXT) | instid1(VALU_DEP_2)
	v_cmp_lt_u32_e32 vcc_lo, 34, v121
	v_pk_add_f32 v[116:117], v[116:117], v[122:123]
	s_or_b32 s3, vcc_lo, s3
	s_delay_alu instid0(SALU_CYCLE_1)
	s_and_not1_b32 exec_lo, exec_lo, s3
	s_cbranch_execnz .LBB119_907
; %bb.908:
	s_or_b32 exec_lo, exec_lo, s3
.LBB119_909:
	s_delay_alu instid0(SALU_CYCLE_1) | instskip(SKIP_4) | instid1(VALU_DEP_1)
	s_or_b32 exec_lo, exec_lo, s2
	v_mov_b32_e32 v119, 0
	ds_load_b64 v[120:121], v119 offset:288
	s_wait_dscnt 0x0
	v_pk_mul_f32 v[122:123], v[116:117], v[120:121] op_sel:[1,1] op_sel_hi:[0,1]
	v_pk_fma_f32 v[124:125], v[116:117], v[120:121], v[122:123] op_sel_hi:[1,0,1]
	v_pk_fma_f32 v[116:117], v[116:117], v[120:121], v[122:123] neg_lo:[0,0,1] neg_hi:[0,0,1]
	s_delay_alu instid0(VALU_DEP_2)
	v_mov_b32_e32 v117, v125
	scratch_store_b64 off, v[116:117], off offset:288
.LBB119_910:
	s_wait_xcnt 0x0
	s_or_b32 exec_lo, exec_lo, s0
	scratch_load_b64 v[116:117], off, off offset:296
	s_mov_b32 s0, exec_lo
	s_wait_loadcnt 0x0
	ds_store_b64 v1, v[116:117]
	s_wait_storecnt_dscnt 0x0
	s_barrier_signal -1
	s_barrier_wait -1
	s_wait_xcnt 0x0
	v_cmpx_gt_u32_e32 37, v0
	s_cbranch_execz .LBB119_920
; %bb.911:
	v_cmp_ne_u32_e32 vcc_lo, 1, v118
	s_cbranch_vccnz .LBB119_913
; %bb.912:
	scratch_load_b64 v[116:117], v59, off
	ds_load_b64 v[120:121], v1
	s_wait_loadcnt_dscnt 0x0
	v_pk_mul_f32 v[122:123], v[120:121], v[116:117] op_sel:[1,1] op_sel_hi:[0,1]
	s_delay_alu instid0(VALU_DEP_1) | instskip(SKIP_1) | instid1(VALU_DEP_2)
	v_pk_fma_f32 v[124:125], v[120:121], v[116:117], v[122:123] op_sel_hi:[1,0,1]
	v_pk_fma_f32 v[116:117], v[120:121], v[116:117], v[122:123] neg_lo:[0,0,1] neg_hi:[0,0,1]
	v_mov_b32_e32 v117, v125
	s_cbranch_execz .LBB119_914
	s_branch .LBB119_915
.LBB119_913:
                                        ; implicit-def: $vgpr116_vgpr117
.LBB119_914:
	ds_load_b64 v[116:117], v1
.LBB119_915:
	s_mov_b32 s2, exec_lo
	v_cmpx_ne_u32_e32 36, v0
	s_cbranch_execz .LBB119_919
; %bb.916:
	v_add_nc_u32_e32 v119, 0x1c8, v58
	v_add3_u32 v120, 0, v58, 8
	v_mov_b32_e32 v121, v0
	s_mov_b32 s3, 0
.LBB119_917:                            ; =>This Inner Loop Header: Depth=1
	scratch_load_b64 v[122:123], v120, off
	ds_load_b64 v[124:125], v119
	s_wait_xcnt 0x0
	v_dual_add_nc_u32 v119, 8, v119 :: v_dual_add_nc_u32 v120, 8, v120
	s_wait_loadcnt_dscnt 0x0
	v_pk_mul_f32 v[126:127], v[124:125], v[122:123] op_sel:[1,1] op_sel_hi:[0,1]
	s_delay_alu instid0(VALU_DEP_1) | instskip(SKIP_2) | instid1(VALU_DEP_3)
	v_pk_fma_f32 v[128:129], v[124:125], v[122:123], v[126:127] op_sel_hi:[1,0,1]
	v_add_nc_u32_e32 v121, 1, v121
	v_pk_fma_f32 v[122:123], v[124:125], v[122:123], v[126:127] neg_lo:[0,0,1] neg_hi:[0,0,1]
	v_mov_b32_e32 v123, v129
	s_delay_alu instid0(VALU_DEP_3) | instskip(NEXT) | instid1(VALU_DEP_2)
	v_cmp_lt_u32_e32 vcc_lo, 35, v121
	v_pk_add_f32 v[116:117], v[116:117], v[122:123]
	s_or_b32 s3, vcc_lo, s3
	s_delay_alu instid0(SALU_CYCLE_1)
	s_and_not1_b32 exec_lo, exec_lo, s3
	s_cbranch_execnz .LBB119_917
; %bb.918:
	s_or_b32 exec_lo, exec_lo, s3
.LBB119_919:
	s_delay_alu instid0(SALU_CYCLE_1) | instskip(SKIP_4) | instid1(VALU_DEP_1)
	s_or_b32 exec_lo, exec_lo, s2
	v_mov_b32_e32 v119, 0
	ds_load_b64 v[120:121], v119 offset:296
	s_wait_dscnt 0x0
	v_pk_mul_f32 v[122:123], v[116:117], v[120:121] op_sel:[1,1] op_sel_hi:[0,1]
	v_pk_fma_f32 v[124:125], v[116:117], v[120:121], v[122:123] op_sel_hi:[1,0,1]
	v_pk_fma_f32 v[116:117], v[116:117], v[120:121], v[122:123] neg_lo:[0,0,1] neg_hi:[0,0,1]
	s_delay_alu instid0(VALU_DEP_2)
	v_mov_b32_e32 v117, v125
	scratch_store_b64 off, v[116:117], off offset:296
.LBB119_920:
	s_wait_xcnt 0x0
	s_or_b32 exec_lo, exec_lo, s0
	scratch_load_b64 v[116:117], off, off offset:304
	s_mov_b32 s0, exec_lo
	s_wait_loadcnt 0x0
	ds_store_b64 v1, v[116:117]
	s_wait_storecnt_dscnt 0x0
	s_barrier_signal -1
	s_barrier_wait -1
	s_wait_xcnt 0x0
	v_cmpx_gt_u32_e32 38, v0
	s_cbranch_execz .LBB119_930
; %bb.921:
	v_cmp_ne_u32_e32 vcc_lo, 1, v118
	s_cbranch_vccnz .LBB119_923
; %bb.922:
	scratch_load_b64 v[116:117], v59, off
	ds_load_b64 v[120:121], v1
	s_wait_loadcnt_dscnt 0x0
	v_pk_mul_f32 v[122:123], v[120:121], v[116:117] op_sel:[1,1] op_sel_hi:[0,1]
	s_delay_alu instid0(VALU_DEP_1) | instskip(SKIP_1) | instid1(VALU_DEP_2)
	v_pk_fma_f32 v[124:125], v[120:121], v[116:117], v[122:123] op_sel_hi:[1,0,1]
	v_pk_fma_f32 v[116:117], v[120:121], v[116:117], v[122:123] neg_lo:[0,0,1] neg_hi:[0,0,1]
	v_mov_b32_e32 v117, v125
	s_cbranch_execz .LBB119_924
	s_branch .LBB119_925
.LBB119_923:
                                        ; implicit-def: $vgpr116_vgpr117
.LBB119_924:
	ds_load_b64 v[116:117], v1
.LBB119_925:
	s_mov_b32 s2, exec_lo
	v_cmpx_ne_u32_e32 37, v0
	s_cbranch_execz .LBB119_929
; %bb.926:
	v_add_nc_u32_e32 v119, 0x1c8, v58
	v_add3_u32 v120, 0, v58, 8
	v_mov_b32_e32 v121, v0
	s_mov_b32 s3, 0
.LBB119_927:                            ; =>This Inner Loop Header: Depth=1
	scratch_load_b64 v[122:123], v120, off
	ds_load_b64 v[124:125], v119
	s_wait_xcnt 0x0
	v_dual_add_nc_u32 v119, 8, v119 :: v_dual_add_nc_u32 v120, 8, v120
	s_wait_loadcnt_dscnt 0x0
	v_pk_mul_f32 v[126:127], v[124:125], v[122:123] op_sel:[1,1] op_sel_hi:[0,1]
	s_delay_alu instid0(VALU_DEP_1) | instskip(SKIP_2) | instid1(VALU_DEP_3)
	v_pk_fma_f32 v[128:129], v[124:125], v[122:123], v[126:127] op_sel_hi:[1,0,1]
	v_add_nc_u32_e32 v121, 1, v121
	v_pk_fma_f32 v[122:123], v[124:125], v[122:123], v[126:127] neg_lo:[0,0,1] neg_hi:[0,0,1]
	v_mov_b32_e32 v123, v129
	s_delay_alu instid0(VALU_DEP_3) | instskip(NEXT) | instid1(VALU_DEP_2)
	v_cmp_lt_u32_e32 vcc_lo, 36, v121
	v_pk_add_f32 v[116:117], v[116:117], v[122:123]
	s_or_b32 s3, vcc_lo, s3
	s_delay_alu instid0(SALU_CYCLE_1)
	s_and_not1_b32 exec_lo, exec_lo, s3
	s_cbranch_execnz .LBB119_927
; %bb.928:
	s_or_b32 exec_lo, exec_lo, s3
.LBB119_929:
	s_delay_alu instid0(SALU_CYCLE_1) | instskip(SKIP_4) | instid1(VALU_DEP_1)
	s_or_b32 exec_lo, exec_lo, s2
	v_mov_b32_e32 v119, 0
	ds_load_b64 v[120:121], v119 offset:304
	s_wait_dscnt 0x0
	v_pk_mul_f32 v[122:123], v[116:117], v[120:121] op_sel:[1,1] op_sel_hi:[0,1]
	v_pk_fma_f32 v[124:125], v[116:117], v[120:121], v[122:123] op_sel_hi:[1,0,1]
	v_pk_fma_f32 v[116:117], v[116:117], v[120:121], v[122:123] neg_lo:[0,0,1] neg_hi:[0,0,1]
	s_delay_alu instid0(VALU_DEP_2)
	v_mov_b32_e32 v117, v125
	scratch_store_b64 off, v[116:117], off offset:304
.LBB119_930:
	s_wait_xcnt 0x0
	s_or_b32 exec_lo, exec_lo, s0
	scratch_load_b64 v[116:117], off, off offset:312
	s_mov_b32 s0, exec_lo
	s_wait_loadcnt 0x0
	ds_store_b64 v1, v[116:117]
	s_wait_storecnt_dscnt 0x0
	s_barrier_signal -1
	s_barrier_wait -1
	s_wait_xcnt 0x0
	v_cmpx_gt_u32_e32 39, v0
	s_cbranch_execz .LBB119_940
; %bb.931:
	v_cmp_ne_u32_e32 vcc_lo, 1, v118
	s_cbranch_vccnz .LBB119_933
; %bb.932:
	scratch_load_b64 v[116:117], v59, off
	ds_load_b64 v[120:121], v1
	s_wait_loadcnt_dscnt 0x0
	v_pk_mul_f32 v[122:123], v[120:121], v[116:117] op_sel:[1,1] op_sel_hi:[0,1]
	s_delay_alu instid0(VALU_DEP_1) | instskip(SKIP_1) | instid1(VALU_DEP_2)
	v_pk_fma_f32 v[124:125], v[120:121], v[116:117], v[122:123] op_sel_hi:[1,0,1]
	v_pk_fma_f32 v[116:117], v[120:121], v[116:117], v[122:123] neg_lo:[0,0,1] neg_hi:[0,0,1]
	v_mov_b32_e32 v117, v125
	s_cbranch_execz .LBB119_934
	s_branch .LBB119_935
.LBB119_933:
                                        ; implicit-def: $vgpr116_vgpr117
.LBB119_934:
	ds_load_b64 v[116:117], v1
.LBB119_935:
	s_mov_b32 s2, exec_lo
	v_cmpx_ne_u32_e32 38, v0
	s_cbranch_execz .LBB119_939
; %bb.936:
	v_add_nc_u32_e32 v119, 0x1c8, v58
	v_add3_u32 v120, 0, v58, 8
	v_mov_b32_e32 v121, v0
	s_mov_b32 s3, 0
.LBB119_937:                            ; =>This Inner Loop Header: Depth=1
	scratch_load_b64 v[122:123], v120, off
	ds_load_b64 v[124:125], v119
	s_wait_xcnt 0x0
	v_dual_add_nc_u32 v119, 8, v119 :: v_dual_add_nc_u32 v120, 8, v120
	s_wait_loadcnt_dscnt 0x0
	v_pk_mul_f32 v[126:127], v[124:125], v[122:123] op_sel:[1,1] op_sel_hi:[0,1]
	s_delay_alu instid0(VALU_DEP_1) | instskip(SKIP_2) | instid1(VALU_DEP_3)
	v_pk_fma_f32 v[128:129], v[124:125], v[122:123], v[126:127] op_sel_hi:[1,0,1]
	v_add_nc_u32_e32 v121, 1, v121
	v_pk_fma_f32 v[122:123], v[124:125], v[122:123], v[126:127] neg_lo:[0,0,1] neg_hi:[0,0,1]
	v_mov_b32_e32 v123, v129
	s_delay_alu instid0(VALU_DEP_3) | instskip(NEXT) | instid1(VALU_DEP_2)
	v_cmp_lt_u32_e32 vcc_lo, 37, v121
	v_pk_add_f32 v[116:117], v[116:117], v[122:123]
	s_or_b32 s3, vcc_lo, s3
	s_delay_alu instid0(SALU_CYCLE_1)
	s_and_not1_b32 exec_lo, exec_lo, s3
	s_cbranch_execnz .LBB119_937
; %bb.938:
	s_or_b32 exec_lo, exec_lo, s3
.LBB119_939:
	s_delay_alu instid0(SALU_CYCLE_1) | instskip(SKIP_4) | instid1(VALU_DEP_1)
	s_or_b32 exec_lo, exec_lo, s2
	v_mov_b32_e32 v119, 0
	ds_load_b64 v[120:121], v119 offset:312
	s_wait_dscnt 0x0
	v_pk_mul_f32 v[122:123], v[116:117], v[120:121] op_sel:[1,1] op_sel_hi:[0,1]
	v_pk_fma_f32 v[124:125], v[116:117], v[120:121], v[122:123] op_sel_hi:[1,0,1]
	v_pk_fma_f32 v[116:117], v[116:117], v[120:121], v[122:123] neg_lo:[0,0,1] neg_hi:[0,0,1]
	s_delay_alu instid0(VALU_DEP_2)
	v_mov_b32_e32 v117, v125
	scratch_store_b64 off, v[116:117], off offset:312
.LBB119_940:
	s_wait_xcnt 0x0
	s_or_b32 exec_lo, exec_lo, s0
	scratch_load_b64 v[116:117], off, off offset:320
	s_mov_b32 s0, exec_lo
	s_wait_loadcnt 0x0
	ds_store_b64 v1, v[116:117]
	s_wait_storecnt_dscnt 0x0
	s_barrier_signal -1
	s_barrier_wait -1
	s_wait_xcnt 0x0
	v_cmpx_gt_u32_e32 40, v0
	s_cbranch_execz .LBB119_950
; %bb.941:
	v_cmp_ne_u32_e32 vcc_lo, 1, v118
	s_cbranch_vccnz .LBB119_943
; %bb.942:
	scratch_load_b64 v[116:117], v59, off
	ds_load_b64 v[120:121], v1
	s_wait_loadcnt_dscnt 0x0
	v_pk_mul_f32 v[122:123], v[120:121], v[116:117] op_sel:[1,1] op_sel_hi:[0,1]
	s_delay_alu instid0(VALU_DEP_1) | instskip(SKIP_1) | instid1(VALU_DEP_2)
	v_pk_fma_f32 v[124:125], v[120:121], v[116:117], v[122:123] op_sel_hi:[1,0,1]
	v_pk_fma_f32 v[116:117], v[120:121], v[116:117], v[122:123] neg_lo:[0,0,1] neg_hi:[0,0,1]
	v_mov_b32_e32 v117, v125
	s_cbranch_execz .LBB119_944
	s_branch .LBB119_945
.LBB119_943:
                                        ; implicit-def: $vgpr116_vgpr117
.LBB119_944:
	ds_load_b64 v[116:117], v1
.LBB119_945:
	s_mov_b32 s2, exec_lo
	v_cmpx_ne_u32_e32 39, v0
	s_cbranch_execz .LBB119_949
; %bb.946:
	v_add_nc_u32_e32 v119, 0x1c8, v58
	v_add3_u32 v120, 0, v58, 8
	v_mov_b32_e32 v121, v0
	s_mov_b32 s3, 0
.LBB119_947:                            ; =>This Inner Loop Header: Depth=1
	scratch_load_b64 v[122:123], v120, off
	ds_load_b64 v[124:125], v119
	s_wait_xcnt 0x0
	v_dual_add_nc_u32 v119, 8, v119 :: v_dual_add_nc_u32 v120, 8, v120
	s_wait_loadcnt_dscnt 0x0
	v_pk_mul_f32 v[126:127], v[124:125], v[122:123] op_sel:[1,1] op_sel_hi:[0,1]
	s_delay_alu instid0(VALU_DEP_1) | instskip(SKIP_2) | instid1(VALU_DEP_3)
	v_pk_fma_f32 v[128:129], v[124:125], v[122:123], v[126:127] op_sel_hi:[1,0,1]
	v_add_nc_u32_e32 v121, 1, v121
	v_pk_fma_f32 v[122:123], v[124:125], v[122:123], v[126:127] neg_lo:[0,0,1] neg_hi:[0,0,1]
	v_mov_b32_e32 v123, v129
	s_delay_alu instid0(VALU_DEP_3) | instskip(NEXT) | instid1(VALU_DEP_2)
	v_cmp_lt_u32_e32 vcc_lo, 38, v121
	v_pk_add_f32 v[116:117], v[116:117], v[122:123]
	s_or_b32 s3, vcc_lo, s3
	s_delay_alu instid0(SALU_CYCLE_1)
	s_and_not1_b32 exec_lo, exec_lo, s3
	s_cbranch_execnz .LBB119_947
; %bb.948:
	s_or_b32 exec_lo, exec_lo, s3
.LBB119_949:
	s_delay_alu instid0(SALU_CYCLE_1) | instskip(SKIP_4) | instid1(VALU_DEP_1)
	s_or_b32 exec_lo, exec_lo, s2
	v_mov_b32_e32 v119, 0
	ds_load_b64 v[120:121], v119 offset:320
	s_wait_dscnt 0x0
	v_pk_mul_f32 v[122:123], v[116:117], v[120:121] op_sel:[1,1] op_sel_hi:[0,1]
	v_pk_fma_f32 v[124:125], v[116:117], v[120:121], v[122:123] op_sel_hi:[1,0,1]
	v_pk_fma_f32 v[116:117], v[116:117], v[120:121], v[122:123] neg_lo:[0,0,1] neg_hi:[0,0,1]
	s_delay_alu instid0(VALU_DEP_2)
	v_mov_b32_e32 v117, v125
	scratch_store_b64 off, v[116:117], off offset:320
.LBB119_950:
	s_wait_xcnt 0x0
	s_or_b32 exec_lo, exec_lo, s0
	scratch_load_b64 v[116:117], off, off offset:328
	s_mov_b32 s0, exec_lo
	s_wait_loadcnt 0x0
	ds_store_b64 v1, v[116:117]
	s_wait_storecnt_dscnt 0x0
	s_barrier_signal -1
	s_barrier_wait -1
	s_wait_xcnt 0x0
	v_cmpx_gt_u32_e32 41, v0
	s_cbranch_execz .LBB119_960
; %bb.951:
	v_cmp_ne_u32_e32 vcc_lo, 1, v118
	s_cbranch_vccnz .LBB119_953
; %bb.952:
	scratch_load_b64 v[116:117], v59, off
	ds_load_b64 v[120:121], v1
	s_wait_loadcnt_dscnt 0x0
	v_pk_mul_f32 v[122:123], v[120:121], v[116:117] op_sel:[1,1] op_sel_hi:[0,1]
	s_delay_alu instid0(VALU_DEP_1) | instskip(SKIP_1) | instid1(VALU_DEP_2)
	v_pk_fma_f32 v[124:125], v[120:121], v[116:117], v[122:123] op_sel_hi:[1,0,1]
	v_pk_fma_f32 v[116:117], v[120:121], v[116:117], v[122:123] neg_lo:[0,0,1] neg_hi:[0,0,1]
	v_mov_b32_e32 v117, v125
	s_cbranch_execz .LBB119_954
	s_branch .LBB119_955
.LBB119_953:
                                        ; implicit-def: $vgpr116_vgpr117
.LBB119_954:
	ds_load_b64 v[116:117], v1
.LBB119_955:
	s_mov_b32 s2, exec_lo
	v_cmpx_ne_u32_e32 40, v0
	s_cbranch_execz .LBB119_959
; %bb.956:
	v_add_nc_u32_e32 v119, 0x1c8, v58
	v_add3_u32 v120, 0, v58, 8
	v_mov_b32_e32 v121, v0
	s_mov_b32 s3, 0
.LBB119_957:                            ; =>This Inner Loop Header: Depth=1
	scratch_load_b64 v[122:123], v120, off
	ds_load_b64 v[124:125], v119
	s_wait_xcnt 0x0
	v_dual_add_nc_u32 v119, 8, v119 :: v_dual_add_nc_u32 v120, 8, v120
	s_wait_loadcnt_dscnt 0x0
	v_pk_mul_f32 v[126:127], v[124:125], v[122:123] op_sel:[1,1] op_sel_hi:[0,1]
	s_delay_alu instid0(VALU_DEP_1) | instskip(SKIP_2) | instid1(VALU_DEP_3)
	v_pk_fma_f32 v[128:129], v[124:125], v[122:123], v[126:127] op_sel_hi:[1,0,1]
	v_add_nc_u32_e32 v121, 1, v121
	v_pk_fma_f32 v[122:123], v[124:125], v[122:123], v[126:127] neg_lo:[0,0,1] neg_hi:[0,0,1]
	v_mov_b32_e32 v123, v129
	s_delay_alu instid0(VALU_DEP_3) | instskip(NEXT) | instid1(VALU_DEP_2)
	v_cmp_lt_u32_e32 vcc_lo, 39, v121
	v_pk_add_f32 v[116:117], v[116:117], v[122:123]
	s_or_b32 s3, vcc_lo, s3
	s_delay_alu instid0(SALU_CYCLE_1)
	s_and_not1_b32 exec_lo, exec_lo, s3
	s_cbranch_execnz .LBB119_957
; %bb.958:
	s_or_b32 exec_lo, exec_lo, s3
.LBB119_959:
	s_delay_alu instid0(SALU_CYCLE_1) | instskip(SKIP_4) | instid1(VALU_DEP_1)
	s_or_b32 exec_lo, exec_lo, s2
	v_mov_b32_e32 v119, 0
	ds_load_b64 v[120:121], v119 offset:328
	s_wait_dscnt 0x0
	v_pk_mul_f32 v[122:123], v[116:117], v[120:121] op_sel:[1,1] op_sel_hi:[0,1]
	v_pk_fma_f32 v[124:125], v[116:117], v[120:121], v[122:123] op_sel_hi:[1,0,1]
	v_pk_fma_f32 v[116:117], v[116:117], v[120:121], v[122:123] neg_lo:[0,0,1] neg_hi:[0,0,1]
	s_delay_alu instid0(VALU_DEP_2)
	v_mov_b32_e32 v117, v125
	scratch_store_b64 off, v[116:117], off offset:328
.LBB119_960:
	s_wait_xcnt 0x0
	s_or_b32 exec_lo, exec_lo, s0
	scratch_load_b64 v[116:117], off, off offset:336
	s_mov_b32 s0, exec_lo
	s_wait_loadcnt 0x0
	ds_store_b64 v1, v[116:117]
	s_wait_storecnt_dscnt 0x0
	s_barrier_signal -1
	s_barrier_wait -1
	s_wait_xcnt 0x0
	v_cmpx_gt_u32_e32 42, v0
	s_cbranch_execz .LBB119_970
; %bb.961:
	v_cmp_ne_u32_e32 vcc_lo, 1, v118
	s_cbranch_vccnz .LBB119_963
; %bb.962:
	scratch_load_b64 v[116:117], v59, off
	ds_load_b64 v[120:121], v1
	s_wait_loadcnt_dscnt 0x0
	v_pk_mul_f32 v[122:123], v[120:121], v[116:117] op_sel:[1,1] op_sel_hi:[0,1]
	s_delay_alu instid0(VALU_DEP_1) | instskip(SKIP_1) | instid1(VALU_DEP_2)
	v_pk_fma_f32 v[124:125], v[120:121], v[116:117], v[122:123] op_sel_hi:[1,0,1]
	v_pk_fma_f32 v[116:117], v[120:121], v[116:117], v[122:123] neg_lo:[0,0,1] neg_hi:[0,0,1]
	v_mov_b32_e32 v117, v125
	s_cbranch_execz .LBB119_964
	s_branch .LBB119_965
.LBB119_963:
                                        ; implicit-def: $vgpr116_vgpr117
.LBB119_964:
	ds_load_b64 v[116:117], v1
.LBB119_965:
	s_mov_b32 s2, exec_lo
	v_cmpx_ne_u32_e32 41, v0
	s_cbranch_execz .LBB119_969
; %bb.966:
	v_add_nc_u32_e32 v119, 0x1c8, v58
	v_add3_u32 v120, 0, v58, 8
	v_mov_b32_e32 v121, v0
	s_mov_b32 s3, 0
.LBB119_967:                            ; =>This Inner Loop Header: Depth=1
	scratch_load_b64 v[122:123], v120, off
	ds_load_b64 v[124:125], v119
	s_wait_xcnt 0x0
	v_dual_add_nc_u32 v119, 8, v119 :: v_dual_add_nc_u32 v120, 8, v120
	s_wait_loadcnt_dscnt 0x0
	v_pk_mul_f32 v[126:127], v[124:125], v[122:123] op_sel:[1,1] op_sel_hi:[0,1]
	s_delay_alu instid0(VALU_DEP_1) | instskip(SKIP_2) | instid1(VALU_DEP_3)
	v_pk_fma_f32 v[128:129], v[124:125], v[122:123], v[126:127] op_sel_hi:[1,0,1]
	v_add_nc_u32_e32 v121, 1, v121
	v_pk_fma_f32 v[122:123], v[124:125], v[122:123], v[126:127] neg_lo:[0,0,1] neg_hi:[0,0,1]
	v_mov_b32_e32 v123, v129
	s_delay_alu instid0(VALU_DEP_3) | instskip(NEXT) | instid1(VALU_DEP_2)
	v_cmp_lt_u32_e32 vcc_lo, 40, v121
	v_pk_add_f32 v[116:117], v[116:117], v[122:123]
	s_or_b32 s3, vcc_lo, s3
	s_delay_alu instid0(SALU_CYCLE_1)
	s_and_not1_b32 exec_lo, exec_lo, s3
	s_cbranch_execnz .LBB119_967
; %bb.968:
	s_or_b32 exec_lo, exec_lo, s3
.LBB119_969:
	s_delay_alu instid0(SALU_CYCLE_1) | instskip(SKIP_4) | instid1(VALU_DEP_1)
	s_or_b32 exec_lo, exec_lo, s2
	v_mov_b32_e32 v119, 0
	ds_load_b64 v[120:121], v119 offset:336
	s_wait_dscnt 0x0
	v_pk_mul_f32 v[122:123], v[116:117], v[120:121] op_sel:[1,1] op_sel_hi:[0,1]
	v_pk_fma_f32 v[124:125], v[116:117], v[120:121], v[122:123] op_sel_hi:[1,0,1]
	v_pk_fma_f32 v[116:117], v[116:117], v[120:121], v[122:123] neg_lo:[0,0,1] neg_hi:[0,0,1]
	s_delay_alu instid0(VALU_DEP_2)
	v_mov_b32_e32 v117, v125
	scratch_store_b64 off, v[116:117], off offset:336
.LBB119_970:
	s_wait_xcnt 0x0
	s_or_b32 exec_lo, exec_lo, s0
	scratch_load_b64 v[116:117], off, off offset:344
	s_mov_b32 s0, exec_lo
	s_wait_loadcnt 0x0
	ds_store_b64 v1, v[116:117]
	s_wait_storecnt_dscnt 0x0
	s_barrier_signal -1
	s_barrier_wait -1
	s_wait_xcnt 0x0
	v_cmpx_gt_u32_e32 43, v0
	s_cbranch_execz .LBB119_980
; %bb.971:
	v_cmp_ne_u32_e32 vcc_lo, 1, v118
	s_cbranch_vccnz .LBB119_973
; %bb.972:
	scratch_load_b64 v[116:117], v59, off
	ds_load_b64 v[120:121], v1
	s_wait_loadcnt_dscnt 0x0
	v_pk_mul_f32 v[122:123], v[120:121], v[116:117] op_sel:[1,1] op_sel_hi:[0,1]
	s_delay_alu instid0(VALU_DEP_1) | instskip(SKIP_1) | instid1(VALU_DEP_2)
	v_pk_fma_f32 v[124:125], v[120:121], v[116:117], v[122:123] op_sel_hi:[1,0,1]
	v_pk_fma_f32 v[116:117], v[120:121], v[116:117], v[122:123] neg_lo:[0,0,1] neg_hi:[0,0,1]
	v_mov_b32_e32 v117, v125
	s_cbranch_execz .LBB119_974
	s_branch .LBB119_975
.LBB119_973:
                                        ; implicit-def: $vgpr116_vgpr117
.LBB119_974:
	ds_load_b64 v[116:117], v1
.LBB119_975:
	s_mov_b32 s2, exec_lo
	v_cmpx_ne_u32_e32 42, v0
	s_cbranch_execz .LBB119_979
; %bb.976:
	v_add_nc_u32_e32 v119, 0x1c8, v58
	v_add3_u32 v120, 0, v58, 8
	v_mov_b32_e32 v121, v0
	s_mov_b32 s3, 0
.LBB119_977:                            ; =>This Inner Loop Header: Depth=1
	scratch_load_b64 v[122:123], v120, off
	ds_load_b64 v[124:125], v119
	s_wait_xcnt 0x0
	v_dual_add_nc_u32 v119, 8, v119 :: v_dual_add_nc_u32 v120, 8, v120
	s_wait_loadcnt_dscnt 0x0
	v_pk_mul_f32 v[126:127], v[124:125], v[122:123] op_sel:[1,1] op_sel_hi:[0,1]
	s_delay_alu instid0(VALU_DEP_1) | instskip(SKIP_2) | instid1(VALU_DEP_3)
	v_pk_fma_f32 v[128:129], v[124:125], v[122:123], v[126:127] op_sel_hi:[1,0,1]
	v_add_nc_u32_e32 v121, 1, v121
	v_pk_fma_f32 v[122:123], v[124:125], v[122:123], v[126:127] neg_lo:[0,0,1] neg_hi:[0,0,1]
	v_mov_b32_e32 v123, v129
	s_delay_alu instid0(VALU_DEP_3) | instskip(NEXT) | instid1(VALU_DEP_2)
	v_cmp_lt_u32_e32 vcc_lo, 41, v121
	v_pk_add_f32 v[116:117], v[116:117], v[122:123]
	s_or_b32 s3, vcc_lo, s3
	s_delay_alu instid0(SALU_CYCLE_1)
	s_and_not1_b32 exec_lo, exec_lo, s3
	s_cbranch_execnz .LBB119_977
; %bb.978:
	s_or_b32 exec_lo, exec_lo, s3
.LBB119_979:
	s_delay_alu instid0(SALU_CYCLE_1) | instskip(SKIP_4) | instid1(VALU_DEP_1)
	s_or_b32 exec_lo, exec_lo, s2
	v_mov_b32_e32 v119, 0
	ds_load_b64 v[120:121], v119 offset:344
	s_wait_dscnt 0x0
	v_pk_mul_f32 v[122:123], v[116:117], v[120:121] op_sel:[1,1] op_sel_hi:[0,1]
	v_pk_fma_f32 v[124:125], v[116:117], v[120:121], v[122:123] op_sel_hi:[1,0,1]
	v_pk_fma_f32 v[116:117], v[116:117], v[120:121], v[122:123] neg_lo:[0,0,1] neg_hi:[0,0,1]
	s_delay_alu instid0(VALU_DEP_2)
	v_mov_b32_e32 v117, v125
	scratch_store_b64 off, v[116:117], off offset:344
.LBB119_980:
	s_wait_xcnt 0x0
	s_or_b32 exec_lo, exec_lo, s0
	scratch_load_b64 v[116:117], off, off offset:352
	s_mov_b32 s0, exec_lo
	s_wait_loadcnt 0x0
	ds_store_b64 v1, v[116:117]
	s_wait_storecnt_dscnt 0x0
	s_barrier_signal -1
	s_barrier_wait -1
	s_wait_xcnt 0x0
	v_cmpx_gt_u32_e32 44, v0
	s_cbranch_execz .LBB119_990
; %bb.981:
	v_cmp_ne_u32_e32 vcc_lo, 1, v118
	s_cbranch_vccnz .LBB119_983
; %bb.982:
	scratch_load_b64 v[116:117], v59, off
	ds_load_b64 v[120:121], v1
	s_wait_loadcnt_dscnt 0x0
	v_pk_mul_f32 v[122:123], v[120:121], v[116:117] op_sel:[1,1] op_sel_hi:[0,1]
	s_delay_alu instid0(VALU_DEP_1) | instskip(SKIP_1) | instid1(VALU_DEP_2)
	v_pk_fma_f32 v[124:125], v[120:121], v[116:117], v[122:123] op_sel_hi:[1,0,1]
	v_pk_fma_f32 v[116:117], v[120:121], v[116:117], v[122:123] neg_lo:[0,0,1] neg_hi:[0,0,1]
	v_mov_b32_e32 v117, v125
	s_cbranch_execz .LBB119_984
	s_branch .LBB119_985
.LBB119_983:
                                        ; implicit-def: $vgpr116_vgpr117
.LBB119_984:
	ds_load_b64 v[116:117], v1
.LBB119_985:
	s_mov_b32 s2, exec_lo
	v_cmpx_ne_u32_e32 43, v0
	s_cbranch_execz .LBB119_989
; %bb.986:
	v_add_nc_u32_e32 v119, 0x1c8, v58
	v_add3_u32 v120, 0, v58, 8
	v_mov_b32_e32 v121, v0
	s_mov_b32 s3, 0
.LBB119_987:                            ; =>This Inner Loop Header: Depth=1
	scratch_load_b64 v[122:123], v120, off
	ds_load_b64 v[124:125], v119
	s_wait_xcnt 0x0
	v_dual_add_nc_u32 v119, 8, v119 :: v_dual_add_nc_u32 v120, 8, v120
	s_wait_loadcnt_dscnt 0x0
	v_pk_mul_f32 v[126:127], v[124:125], v[122:123] op_sel:[1,1] op_sel_hi:[0,1]
	s_delay_alu instid0(VALU_DEP_1) | instskip(SKIP_2) | instid1(VALU_DEP_3)
	v_pk_fma_f32 v[128:129], v[124:125], v[122:123], v[126:127] op_sel_hi:[1,0,1]
	v_add_nc_u32_e32 v121, 1, v121
	v_pk_fma_f32 v[122:123], v[124:125], v[122:123], v[126:127] neg_lo:[0,0,1] neg_hi:[0,0,1]
	v_mov_b32_e32 v123, v129
	s_delay_alu instid0(VALU_DEP_3) | instskip(NEXT) | instid1(VALU_DEP_2)
	v_cmp_lt_u32_e32 vcc_lo, 42, v121
	v_pk_add_f32 v[116:117], v[116:117], v[122:123]
	s_or_b32 s3, vcc_lo, s3
	s_delay_alu instid0(SALU_CYCLE_1)
	s_and_not1_b32 exec_lo, exec_lo, s3
	s_cbranch_execnz .LBB119_987
; %bb.988:
	s_or_b32 exec_lo, exec_lo, s3
.LBB119_989:
	s_delay_alu instid0(SALU_CYCLE_1) | instskip(SKIP_4) | instid1(VALU_DEP_1)
	s_or_b32 exec_lo, exec_lo, s2
	v_mov_b32_e32 v119, 0
	ds_load_b64 v[120:121], v119 offset:352
	s_wait_dscnt 0x0
	v_pk_mul_f32 v[122:123], v[116:117], v[120:121] op_sel:[1,1] op_sel_hi:[0,1]
	v_pk_fma_f32 v[124:125], v[116:117], v[120:121], v[122:123] op_sel_hi:[1,0,1]
	v_pk_fma_f32 v[116:117], v[116:117], v[120:121], v[122:123] neg_lo:[0,0,1] neg_hi:[0,0,1]
	s_delay_alu instid0(VALU_DEP_2)
	v_mov_b32_e32 v117, v125
	scratch_store_b64 off, v[116:117], off offset:352
.LBB119_990:
	s_wait_xcnt 0x0
	s_or_b32 exec_lo, exec_lo, s0
	scratch_load_b64 v[116:117], off, off offset:360
	s_mov_b32 s0, exec_lo
	s_wait_loadcnt 0x0
	ds_store_b64 v1, v[116:117]
	s_wait_storecnt_dscnt 0x0
	s_barrier_signal -1
	s_barrier_wait -1
	s_wait_xcnt 0x0
	v_cmpx_gt_u32_e32 45, v0
	s_cbranch_execz .LBB119_1000
; %bb.991:
	v_cmp_ne_u32_e32 vcc_lo, 1, v118
	s_cbranch_vccnz .LBB119_993
; %bb.992:
	scratch_load_b64 v[116:117], v59, off
	ds_load_b64 v[120:121], v1
	s_wait_loadcnt_dscnt 0x0
	v_pk_mul_f32 v[122:123], v[120:121], v[116:117] op_sel:[1,1] op_sel_hi:[0,1]
	s_delay_alu instid0(VALU_DEP_1) | instskip(SKIP_1) | instid1(VALU_DEP_2)
	v_pk_fma_f32 v[124:125], v[120:121], v[116:117], v[122:123] op_sel_hi:[1,0,1]
	v_pk_fma_f32 v[116:117], v[120:121], v[116:117], v[122:123] neg_lo:[0,0,1] neg_hi:[0,0,1]
	v_mov_b32_e32 v117, v125
	s_cbranch_execz .LBB119_994
	s_branch .LBB119_995
.LBB119_993:
                                        ; implicit-def: $vgpr116_vgpr117
.LBB119_994:
	ds_load_b64 v[116:117], v1
.LBB119_995:
	s_mov_b32 s2, exec_lo
	v_cmpx_ne_u32_e32 44, v0
	s_cbranch_execz .LBB119_999
; %bb.996:
	v_add_nc_u32_e32 v119, 0x1c8, v58
	v_add3_u32 v120, 0, v58, 8
	v_mov_b32_e32 v121, v0
	s_mov_b32 s3, 0
.LBB119_997:                            ; =>This Inner Loop Header: Depth=1
	scratch_load_b64 v[122:123], v120, off
	ds_load_b64 v[124:125], v119
	s_wait_xcnt 0x0
	v_dual_add_nc_u32 v119, 8, v119 :: v_dual_add_nc_u32 v120, 8, v120
	s_wait_loadcnt_dscnt 0x0
	v_pk_mul_f32 v[126:127], v[124:125], v[122:123] op_sel:[1,1] op_sel_hi:[0,1]
	s_delay_alu instid0(VALU_DEP_1) | instskip(SKIP_2) | instid1(VALU_DEP_3)
	v_pk_fma_f32 v[128:129], v[124:125], v[122:123], v[126:127] op_sel_hi:[1,0,1]
	v_add_nc_u32_e32 v121, 1, v121
	v_pk_fma_f32 v[122:123], v[124:125], v[122:123], v[126:127] neg_lo:[0,0,1] neg_hi:[0,0,1]
	v_mov_b32_e32 v123, v129
	s_delay_alu instid0(VALU_DEP_3) | instskip(NEXT) | instid1(VALU_DEP_2)
	v_cmp_lt_u32_e32 vcc_lo, 43, v121
	v_pk_add_f32 v[116:117], v[116:117], v[122:123]
	s_or_b32 s3, vcc_lo, s3
	s_delay_alu instid0(SALU_CYCLE_1)
	s_and_not1_b32 exec_lo, exec_lo, s3
	s_cbranch_execnz .LBB119_997
; %bb.998:
	s_or_b32 exec_lo, exec_lo, s3
.LBB119_999:
	s_delay_alu instid0(SALU_CYCLE_1) | instskip(SKIP_4) | instid1(VALU_DEP_1)
	s_or_b32 exec_lo, exec_lo, s2
	v_mov_b32_e32 v119, 0
	ds_load_b64 v[120:121], v119 offset:360
	s_wait_dscnt 0x0
	v_pk_mul_f32 v[122:123], v[116:117], v[120:121] op_sel:[1,1] op_sel_hi:[0,1]
	v_pk_fma_f32 v[124:125], v[116:117], v[120:121], v[122:123] op_sel_hi:[1,0,1]
	v_pk_fma_f32 v[116:117], v[116:117], v[120:121], v[122:123] neg_lo:[0,0,1] neg_hi:[0,0,1]
	s_delay_alu instid0(VALU_DEP_2)
	v_mov_b32_e32 v117, v125
	scratch_store_b64 off, v[116:117], off offset:360
.LBB119_1000:
	s_wait_xcnt 0x0
	s_or_b32 exec_lo, exec_lo, s0
	scratch_load_b64 v[116:117], off, off offset:368
	s_mov_b32 s0, exec_lo
	s_wait_loadcnt 0x0
	ds_store_b64 v1, v[116:117]
	s_wait_storecnt_dscnt 0x0
	s_barrier_signal -1
	s_barrier_wait -1
	s_wait_xcnt 0x0
	v_cmpx_gt_u32_e32 46, v0
	s_cbranch_execz .LBB119_1010
; %bb.1001:
	v_cmp_ne_u32_e32 vcc_lo, 1, v118
	s_cbranch_vccnz .LBB119_1003
; %bb.1002:
	scratch_load_b64 v[116:117], v59, off
	ds_load_b64 v[120:121], v1
	s_wait_loadcnt_dscnt 0x0
	v_pk_mul_f32 v[122:123], v[120:121], v[116:117] op_sel:[1,1] op_sel_hi:[0,1]
	s_delay_alu instid0(VALU_DEP_1) | instskip(SKIP_1) | instid1(VALU_DEP_2)
	v_pk_fma_f32 v[124:125], v[120:121], v[116:117], v[122:123] op_sel_hi:[1,0,1]
	v_pk_fma_f32 v[116:117], v[120:121], v[116:117], v[122:123] neg_lo:[0,0,1] neg_hi:[0,0,1]
	v_mov_b32_e32 v117, v125
	s_cbranch_execz .LBB119_1004
	s_branch .LBB119_1005
.LBB119_1003:
                                        ; implicit-def: $vgpr116_vgpr117
.LBB119_1004:
	ds_load_b64 v[116:117], v1
.LBB119_1005:
	s_mov_b32 s2, exec_lo
	v_cmpx_ne_u32_e32 45, v0
	s_cbranch_execz .LBB119_1009
; %bb.1006:
	v_add_nc_u32_e32 v119, 0x1c8, v58
	v_add3_u32 v120, 0, v58, 8
	v_mov_b32_e32 v121, v0
	s_mov_b32 s3, 0
.LBB119_1007:                           ; =>This Inner Loop Header: Depth=1
	scratch_load_b64 v[122:123], v120, off
	ds_load_b64 v[124:125], v119
	s_wait_xcnt 0x0
	v_dual_add_nc_u32 v119, 8, v119 :: v_dual_add_nc_u32 v120, 8, v120
	s_wait_loadcnt_dscnt 0x0
	v_pk_mul_f32 v[126:127], v[124:125], v[122:123] op_sel:[1,1] op_sel_hi:[0,1]
	s_delay_alu instid0(VALU_DEP_1) | instskip(SKIP_2) | instid1(VALU_DEP_3)
	v_pk_fma_f32 v[128:129], v[124:125], v[122:123], v[126:127] op_sel_hi:[1,0,1]
	v_add_nc_u32_e32 v121, 1, v121
	v_pk_fma_f32 v[122:123], v[124:125], v[122:123], v[126:127] neg_lo:[0,0,1] neg_hi:[0,0,1]
	v_mov_b32_e32 v123, v129
	s_delay_alu instid0(VALU_DEP_3) | instskip(NEXT) | instid1(VALU_DEP_2)
	v_cmp_lt_u32_e32 vcc_lo, 44, v121
	v_pk_add_f32 v[116:117], v[116:117], v[122:123]
	s_or_b32 s3, vcc_lo, s3
	s_delay_alu instid0(SALU_CYCLE_1)
	s_and_not1_b32 exec_lo, exec_lo, s3
	s_cbranch_execnz .LBB119_1007
; %bb.1008:
	s_or_b32 exec_lo, exec_lo, s3
.LBB119_1009:
	s_delay_alu instid0(SALU_CYCLE_1) | instskip(SKIP_4) | instid1(VALU_DEP_1)
	s_or_b32 exec_lo, exec_lo, s2
	v_mov_b32_e32 v119, 0
	ds_load_b64 v[120:121], v119 offset:368
	s_wait_dscnt 0x0
	v_pk_mul_f32 v[122:123], v[116:117], v[120:121] op_sel:[1,1] op_sel_hi:[0,1]
	v_pk_fma_f32 v[124:125], v[116:117], v[120:121], v[122:123] op_sel_hi:[1,0,1]
	v_pk_fma_f32 v[116:117], v[116:117], v[120:121], v[122:123] neg_lo:[0,0,1] neg_hi:[0,0,1]
	s_delay_alu instid0(VALU_DEP_2)
	v_mov_b32_e32 v117, v125
	scratch_store_b64 off, v[116:117], off offset:368
.LBB119_1010:
	s_wait_xcnt 0x0
	s_or_b32 exec_lo, exec_lo, s0
	scratch_load_b64 v[116:117], off, off offset:376
	s_mov_b32 s0, exec_lo
	s_wait_loadcnt 0x0
	ds_store_b64 v1, v[116:117]
	s_wait_storecnt_dscnt 0x0
	s_barrier_signal -1
	s_barrier_wait -1
	s_wait_xcnt 0x0
	v_cmpx_gt_u32_e32 47, v0
	s_cbranch_execz .LBB119_1020
; %bb.1011:
	v_cmp_ne_u32_e32 vcc_lo, 1, v118
	s_cbranch_vccnz .LBB119_1013
; %bb.1012:
	scratch_load_b64 v[116:117], v59, off
	ds_load_b64 v[120:121], v1
	s_wait_loadcnt_dscnt 0x0
	v_pk_mul_f32 v[122:123], v[120:121], v[116:117] op_sel:[1,1] op_sel_hi:[0,1]
	s_delay_alu instid0(VALU_DEP_1) | instskip(SKIP_1) | instid1(VALU_DEP_2)
	v_pk_fma_f32 v[124:125], v[120:121], v[116:117], v[122:123] op_sel_hi:[1,0,1]
	v_pk_fma_f32 v[116:117], v[120:121], v[116:117], v[122:123] neg_lo:[0,0,1] neg_hi:[0,0,1]
	v_mov_b32_e32 v117, v125
	s_cbranch_execz .LBB119_1014
	s_branch .LBB119_1015
.LBB119_1013:
                                        ; implicit-def: $vgpr116_vgpr117
.LBB119_1014:
	ds_load_b64 v[116:117], v1
.LBB119_1015:
	s_mov_b32 s2, exec_lo
	v_cmpx_ne_u32_e32 46, v0
	s_cbranch_execz .LBB119_1019
; %bb.1016:
	v_add_nc_u32_e32 v119, 0x1c8, v58
	v_add3_u32 v120, 0, v58, 8
	v_mov_b32_e32 v121, v0
	s_mov_b32 s3, 0
.LBB119_1017:                           ; =>This Inner Loop Header: Depth=1
	scratch_load_b64 v[122:123], v120, off
	ds_load_b64 v[124:125], v119
	s_wait_xcnt 0x0
	v_dual_add_nc_u32 v119, 8, v119 :: v_dual_add_nc_u32 v120, 8, v120
	s_wait_loadcnt_dscnt 0x0
	v_pk_mul_f32 v[126:127], v[124:125], v[122:123] op_sel:[1,1] op_sel_hi:[0,1]
	s_delay_alu instid0(VALU_DEP_1) | instskip(SKIP_2) | instid1(VALU_DEP_3)
	v_pk_fma_f32 v[128:129], v[124:125], v[122:123], v[126:127] op_sel_hi:[1,0,1]
	v_add_nc_u32_e32 v121, 1, v121
	v_pk_fma_f32 v[122:123], v[124:125], v[122:123], v[126:127] neg_lo:[0,0,1] neg_hi:[0,0,1]
	v_mov_b32_e32 v123, v129
	s_delay_alu instid0(VALU_DEP_3) | instskip(NEXT) | instid1(VALU_DEP_2)
	v_cmp_lt_u32_e32 vcc_lo, 45, v121
	v_pk_add_f32 v[116:117], v[116:117], v[122:123]
	s_or_b32 s3, vcc_lo, s3
	s_delay_alu instid0(SALU_CYCLE_1)
	s_and_not1_b32 exec_lo, exec_lo, s3
	s_cbranch_execnz .LBB119_1017
; %bb.1018:
	s_or_b32 exec_lo, exec_lo, s3
.LBB119_1019:
	s_delay_alu instid0(SALU_CYCLE_1) | instskip(SKIP_4) | instid1(VALU_DEP_1)
	s_or_b32 exec_lo, exec_lo, s2
	v_mov_b32_e32 v119, 0
	ds_load_b64 v[120:121], v119 offset:376
	s_wait_dscnt 0x0
	v_pk_mul_f32 v[122:123], v[116:117], v[120:121] op_sel:[1,1] op_sel_hi:[0,1]
	v_pk_fma_f32 v[124:125], v[116:117], v[120:121], v[122:123] op_sel_hi:[1,0,1]
	v_pk_fma_f32 v[116:117], v[116:117], v[120:121], v[122:123] neg_lo:[0,0,1] neg_hi:[0,0,1]
	s_delay_alu instid0(VALU_DEP_2)
	v_mov_b32_e32 v117, v125
	scratch_store_b64 off, v[116:117], off offset:376
.LBB119_1020:
	s_wait_xcnt 0x0
	s_or_b32 exec_lo, exec_lo, s0
	scratch_load_b64 v[116:117], off, off offset:384
	s_mov_b32 s0, exec_lo
	s_wait_loadcnt 0x0
	ds_store_b64 v1, v[116:117]
	s_wait_storecnt_dscnt 0x0
	s_barrier_signal -1
	s_barrier_wait -1
	s_wait_xcnt 0x0
	v_cmpx_gt_u32_e32 48, v0
	s_cbranch_execz .LBB119_1030
; %bb.1021:
	v_cmp_ne_u32_e32 vcc_lo, 1, v118
	s_cbranch_vccnz .LBB119_1023
; %bb.1022:
	scratch_load_b64 v[116:117], v59, off
	ds_load_b64 v[120:121], v1
	s_wait_loadcnt_dscnt 0x0
	v_pk_mul_f32 v[122:123], v[120:121], v[116:117] op_sel:[1,1] op_sel_hi:[0,1]
	s_delay_alu instid0(VALU_DEP_1) | instskip(SKIP_1) | instid1(VALU_DEP_2)
	v_pk_fma_f32 v[124:125], v[120:121], v[116:117], v[122:123] op_sel_hi:[1,0,1]
	v_pk_fma_f32 v[116:117], v[120:121], v[116:117], v[122:123] neg_lo:[0,0,1] neg_hi:[0,0,1]
	v_mov_b32_e32 v117, v125
	s_cbranch_execz .LBB119_1024
	s_branch .LBB119_1025
.LBB119_1023:
                                        ; implicit-def: $vgpr116_vgpr117
.LBB119_1024:
	ds_load_b64 v[116:117], v1
.LBB119_1025:
	s_mov_b32 s2, exec_lo
	v_cmpx_ne_u32_e32 47, v0
	s_cbranch_execz .LBB119_1029
; %bb.1026:
	v_add_nc_u32_e32 v119, 0x1c8, v58
	v_add3_u32 v120, 0, v58, 8
	v_mov_b32_e32 v121, v0
	s_mov_b32 s3, 0
.LBB119_1027:                           ; =>This Inner Loop Header: Depth=1
	scratch_load_b64 v[122:123], v120, off
	ds_load_b64 v[124:125], v119
	s_wait_xcnt 0x0
	v_dual_add_nc_u32 v119, 8, v119 :: v_dual_add_nc_u32 v120, 8, v120
	s_wait_loadcnt_dscnt 0x0
	v_pk_mul_f32 v[126:127], v[124:125], v[122:123] op_sel:[1,1] op_sel_hi:[0,1]
	s_delay_alu instid0(VALU_DEP_1) | instskip(SKIP_2) | instid1(VALU_DEP_3)
	v_pk_fma_f32 v[128:129], v[124:125], v[122:123], v[126:127] op_sel_hi:[1,0,1]
	v_add_nc_u32_e32 v121, 1, v121
	v_pk_fma_f32 v[122:123], v[124:125], v[122:123], v[126:127] neg_lo:[0,0,1] neg_hi:[0,0,1]
	v_mov_b32_e32 v123, v129
	s_delay_alu instid0(VALU_DEP_3) | instskip(NEXT) | instid1(VALU_DEP_2)
	v_cmp_lt_u32_e32 vcc_lo, 46, v121
	v_pk_add_f32 v[116:117], v[116:117], v[122:123]
	s_or_b32 s3, vcc_lo, s3
	s_delay_alu instid0(SALU_CYCLE_1)
	s_and_not1_b32 exec_lo, exec_lo, s3
	s_cbranch_execnz .LBB119_1027
; %bb.1028:
	s_or_b32 exec_lo, exec_lo, s3
.LBB119_1029:
	s_delay_alu instid0(SALU_CYCLE_1) | instskip(SKIP_4) | instid1(VALU_DEP_1)
	s_or_b32 exec_lo, exec_lo, s2
	v_mov_b32_e32 v119, 0
	ds_load_b64 v[120:121], v119 offset:384
	s_wait_dscnt 0x0
	v_pk_mul_f32 v[122:123], v[116:117], v[120:121] op_sel:[1,1] op_sel_hi:[0,1]
	v_pk_fma_f32 v[124:125], v[116:117], v[120:121], v[122:123] op_sel_hi:[1,0,1]
	v_pk_fma_f32 v[116:117], v[116:117], v[120:121], v[122:123] neg_lo:[0,0,1] neg_hi:[0,0,1]
	s_delay_alu instid0(VALU_DEP_2)
	v_mov_b32_e32 v117, v125
	scratch_store_b64 off, v[116:117], off offset:384
.LBB119_1030:
	s_wait_xcnt 0x0
	s_or_b32 exec_lo, exec_lo, s0
	scratch_load_b64 v[116:117], off, off offset:392
	s_mov_b32 s0, exec_lo
	s_wait_loadcnt 0x0
	ds_store_b64 v1, v[116:117]
	s_wait_storecnt_dscnt 0x0
	s_barrier_signal -1
	s_barrier_wait -1
	s_wait_xcnt 0x0
	v_cmpx_gt_u32_e32 49, v0
	s_cbranch_execz .LBB119_1040
; %bb.1031:
	v_cmp_ne_u32_e32 vcc_lo, 1, v118
	s_cbranch_vccnz .LBB119_1033
; %bb.1032:
	scratch_load_b64 v[116:117], v59, off
	ds_load_b64 v[120:121], v1
	s_wait_loadcnt_dscnt 0x0
	v_pk_mul_f32 v[122:123], v[120:121], v[116:117] op_sel:[1,1] op_sel_hi:[0,1]
	s_delay_alu instid0(VALU_DEP_1) | instskip(SKIP_1) | instid1(VALU_DEP_2)
	v_pk_fma_f32 v[124:125], v[120:121], v[116:117], v[122:123] op_sel_hi:[1,0,1]
	v_pk_fma_f32 v[116:117], v[120:121], v[116:117], v[122:123] neg_lo:[0,0,1] neg_hi:[0,0,1]
	v_mov_b32_e32 v117, v125
	s_cbranch_execz .LBB119_1034
	s_branch .LBB119_1035
.LBB119_1033:
                                        ; implicit-def: $vgpr116_vgpr117
.LBB119_1034:
	ds_load_b64 v[116:117], v1
.LBB119_1035:
	s_mov_b32 s2, exec_lo
	v_cmpx_ne_u32_e32 48, v0
	s_cbranch_execz .LBB119_1039
; %bb.1036:
	v_add_nc_u32_e32 v119, 0x1c8, v58
	v_add3_u32 v120, 0, v58, 8
	v_mov_b32_e32 v121, v0
	s_mov_b32 s3, 0
.LBB119_1037:                           ; =>This Inner Loop Header: Depth=1
	scratch_load_b64 v[122:123], v120, off
	ds_load_b64 v[124:125], v119
	s_wait_xcnt 0x0
	v_dual_add_nc_u32 v119, 8, v119 :: v_dual_add_nc_u32 v120, 8, v120
	s_wait_loadcnt_dscnt 0x0
	v_pk_mul_f32 v[126:127], v[124:125], v[122:123] op_sel:[1,1] op_sel_hi:[0,1]
	s_delay_alu instid0(VALU_DEP_1) | instskip(SKIP_2) | instid1(VALU_DEP_3)
	v_pk_fma_f32 v[128:129], v[124:125], v[122:123], v[126:127] op_sel_hi:[1,0,1]
	v_add_nc_u32_e32 v121, 1, v121
	v_pk_fma_f32 v[122:123], v[124:125], v[122:123], v[126:127] neg_lo:[0,0,1] neg_hi:[0,0,1]
	v_mov_b32_e32 v123, v129
	s_delay_alu instid0(VALU_DEP_3) | instskip(NEXT) | instid1(VALU_DEP_2)
	v_cmp_lt_u32_e32 vcc_lo, 47, v121
	v_pk_add_f32 v[116:117], v[116:117], v[122:123]
	s_or_b32 s3, vcc_lo, s3
	s_delay_alu instid0(SALU_CYCLE_1)
	s_and_not1_b32 exec_lo, exec_lo, s3
	s_cbranch_execnz .LBB119_1037
; %bb.1038:
	s_or_b32 exec_lo, exec_lo, s3
.LBB119_1039:
	s_delay_alu instid0(SALU_CYCLE_1) | instskip(SKIP_4) | instid1(VALU_DEP_1)
	s_or_b32 exec_lo, exec_lo, s2
	v_mov_b32_e32 v119, 0
	ds_load_b64 v[120:121], v119 offset:392
	s_wait_dscnt 0x0
	v_pk_mul_f32 v[122:123], v[116:117], v[120:121] op_sel:[1,1] op_sel_hi:[0,1]
	v_pk_fma_f32 v[124:125], v[116:117], v[120:121], v[122:123] op_sel_hi:[1,0,1]
	v_pk_fma_f32 v[116:117], v[116:117], v[120:121], v[122:123] neg_lo:[0,0,1] neg_hi:[0,0,1]
	s_delay_alu instid0(VALU_DEP_2)
	v_mov_b32_e32 v117, v125
	scratch_store_b64 off, v[116:117], off offset:392
.LBB119_1040:
	s_wait_xcnt 0x0
	s_or_b32 exec_lo, exec_lo, s0
	scratch_load_b64 v[116:117], off, off offset:400
	s_mov_b32 s0, exec_lo
	s_wait_loadcnt 0x0
	ds_store_b64 v1, v[116:117]
	s_wait_storecnt_dscnt 0x0
	s_barrier_signal -1
	s_barrier_wait -1
	s_wait_xcnt 0x0
	v_cmpx_gt_u32_e32 50, v0
	s_cbranch_execz .LBB119_1050
; %bb.1041:
	v_cmp_ne_u32_e32 vcc_lo, 1, v118
	s_cbranch_vccnz .LBB119_1043
; %bb.1042:
	scratch_load_b64 v[116:117], v59, off
	ds_load_b64 v[120:121], v1
	s_wait_loadcnt_dscnt 0x0
	v_pk_mul_f32 v[122:123], v[120:121], v[116:117] op_sel:[1,1] op_sel_hi:[0,1]
	s_delay_alu instid0(VALU_DEP_1) | instskip(SKIP_1) | instid1(VALU_DEP_2)
	v_pk_fma_f32 v[124:125], v[120:121], v[116:117], v[122:123] op_sel_hi:[1,0,1]
	v_pk_fma_f32 v[116:117], v[120:121], v[116:117], v[122:123] neg_lo:[0,0,1] neg_hi:[0,0,1]
	v_mov_b32_e32 v117, v125
	s_cbranch_execz .LBB119_1044
	s_branch .LBB119_1045
.LBB119_1043:
                                        ; implicit-def: $vgpr116_vgpr117
.LBB119_1044:
	ds_load_b64 v[116:117], v1
.LBB119_1045:
	s_mov_b32 s2, exec_lo
	v_cmpx_ne_u32_e32 49, v0
	s_cbranch_execz .LBB119_1049
; %bb.1046:
	v_add_nc_u32_e32 v119, 0x1c8, v58
	v_add3_u32 v120, 0, v58, 8
	v_mov_b32_e32 v121, v0
	s_mov_b32 s3, 0
.LBB119_1047:                           ; =>This Inner Loop Header: Depth=1
	scratch_load_b64 v[122:123], v120, off
	ds_load_b64 v[124:125], v119
	s_wait_xcnt 0x0
	v_dual_add_nc_u32 v119, 8, v119 :: v_dual_add_nc_u32 v120, 8, v120
	s_wait_loadcnt_dscnt 0x0
	v_pk_mul_f32 v[126:127], v[124:125], v[122:123] op_sel:[1,1] op_sel_hi:[0,1]
	s_delay_alu instid0(VALU_DEP_1) | instskip(SKIP_2) | instid1(VALU_DEP_3)
	v_pk_fma_f32 v[128:129], v[124:125], v[122:123], v[126:127] op_sel_hi:[1,0,1]
	v_add_nc_u32_e32 v121, 1, v121
	v_pk_fma_f32 v[122:123], v[124:125], v[122:123], v[126:127] neg_lo:[0,0,1] neg_hi:[0,0,1]
	v_mov_b32_e32 v123, v129
	s_delay_alu instid0(VALU_DEP_3) | instskip(NEXT) | instid1(VALU_DEP_2)
	v_cmp_lt_u32_e32 vcc_lo, 48, v121
	v_pk_add_f32 v[116:117], v[116:117], v[122:123]
	s_or_b32 s3, vcc_lo, s3
	s_delay_alu instid0(SALU_CYCLE_1)
	s_and_not1_b32 exec_lo, exec_lo, s3
	s_cbranch_execnz .LBB119_1047
; %bb.1048:
	s_or_b32 exec_lo, exec_lo, s3
.LBB119_1049:
	s_delay_alu instid0(SALU_CYCLE_1) | instskip(SKIP_4) | instid1(VALU_DEP_1)
	s_or_b32 exec_lo, exec_lo, s2
	v_mov_b32_e32 v119, 0
	ds_load_b64 v[120:121], v119 offset:400
	s_wait_dscnt 0x0
	v_pk_mul_f32 v[122:123], v[116:117], v[120:121] op_sel:[1,1] op_sel_hi:[0,1]
	v_pk_fma_f32 v[124:125], v[116:117], v[120:121], v[122:123] op_sel_hi:[1,0,1]
	v_pk_fma_f32 v[116:117], v[116:117], v[120:121], v[122:123] neg_lo:[0,0,1] neg_hi:[0,0,1]
	s_delay_alu instid0(VALU_DEP_2)
	v_mov_b32_e32 v117, v125
	scratch_store_b64 off, v[116:117], off offset:400
.LBB119_1050:
	s_wait_xcnt 0x0
	s_or_b32 exec_lo, exec_lo, s0
	scratch_load_b64 v[116:117], off, off offset:408
	s_mov_b32 s0, exec_lo
	s_wait_loadcnt 0x0
	ds_store_b64 v1, v[116:117]
	s_wait_storecnt_dscnt 0x0
	s_barrier_signal -1
	s_barrier_wait -1
	s_wait_xcnt 0x0
	v_cmpx_gt_u32_e32 51, v0
	s_cbranch_execz .LBB119_1060
; %bb.1051:
	v_cmp_ne_u32_e32 vcc_lo, 1, v118
	s_cbranch_vccnz .LBB119_1053
; %bb.1052:
	scratch_load_b64 v[116:117], v59, off
	ds_load_b64 v[120:121], v1
	s_wait_loadcnt_dscnt 0x0
	v_pk_mul_f32 v[122:123], v[120:121], v[116:117] op_sel:[1,1] op_sel_hi:[0,1]
	s_delay_alu instid0(VALU_DEP_1) | instskip(SKIP_1) | instid1(VALU_DEP_2)
	v_pk_fma_f32 v[124:125], v[120:121], v[116:117], v[122:123] op_sel_hi:[1,0,1]
	v_pk_fma_f32 v[116:117], v[120:121], v[116:117], v[122:123] neg_lo:[0,0,1] neg_hi:[0,0,1]
	v_mov_b32_e32 v117, v125
	s_cbranch_execz .LBB119_1054
	s_branch .LBB119_1055
.LBB119_1053:
                                        ; implicit-def: $vgpr116_vgpr117
.LBB119_1054:
	ds_load_b64 v[116:117], v1
.LBB119_1055:
	s_mov_b32 s2, exec_lo
	v_cmpx_ne_u32_e32 50, v0
	s_cbranch_execz .LBB119_1059
; %bb.1056:
	v_add_nc_u32_e32 v119, 0x1c8, v58
	v_add3_u32 v120, 0, v58, 8
	v_mov_b32_e32 v121, v0
	s_mov_b32 s3, 0
.LBB119_1057:                           ; =>This Inner Loop Header: Depth=1
	scratch_load_b64 v[122:123], v120, off
	ds_load_b64 v[124:125], v119
	s_wait_xcnt 0x0
	v_dual_add_nc_u32 v119, 8, v119 :: v_dual_add_nc_u32 v120, 8, v120
	s_wait_loadcnt_dscnt 0x0
	v_pk_mul_f32 v[126:127], v[124:125], v[122:123] op_sel:[1,1] op_sel_hi:[0,1]
	s_delay_alu instid0(VALU_DEP_1) | instskip(SKIP_2) | instid1(VALU_DEP_3)
	v_pk_fma_f32 v[128:129], v[124:125], v[122:123], v[126:127] op_sel_hi:[1,0,1]
	v_add_nc_u32_e32 v121, 1, v121
	v_pk_fma_f32 v[122:123], v[124:125], v[122:123], v[126:127] neg_lo:[0,0,1] neg_hi:[0,0,1]
	v_mov_b32_e32 v123, v129
	s_delay_alu instid0(VALU_DEP_3) | instskip(NEXT) | instid1(VALU_DEP_2)
	v_cmp_lt_u32_e32 vcc_lo, 49, v121
	v_pk_add_f32 v[116:117], v[116:117], v[122:123]
	s_or_b32 s3, vcc_lo, s3
	s_delay_alu instid0(SALU_CYCLE_1)
	s_and_not1_b32 exec_lo, exec_lo, s3
	s_cbranch_execnz .LBB119_1057
; %bb.1058:
	s_or_b32 exec_lo, exec_lo, s3
.LBB119_1059:
	s_delay_alu instid0(SALU_CYCLE_1) | instskip(SKIP_4) | instid1(VALU_DEP_1)
	s_or_b32 exec_lo, exec_lo, s2
	v_mov_b32_e32 v119, 0
	ds_load_b64 v[120:121], v119 offset:408
	s_wait_dscnt 0x0
	v_pk_mul_f32 v[122:123], v[116:117], v[120:121] op_sel:[1,1] op_sel_hi:[0,1]
	v_pk_fma_f32 v[124:125], v[116:117], v[120:121], v[122:123] op_sel_hi:[1,0,1]
	v_pk_fma_f32 v[116:117], v[116:117], v[120:121], v[122:123] neg_lo:[0,0,1] neg_hi:[0,0,1]
	s_delay_alu instid0(VALU_DEP_2)
	v_mov_b32_e32 v117, v125
	scratch_store_b64 off, v[116:117], off offset:408
.LBB119_1060:
	s_wait_xcnt 0x0
	s_or_b32 exec_lo, exec_lo, s0
	scratch_load_b64 v[116:117], off, off offset:416
	s_mov_b32 s0, exec_lo
	s_wait_loadcnt 0x0
	ds_store_b64 v1, v[116:117]
	s_wait_storecnt_dscnt 0x0
	s_barrier_signal -1
	s_barrier_wait -1
	s_wait_xcnt 0x0
	v_cmpx_gt_u32_e32 52, v0
	s_cbranch_execz .LBB119_1070
; %bb.1061:
	v_cmp_ne_u32_e32 vcc_lo, 1, v118
	s_cbranch_vccnz .LBB119_1063
; %bb.1062:
	scratch_load_b64 v[116:117], v59, off
	ds_load_b64 v[120:121], v1
	s_wait_loadcnt_dscnt 0x0
	v_pk_mul_f32 v[122:123], v[120:121], v[116:117] op_sel:[1,1] op_sel_hi:[0,1]
	s_delay_alu instid0(VALU_DEP_1) | instskip(SKIP_1) | instid1(VALU_DEP_2)
	v_pk_fma_f32 v[124:125], v[120:121], v[116:117], v[122:123] op_sel_hi:[1,0,1]
	v_pk_fma_f32 v[116:117], v[120:121], v[116:117], v[122:123] neg_lo:[0,0,1] neg_hi:[0,0,1]
	v_mov_b32_e32 v117, v125
	s_cbranch_execz .LBB119_1064
	s_branch .LBB119_1065
.LBB119_1063:
                                        ; implicit-def: $vgpr116_vgpr117
.LBB119_1064:
	ds_load_b64 v[116:117], v1
.LBB119_1065:
	s_mov_b32 s2, exec_lo
	v_cmpx_ne_u32_e32 51, v0
	s_cbranch_execz .LBB119_1069
; %bb.1066:
	v_add_nc_u32_e32 v119, 0x1c8, v58
	v_add3_u32 v120, 0, v58, 8
	v_mov_b32_e32 v121, v0
	s_mov_b32 s3, 0
.LBB119_1067:                           ; =>This Inner Loop Header: Depth=1
	scratch_load_b64 v[122:123], v120, off
	ds_load_b64 v[124:125], v119
	s_wait_xcnt 0x0
	v_dual_add_nc_u32 v119, 8, v119 :: v_dual_add_nc_u32 v120, 8, v120
	s_wait_loadcnt_dscnt 0x0
	v_pk_mul_f32 v[126:127], v[124:125], v[122:123] op_sel:[1,1] op_sel_hi:[0,1]
	s_delay_alu instid0(VALU_DEP_1) | instskip(SKIP_2) | instid1(VALU_DEP_3)
	v_pk_fma_f32 v[128:129], v[124:125], v[122:123], v[126:127] op_sel_hi:[1,0,1]
	v_add_nc_u32_e32 v121, 1, v121
	v_pk_fma_f32 v[122:123], v[124:125], v[122:123], v[126:127] neg_lo:[0,0,1] neg_hi:[0,0,1]
	v_mov_b32_e32 v123, v129
	s_delay_alu instid0(VALU_DEP_3) | instskip(NEXT) | instid1(VALU_DEP_2)
	v_cmp_lt_u32_e32 vcc_lo, 50, v121
	v_pk_add_f32 v[116:117], v[116:117], v[122:123]
	s_or_b32 s3, vcc_lo, s3
	s_delay_alu instid0(SALU_CYCLE_1)
	s_and_not1_b32 exec_lo, exec_lo, s3
	s_cbranch_execnz .LBB119_1067
; %bb.1068:
	s_or_b32 exec_lo, exec_lo, s3
.LBB119_1069:
	s_delay_alu instid0(SALU_CYCLE_1) | instskip(SKIP_4) | instid1(VALU_DEP_1)
	s_or_b32 exec_lo, exec_lo, s2
	v_mov_b32_e32 v119, 0
	ds_load_b64 v[120:121], v119 offset:416
	s_wait_dscnt 0x0
	v_pk_mul_f32 v[122:123], v[116:117], v[120:121] op_sel:[1,1] op_sel_hi:[0,1]
	v_pk_fma_f32 v[124:125], v[116:117], v[120:121], v[122:123] op_sel_hi:[1,0,1]
	v_pk_fma_f32 v[116:117], v[116:117], v[120:121], v[122:123] neg_lo:[0,0,1] neg_hi:[0,0,1]
	s_delay_alu instid0(VALU_DEP_2)
	v_mov_b32_e32 v117, v125
	scratch_store_b64 off, v[116:117], off offset:416
.LBB119_1070:
	s_wait_xcnt 0x0
	s_or_b32 exec_lo, exec_lo, s0
	scratch_load_b64 v[116:117], off, off offset:424
	s_mov_b32 s0, exec_lo
	s_wait_loadcnt 0x0
	ds_store_b64 v1, v[116:117]
	s_wait_storecnt_dscnt 0x0
	s_barrier_signal -1
	s_barrier_wait -1
	s_wait_xcnt 0x0
	v_cmpx_gt_u32_e32 53, v0
	s_cbranch_execz .LBB119_1080
; %bb.1071:
	v_cmp_ne_u32_e32 vcc_lo, 1, v118
	s_cbranch_vccnz .LBB119_1073
; %bb.1072:
	scratch_load_b64 v[116:117], v59, off
	ds_load_b64 v[120:121], v1
	s_wait_loadcnt_dscnt 0x0
	v_pk_mul_f32 v[122:123], v[120:121], v[116:117] op_sel:[1,1] op_sel_hi:[0,1]
	s_delay_alu instid0(VALU_DEP_1) | instskip(SKIP_1) | instid1(VALU_DEP_2)
	v_pk_fma_f32 v[124:125], v[120:121], v[116:117], v[122:123] op_sel_hi:[1,0,1]
	v_pk_fma_f32 v[116:117], v[120:121], v[116:117], v[122:123] neg_lo:[0,0,1] neg_hi:[0,0,1]
	v_mov_b32_e32 v117, v125
	s_cbranch_execz .LBB119_1074
	s_branch .LBB119_1075
.LBB119_1073:
                                        ; implicit-def: $vgpr116_vgpr117
.LBB119_1074:
	ds_load_b64 v[116:117], v1
.LBB119_1075:
	s_mov_b32 s2, exec_lo
	v_cmpx_ne_u32_e32 52, v0
	s_cbranch_execz .LBB119_1079
; %bb.1076:
	v_add_nc_u32_e32 v119, 0x1c8, v58
	v_add3_u32 v120, 0, v58, 8
	v_mov_b32_e32 v121, v0
	s_mov_b32 s3, 0
.LBB119_1077:                           ; =>This Inner Loop Header: Depth=1
	scratch_load_b64 v[122:123], v120, off
	ds_load_b64 v[124:125], v119
	s_wait_xcnt 0x0
	v_dual_add_nc_u32 v119, 8, v119 :: v_dual_add_nc_u32 v120, 8, v120
	s_wait_loadcnt_dscnt 0x0
	v_pk_mul_f32 v[126:127], v[124:125], v[122:123] op_sel:[1,1] op_sel_hi:[0,1]
	s_delay_alu instid0(VALU_DEP_1) | instskip(SKIP_2) | instid1(VALU_DEP_3)
	v_pk_fma_f32 v[128:129], v[124:125], v[122:123], v[126:127] op_sel_hi:[1,0,1]
	v_add_nc_u32_e32 v121, 1, v121
	v_pk_fma_f32 v[122:123], v[124:125], v[122:123], v[126:127] neg_lo:[0,0,1] neg_hi:[0,0,1]
	v_mov_b32_e32 v123, v129
	s_delay_alu instid0(VALU_DEP_3) | instskip(NEXT) | instid1(VALU_DEP_2)
	v_cmp_lt_u32_e32 vcc_lo, 51, v121
	v_pk_add_f32 v[116:117], v[116:117], v[122:123]
	s_or_b32 s3, vcc_lo, s3
	s_delay_alu instid0(SALU_CYCLE_1)
	s_and_not1_b32 exec_lo, exec_lo, s3
	s_cbranch_execnz .LBB119_1077
; %bb.1078:
	s_or_b32 exec_lo, exec_lo, s3
.LBB119_1079:
	s_delay_alu instid0(SALU_CYCLE_1) | instskip(SKIP_4) | instid1(VALU_DEP_1)
	s_or_b32 exec_lo, exec_lo, s2
	v_mov_b32_e32 v119, 0
	ds_load_b64 v[120:121], v119 offset:424
	s_wait_dscnt 0x0
	v_pk_mul_f32 v[122:123], v[116:117], v[120:121] op_sel:[1,1] op_sel_hi:[0,1]
	v_pk_fma_f32 v[124:125], v[116:117], v[120:121], v[122:123] op_sel_hi:[1,0,1]
	v_pk_fma_f32 v[116:117], v[116:117], v[120:121], v[122:123] neg_lo:[0,0,1] neg_hi:[0,0,1]
	s_delay_alu instid0(VALU_DEP_2)
	v_mov_b32_e32 v117, v125
	scratch_store_b64 off, v[116:117], off offset:424
.LBB119_1080:
	s_wait_xcnt 0x0
	s_or_b32 exec_lo, exec_lo, s0
	scratch_load_b64 v[116:117], off, off offset:432
	v_cmp_gt_u32_e64 s0, 54, v0
	s_wait_loadcnt 0x0
	ds_store_b64 v1, v[116:117]
	s_wait_storecnt_dscnt 0x0
	s_barrier_signal -1
	s_barrier_wait -1
	s_wait_xcnt 0x0
	s_and_saveexec_b32 s2, s0
	s_cbranch_execz .LBB119_1090
; %bb.1081:
	v_cmp_ne_u32_e32 vcc_lo, 1, v118
	s_cbranch_vccnz .LBB119_1083
; %bb.1082:
	scratch_load_b64 v[116:117], v59, off
	ds_load_b64 v[120:121], v1
	s_wait_loadcnt_dscnt 0x0
	v_pk_mul_f32 v[122:123], v[120:121], v[116:117] op_sel:[1,1] op_sel_hi:[0,1]
	s_delay_alu instid0(VALU_DEP_1) | instskip(SKIP_1) | instid1(VALU_DEP_2)
	v_pk_fma_f32 v[124:125], v[120:121], v[116:117], v[122:123] op_sel_hi:[1,0,1]
	v_pk_fma_f32 v[116:117], v[120:121], v[116:117], v[122:123] neg_lo:[0,0,1] neg_hi:[0,0,1]
	v_mov_b32_e32 v117, v125
	s_cbranch_execz .LBB119_1084
	s_branch .LBB119_1085
.LBB119_1083:
                                        ; implicit-def: $vgpr116_vgpr117
.LBB119_1084:
	ds_load_b64 v[116:117], v1
.LBB119_1085:
	s_mov_b32 s3, exec_lo
	v_cmpx_ne_u32_e32 53, v0
	s_cbranch_execz .LBB119_1089
; %bb.1086:
	v_add_nc_u32_e32 v119, 0x1c8, v58
	v_add3_u32 v120, 0, v58, 8
	v_mov_b32_e32 v121, v0
	s_mov_b32 s4, 0
.LBB119_1087:                           ; =>This Inner Loop Header: Depth=1
	scratch_load_b64 v[122:123], v120, off
	ds_load_b64 v[124:125], v119
	s_wait_xcnt 0x0
	v_dual_add_nc_u32 v119, 8, v119 :: v_dual_add_nc_u32 v120, 8, v120
	s_wait_loadcnt_dscnt 0x0
	v_pk_mul_f32 v[126:127], v[124:125], v[122:123] op_sel:[1,1] op_sel_hi:[0,1]
	s_delay_alu instid0(VALU_DEP_1) | instskip(SKIP_2) | instid1(VALU_DEP_3)
	v_pk_fma_f32 v[128:129], v[124:125], v[122:123], v[126:127] op_sel_hi:[1,0,1]
	v_add_nc_u32_e32 v121, 1, v121
	v_pk_fma_f32 v[122:123], v[124:125], v[122:123], v[126:127] neg_lo:[0,0,1] neg_hi:[0,0,1]
	v_mov_b32_e32 v123, v129
	s_delay_alu instid0(VALU_DEP_3) | instskip(NEXT) | instid1(VALU_DEP_2)
	v_cmp_lt_u32_e32 vcc_lo, 52, v121
	v_pk_add_f32 v[116:117], v[116:117], v[122:123]
	s_or_b32 s4, vcc_lo, s4
	s_delay_alu instid0(SALU_CYCLE_1)
	s_and_not1_b32 exec_lo, exec_lo, s4
	s_cbranch_execnz .LBB119_1087
; %bb.1088:
	s_or_b32 exec_lo, exec_lo, s4
.LBB119_1089:
	s_delay_alu instid0(SALU_CYCLE_1) | instskip(SKIP_4) | instid1(VALU_DEP_1)
	s_or_b32 exec_lo, exec_lo, s3
	v_mov_b32_e32 v119, 0
	ds_load_b64 v[120:121], v119 offset:432
	s_wait_dscnt 0x0
	v_pk_mul_f32 v[122:123], v[116:117], v[120:121] op_sel:[1,1] op_sel_hi:[0,1]
	v_pk_fma_f32 v[124:125], v[116:117], v[120:121], v[122:123] op_sel_hi:[1,0,1]
	v_pk_fma_f32 v[116:117], v[116:117], v[120:121], v[122:123] neg_lo:[0,0,1] neg_hi:[0,0,1]
	s_delay_alu instid0(VALU_DEP_2)
	v_mov_b32_e32 v117, v125
	scratch_store_b64 off, v[116:117], off offset:432
.LBB119_1090:
	s_wait_xcnt 0x0
	s_or_b32 exec_lo, exec_lo, s2
	scratch_load_b64 v[116:117], off, off offset:440
	s_mov_b32 s2, exec_lo
                                        ; implicit-def: $vgpr168
                                        ; implicit-def: $sgpr5
	s_wait_loadcnt 0x0
	ds_store_b64 v1, v[116:117]
	s_wait_storecnt_dscnt 0x0
	s_barrier_signal -1
	s_barrier_wait -1
	s_wait_xcnt 0x0
	v_cmpx_ne_u32_e32 55, v0
	s_cbranch_execz .LBB119_1100
; %bb.1091:
	v_cmp_ne_u32_e32 vcc_lo, 1, v118
	s_cbranch_vccnz .LBB119_1093
; %bb.1092:
	scratch_load_b64 v[118:119], v59, off
	ds_load_b64 v[120:121], v1
	s_wait_loadcnt_dscnt 0x0
	v_dual_mul_f32 v59, v121, v119 :: v_dual_mul_f32 v117, v120, v119
	s_delay_alu instid0(VALU_DEP_1)
	v_dual_fma_f32 v116, v120, v118, -v59 :: v_dual_fmac_f32 v117, v121, v118
	s_cbranch_execz .LBB119_1094
	s_branch .LBB119_1095
.LBB119_1093:
                                        ; implicit-def: $vgpr117
.LBB119_1094:
	ds_load_b64 v[116:117], v1
.LBB119_1095:
	s_and_saveexec_b32 s3, s0
	s_cbranch_execz .LBB119_1099
; %bb.1096:
	v_add_nc_u32_e32 v1, 0x1c8, v58
	v_add3_u32 v58, 0, v58, 8
	s_mov_b32 s0, 0
.LBB119_1097:                           ; =>This Inner Loop Header: Depth=1
	scratch_load_b64 v[118:119], v58, off
	ds_load_b64 v[120:121], v1
	s_wait_loadcnt_dscnt 0x0
	v_dual_add_nc_u32 v1, 8, v1 :: v_dual_mul_f32 v59, v121, v119
	v_dual_mul_f32 v119, v120, v119 :: v_dual_add_nc_u32 v0, 1, v0
	s_delay_alu instid0(VALU_DEP_2) | instskip(NEXT) | instid1(VALU_DEP_2)
	v_fma_f32 v59, v120, v118, -v59
	v_fmac_f32_e32 v119, v121, v118
	s_delay_alu instid0(VALU_DEP_3) | instskip(NEXT) | instid1(VALU_DEP_3)
	v_cmp_lt_u32_e32 vcc_lo, 53, v0
	v_dual_add_nc_u32 v58, 8, v58 :: v_dual_add_f32 v116, v116, v59
	s_delay_alu instid0(VALU_DEP_3) | instskip(SKIP_1) | instid1(SALU_CYCLE_1)
	v_add_f32_e32 v117, v117, v119
	s_or_b32 s0, vcc_lo, s0
	s_and_not1_b32 exec_lo, exec_lo, s0
	s_cbranch_execnz .LBB119_1097
; %bb.1098:
	s_or_b32 exec_lo, exec_lo, s0
.LBB119_1099:
	s_delay_alu instid0(SALU_CYCLE_1)
	s_or_b32 exec_lo, exec_lo, s3
	v_mov_b32_e32 v0, 0
	s_movk_i32 s5, 0x1bc
	s_or_b32 s1, s1, exec_lo
	ds_load_b64 v[0:1], v0 offset:440
	s_wait_dscnt 0x0
	v_dual_mul_f32 v58, v117, v1 :: v_dual_mul_f32 v168, v116, v1
	s_delay_alu instid0(VALU_DEP_1)
	v_dual_fma_f32 v1, v116, v0, -v58 :: v_dual_fmac_f32 v168, v117, v0
	scratch_store_b32 off, v1, off offset:440
.LBB119_1100:
	s_wait_xcnt 0x0
	s_or_b32 exec_lo, exec_lo, s2
.LBB119_1101:
	v_lshl_add_u64 v[166:167], v[6:7], 3, s[6:7]
	v_lshl_add_u64 v[164:165], v[8:9], 3, s[6:7]
	;; [unrolled: 1-line block ×54, first 2 shown]
	s_and_saveexec_b32 s0, s1
	s_cbranch_execz .LBB119_1103
; %bb.1102:
	scratch_store_b32 off, v168, s5
.LBB119_1103:
	s_wait_xcnt 0x0
	s_or_b32 exec_lo, exec_lo, s0
	scratch_load_b64 v[60:61], off, off
	s_wait_loadcnt 0x0
	flat_store_b64 v[2:3], v[60:61]
	scratch_load_b64 v[2:3], off, off offset:8
	s_wait_loadcnt 0x0
	flat_store_b64 v[4:5], v[2:3]
	scratch_load_b64 v[2:3], off, off offset:16
	;; [unrolled: 3-line block ×55, first 2 shown]
	s_wait_loadcnt 0x0
	flat_store_b64 v[0:1], v[2:3]
.LBB119_1104:
	s_sendmsg sendmsg(MSG_DEALLOC_VGPRS)
	s_endpgm
	.section	.rodata,"a",@progbits
	.p2align	6, 0x0
	.amdhsa_kernel _ZN9rocsolver6v33100L18trti2_kernel_smallILi56E19rocblas_complex_numIfEPKPS3_EEv13rocblas_fill_17rocblas_diagonal_T1_iil
		.amdhsa_group_segment_fixed_size 896
		.amdhsa_private_segment_fixed_size 464
		.amdhsa_kernarg_size 32
		.amdhsa_user_sgpr_count 2
		.amdhsa_user_sgpr_dispatch_ptr 0
		.amdhsa_user_sgpr_queue_ptr 0
		.amdhsa_user_sgpr_kernarg_segment_ptr 1
		.amdhsa_user_sgpr_dispatch_id 0
		.amdhsa_user_sgpr_kernarg_preload_length 0
		.amdhsa_user_sgpr_kernarg_preload_offset 0
		.amdhsa_user_sgpr_private_segment_size 0
		.amdhsa_wavefront_size32 1
		.amdhsa_uses_dynamic_stack 0
		.amdhsa_enable_private_segment 1
		.amdhsa_system_sgpr_workgroup_id_x 1
		.amdhsa_system_sgpr_workgroup_id_y 0
		.amdhsa_system_sgpr_workgroup_id_z 0
		.amdhsa_system_sgpr_workgroup_info 0
		.amdhsa_system_vgpr_workitem_id 0
		.amdhsa_next_free_vgpr 169
		.amdhsa_next_free_sgpr 62
		.amdhsa_named_barrier_count 0
		.amdhsa_reserve_vcc 1
		.amdhsa_float_round_mode_32 0
		.amdhsa_float_round_mode_16_64 0
		.amdhsa_float_denorm_mode_32 3
		.amdhsa_float_denorm_mode_16_64 3
		.amdhsa_fp16_overflow 0
		.amdhsa_memory_ordered 1
		.amdhsa_forward_progress 1
		.amdhsa_inst_pref_size 255
		.amdhsa_round_robin_scheduling 0
		.amdhsa_exception_fp_ieee_invalid_op 0
		.amdhsa_exception_fp_denorm_src 0
		.amdhsa_exception_fp_ieee_div_zero 0
		.amdhsa_exception_fp_ieee_overflow 0
		.amdhsa_exception_fp_ieee_underflow 0
		.amdhsa_exception_fp_ieee_inexact 0
		.amdhsa_exception_int_div_zero 0
	.end_amdhsa_kernel
	.section	.text._ZN9rocsolver6v33100L18trti2_kernel_smallILi56E19rocblas_complex_numIfEPKPS3_EEv13rocblas_fill_17rocblas_diagonal_T1_iil,"axG",@progbits,_ZN9rocsolver6v33100L18trti2_kernel_smallILi56E19rocblas_complex_numIfEPKPS3_EEv13rocblas_fill_17rocblas_diagonal_T1_iil,comdat
.Lfunc_end119:
	.size	_ZN9rocsolver6v33100L18trti2_kernel_smallILi56E19rocblas_complex_numIfEPKPS3_EEv13rocblas_fill_17rocblas_diagonal_T1_iil, .Lfunc_end119-_ZN9rocsolver6v33100L18trti2_kernel_smallILi56E19rocblas_complex_numIfEPKPS3_EEv13rocblas_fill_17rocblas_diagonal_T1_iil
                                        ; -- End function
	.set _ZN9rocsolver6v33100L18trti2_kernel_smallILi56E19rocblas_complex_numIfEPKPS3_EEv13rocblas_fill_17rocblas_diagonal_T1_iil.num_vgpr, 169
	.set _ZN9rocsolver6v33100L18trti2_kernel_smallILi56E19rocblas_complex_numIfEPKPS3_EEv13rocblas_fill_17rocblas_diagonal_T1_iil.num_agpr, 0
	.set _ZN9rocsolver6v33100L18trti2_kernel_smallILi56E19rocblas_complex_numIfEPKPS3_EEv13rocblas_fill_17rocblas_diagonal_T1_iil.numbered_sgpr, 62
	.set _ZN9rocsolver6v33100L18trti2_kernel_smallILi56E19rocblas_complex_numIfEPKPS3_EEv13rocblas_fill_17rocblas_diagonal_T1_iil.num_named_barrier, 0
	.set _ZN9rocsolver6v33100L18trti2_kernel_smallILi56E19rocblas_complex_numIfEPKPS3_EEv13rocblas_fill_17rocblas_diagonal_T1_iil.private_seg_size, 464
	.set _ZN9rocsolver6v33100L18trti2_kernel_smallILi56E19rocblas_complex_numIfEPKPS3_EEv13rocblas_fill_17rocblas_diagonal_T1_iil.uses_vcc, 1
	.set _ZN9rocsolver6v33100L18trti2_kernel_smallILi56E19rocblas_complex_numIfEPKPS3_EEv13rocblas_fill_17rocblas_diagonal_T1_iil.uses_flat_scratch, 0
	.set _ZN9rocsolver6v33100L18trti2_kernel_smallILi56E19rocblas_complex_numIfEPKPS3_EEv13rocblas_fill_17rocblas_diagonal_T1_iil.has_dyn_sized_stack, 0
	.set _ZN9rocsolver6v33100L18trti2_kernel_smallILi56E19rocblas_complex_numIfEPKPS3_EEv13rocblas_fill_17rocblas_diagonal_T1_iil.has_recursion, 0
	.set _ZN9rocsolver6v33100L18trti2_kernel_smallILi56E19rocblas_complex_numIfEPKPS3_EEv13rocblas_fill_17rocblas_diagonal_T1_iil.has_indirect_call, 0
	.section	.AMDGPU.csdata,"",@progbits
; Kernel info:
; codeLenInByte = 43284
; TotalNumSgprs: 64
; NumVgprs: 169
; ScratchSize: 464
; MemoryBound: 0
; FloatMode: 240
; IeeeMode: 1
; LDSByteSize: 896 bytes/workgroup (compile time only)
; SGPRBlocks: 0
; VGPRBlocks: 10
; NumSGPRsForWavesPerEU: 64
; NumVGPRsForWavesPerEU: 169
; NamedBarCnt: 0
; Occupancy: 5
; WaveLimiterHint : 1
; COMPUTE_PGM_RSRC2:SCRATCH_EN: 1
; COMPUTE_PGM_RSRC2:USER_SGPR: 2
; COMPUTE_PGM_RSRC2:TRAP_HANDLER: 0
; COMPUTE_PGM_RSRC2:TGID_X_EN: 1
; COMPUTE_PGM_RSRC2:TGID_Y_EN: 0
; COMPUTE_PGM_RSRC2:TGID_Z_EN: 0
; COMPUTE_PGM_RSRC2:TIDIG_COMP_CNT: 0
	.section	.text._ZN9rocsolver6v33100L18trti2_kernel_smallILi57E19rocblas_complex_numIfEPKPS3_EEv13rocblas_fill_17rocblas_diagonal_T1_iil,"axG",@progbits,_ZN9rocsolver6v33100L18trti2_kernel_smallILi57E19rocblas_complex_numIfEPKPS3_EEv13rocblas_fill_17rocblas_diagonal_T1_iil,comdat
	.globl	_ZN9rocsolver6v33100L18trti2_kernel_smallILi57E19rocblas_complex_numIfEPKPS3_EEv13rocblas_fill_17rocblas_diagonal_T1_iil ; -- Begin function _ZN9rocsolver6v33100L18trti2_kernel_smallILi57E19rocblas_complex_numIfEPKPS3_EEv13rocblas_fill_17rocblas_diagonal_T1_iil
	.p2align	8
	.type	_ZN9rocsolver6v33100L18trti2_kernel_smallILi57E19rocblas_complex_numIfEPKPS3_EEv13rocblas_fill_17rocblas_diagonal_T1_iil,@function
_ZN9rocsolver6v33100L18trti2_kernel_smallILi57E19rocblas_complex_numIfEPKPS3_EEv13rocblas_fill_17rocblas_diagonal_T1_iil: ; @_ZN9rocsolver6v33100L18trti2_kernel_smallILi57E19rocblas_complex_numIfEPKPS3_EEv13rocblas_fill_17rocblas_diagonal_T1_iil
; %bb.0:
	s_mov_b32 s2, exec_lo
	v_cmpx_gt_u32_e32 57, v0
	s_cbranch_execz .LBB120_1124
; %bb.1:
	s_clause 0x1
	s_load_b64 s[8:9], s[0:1], 0x10
	s_load_b128 s[4:7], s[0:1], 0x0
	s_wait_xcnt 0x0
	s_bfe_u32 s0, ttmp6, 0x4000c
	s_and_b32 s1, ttmp6, 15
	s_add_co_i32 s0, s0, 1
	s_getreg_b32 s2, hwreg(HW_REG_IB_STS2, 6, 4)
	s_mul_i32 s0, ttmp9, s0
	v_dual_mov_b32 v59, 0 :: v_dual_lshlrev_b32 v58, 3, v0
	s_add_co_i32 s0, s1, s0
	s_wait_kmcnt 0x0
	s_ashr_i32 s1, s8, 31
	s_cmp_eq_u32 s2, 0
	s_cselect_b32 s2, ttmp9, s0
	s_mov_b32 s0, s8
	s_ashr_i32 s3, s2, 31
	s_lshl_b64 s[0:1], s[0:1], 3
	s_lshl_b64 s[2:3], s[2:3], 3
	s_delay_alu instid0(SALU_CYCLE_1)
	s_add_nc_u64 s[2:3], s[6:7], s[2:3]
	s_load_b64 s[2:3], s[2:3], 0x0
	s_wait_kmcnt 0x0
	s_add_nc_u64 s[2:3], s[2:3], s[0:1]
	s_mov_b32 s0, s9
	flat_load_b64 v[6:7], v0, s[2:3] scale_offset
	v_add_nc_u64_e32 v[2:3], s[2:3], v[58:59]
	s_ashr_i32 s1, s9, 31
	s_cmp_lg_u32 s5, 0x84
	s_cselect_b32 s5, -1, 0
	s_delay_alu instid0(SALU_CYCLE_1) | instskip(NEXT) | instid1(VALU_DEP_1)
	s_and_b32 vcc_lo, exec_lo, s5
	v_lshl_add_u64 v[4:5], s[0:1], 3, v[2:3]
	s_mov_b32 s0, -1
	s_wait_loadcnt_dscnt 0x0
	scratch_store_b64 off, v[6:7], off
	flat_load_b64 v[8:9], v[4:5]
	s_wait_xcnt 0x1
	v_add3_u32 v6, s9, s9, v0
	s_wait_loadcnt_dscnt 0x0
	scratch_store_b64 off, v[8:9], off offset:8
	flat_load_b64 v[10:11], v6, s[2:3] scale_offset
	s_wait_xcnt 0x1
	v_add_nc_u32_e32 v8, s9, v6
	s_wait_loadcnt_dscnt 0x0
	scratch_store_b64 off, v[10:11], off offset:16
	flat_load_b64 v[12:13], v8, s[2:3] scale_offset
	s_wait_xcnt 0x1
	v_add_nc_u32_e32 v10, s9, v8
	;; [unrolled: 5-line block ×54, first 2 shown]
	s_wait_loadcnt_dscnt 0x0
	scratch_store_b64 off, v[118:119], off offset:440
	flat_load_b64 v[118:119], v116, s[2:3] scale_offset
	s_wait_loadcnt_dscnt 0x0
	scratch_store_b64 off, v[118:119], off offset:448
	s_cbranch_vccz .LBB120_7
; %bb.2:
	scratch_load_b64 v[118:119], v0, off scale_offset
                                        ; implicit-def: $vgpr123
                                        ; implicit-def: $vgpr120
	s_wait_loadcnt 0x0
	v_cmp_ngt_f32_e64 s0, |v118|, |v119|
	s_wait_xcnt 0x0
	s_and_saveexec_b32 s1, s0
	s_delay_alu instid0(SALU_CYCLE_1)
	s_xor_b32 s0, exec_lo, s1
	s_cbranch_execz .LBB120_4
; %bb.3:
	v_div_scale_f32 v1, null, v119, v119, v118
	v_div_scale_f32 v11, vcc_lo, v118, v119, v118
	s_delay_alu instid0(VALU_DEP_2) | instskip(SKIP_1) | instid1(TRANS32_DEP_1)
	v_rcp_f32_e32 v7, v1
	v_nop
	v_fma_f32 v9, -v1, v7, 1.0
	s_delay_alu instid0(VALU_DEP_1) | instskip(NEXT) | instid1(VALU_DEP_1)
	v_fmac_f32_e32 v7, v9, v7
	v_mul_f32_e32 v9, v11, v7
	s_delay_alu instid0(VALU_DEP_1) | instskip(NEXT) | instid1(VALU_DEP_1)
	v_fma_f32 v13, -v1, v9, v11
	v_fmac_f32_e32 v9, v13, v7
	s_delay_alu instid0(VALU_DEP_1) | instskip(NEXT) | instid1(VALU_DEP_1)
	v_fma_f32 v1, -v1, v9, v11
	v_div_fmas_f32 v1, v1, v7, v9
	s_delay_alu instid0(VALU_DEP_1) | instskip(NEXT) | instid1(VALU_DEP_1)
	v_div_fixup_f32 v1, v1, v119, v118
	v_fmac_f32_e32 v119, v118, v1
	s_delay_alu instid0(VALU_DEP_1) | instskip(NEXT) | instid1(VALU_DEP_1)
	v_div_scale_f32 v7, null, v119, v119, -1.0
	v_rcp_f32_e32 v9, v7
	v_nop
	s_delay_alu instid0(TRANS32_DEP_1) | instskip(NEXT) | instid1(VALU_DEP_1)
	v_fma_f32 v11, -v7, v9, 1.0
	v_fmac_f32_e32 v9, v11, v9
	v_div_scale_f32 v11, vcc_lo, -1.0, v119, -1.0
	s_delay_alu instid0(VALU_DEP_1) | instskip(NEXT) | instid1(VALU_DEP_1)
	v_mul_f32_e32 v13, v11, v9
	v_fma_f32 v15, -v7, v13, v11
	s_delay_alu instid0(VALU_DEP_1) | instskip(NEXT) | instid1(VALU_DEP_1)
	v_fmac_f32_e32 v13, v15, v9
	v_fma_f32 v7, -v7, v13, v11
	s_delay_alu instid0(VALU_DEP_1) | instskip(NEXT) | instid1(VALU_DEP_1)
	v_div_fmas_f32 v7, v7, v9, v13
	v_div_fixup_f32 v123, v7, v119, -1.0
                                        ; implicit-def: $vgpr118_vgpr119
	s_delay_alu instid0(VALU_DEP_1) | instskip(NEXT) | instid1(VALU_DEP_1)
	v_mul_f32_e32 v120, v1, v123
	v_xor_b32_e32 v122, 0x80000000, v120
.LBB120_4:
	s_or_saveexec_b32 s0, s0
	v_lshl_add_u32 v1, v0, 3, 0
	s_xor_b32 exec_lo, exec_lo, s0
	s_cbranch_execz .LBB120_6
; %bb.5:
	v_div_scale_f32 v7, null, v118, v118, v119
	v_div_scale_f32 v13, vcc_lo, v119, v118, v119
	s_delay_alu instid0(VALU_DEP_2) | instskip(SKIP_1) | instid1(TRANS32_DEP_1)
	v_rcp_f32_e32 v9, v7
	v_nop
	v_fma_f32 v11, -v7, v9, 1.0
	s_delay_alu instid0(VALU_DEP_1) | instskip(NEXT) | instid1(VALU_DEP_1)
	v_fmac_f32_e32 v9, v11, v9
	v_mul_f32_e32 v11, v13, v9
	s_delay_alu instid0(VALU_DEP_1) | instskip(NEXT) | instid1(VALU_DEP_1)
	v_fma_f32 v15, -v7, v11, v13
	v_fmac_f32_e32 v11, v15, v9
	s_delay_alu instid0(VALU_DEP_1) | instskip(NEXT) | instid1(VALU_DEP_1)
	v_fma_f32 v7, -v7, v11, v13
	v_div_fmas_f32 v7, v7, v9, v11
	s_delay_alu instid0(VALU_DEP_1) | instskip(NEXT) | instid1(VALU_DEP_1)
	v_div_fixup_f32 v7, v7, v118, v119
	v_fmac_f32_e32 v118, v119, v7
	s_delay_alu instid0(VALU_DEP_1) | instskip(SKIP_1) | instid1(VALU_DEP_2)
	v_div_scale_f32 v9, null, v118, v118, 1.0
	v_div_scale_f32 v15, vcc_lo, 1.0, v118, 1.0
	v_rcp_f32_e32 v11, v9
	v_nop
	s_delay_alu instid0(TRANS32_DEP_1) | instskip(NEXT) | instid1(VALU_DEP_1)
	v_fma_f32 v13, -v9, v11, 1.0
	v_fmac_f32_e32 v11, v13, v11
	s_delay_alu instid0(VALU_DEP_1) | instskip(NEXT) | instid1(VALU_DEP_1)
	v_mul_f32_e32 v13, v15, v11
	v_fma_f32 v17, -v9, v13, v15
	s_delay_alu instid0(VALU_DEP_1) | instskip(NEXT) | instid1(VALU_DEP_1)
	v_fmac_f32_e32 v13, v17, v11
	v_fma_f32 v9, -v9, v13, v15
	s_delay_alu instid0(VALU_DEP_1) | instskip(NEXT) | instid1(VALU_DEP_1)
	v_div_fmas_f32 v9, v9, v11, v13
	v_div_fixup_f32 v122, v9, v118, 1.0
	s_delay_alu instid0(VALU_DEP_1)
	v_xor_b32_e32 v120, 0x80000000, v122
	v_mul_f32_e64 v123, v7, -v122
.LBB120_6:
	s_or_b32 exec_lo, exec_lo, s0
	s_delay_alu instid0(VALU_DEP_1)
	v_xor_b32_e32 v121, 0x80000000, v123
	s_mov_b32 s0, 0
	scratch_store_b64 v1, v[122:123], off
	ds_store_b64 v58, v[120:121]
.LBB120_7:
	s_and_b32 vcc_lo, exec_lo, s0
	s_cbranch_vccz .LBB120_9
; %bb.8:
	s_mov_b64 s[0:1], 0xbf800000
	s_wait_xcnt 0x0
	v_mov_b64_e32 v[118:119], s[0:1]
	ds_store_b64 v58, v[118:119]
.LBB120_9:
	v_dual_ashrrev_i32 v7, 31, v6 :: v_dual_ashrrev_i32 v9, 31, v8
	v_dual_ashrrev_i32 v11, 31, v10 :: v_dual_ashrrev_i32 v13, 31, v12
	;; [unrolled: 1-line block ×27, first 2 shown]
	v_dual_ashrrev_i32 v117, 31, v116 :: v_dual_mov_b32 v59, v58
	s_wait_xcnt 0x0
	v_add_nc_u32_e32 v1, 0x1d0, v58
	s_cmp_eq_u32 s4, 0x79
	s_cbranch_scc1 .LBB120_13
; %bb.10:
	scratch_load_b64 v[118:119], off, off offset:440
	v_cmp_eq_u32_e64 s0, 56, v0
	s_movk_i32 s1, 0x48
	s_movk_i32 s14, 0x50
	s_movk_i32 s15, 0x58
	s_movk_i32 s16, 0x60
	s_movk_i32 s17, 0x68
	s_movk_i32 s18, 0x70
	s_movk_i32 s19, 0x78
	s_movk_i32 s20, 0x80
	s_movk_i32 s21, 0x88
	s_movk_i32 s22, 0x90
	s_movk_i32 s23, 0x98
	s_movk_i32 s24, 0xa0
	s_movk_i32 s25, 0xa8
	s_movk_i32 s26, 0xb0
	s_movk_i32 s27, 0xb8
	s_movk_i32 s28, 0xc0
	s_movk_i32 s29, 0xc8
	s_movk_i32 s30, 0xd0
	s_movk_i32 s31, 0xd8
	s_movk_i32 s33, 0xe0
	s_movk_i32 s34, 0xe8
	s_movk_i32 s35, 0xf0
	s_movk_i32 s36, 0xf8
	s_movk_i32 s37, 0x100
	s_movk_i32 s38, 0x108
	s_movk_i32 s39, 0x110
	s_movk_i32 s40, 0x118
	s_movk_i32 s41, 0x120
	s_movk_i32 s42, 0x128
	s_movk_i32 s43, 0x130
	s_movk_i32 s44, 0x138
	s_movk_i32 s45, 0x140
	s_movk_i32 s46, 0x148
	s_movk_i32 s47, 0x150
	s_movk_i32 s48, 0x158
	s_movk_i32 s49, 0x160
	s_movk_i32 s50, 0x168
	s_movk_i32 s51, 0x170
	s_movk_i32 s52, 0x178
	s_movk_i32 s53, 0x180
	s_movk_i32 s54, 0x188
	s_movk_i32 s55, 0x190
	s_movk_i32 s56, 0x198
	s_movk_i32 s57, 0x1a0
	s_movk_i32 s58, 0x1a8
	s_movk_i32 s59, 0x1b0
	s_wait_loadcnt 0x0
	ds_store_b64 v1, v[118:119]
	s_wait_storecnt_dscnt 0x0
	s_barrier_signal -1
	s_barrier_wait -1
	s_wait_xcnt 0x0
	s_and_saveexec_b32 s4, s0
	s_cbranch_execz .LBB120_17
; %bb.11:
	s_and_b32 vcc_lo, exec_lo, s5
	s_cbranch_vccz .LBB120_14
; %bb.12:
	scratch_load_b64 v[118:119], v59, off
	ds_load_b64 v[120:121], v1
	s_wait_loadcnt_dscnt 0x0
	v_pk_mul_f32 v[122:123], v[120:121], v[118:119] op_sel:[1,1] op_sel_hi:[0,1]
	v_pk_mul_f32 v[124:125], v[120:121], v[118:119] op_sel_hi:[1,0]
	s_delay_alu instid0(VALU_DEP_2) | instskip(NEXT) | instid1(VALU_DEP_2)
	v_pk_fma_f32 v[118:119], v[120:121], v[118:119], v[122:123] op_sel_hi:[1,0,1]
	v_sub_f32_e32 v118, v124, v122
	s_cbranch_execz .LBB120_15
	s_branch .LBB120_16
.LBB120_13:
	s_mov_b32 s1, 0
                                        ; implicit-def: $vgpr170
                                        ; implicit-def: $sgpr7
	s_cbranch_execnz .LBB120_566
	s_branch .LBB120_1121
.LBB120_14:
                                        ; implicit-def: $vgpr119
.LBB120_15:
	ds_load_b64 v[118:119], v1
.LBB120_16:
	s_wait_dscnt 0x0
	v_dual_mov_b32 v120, 0 :: v_dual_mov_b32 v122, v119
	v_mov_b32_e32 v123, v118
	ds_load_b64 v[120:121], v120 offset:440
	s_wait_dscnt 0x0
	v_pk_mul_f32 v[122:123], v[122:123], v[120:121] op_sel:[0,1]
	s_delay_alu instid0(VALU_DEP_1) | instskip(SKIP_1) | instid1(VALU_DEP_2)
	v_pk_fma_f32 v[124:125], v[118:119], v[120:121], v[122:123] op_sel_hi:[1,0,1]
	v_pk_fma_f32 v[118:119], v[118:119], v[120:121], v[122:123] neg_lo:[0,0,1] neg_hi:[0,0,1]
	v_mov_b32_e32 v119, v125
	scratch_store_b64 off, v[118:119], off offset:440
.LBB120_17:
	s_wait_xcnt 0x0
	s_or_b32 exec_lo, exec_lo, s4
	scratch_load_b64 v[118:119], off, off offset:432
	s_mov_b32 s13, s1
	v_cmp_lt_u32_e64 s1, 54, v0
	s_or_b32 s4, 0, 8
	s_mov_b32 s6, 16
	s_mov_b32 s7, 24
	;; [unrolled: 1-line block ×7, first 2 shown]
	s_wait_loadcnt 0x0
	ds_store_b64 v1, v[118:119]
	s_wait_storecnt_dscnt 0x0
	s_barrier_signal -1
	s_barrier_wait -1
	s_wait_xcnt 0x0
	s_and_saveexec_b32 s60, s1
	s_cbranch_execz .LBB120_25
; %bb.18:
	s_and_not1_b32 vcc_lo, exec_lo, s5
	s_cbranch_vccnz .LBB120_20
; %bb.19:
	scratch_load_b64 v[118:119], v59, off
	ds_load_b64 v[120:121], v1
	s_wait_loadcnt_dscnt 0x0
	v_pk_mul_f32 v[122:123], v[120:121], v[118:119] op_sel:[1,1] op_sel_hi:[0,1]
	s_delay_alu instid0(VALU_DEP_1) | instskip(SKIP_1) | instid1(VALU_DEP_2)
	v_pk_fma_f32 v[124:125], v[120:121], v[118:119], v[122:123] op_sel_hi:[1,0,1]
	v_pk_fma_f32 v[118:119], v[120:121], v[118:119], v[122:123] neg_lo:[0,0,1] neg_hi:[0,0,1]
	v_mov_b32_e32 v119, v125
	s_cbranch_execz .LBB120_21
	s_branch .LBB120_22
.LBB120_20:
                                        ; implicit-def: $vgpr118_vgpr119
.LBB120_21:
	ds_load_b64 v[118:119], v1
.LBB120_22:
	s_and_saveexec_b32 s61, s0
	s_cbranch_execz .LBB120_24
; %bb.23:
	scratch_load_b64 v[120:121], off, off offset:440
	v_mov_b32_e32 v122, 0
	ds_load_b64 v[122:123], v122 offset:904
	s_wait_loadcnt_dscnt 0x0
	v_pk_mul_f32 v[124:125], v[122:123], v[120:121] op_sel:[1,1] op_sel_hi:[0,1]
	s_delay_alu instid0(VALU_DEP_1) | instskip(SKIP_1) | instid1(VALU_DEP_2)
	v_pk_fma_f32 v[126:127], v[122:123], v[120:121], v[124:125] op_sel_hi:[1,0,1]
	v_pk_fma_f32 v[120:121], v[122:123], v[120:121], v[124:125] neg_lo:[0,0,1] neg_hi:[0,0,1]
	v_mov_b32_e32 v121, v127
	s_delay_alu instid0(VALU_DEP_1)
	v_pk_add_f32 v[118:119], v[118:119], v[120:121]
.LBB120_24:
	s_or_b32 exec_lo, exec_lo, s61
	v_mov_b32_e32 v120, 0
	ds_load_b64 v[120:121], v120 offset:432
	s_wait_dscnt 0x0
	v_pk_mul_f32 v[122:123], v[118:119], v[120:121] op_sel:[1,1] op_sel_hi:[0,1]
	s_delay_alu instid0(VALU_DEP_1) | instskip(SKIP_1) | instid1(VALU_DEP_2)
	v_pk_fma_f32 v[124:125], v[118:119], v[120:121], v[122:123] op_sel_hi:[1,0,1]
	v_pk_fma_f32 v[118:119], v[118:119], v[120:121], v[122:123] neg_lo:[0,0,1] neg_hi:[0,0,1]
	v_mov_b32_e32 v119, v125
	scratch_store_b64 off, v[118:119], off offset:432
.LBB120_25:
	s_wait_xcnt 0x0
	s_or_b32 exec_lo, exec_lo, s60
	scratch_load_b64 v[118:119], off, off offset:424
	v_cmp_lt_u32_e64 s0, 53, v0
	s_wait_loadcnt 0x0
	ds_store_b64 v1, v[118:119]
	s_wait_storecnt_dscnt 0x0
	s_barrier_signal -1
	s_barrier_wait -1
	s_wait_xcnt 0x0
	s_and_saveexec_b32 s60, s0
	s_cbranch_execz .LBB120_35
; %bb.26:
	s_and_not1_b32 vcc_lo, exec_lo, s5
	s_cbranch_vccnz .LBB120_28
; %bb.27:
	scratch_load_b64 v[118:119], v59, off
	ds_load_b64 v[120:121], v1
	s_wait_loadcnt_dscnt 0x0
	v_pk_mul_f32 v[122:123], v[120:121], v[118:119] op_sel:[1,1] op_sel_hi:[0,1]
	s_delay_alu instid0(VALU_DEP_1) | instskip(SKIP_1) | instid1(VALU_DEP_2)
	v_pk_fma_f32 v[124:125], v[120:121], v[118:119], v[122:123] op_sel_hi:[1,0,1]
	v_pk_fma_f32 v[118:119], v[120:121], v[118:119], v[122:123] neg_lo:[0,0,1] neg_hi:[0,0,1]
	v_mov_b32_e32 v119, v125
	s_cbranch_execz .LBB120_29
	s_branch .LBB120_30
.LBB120_28:
                                        ; implicit-def: $vgpr118_vgpr119
.LBB120_29:
	ds_load_b64 v[118:119], v1
.LBB120_30:
	s_and_saveexec_b32 s61, s1
	s_cbranch_execz .LBB120_34
; %bb.31:
	v_subrev_nc_u32_e32 v120, 54, v0
	s_movk_i32 s62, 0x380
	s_mov_b32 s1, 0
.LBB120_32:                             ; =>This Inner Loop Header: Depth=1
	scratch_load_b64 v[122:123], off, s59
	v_dual_mov_b32 v121, s62 :: v_dual_add_nc_u32 v120, -1, v120
	s_add_co_i32 s62, s62, 8
	s_wait_xcnt 0x0
	s_add_co_i32 s59, s59, 8
	ds_load_b64 v[124:125], v121
	v_cmp_eq_u32_e32 vcc_lo, 0, v120
	s_or_b32 s1, vcc_lo, s1
	s_wait_loadcnt_dscnt 0x0
	v_pk_mul_f32 v[126:127], v[124:125], v[122:123] op_sel:[1,1] op_sel_hi:[0,1]
	s_delay_alu instid0(VALU_DEP_1) | instskip(SKIP_1) | instid1(VALU_DEP_2)
	v_pk_fma_f32 v[128:129], v[124:125], v[122:123], v[126:127] op_sel_hi:[1,0,1]
	v_pk_fma_f32 v[122:123], v[124:125], v[122:123], v[126:127] neg_lo:[0,0,1] neg_hi:[0,0,1]
	v_mov_b32_e32 v123, v129
	s_delay_alu instid0(VALU_DEP_1)
	v_pk_add_f32 v[118:119], v[118:119], v[122:123]
	s_and_not1_b32 exec_lo, exec_lo, s1
	s_cbranch_execnz .LBB120_32
; %bb.33:
	s_or_b32 exec_lo, exec_lo, s1
.LBB120_34:
	s_delay_alu instid0(SALU_CYCLE_1) | instskip(SKIP_4) | instid1(VALU_DEP_1)
	s_or_b32 exec_lo, exec_lo, s61
	v_mov_b32_e32 v120, 0
	ds_load_b64 v[120:121], v120 offset:424
	s_wait_dscnt 0x0
	v_pk_mul_f32 v[122:123], v[118:119], v[120:121] op_sel:[1,1] op_sel_hi:[0,1]
	v_pk_fma_f32 v[124:125], v[118:119], v[120:121], v[122:123] op_sel_hi:[1,0,1]
	v_pk_fma_f32 v[118:119], v[118:119], v[120:121], v[122:123] neg_lo:[0,0,1] neg_hi:[0,0,1]
	s_delay_alu instid0(VALU_DEP_2)
	v_mov_b32_e32 v119, v125
	scratch_store_b64 off, v[118:119], off offset:424
.LBB120_35:
	s_wait_xcnt 0x0
	s_or_b32 exec_lo, exec_lo, s60
	scratch_load_b64 v[118:119], off, off offset:416
	v_cmp_lt_u32_e64 s1, 52, v0
	s_wait_loadcnt 0x0
	ds_store_b64 v1, v[118:119]
	s_wait_storecnt_dscnt 0x0
	s_barrier_signal -1
	s_barrier_wait -1
	s_wait_xcnt 0x0
	s_and_saveexec_b32 s59, s1
	s_cbranch_execz .LBB120_45
; %bb.36:
	s_and_not1_b32 vcc_lo, exec_lo, s5
	s_cbranch_vccnz .LBB120_38
; %bb.37:
	scratch_load_b64 v[118:119], v59, off
	ds_load_b64 v[120:121], v1
	s_wait_loadcnt_dscnt 0x0
	v_pk_mul_f32 v[122:123], v[120:121], v[118:119] op_sel:[1,1] op_sel_hi:[0,1]
	s_delay_alu instid0(VALU_DEP_1) | instskip(SKIP_1) | instid1(VALU_DEP_2)
	v_pk_fma_f32 v[124:125], v[120:121], v[118:119], v[122:123] op_sel_hi:[1,0,1]
	v_pk_fma_f32 v[118:119], v[120:121], v[118:119], v[122:123] neg_lo:[0,0,1] neg_hi:[0,0,1]
	v_mov_b32_e32 v119, v125
	s_cbranch_execz .LBB120_39
	s_branch .LBB120_40
.LBB120_38:
                                        ; implicit-def: $vgpr118_vgpr119
.LBB120_39:
	ds_load_b64 v[118:119], v1
.LBB120_40:
	s_and_saveexec_b32 s60, s0
	s_cbranch_execz .LBB120_44
; %bb.41:
	v_subrev_nc_u32_e32 v120, 53, v0
	s_movk_i32 s61, 0x378
	s_mov_b32 s0, 0
.LBB120_42:                             ; =>This Inner Loop Header: Depth=1
	scratch_load_b64 v[122:123], off, s58
	v_dual_mov_b32 v121, s61 :: v_dual_add_nc_u32 v120, -1, v120
	s_add_co_i32 s61, s61, 8
	s_wait_xcnt 0x0
	s_add_co_i32 s58, s58, 8
	ds_load_b64 v[124:125], v121
	v_cmp_eq_u32_e32 vcc_lo, 0, v120
	s_or_b32 s0, vcc_lo, s0
	s_wait_loadcnt_dscnt 0x0
	v_pk_mul_f32 v[126:127], v[124:125], v[122:123] op_sel:[1,1] op_sel_hi:[0,1]
	s_delay_alu instid0(VALU_DEP_1) | instskip(SKIP_1) | instid1(VALU_DEP_2)
	v_pk_fma_f32 v[128:129], v[124:125], v[122:123], v[126:127] op_sel_hi:[1,0,1]
	v_pk_fma_f32 v[122:123], v[124:125], v[122:123], v[126:127] neg_lo:[0,0,1] neg_hi:[0,0,1]
	v_mov_b32_e32 v123, v129
	s_delay_alu instid0(VALU_DEP_1)
	v_pk_add_f32 v[118:119], v[118:119], v[122:123]
	s_and_not1_b32 exec_lo, exec_lo, s0
	s_cbranch_execnz .LBB120_42
; %bb.43:
	s_or_b32 exec_lo, exec_lo, s0
.LBB120_44:
	s_delay_alu instid0(SALU_CYCLE_1) | instskip(SKIP_4) | instid1(VALU_DEP_1)
	s_or_b32 exec_lo, exec_lo, s60
	v_mov_b32_e32 v120, 0
	ds_load_b64 v[120:121], v120 offset:416
	s_wait_dscnt 0x0
	v_pk_mul_f32 v[122:123], v[118:119], v[120:121] op_sel:[1,1] op_sel_hi:[0,1]
	v_pk_fma_f32 v[124:125], v[118:119], v[120:121], v[122:123] op_sel_hi:[1,0,1]
	v_pk_fma_f32 v[118:119], v[118:119], v[120:121], v[122:123] neg_lo:[0,0,1] neg_hi:[0,0,1]
	s_delay_alu instid0(VALU_DEP_2)
	v_mov_b32_e32 v119, v125
	scratch_store_b64 off, v[118:119], off offset:416
.LBB120_45:
	s_wait_xcnt 0x0
	s_or_b32 exec_lo, exec_lo, s59
	scratch_load_b64 v[118:119], off, off offset:408
	v_cmp_lt_u32_e64 s0, 51, v0
	s_wait_loadcnt 0x0
	ds_store_b64 v1, v[118:119]
	s_wait_storecnt_dscnt 0x0
	s_barrier_signal -1
	s_barrier_wait -1
	s_wait_xcnt 0x0
	s_and_saveexec_b32 s58, s0
	s_cbranch_execz .LBB120_55
; %bb.46:
	s_and_not1_b32 vcc_lo, exec_lo, s5
	s_cbranch_vccnz .LBB120_48
; %bb.47:
	scratch_load_b64 v[118:119], v59, off
	ds_load_b64 v[120:121], v1
	s_wait_loadcnt_dscnt 0x0
	v_pk_mul_f32 v[122:123], v[120:121], v[118:119] op_sel:[1,1] op_sel_hi:[0,1]
	s_delay_alu instid0(VALU_DEP_1) | instskip(SKIP_1) | instid1(VALU_DEP_2)
	v_pk_fma_f32 v[124:125], v[120:121], v[118:119], v[122:123] op_sel_hi:[1,0,1]
	v_pk_fma_f32 v[118:119], v[120:121], v[118:119], v[122:123] neg_lo:[0,0,1] neg_hi:[0,0,1]
	v_mov_b32_e32 v119, v125
	s_cbranch_execz .LBB120_49
	s_branch .LBB120_50
.LBB120_48:
                                        ; implicit-def: $vgpr118_vgpr119
.LBB120_49:
	ds_load_b64 v[118:119], v1
.LBB120_50:
	s_and_saveexec_b32 s59, s1
	s_cbranch_execz .LBB120_54
; %bb.51:
	v_subrev_nc_u32_e32 v120, 52, v0
	s_movk_i32 s60, 0x370
	s_mov_b32 s1, 0
.LBB120_52:                             ; =>This Inner Loop Header: Depth=1
	scratch_load_b64 v[122:123], off, s57
	v_dual_mov_b32 v121, s60 :: v_dual_add_nc_u32 v120, -1, v120
	s_add_co_i32 s60, s60, 8
	s_wait_xcnt 0x0
	s_add_co_i32 s57, s57, 8
	ds_load_b64 v[124:125], v121
	v_cmp_eq_u32_e32 vcc_lo, 0, v120
	s_or_b32 s1, vcc_lo, s1
	s_wait_loadcnt_dscnt 0x0
	v_pk_mul_f32 v[126:127], v[124:125], v[122:123] op_sel:[1,1] op_sel_hi:[0,1]
	s_delay_alu instid0(VALU_DEP_1) | instskip(SKIP_1) | instid1(VALU_DEP_2)
	v_pk_fma_f32 v[128:129], v[124:125], v[122:123], v[126:127] op_sel_hi:[1,0,1]
	v_pk_fma_f32 v[122:123], v[124:125], v[122:123], v[126:127] neg_lo:[0,0,1] neg_hi:[0,0,1]
	v_mov_b32_e32 v123, v129
	s_delay_alu instid0(VALU_DEP_1)
	v_pk_add_f32 v[118:119], v[118:119], v[122:123]
	s_and_not1_b32 exec_lo, exec_lo, s1
	s_cbranch_execnz .LBB120_52
; %bb.53:
	s_or_b32 exec_lo, exec_lo, s1
.LBB120_54:
	s_delay_alu instid0(SALU_CYCLE_1) | instskip(SKIP_4) | instid1(VALU_DEP_1)
	s_or_b32 exec_lo, exec_lo, s59
	v_mov_b32_e32 v120, 0
	ds_load_b64 v[120:121], v120 offset:408
	s_wait_dscnt 0x0
	v_pk_mul_f32 v[122:123], v[118:119], v[120:121] op_sel:[1,1] op_sel_hi:[0,1]
	v_pk_fma_f32 v[124:125], v[118:119], v[120:121], v[122:123] op_sel_hi:[1,0,1]
	v_pk_fma_f32 v[118:119], v[118:119], v[120:121], v[122:123] neg_lo:[0,0,1] neg_hi:[0,0,1]
	s_delay_alu instid0(VALU_DEP_2)
	v_mov_b32_e32 v119, v125
	scratch_store_b64 off, v[118:119], off offset:408
.LBB120_55:
	s_wait_xcnt 0x0
	s_or_b32 exec_lo, exec_lo, s58
	scratch_load_b64 v[118:119], off, off offset:400
	v_cmp_lt_u32_e64 s1, 50, v0
	s_wait_loadcnt 0x0
	ds_store_b64 v1, v[118:119]
	s_wait_storecnt_dscnt 0x0
	s_barrier_signal -1
	s_barrier_wait -1
	s_wait_xcnt 0x0
	s_and_saveexec_b32 s57, s1
	s_cbranch_execz .LBB120_65
; %bb.56:
	s_and_not1_b32 vcc_lo, exec_lo, s5
	s_cbranch_vccnz .LBB120_58
; %bb.57:
	scratch_load_b64 v[118:119], v59, off
	ds_load_b64 v[120:121], v1
	s_wait_loadcnt_dscnt 0x0
	v_pk_mul_f32 v[122:123], v[120:121], v[118:119] op_sel:[1,1] op_sel_hi:[0,1]
	s_delay_alu instid0(VALU_DEP_1) | instskip(SKIP_1) | instid1(VALU_DEP_2)
	v_pk_fma_f32 v[124:125], v[120:121], v[118:119], v[122:123] op_sel_hi:[1,0,1]
	v_pk_fma_f32 v[118:119], v[120:121], v[118:119], v[122:123] neg_lo:[0,0,1] neg_hi:[0,0,1]
	v_mov_b32_e32 v119, v125
	s_cbranch_execz .LBB120_59
	s_branch .LBB120_60
.LBB120_58:
                                        ; implicit-def: $vgpr118_vgpr119
.LBB120_59:
	ds_load_b64 v[118:119], v1
.LBB120_60:
	s_and_saveexec_b32 s58, s0
	s_cbranch_execz .LBB120_64
; %bb.61:
	v_subrev_nc_u32_e32 v120, 51, v0
	s_movk_i32 s59, 0x368
	s_mov_b32 s0, 0
.LBB120_62:                             ; =>This Inner Loop Header: Depth=1
	scratch_load_b64 v[122:123], off, s56
	v_dual_mov_b32 v121, s59 :: v_dual_add_nc_u32 v120, -1, v120
	s_add_co_i32 s59, s59, 8
	s_wait_xcnt 0x0
	s_add_co_i32 s56, s56, 8
	ds_load_b64 v[124:125], v121
	v_cmp_eq_u32_e32 vcc_lo, 0, v120
	s_or_b32 s0, vcc_lo, s0
	s_wait_loadcnt_dscnt 0x0
	v_pk_mul_f32 v[126:127], v[124:125], v[122:123] op_sel:[1,1] op_sel_hi:[0,1]
	s_delay_alu instid0(VALU_DEP_1) | instskip(SKIP_1) | instid1(VALU_DEP_2)
	v_pk_fma_f32 v[128:129], v[124:125], v[122:123], v[126:127] op_sel_hi:[1,0,1]
	v_pk_fma_f32 v[122:123], v[124:125], v[122:123], v[126:127] neg_lo:[0,0,1] neg_hi:[0,0,1]
	v_mov_b32_e32 v123, v129
	s_delay_alu instid0(VALU_DEP_1)
	v_pk_add_f32 v[118:119], v[118:119], v[122:123]
	s_and_not1_b32 exec_lo, exec_lo, s0
	s_cbranch_execnz .LBB120_62
; %bb.63:
	s_or_b32 exec_lo, exec_lo, s0
.LBB120_64:
	s_delay_alu instid0(SALU_CYCLE_1) | instskip(SKIP_4) | instid1(VALU_DEP_1)
	s_or_b32 exec_lo, exec_lo, s58
	v_mov_b32_e32 v120, 0
	ds_load_b64 v[120:121], v120 offset:400
	s_wait_dscnt 0x0
	v_pk_mul_f32 v[122:123], v[118:119], v[120:121] op_sel:[1,1] op_sel_hi:[0,1]
	v_pk_fma_f32 v[124:125], v[118:119], v[120:121], v[122:123] op_sel_hi:[1,0,1]
	v_pk_fma_f32 v[118:119], v[118:119], v[120:121], v[122:123] neg_lo:[0,0,1] neg_hi:[0,0,1]
	s_delay_alu instid0(VALU_DEP_2)
	v_mov_b32_e32 v119, v125
	scratch_store_b64 off, v[118:119], off offset:400
.LBB120_65:
	s_wait_xcnt 0x0
	s_or_b32 exec_lo, exec_lo, s57
	scratch_load_b64 v[118:119], off, off offset:392
	v_cmp_lt_u32_e64 s0, 49, v0
	s_wait_loadcnt 0x0
	ds_store_b64 v1, v[118:119]
	s_wait_storecnt_dscnt 0x0
	s_barrier_signal -1
	s_barrier_wait -1
	s_wait_xcnt 0x0
	s_and_saveexec_b32 s56, s0
	s_cbranch_execz .LBB120_75
; %bb.66:
	s_and_not1_b32 vcc_lo, exec_lo, s5
	s_cbranch_vccnz .LBB120_68
; %bb.67:
	scratch_load_b64 v[118:119], v59, off
	ds_load_b64 v[120:121], v1
	s_wait_loadcnt_dscnt 0x0
	v_pk_mul_f32 v[122:123], v[120:121], v[118:119] op_sel:[1,1] op_sel_hi:[0,1]
	s_delay_alu instid0(VALU_DEP_1) | instskip(SKIP_1) | instid1(VALU_DEP_2)
	v_pk_fma_f32 v[124:125], v[120:121], v[118:119], v[122:123] op_sel_hi:[1,0,1]
	v_pk_fma_f32 v[118:119], v[120:121], v[118:119], v[122:123] neg_lo:[0,0,1] neg_hi:[0,0,1]
	v_mov_b32_e32 v119, v125
	s_cbranch_execz .LBB120_69
	s_branch .LBB120_70
.LBB120_68:
                                        ; implicit-def: $vgpr118_vgpr119
.LBB120_69:
	ds_load_b64 v[118:119], v1
.LBB120_70:
	s_and_saveexec_b32 s57, s1
	s_cbranch_execz .LBB120_74
; %bb.71:
	v_subrev_nc_u32_e32 v120, 50, v0
	s_movk_i32 s58, 0x360
	s_mov_b32 s1, 0
.LBB120_72:                             ; =>This Inner Loop Header: Depth=1
	scratch_load_b64 v[122:123], off, s55
	v_dual_mov_b32 v121, s58 :: v_dual_add_nc_u32 v120, -1, v120
	s_add_co_i32 s58, s58, 8
	s_wait_xcnt 0x0
	s_add_co_i32 s55, s55, 8
	ds_load_b64 v[124:125], v121
	v_cmp_eq_u32_e32 vcc_lo, 0, v120
	s_or_b32 s1, vcc_lo, s1
	s_wait_loadcnt_dscnt 0x0
	v_pk_mul_f32 v[126:127], v[124:125], v[122:123] op_sel:[1,1] op_sel_hi:[0,1]
	s_delay_alu instid0(VALU_DEP_1) | instskip(SKIP_1) | instid1(VALU_DEP_2)
	v_pk_fma_f32 v[128:129], v[124:125], v[122:123], v[126:127] op_sel_hi:[1,0,1]
	v_pk_fma_f32 v[122:123], v[124:125], v[122:123], v[126:127] neg_lo:[0,0,1] neg_hi:[0,0,1]
	v_mov_b32_e32 v123, v129
	s_delay_alu instid0(VALU_DEP_1)
	v_pk_add_f32 v[118:119], v[118:119], v[122:123]
	s_and_not1_b32 exec_lo, exec_lo, s1
	s_cbranch_execnz .LBB120_72
; %bb.73:
	s_or_b32 exec_lo, exec_lo, s1
.LBB120_74:
	s_delay_alu instid0(SALU_CYCLE_1) | instskip(SKIP_4) | instid1(VALU_DEP_1)
	s_or_b32 exec_lo, exec_lo, s57
	v_mov_b32_e32 v120, 0
	ds_load_b64 v[120:121], v120 offset:392
	s_wait_dscnt 0x0
	v_pk_mul_f32 v[122:123], v[118:119], v[120:121] op_sel:[1,1] op_sel_hi:[0,1]
	v_pk_fma_f32 v[124:125], v[118:119], v[120:121], v[122:123] op_sel_hi:[1,0,1]
	v_pk_fma_f32 v[118:119], v[118:119], v[120:121], v[122:123] neg_lo:[0,0,1] neg_hi:[0,0,1]
	s_delay_alu instid0(VALU_DEP_2)
	v_mov_b32_e32 v119, v125
	scratch_store_b64 off, v[118:119], off offset:392
.LBB120_75:
	s_wait_xcnt 0x0
	s_or_b32 exec_lo, exec_lo, s56
	scratch_load_b64 v[118:119], off, off offset:384
	v_cmp_lt_u32_e64 s1, 48, v0
	s_wait_loadcnt 0x0
	ds_store_b64 v1, v[118:119]
	s_wait_storecnt_dscnt 0x0
	s_barrier_signal -1
	s_barrier_wait -1
	s_wait_xcnt 0x0
	s_and_saveexec_b32 s55, s1
	s_cbranch_execz .LBB120_85
; %bb.76:
	s_and_not1_b32 vcc_lo, exec_lo, s5
	s_cbranch_vccnz .LBB120_78
; %bb.77:
	scratch_load_b64 v[118:119], v59, off
	ds_load_b64 v[120:121], v1
	s_wait_loadcnt_dscnt 0x0
	v_pk_mul_f32 v[122:123], v[120:121], v[118:119] op_sel:[1,1] op_sel_hi:[0,1]
	s_delay_alu instid0(VALU_DEP_1) | instskip(SKIP_1) | instid1(VALU_DEP_2)
	v_pk_fma_f32 v[124:125], v[120:121], v[118:119], v[122:123] op_sel_hi:[1,0,1]
	v_pk_fma_f32 v[118:119], v[120:121], v[118:119], v[122:123] neg_lo:[0,0,1] neg_hi:[0,0,1]
	v_mov_b32_e32 v119, v125
	s_cbranch_execz .LBB120_79
	s_branch .LBB120_80
.LBB120_78:
                                        ; implicit-def: $vgpr118_vgpr119
.LBB120_79:
	ds_load_b64 v[118:119], v1
.LBB120_80:
	s_and_saveexec_b32 s56, s0
	s_cbranch_execz .LBB120_84
; %bb.81:
	v_subrev_nc_u32_e32 v120, 49, v0
	s_movk_i32 s57, 0x358
	s_mov_b32 s0, 0
.LBB120_82:                             ; =>This Inner Loop Header: Depth=1
	scratch_load_b64 v[122:123], off, s54
	v_dual_mov_b32 v121, s57 :: v_dual_add_nc_u32 v120, -1, v120
	s_add_co_i32 s57, s57, 8
	s_wait_xcnt 0x0
	s_add_co_i32 s54, s54, 8
	ds_load_b64 v[124:125], v121
	v_cmp_eq_u32_e32 vcc_lo, 0, v120
	s_or_b32 s0, vcc_lo, s0
	s_wait_loadcnt_dscnt 0x0
	v_pk_mul_f32 v[126:127], v[124:125], v[122:123] op_sel:[1,1] op_sel_hi:[0,1]
	s_delay_alu instid0(VALU_DEP_1) | instskip(SKIP_1) | instid1(VALU_DEP_2)
	v_pk_fma_f32 v[128:129], v[124:125], v[122:123], v[126:127] op_sel_hi:[1,0,1]
	v_pk_fma_f32 v[122:123], v[124:125], v[122:123], v[126:127] neg_lo:[0,0,1] neg_hi:[0,0,1]
	v_mov_b32_e32 v123, v129
	s_delay_alu instid0(VALU_DEP_1)
	v_pk_add_f32 v[118:119], v[118:119], v[122:123]
	s_and_not1_b32 exec_lo, exec_lo, s0
	s_cbranch_execnz .LBB120_82
; %bb.83:
	s_or_b32 exec_lo, exec_lo, s0
.LBB120_84:
	s_delay_alu instid0(SALU_CYCLE_1) | instskip(SKIP_4) | instid1(VALU_DEP_1)
	s_or_b32 exec_lo, exec_lo, s56
	v_mov_b32_e32 v120, 0
	ds_load_b64 v[120:121], v120 offset:384
	s_wait_dscnt 0x0
	v_pk_mul_f32 v[122:123], v[118:119], v[120:121] op_sel:[1,1] op_sel_hi:[0,1]
	v_pk_fma_f32 v[124:125], v[118:119], v[120:121], v[122:123] op_sel_hi:[1,0,1]
	v_pk_fma_f32 v[118:119], v[118:119], v[120:121], v[122:123] neg_lo:[0,0,1] neg_hi:[0,0,1]
	s_delay_alu instid0(VALU_DEP_2)
	v_mov_b32_e32 v119, v125
	scratch_store_b64 off, v[118:119], off offset:384
.LBB120_85:
	s_wait_xcnt 0x0
	s_or_b32 exec_lo, exec_lo, s55
	scratch_load_b64 v[118:119], off, off offset:376
	v_cmp_lt_u32_e64 s0, 47, v0
	s_wait_loadcnt 0x0
	ds_store_b64 v1, v[118:119]
	s_wait_storecnt_dscnt 0x0
	s_barrier_signal -1
	s_barrier_wait -1
	s_wait_xcnt 0x0
	s_and_saveexec_b32 s54, s0
	s_cbranch_execz .LBB120_95
; %bb.86:
	s_and_not1_b32 vcc_lo, exec_lo, s5
	s_cbranch_vccnz .LBB120_88
; %bb.87:
	scratch_load_b64 v[118:119], v59, off
	ds_load_b64 v[120:121], v1
	s_wait_loadcnt_dscnt 0x0
	v_pk_mul_f32 v[122:123], v[120:121], v[118:119] op_sel:[1,1] op_sel_hi:[0,1]
	s_delay_alu instid0(VALU_DEP_1) | instskip(SKIP_1) | instid1(VALU_DEP_2)
	v_pk_fma_f32 v[124:125], v[120:121], v[118:119], v[122:123] op_sel_hi:[1,0,1]
	v_pk_fma_f32 v[118:119], v[120:121], v[118:119], v[122:123] neg_lo:[0,0,1] neg_hi:[0,0,1]
	v_mov_b32_e32 v119, v125
	s_cbranch_execz .LBB120_89
	s_branch .LBB120_90
.LBB120_88:
                                        ; implicit-def: $vgpr118_vgpr119
.LBB120_89:
	ds_load_b64 v[118:119], v1
.LBB120_90:
	s_and_saveexec_b32 s55, s1
	s_cbranch_execz .LBB120_94
; %bb.91:
	v_subrev_nc_u32_e32 v120, 48, v0
	s_movk_i32 s56, 0x350
	s_mov_b32 s1, 0
.LBB120_92:                             ; =>This Inner Loop Header: Depth=1
	scratch_load_b64 v[122:123], off, s53
	v_dual_mov_b32 v121, s56 :: v_dual_add_nc_u32 v120, -1, v120
	s_add_co_i32 s56, s56, 8
	s_wait_xcnt 0x0
	s_add_co_i32 s53, s53, 8
	ds_load_b64 v[124:125], v121
	v_cmp_eq_u32_e32 vcc_lo, 0, v120
	s_or_b32 s1, vcc_lo, s1
	s_wait_loadcnt_dscnt 0x0
	v_pk_mul_f32 v[126:127], v[124:125], v[122:123] op_sel:[1,1] op_sel_hi:[0,1]
	s_delay_alu instid0(VALU_DEP_1) | instskip(SKIP_1) | instid1(VALU_DEP_2)
	v_pk_fma_f32 v[128:129], v[124:125], v[122:123], v[126:127] op_sel_hi:[1,0,1]
	v_pk_fma_f32 v[122:123], v[124:125], v[122:123], v[126:127] neg_lo:[0,0,1] neg_hi:[0,0,1]
	v_mov_b32_e32 v123, v129
	s_delay_alu instid0(VALU_DEP_1)
	v_pk_add_f32 v[118:119], v[118:119], v[122:123]
	s_and_not1_b32 exec_lo, exec_lo, s1
	s_cbranch_execnz .LBB120_92
; %bb.93:
	s_or_b32 exec_lo, exec_lo, s1
.LBB120_94:
	s_delay_alu instid0(SALU_CYCLE_1) | instskip(SKIP_4) | instid1(VALU_DEP_1)
	s_or_b32 exec_lo, exec_lo, s55
	v_mov_b32_e32 v120, 0
	ds_load_b64 v[120:121], v120 offset:376
	s_wait_dscnt 0x0
	v_pk_mul_f32 v[122:123], v[118:119], v[120:121] op_sel:[1,1] op_sel_hi:[0,1]
	v_pk_fma_f32 v[124:125], v[118:119], v[120:121], v[122:123] op_sel_hi:[1,0,1]
	v_pk_fma_f32 v[118:119], v[118:119], v[120:121], v[122:123] neg_lo:[0,0,1] neg_hi:[0,0,1]
	s_delay_alu instid0(VALU_DEP_2)
	v_mov_b32_e32 v119, v125
	scratch_store_b64 off, v[118:119], off offset:376
.LBB120_95:
	s_wait_xcnt 0x0
	s_or_b32 exec_lo, exec_lo, s54
	scratch_load_b64 v[118:119], off, off offset:368
	v_cmp_lt_u32_e64 s1, 46, v0
	s_wait_loadcnt 0x0
	ds_store_b64 v1, v[118:119]
	s_wait_storecnt_dscnt 0x0
	s_barrier_signal -1
	s_barrier_wait -1
	s_wait_xcnt 0x0
	s_and_saveexec_b32 s53, s1
	s_cbranch_execz .LBB120_105
; %bb.96:
	s_and_not1_b32 vcc_lo, exec_lo, s5
	s_cbranch_vccnz .LBB120_98
; %bb.97:
	scratch_load_b64 v[118:119], v59, off
	ds_load_b64 v[120:121], v1
	s_wait_loadcnt_dscnt 0x0
	v_pk_mul_f32 v[122:123], v[120:121], v[118:119] op_sel:[1,1] op_sel_hi:[0,1]
	s_delay_alu instid0(VALU_DEP_1) | instskip(SKIP_1) | instid1(VALU_DEP_2)
	v_pk_fma_f32 v[124:125], v[120:121], v[118:119], v[122:123] op_sel_hi:[1,0,1]
	v_pk_fma_f32 v[118:119], v[120:121], v[118:119], v[122:123] neg_lo:[0,0,1] neg_hi:[0,0,1]
	v_mov_b32_e32 v119, v125
	s_cbranch_execz .LBB120_99
	s_branch .LBB120_100
.LBB120_98:
                                        ; implicit-def: $vgpr118_vgpr119
.LBB120_99:
	ds_load_b64 v[118:119], v1
.LBB120_100:
	s_and_saveexec_b32 s54, s0
	s_cbranch_execz .LBB120_104
; %bb.101:
	v_subrev_nc_u32_e32 v120, 47, v0
	s_movk_i32 s55, 0x348
	s_mov_b32 s0, 0
.LBB120_102:                            ; =>This Inner Loop Header: Depth=1
	scratch_load_b64 v[122:123], off, s52
	v_dual_mov_b32 v121, s55 :: v_dual_add_nc_u32 v120, -1, v120
	s_add_co_i32 s55, s55, 8
	s_wait_xcnt 0x0
	s_add_co_i32 s52, s52, 8
	ds_load_b64 v[124:125], v121
	v_cmp_eq_u32_e32 vcc_lo, 0, v120
	s_or_b32 s0, vcc_lo, s0
	s_wait_loadcnt_dscnt 0x0
	v_pk_mul_f32 v[126:127], v[124:125], v[122:123] op_sel:[1,1] op_sel_hi:[0,1]
	s_delay_alu instid0(VALU_DEP_1) | instskip(SKIP_1) | instid1(VALU_DEP_2)
	v_pk_fma_f32 v[128:129], v[124:125], v[122:123], v[126:127] op_sel_hi:[1,0,1]
	v_pk_fma_f32 v[122:123], v[124:125], v[122:123], v[126:127] neg_lo:[0,0,1] neg_hi:[0,0,1]
	v_mov_b32_e32 v123, v129
	s_delay_alu instid0(VALU_DEP_1)
	v_pk_add_f32 v[118:119], v[118:119], v[122:123]
	s_and_not1_b32 exec_lo, exec_lo, s0
	s_cbranch_execnz .LBB120_102
; %bb.103:
	s_or_b32 exec_lo, exec_lo, s0
.LBB120_104:
	s_delay_alu instid0(SALU_CYCLE_1) | instskip(SKIP_4) | instid1(VALU_DEP_1)
	s_or_b32 exec_lo, exec_lo, s54
	v_mov_b32_e32 v120, 0
	ds_load_b64 v[120:121], v120 offset:368
	s_wait_dscnt 0x0
	v_pk_mul_f32 v[122:123], v[118:119], v[120:121] op_sel:[1,1] op_sel_hi:[0,1]
	v_pk_fma_f32 v[124:125], v[118:119], v[120:121], v[122:123] op_sel_hi:[1,0,1]
	v_pk_fma_f32 v[118:119], v[118:119], v[120:121], v[122:123] neg_lo:[0,0,1] neg_hi:[0,0,1]
	s_delay_alu instid0(VALU_DEP_2)
	v_mov_b32_e32 v119, v125
	scratch_store_b64 off, v[118:119], off offset:368
.LBB120_105:
	s_wait_xcnt 0x0
	s_or_b32 exec_lo, exec_lo, s53
	scratch_load_b64 v[118:119], off, off offset:360
	v_cmp_lt_u32_e64 s0, 45, v0
	s_wait_loadcnt 0x0
	ds_store_b64 v1, v[118:119]
	s_wait_storecnt_dscnt 0x0
	s_barrier_signal -1
	s_barrier_wait -1
	s_wait_xcnt 0x0
	s_and_saveexec_b32 s52, s0
	s_cbranch_execz .LBB120_115
; %bb.106:
	s_and_not1_b32 vcc_lo, exec_lo, s5
	s_cbranch_vccnz .LBB120_108
; %bb.107:
	scratch_load_b64 v[118:119], v59, off
	ds_load_b64 v[120:121], v1
	s_wait_loadcnt_dscnt 0x0
	v_pk_mul_f32 v[122:123], v[120:121], v[118:119] op_sel:[1,1] op_sel_hi:[0,1]
	s_delay_alu instid0(VALU_DEP_1) | instskip(SKIP_1) | instid1(VALU_DEP_2)
	v_pk_fma_f32 v[124:125], v[120:121], v[118:119], v[122:123] op_sel_hi:[1,0,1]
	v_pk_fma_f32 v[118:119], v[120:121], v[118:119], v[122:123] neg_lo:[0,0,1] neg_hi:[0,0,1]
	v_mov_b32_e32 v119, v125
	s_cbranch_execz .LBB120_109
	s_branch .LBB120_110
.LBB120_108:
                                        ; implicit-def: $vgpr118_vgpr119
.LBB120_109:
	ds_load_b64 v[118:119], v1
.LBB120_110:
	s_and_saveexec_b32 s53, s1
	s_cbranch_execz .LBB120_114
; %bb.111:
	v_subrev_nc_u32_e32 v120, 46, v0
	s_movk_i32 s54, 0x340
	s_mov_b32 s1, 0
.LBB120_112:                            ; =>This Inner Loop Header: Depth=1
	scratch_load_b64 v[122:123], off, s51
	v_dual_mov_b32 v121, s54 :: v_dual_add_nc_u32 v120, -1, v120
	s_add_co_i32 s54, s54, 8
	s_wait_xcnt 0x0
	s_add_co_i32 s51, s51, 8
	ds_load_b64 v[124:125], v121
	v_cmp_eq_u32_e32 vcc_lo, 0, v120
	s_or_b32 s1, vcc_lo, s1
	s_wait_loadcnt_dscnt 0x0
	v_pk_mul_f32 v[126:127], v[124:125], v[122:123] op_sel:[1,1] op_sel_hi:[0,1]
	s_delay_alu instid0(VALU_DEP_1) | instskip(SKIP_1) | instid1(VALU_DEP_2)
	v_pk_fma_f32 v[128:129], v[124:125], v[122:123], v[126:127] op_sel_hi:[1,0,1]
	v_pk_fma_f32 v[122:123], v[124:125], v[122:123], v[126:127] neg_lo:[0,0,1] neg_hi:[0,0,1]
	v_mov_b32_e32 v123, v129
	s_delay_alu instid0(VALU_DEP_1)
	v_pk_add_f32 v[118:119], v[118:119], v[122:123]
	s_and_not1_b32 exec_lo, exec_lo, s1
	s_cbranch_execnz .LBB120_112
; %bb.113:
	s_or_b32 exec_lo, exec_lo, s1
.LBB120_114:
	s_delay_alu instid0(SALU_CYCLE_1) | instskip(SKIP_4) | instid1(VALU_DEP_1)
	s_or_b32 exec_lo, exec_lo, s53
	v_mov_b32_e32 v120, 0
	ds_load_b64 v[120:121], v120 offset:360
	s_wait_dscnt 0x0
	v_pk_mul_f32 v[122:123], v[118:119], v[120:121] op_sel:[1,1] op_sel_hi:[0,1]
	v_pk_fma_f32 v[124:125], v[118:119], v[120:121], v[122:123] op_sel_hi:[1,0,1]
	v_pk_fma_f32 v[118:119], v[118:119], v[120:121], v[122:123] neg_lo:[0,0,1] neg_hi:[0,0,1]
	s_delay_alu instid0(VALU_DEP_2)
	v_mov_b32_e32 v119, v125
	scratch_store_b64 off, v[118:119], off offset:360
.LBB120_115:
	s_wait_xcnt 0x0
	s_or_b32 exec_lo, exec_lo, s52
	scratch_load_b64 v[118:119], off, off offset:352
	v_cmp_lt_u32_e64 s1, 44, v0
	s_wait_loadcnt 0x0
	ds_store_b64 v1, v[118:119]
	s_wait_storecnt_dscnt 0x0
	s_barrier_signal -1
	s_barrier_wait -1
	s_wait_xcnt 0x0
	s_and_saveexec_b32 s51, s1
	s_cbranch_execz .LBB120_125
; %bb.116:
	s_and_not1_b32 vcc_lo, exec_lo, s5
	s_cbranch_vccnz .LBB120_118
; %bb.117:
	scratch_load_b64 v[118:119], v59, off
	ds_load_b64 v[120:121], v1
	s_wait_loadcnt_dscnt 0x0
	v_pk_mul_f32 v[122:123], v[120:121], v[118:119] op_sel:[1,1] op_sel_hi:[0,1]
	s_delay_alu instid0(VALU_DEP_1) | instskip(SKIP_1) | instid1(VALU_DEP_2)
	v_pk_fma_f32 v[124:125], v[120:121], v[118:119], v[122:123] op_sel_hi:[1,0,1]
	v_pk_fma_f32 v[118:119], v[120:121], v[118:119], v[122:123] neg_lo:[0,0,1] neg_hi:[0,0,1]
	v_mov_b32_e32 v119, v125
	s_cbranch_execz .LBB120_119
	s_branch .LBB120_120
.LBB120_118:
                                        ; implicit-def: $vgpr118_vgpr119
.LBB120_119:
	ds_load_b64 v[118:119], v1
.LBB120_120:
	s_and_saveexec_b32 s52, s0
	s_cbranch_execz .LBB120_124
; %bb.121:
	v_subrev_nc_u32_e32 v120, 45, v0
	s_movk_i32 s53, 0x338
	s_mov_b32 s0, 0
.LBB120_122:                            ; =>This Inner Loop Header: Depth=1
	scratch_load_b64 v[122:123], off, s50
	v_dual_mov_b32 v121, s53 :: v_dual_add_nc_u32 v120, -1, v120
	s_add_co_i32 s53, s53, 8
	s_wait_xcnt 0x0
	s_add_co_i32 s50, s50, 8
	ds_load_b64 v[124:125], v121
	v_cmp_eq_u32_e32 vcc_lo, 0, v120
	s_or_b32 s0, vcc_lo, s0
	s_wait_loadcnt_dscnt 0x0
	v_pk_mul_f32 v[126:127], v[124:125], v[122:123] op_sel:[1,1] op_sel_hi:[0,1]
	s_delay_alu instid0(VALU_DEP_1) | instskip(SKIP_1) | instid1(VALU_DEP_2)
	v_pk_fma_f32 v[128:129], v[124:125], v[122:123], v[126:127] op_sel_hi:[1,0,1]
	v_pk_fma_f32 v[122:123], v[124:125], v[122:123], v[126:127] neg_lo:[0,0,1] neg_hi:[0,0,1]
	v_mov_b32_e32 v123, v129
	s_delay_alu instid0(VALU_DEP_1)
	v_pk_add_f32 v[118:119], v[118:119], v[122:123]
	s_and_not1_b32 exec_lo, exec_lo, s0
	s_cbranch_execnz .LBB120_122
; %bb.123:
	s_or_b32 exec_lo, exec_lo, s0
.LBB120_124:
	s_delay_alu instid0(SALU_CYCLE_1) | instskip(SKIP_4) | instid1(VALU_DEP_1)
	s_or_b32 exec_lo, exec_lo, s52
	v_mov_b32_e32 v120, 0
	ds_load_b64 v[120:121], v120 offset:352
	s_wait_dscnt 0x0
	v_pk_mul_f32 v[122:123], v[118:119], v[120:121] op_sel:[1,1] op_sel_hi:[0,1]
	v_pk_fma_f32 v[124:125], v[118:119], v[120:121], v[122:123] op_sel_hi:[1,0,1]
	v_pk_fma_f32 v[118:119], v[118:119], v[120:121], v[122:123] neg_lo:[0,0,1] neg_hi:[0,0,1]
	s_delay_alu instid0(VALU_DEP_2)
	v_mov_b32_e32 v119, v125
	scratch_store_b64 off, v[118:119], off offset:352
.LBB120_125:
	s_wait_xcnt 0x0
	s_or_b32 exec_lo, exec_lo, s51
	scratch_load_b64 v[118:119], off, off offset:344
	v_cmp_lt_u32_e64 s0, 43, v0
	s_wait_loadcnt 0x0
	ds_store_b64 v1, v[118:119]
	s_wait_storecnt_dscnt 0x0
	s_barrier_signal -1
	s_barrier_wait -1
	s_wait_xcnt 0x0
	s_and_saveexec_b32 s50, s0
	s_cbranch_execz .LBB120_135
; %bb.126:
	s_and_not1_b32 vcc_lo, exec_lo, s5
	s_cbranch_vccnz .LBB120_128
; %bb.127:
	scratch_load_b64 v[118:119], v59, off
	ds_load_b64 v[120:121], v1
	s_wait_loadcnt_dscnt 0x0
	v_pk_mul_f32 v[122:123], v[120:121], v[118:119] op_sel:[1,1] op_sel_hi:[0,1]
	s_delay_alu instid0(VALU_DEP_1) | instskip(SKIP_1) | instid1(VALU_DEP_2)
	v_pk_fma_f32 v[124:125], v[120:121], v[118:119], v[122:123] op_sel_hi:[1,0,1]
	v_pk_fma_f32 v[118:119], v[120:121], v[118:119], v[122:123] neg_lo:[0,0,1] neg_hi:[0,0,1]
	v_mov_b32_e32 v119, v125
	s_cbranch_execz .LBB120_129
	s_branch .LBB120_130
.LBB120_128:
                                        ; implicit-def: $vgpr118_vgpr119
.LBB120_129:
	ds_load_b64 v[118:119], v1
.LBB120_130:
	s_and_saveexec_b32 s51, s1
	s_cbranch_execz .LBB120_134
; %bb.131:
	v_subrev_nc_u32_e32 v120, 44, v0
	s_movk_i32 s52, 0x330
	s_mov_b32 s1, 0
.LBB120_132:                            ; =>This Inner Loop Header: Depth=1
	scratch_load_b64 v[122:123], off, s49
	v_dual_mov_b32 v121, s52 :: v_dual_add_nc_u32 v120, -1, v120
	s_add_co_i32 s52, s52, 8
	s_wait_xcnt 0x0
	s_add_co_i32 s49, s49, 8
	ds_load_b64 v[124:125], v121
	v_cmp_eq_u32_e32 vcc_lo, 0, v120
	s_or_b32 s1, vcc_lo, s1
	s_wait_loadcnt_dscnt 0x0
	v_pk_mul_f32 v[126:127], v[124:125], v[122:123] op_sel:[1,1] op_sel_hi:[0,1]
	s_delay_alu instid0(VALU_DEP_1) | instskip(SKIP_1) | instid1(VALU_DEP_2)
	v_pk_fma_f32 v[128:129], v[124:125], v[122:123], v[126:127] op_sel_hi:[1,0,1]
	v_pk_fma_f32 v[122:123], v[124:125], v[122:123], v[126:127] neg_lo:[0,0,1] neg_hi:[0,0,1]
	v_mov_b32_e32 v123, v129
	s_delay_alu instid0(VALU_DEP_1)
	v_pk_add_f32 v[118:119], v[118:119], v[122:123]
	s_and_not1_b32 exec_lo, exec_lo, s1
	s_cbranch_execnz .LBB120_132
; %bb.133:
	s_or_b32 exec_lo, exec_lo, s1
.LBB120_134:
	s_delay_alu instid0(SALU_CYCLE_1) | instskip(SKIP_4) | instid1(VALU_DEP_1)
	s_or_b32 exec_lo, exec_lo, s51
	v_mov_b32_e32 v120, 0
	ds_load_b64 v[120:121], v120 offset:344
	s_wait_dscnt 0x0
	v_pk_mul_f32 v[122:123], v[118:119], v[120:121] op_sel:[1,1] op_sel_hi:[0,1]
	v_pk_fma_f32 v[124:125], v[118:119], v[120:121], v[122:123] op_sel_hi:[1,0,1]
	v_pk_fma_f32 v[118:119], v[118:119], v[120:121], v[122:123] neg_lo:[0,0,1] neg_hi:[0,0,1]
	s_delay_alu instid0(VALU_DEP_2)
	v_mov_b32_e32 v119, v125
	scratch_store_b64 off, v[118:119], off offset:344
.LBB120_135:
	s_wait_xcnt 0x0
	s_or_b32 exec_lo, exec_lo, s50
	scratch_load_b64 v[118:119], off, off offset:336
	v_cmp_lt_u32_e64 s1, 42, v0
	s_wait_loadcnt 0x0
	ds_store_b64 v1, v[118:119]
	s_wait_storecnt_dscnt 0x0
	s_barrier_signal -1
	s_barrier_wait -1
	s_wait_xcnt 0x0
	s_and_saveexec_b32 s49, s1
	s_cbranch_execz .LBB120_145
; %bb.136:
	s_and_not1_b32 vcc_lo, exec_lo, s5
	s_cbranch_vccnz .LBB120_138
; %bb.137:
	scratch_load_b64 v[118:119], v59, off
	ds_load_b64 v[120:121], v1
	s_wait_loadcnt_dscnt 0x0
	v_pk_mul_f32 v[122:123], v[120:121], v[118:119] op_sel:[1,1] op_sel_hi:[0,1]
	s_delay_alu instid0(VALU_DEP_1) | instskip(SKIP_1) | instid1(VALU_DEP_2)
	v_pk_fma_f32 v[124:125], v[120:121], v[118:119], v[122:123] op_sel_hi:[1,0,1]
	v_pk_fma_f32 v[118:119], v[120:121], v[118:119], v[122:123] neg_lo:[0,0,1] neg_hi:[0,0,1]
	v_mov_b32_e32 v119, v125
	s_cbranch_execz .LBB120_139
	s_branch .LBB120_140
.LBB120_138:
                                        ; implicit-def: $vgpr118_vgpr119
.LBB120_139:
	ds_load_b64 v[118:119], v1
.LBB120_140:
	s_and_saveexec_b32 s50, s0
	s_cbranch_execz .LBB120_144
; %bb.141:
	v_subrev_nc_u32_e32 v120, 43, v0
	s_movk_i32 s51, 0x328
	s_mov_b32 s0, 0
.LBB120_142:                            ; =>This Inner Loop Header: Depth=1
	scratch_load_b64 v[122:123], off, s48
	v_dual_mov_b32 v121, s51 :: v_dual_add_nc_u32 v120, -1, v120
	s_add_co_i32 s51, s51, 8
	s_wait_xcnt 0x0
	s_add_co_i32 s48, s48, 8
	ds_load_b64 v[124:125], v121
	v_cmp_eq_u32_e32 vcc_lo, 0, v120
	s_or_b32 s0, vcc_lo, s0
	s_wait_loadcnt_dscnt 0x0
	v_pk_mul_f32 v[126:127], v[124:125], v[122:123] op_sel:[1,1] op_sel_hi:[0,1]
	s_delay_alu instid0(VALU_DEP_1) | instskip(SKIP_1) | instid1(VALU_DEP_2)
	v_pk_fma_f32 v[128:129], v[124:125], v[122:123], v[126:127] op_sel_hi:[1,0,1]
	v_pk_fma_f32 v[122:123], v[124:125], v[122:123], v[126:127] neg_lo:[0,0,1] neg_hi:[0,0,1]
	v_mov_b32_e32 v123, v129
	s_delay_alu instid0(VALU_DEP_1)
	v_pk_add_f32 v[118:119], v[118:119], v[122:123]
	s_and_not1_b32 exec_lo, exec_lo, s0
	s_cbranch_execnz .LBB120_142
; %bb.143:
	s_or_b32 exec_lo, exec_lo, s0
.LBB120_144:
	s_delay_alu instid0(SALU_CYCLE_1) | instskip(SKIP_4) | instid1(VALU_DEP_1)
	s_or_b32 exec_lo, exec_lo, s50
	v_mov_b32_e32 v120, 0
	ds_load_b64 v[120:121], v120 offset:336
	s_wait_dscnt 0x0
	v_pk_mul_f32 v[122:123], v[118:119], v[120:121] op_sel:[1,1] op_sel_hi:[0,1]
	v_pk_fma_f32 v[124:125], v[118:119], v[120:121], v[122:123] op_sel_hi:[1,0,1]
	v_pk_fma_f32 v[118:119], v[118:119], v[120:121], v[122:123] neg_lo:[0,0,1] neg_hi:[0,0,1]
	s_delay_alu instid0(VALU_DEP_2)
	v_mov_b32_e32 v119, v125
	scratch_store_b64 off, v[118:119], off offset:336
.LBB120_145:
	s_wait_xcnt 0x0
	s_or_b32 exec_lo, exec_lo, s49
	scratch_load_b64 v[118:119], off, off offset:328
	v_cmp_lt_u32_e64 s0, 41, v0
	s_wait_loadcnt 0x0
	ds_store_b64 v1, v[118:119]
	s_wait_storecnt_dscnt 0x0
	s_barrier_signal -1
	s_barrier_wait -1
	s_wait_xcnt 0x0
	s_and_saveexec_b32 s48, s0
	s_cbranch_execz .LBB120_155
; %bb.146:
	s_and_not1_b32 vcc_lo, exec_lo, s5
	s_cbranch_vccnz .LBB120_148
; %bb.147:
	scratch_load_b64 v[118:119], v59, off
	ds_load_b64 v[120:121], v1
	s_wait_loadcnt_dscnt 0x0
	v_pk_mul_f32 v[122:123], v[120:121], v[118:119] op_sel:[1,1] op_sel_hi:[0,1]
	s_delay_alu instid0(VALU_DEP_1) | instskip(SKIP_1) | instid1(VALU_DEP_2)
	v_pk_fma_f32 v[124:125], v[120:121], v[118:119], v[122:123] op_sel_hi:[1,0,1]
	v_pk_fma_f32 v[118:119], v[120:121], v[118:119], v[122:123] neg_lo:[0,0,1] neg_hi:[0,0,1]
	v_mov_b32_e32 v119, v125
	s_cbranch_execz .LBB120_149
	s_branch .LBB120_150
.LBB120_148:
                                        ; implicit-def: $vgpr118_vgpr119
.LBB120_149:
	ds_load_b64 v[118:119], v1
.LBB120_150:
	s_and_saveexec_b32 s49, s1
	s_cbranch_execz .LBB120_154
; %bb.151:
	v_subrev_nc_u32_e32 v120, 42, v0
	s_movk_i32 s50, 0x320
	s_mov_b32 s1, 0
.LBB120_152:                            ; =>This Inner Loop Header: Depth=1
	scratch_load_b64 v[122:123], off, s47
	v_dual_mov_b32 v121, s50 :: v_dual_add_nc_u32 v120, -1, v120
	s_add_co_i32 s50, s50, 8
	s_wait_xcnt 0x0
	s_add_co_i32 s47, s47, 8
	ds_load_b64 v[124:125], v121
	v_cmp_eq_u32_e32 vcc_lo, 0, v120
	s_or_b32 s1, vcc_lo, s1
	s_wait_loadcnt_dscnt 0x0
	v_pk_mul_f32 v[126:127], v[124:125], v[122:123] op_sel:[1,1] op_sel_hi:[0,1]
	s_delay_alu instid0(VALU_DEP_1) | instskip(SKIP_1) | instid1(VALU_DEP_2)
	v_pk_fma_f32 v[128:129], v[124:125], v[122:123], v[126:127] op_sel_hi:[1,0,1]
	v_pk_fma_f32 v[122:123], v[124:125], v[122:123], v[126:127] neg_lo:[0,0,1] neg_hi:[0,0,1]
	v_mov_b32_e32 v123, v129
	s_delay_alu instid0(VALU_DEP_1)
	v_pk_add_f32 v[118:119], v[118:119], v[122:123]
	s_and_not1_b32 exec_lo, exec_lo, s1
	s_cbranch_execnz .LBB120_152
; %bb.153:
	s_or_b32 exec_lo, exec_lo, s1
.LBB120_154:
	s_delay_alu instid0(SALU_CYCLE_1) | instskip(SKIP_4) | instid1(VALU_DEP_1)
	s_or_b32 exec_lo, exec_lo, s49
	v_mov_b32_e32 v120, 0
	ds_load_b64 v[120:121], v120 offset:328
	s_wait_dscnt 0x0
	v_pk_mul_f32 v[122:123], v[118:119], v[120:121] op_sel:[1,1] op_sel_hi:[0,1]
	v_pk_fma_f32 v[124:125], v[118:119], v[120:121], v[122:123] op_sel_hi:[1,0,1]
	v_pk_fma_f32 v[118:119], v[118:119], v[120:121], v[122:123] neg_lo:[0,0,1] neg_hi:[0,0,1]
	s_delay_alu instid0(VALU_DEP_2)
	v_mov_b32_e32 v119, v125
	scratch_store_b64 off, v[118:119], off offset:328
.LBB120_155:
	s_wait_xcnt 0x0
	s_or_b32 exec_lo, exec_lo, s48
	scratch_load_b64 v[118:119], off, off offset:320
	v_cmp_lt_u32_e64 s1, 40, v0
	s_wait_loadcnt 0x0
	ds_store_b64 v1, v[118:119]
	s_wait_storecnt_dscnt 0x0
	s_barrier_signal -1
	s_barrier_wait -1
	s_wait_xcnt 0x0
	s_and_saveexec_b32 s47, s1
	s_cbranch_execz .LBB120_165
; %bb.156:
	s_and_not1_b32 vcc_lo, exec_lo, s5
	s_cbranch_vccnz .LBB120_158
; %bb.157:
	scratch_load_b64 v[118:119], v59, off
	ds_load_b64 v[120:121], v1
	s_wait_loadcnt_dscnt 0x0
	v_pk_mul_f32 v[122:123], v[120:121], v[118:119] op_sel:[1,1] op_sel_hi:[0,1]
	s_delay_alu instid0(VALU_DEP_1) | instskip(SKIP_1) | instid1(VALU_DEP_2)
	v_pk_fma_f32 v[124:125], v[120:121], v[118:119], v[122:123] op_sel_hi:[1,0,1]
	v_pk_fma_f32 v[118:119], v[120:121], v[118:119], v[122:123] neg_lo:[0,0,1] neg_hi:[0,0,1]
	v_mov_b32_e32 v119, v125
	s_cbranch_execz .LBB120_159
	s_branch .LBB120_160
.LBB120_158:
                                        ; implicit-def: $vgpr118_vgpr119
.LBB120_159:
	ds_load_b64 v[118:119], v1
.LBB120_160:
	s_and_saveexec_b32 s48, s0
	s_cbranch_execz .LBB120_164
; %bb.161:
	v_subrev_nc_u32_e32 v120, 41, v0
	s_movk_i32 s49, 0x318
	s_mov_b32 s0, 0
.LBB120_162:                            ; =>This Inner Loop Header: Depth=1
	scratch_load_b64 v[122:123], off, s46
	v_dual_mov_b32 v121, s49 :: v_dual_add_nc_u32 v120, -1, v120
	s_add_co_i32 s49, s49, 8
	s_wait_xcnt 0x0
	s_add_co_i32 s46, s46, 8
	ds_load_b64 v[124:125], v121
	v_cmp_eq_u32_e32 vcc_lo, 0, v120
	s_or_b32 s0, vcc_lo, s0
	s_wait_loadcnt_dscnt 0x0
	v_pk_mul_f32 v[126:127], v[124:125], v[122:123] op_sel:[1,1] op_sel_hi:[0,1]
	s_delay_alu instid0(VALU_DEP_1) | instskip(SKIP_1) | instid1(VALU_DEP_2)
	v_pk_fma_f32 v[128:129], v[124:125], v[122:123], v[126:127] op_sel_hi:[1,0,1]
	v_pk_fma_f32 v[122:123], v[124:125], v[122:123], v[126:127] neg_lo:[0,0,1] neg_hi:[0,0,1]
	v_mov_b32_e32 v123, v129
	s_delay_alu instid0(VALU_DEP_1)
	v_pk_add_f32 v[118:119], v[118:119], v[122:123]
	s_and_not1_b32 exec_lo, exec_lo, s0
	s_cbranch_execnz .LBB120_162
; %bb.163:
	s_or_b32 exec_lo, exec_lo, s0
.LBB120_164:
	s_delay_alu instid0(SALU_CYCLE_1) | instskip(SKIP_4) | instid1(VALU_DEP_1)
	s_or_b32 exec_lo, exec_lo, s48
	v_mov_b32_e32 v120, 0
	ds_load_b64 v[120:121], v120 offset:320
	s_wait_dscnt 0x0
	v_pk_mul_f32 v[122:123], v[118:119], v[120:121] op_sel:[1,1] op_sel_hi:[0,1]
	v_pk_fma_f32 v[124:125], v[118:119], v[120:121], v[122:123] op_sel_hi:[1,0,1]
	v_pk_fma_f32 v[118:119], v[118:119], v[120:121], v[122:123] neg_lo:[0,0,1] neg_hi:[0,0,1]
	s_delay_alu instid0(VALU_DEP_2)
	v_mov_b32_e32 v119, v125
	scratch_store_b64 off, v[118:119], off offset:320
.LBB120_165:
	s_wait_xcnt 0x0
	s_or_b32 exec_lo, exec_lo, s47
	scratch_load_b64 v[118:119], off, off offset:312
	v_cmp_lt_u32_e64 s0, 39, v0
	s_wait_loadcnt 0x0
	ds_store_b64 v1, v[118:119]
	s_wait_storecnt_dscnt 0x0
	s_barrier_signal -1
	s_barrier_wait -1
	s_wait_xcnt 0x0
	s_and_saveexec_b32 s46, s0
	s_cbranch_execz .LBB120_175
; %bb.166:
	s_and_not1_b32 vcc_lo, exec_lo, s5
	s_cbranch_vccnz .LBB120_168
; %bb.167:
	scratch_load_b64 v[118:119], v59, off
	ds_load_b64 v[120:121], v1
	s_wait_loadcnt_dscnt 0x0
	v_pk_mul_f32 v[122:123], v[120:121], v[118:119] op_sel:[1,1] op_sel_hi:[0,1]
	s_delay_alu instid0(VALU_DEP_1) | instskip(SKIP_1) | instid1(VALU_DEP_2)
	v_pk_fma_f32 v[124:125], v[120:121], v[118:119], v[122:123] op_sel_hi:[1,0,1]
	v_pk_fma_f32 v[118:119], v[120:121], v[118:119], v[122:123] neg_lo:[0,0,1] neg_hi:[0,0,1]
	v_mov_b32_e32 v119, v125
	s_cbranch_execz .LBB120_169
	s_branch .LBB120_170
.LBB120_168:
                                        ; implicit-def: $vgpr118_vgpr119
.LBB120_169:
	ds_load_b64 v[118:119], v1
.LBB120_170:
	s_and_saveexec_b32 s47, s1
	s_cbranch_execz .LBB120_174
; %bb.171:
	v_subrev_nc_u32_e32 v120, 40, v0
	s_movk_i32 s48, 0x310
	s_mov_b32 s1, 0
.LBB120_172:                            ; =>This Inner Loop Header: Depth=1
	scratch_load_b64 v[122:123], off, s45
	v_dual_mov_b32 v121, s48 :: v_dual_add_nc_u32 v120, -1, v120
	s_add_co_i32 s48, s48, 8
	s_wait_xcnt 0x0
	s_add_co_i32 s45, s45, 8
	ds_load_b64 v[124:125], v121
	v_cmp_eq_u32_e32 vcc_lo, 0, v120
	s_or_b32 s1, vcc_lo, s1
	s_wait_loadcnt_dscnt 0x0
	v_pk_mul_f32 v[126:127], v[124:125], v[122:123] op_sel:[1,1] op_sel_hi:[0,1]
	s_delay_alu instid0(VALU_DEP_1) | instskip(SKIP_1) | instid1(VALU_DEP_2)
	v_pk_fma_f32 v[128:129], v[124:125], v[122:123], v[126:127] op_sel_hi:[1,0,1]
	v_pk_fma_f32 v[122:123], v[124:125], v[122:123], v[126:127] neg_lo:[0,0,1] neg_hi:[0,0,1]
	v_mov_b32_e32 v123, v129
	s_delay_alu instid0(VALU_DEP_1)
	v_pk_add_f32 v[118:119], v[118:119], v[122:123]
	s_and_not1_b32 exec_lo, exec_lo, s1
	s_cbranch_execnz .LBB120_172
; %bb.173:
	s_or_b32 exec_lo, exec_lo, s1
.LBB120_174:
	s_delay_alu instid0(SALU_CYCLE_1) | instskip(SKIP_4) | instid1(VALU_DEP_1)
	s_or_b32 exec_lo, exec_lo, s47
	v_mov_b32_e32 v120, 0
	ds_load_b64 v[120:121], v120 offset:312
	s_wait_dscnt 0x0
	v_pk_mul_f32 v[122:123], v[118:119], v[120:121] op_sel:[1,1] op_sel_hi:[0,1]
	v_pk_fma_f32 v[124:125], v[118:119], v[120:121], v[122:123] op_sel_hi:[1,0,1]
	v_pk_fma_f32 v[118:119], v[118:119], v[120:121], v[122:123] neg_lo:[0,0,1] neg_hi:[0,0,1]
	s_delay_alu instid0(VALU_DEP_2)
	v_mov_b32_e32 v119, v125
	scratch_store_b64 off, v[118:119], off offset:312
.LBB120_175:
	s_wait_xcnt 0x0
	s_or_b32 exec_lo, exec_lo, s46
	scratch_load_b64 v[118:119], off, off offset:304
	v_cmp_lt_u32_e64 s1, 38, v0
	s_wait_loadcnt 0x0
	ds_store_b64 v1, v[118:119]
	s_wait_storecnt_dscnt 0x0
	s_barrier_signal -1
	s_barrier_wait -1
	s_wait_xcnt 0x0
	s_and_saveexec_b32 s45, s1
	s_cbranch_execz .LBB120_185
; %bb.176:
	s_and_not1_b32 vcc_lo, exec_lo, s5
	s_cbranch_vccnz .LBB120_178
; %bb.177:
	scratch_load_b64 v[118:119], v59, off
	ds_load_b64 v[120:121], v1
	s_wait_loadcnt_dscnt 0x0
	v_pk_mul_f32 v[122:123], v[120:121], v[118:119] op_sel:[1,1] op_sel_hi:[0,1]
	s_delay_alu instid0(VALU_DEP_1) | instskip(SKIP_1) | instid1(VALU_DEP_2)
	v_pk_fma_f32 v[124:125], v[120:121], v[118:119], v[122:123] op_sel_hi:[1,0,1]
	v_pk_fma_f32 v[118:119], v[120:121], v[118:119], v[122:123] neg_lo:[0,0,1] neg_hi:[0,0,1]
	v_mov_b32_e32 v119, v125
	s_cbranch_execz .LBB120_179
	s_branch .LBB120_180
.LBB120_178:
                                        ; implicit-def: $vgpr118_vgpr119
.LBB120_179:
	ds_load_b64 v[118:119], v1
.LBB120_180:
	s_and_saveexec_b32 s46, s0
	s_cbranch_execz .LBB120_184
; %bb.181:
	v_subrev_nc_u32_e32 v120, 39, v0
	s_movk_i32 s47, 0x308
	s_mov_b32 s0, 0
.LBB120_182:                            ; =>This Inner Loop Header: Depth=1
	scratch_load_b64 v[122:123], off, s44
	v_dual_mov_b32 v121, s47 :: v_dual_add_nc_u32 v120, -1, v120
	s_add_co_i32 s47, s47, 8
	s_wait_xcnt 0x0
	s_add_co_i32 s44, s44, 8
	ds_load_b64 v[124:125], v121
	v_cmp_eq_u32_e32 vcc_lo, 0, v120
	s_or_b32 s0, vcc_lo, s0
	s_wait_loadcnt_dscnt 0x0
	v_pk_mul_f32 v[126:127], v[124:125], v[122:123] op_sel:[1,1] op_sel_hi:[0,1]
	s_delay_alu instid0(VALU_DEP_1) | instskip(SKIP_1) | instid1(VALU_DEP_2)
	v_pk_fma_f32 v[128:129], v[124:125], v[122:123], v[126:127] op_sel_hi:[1,0,1]
	v_pk_fma_f32 v[122:123], v[124:125], v[122:123], v[126:127] neg_lo:[0,0,1] neg_hi:[0,0,1]
	v_mov_b32_e32 v123, v129
	s_delay_alu instid0(VALU_DEP_1)
	v_pk_add_f32 v[118:119], v[118:119], v[122:123]
	s_and_not1_b32 exec_lo, exec_lo, s0
	s_cbranch_execnz .LBB120_182
; %bb.183:
	s_or_b32 exec_lo, exec_lo, s0
.LBB120_184:
	s_delay_alu instid0(SALU_CYCLE_1) | instskip(SKIP_4) | instid1(VALU_DEP_1)
	s_or_b32 exec_lo, exec_lo, s46
	v_mov_b32_e32 v120, 0
	ds_load_b64 v[120:121], v120 offset:304
	s_wait_dscnt 0x0
	v_pk_mul_f32 v[122:123], v[118:119], v[120:121] op_sel:[1,1] op_sel_hi:[0,1]
	v_pk_fma_f32 v[124:125], v[118:119], v[120:121], v[122:123] op_sel_hi:[1,0,1]
	v_pk_fma_f32 v[118:119], v[118:119], v[120:121], v[122:123] neg_lo:[0,0,1] neg_hi:[0,0,1]
	s_delay_alu instid0(VALU_DEP_2)
	v_mov_b32_e32 v119, v125
	scratch_store_b64 off, v[118:119], off offset:304
.LBB120_185:
	s_wait_xcnt 0x0
	s_or_b32 exec_lo, exec_lo, s45
	scratch_load_b64 v[118:119], off, off offset:296
	v_cmp_lt_u32_e64 s0, 37, v0
	s_wait_loadcnt 0x0
	ds_store_b64 v1, v[118:119]
	s_wait_storecnt_dscnt 0x0
	s_barrier_signal -1
	s_barrier_wait -1
	s_wait_xcnt 0x0
	s_and_saveexec_b32 s44, s0
	s_cbranch_execz .LBB120_195
; %bb.186:
	s_and_not1_b32 vcc_lo, exec_lo, s5
	s_cbranch_vccnz .LBB120_188
; %bb.187:
	scratch_load_b64 v[118:119], v59, off
	ds_load_b64 v[120:121], v1
	s_wait_loadcnt_dscnt 0x0
	v_pk_mul_f32 v[122:123], v[120:121], v[118:119] op_sel:[1,1] op_sel_hi:[0,1]
	s_delay_alu instid0(VALU_DEP_1) | instskip(SKIP_1) | instid1(VALU_DEP_2)
	v_pk_fma_f32 v[124:125], v[120:121], v[118:119], v[122:123] op_sel_hi:[1,0,1]
	v_pk_fma_f32 v[118:119], v[120:121], v[118:119], v[122:123] neg_lo:[0,0,1] neg_hi:[0,0,1]
	v_mov_b32_e32 v119, v125
	s_cbranch_execz .LBB120_189
	s_branch .LBB120_190
.LBB120_188:
                                        ; implicit-def: $vgpr118_vgpr119
.LBB120_189:
	ds_load_b64 v[118:119], v1
.LBB120_190:
	s_and_saveexec_b32 s45, s1
	s_cbranch_execz .LBB120_194
; %bb.191:
	v_subrev_nc_u32_e32 v120, 38, v0
	s_movk_i32 s46, 0x300
	s_mov_b32 s1, 0
.LBB120_192:                            ; =>This Inner Loop Header: Depth=1
	scratch_load_b64 v[122:123], off, s43
	v_dual_mov_b32 v121, s46 :: v_dual_add_nc_u32 v120, -1, v120
	s_add_co_i32 s46, s46, 8
	s_wait_xcnt 0x0
	s_add_co_i32 s43, s43, 8
	ds_load_b64 v[124:125], v121
	v_cmp_eq_u32_e32 vcc_lo, 0, v120
	s_or_b32 s1, vcc_lo, s1
	s_wait_loadcnt_dscnt 0x0
	v_pk_mul_f32 v[126:127], v[124:125], v[122:123] op_sel:[1,1] op_sel_hi:[0,1]
	s_delay_alu instid0(VALU_DEP_1) | instskip(SKIP_1) | instid1(VALU_DEP_2)
	v_pk_fma_f32 v[128:129], v[124:125], v[122:123], v[126:127] op_sel_hi:[1,0,1]
	v_pk_fma_f32 v[122:123], v[124:125], v[122:123], v[126:127] neg_lo:[0,0,1] neg_hi:[0,0,1]
	v_mov_b32_e32 v123, v129
	s_delay_alu instid0(VALU_DEP_1)
	v_pk_add_f32 v[118:119], v[118:119], v[122:123]
	s_and_not1_b32 exec_lo, exec_lo, s1
	s_cbranch_execnz .LBB120_192
; %bb.193:
	s_or_b32 exec_lo, exec_lo, s1
.LBB120_194:
	s_delay_alu instid0(SALU_CYCLE_1) | instskip(SKIP_4) | instid1(VALU_DEP_1)
	s_or_b32 exec_lo, exec_lo, s45
	v_mov_b32_e32 v120, 0
	ds_load_b64 v[120:121], v120 offset:296
	s_wait_dscnt 0x0
	v_pk_mul_f32 v[122:123], v[118:119], v[120:121] op_sel:[1,1] op_sel_hi:[0,1]
	v_pk_fma_f32 v[124:125], v[118:119], v[120:121], v[122:123] op_sel_hi:[1,0,1]
	v_pk_fma_f32 v[118:119], v[118:119], v[120:121], v[122:123] neg_lo:[0,0,1] neg_hi:[0,0,1]
	s_delay_alu instid0(VALU_DEP_2)
	v_mov_b32_e32 v119, v125
	scratch_store_b64 off, v[118:119], off offset:296
.LBB120_195:
	s_wait_xcnt 0x0
	s_or_b32 exec_lo, exec_lo, s44
	scratch_load_b64 v[118:119], off, off offset:288
	v_cmp_lt_u32_e64 s1, 36, v0
	s_wait_loadcnt 0x0
	ds_store_b64 v1, v[118:119]
	s_wait_storecnt_dscnt 0x0
	s_barrier_signal -1
	s_barrier_wait -1
	s_wait_xcnt 0x0
	s_and_saveexec_b32 s43, s1
	s_cbranch_execz .LBB120_205
; %bb.196:
	s_and_not1_b32 vcc_lo, exec_lo, s5
	s_cbranch_vccnz .LBB120_198
; %bb.197:
	scratch_load_b64 v[118:119], v59, off
	ds_load_b64 v[120:121], v1
	s_wait_loadcnt_dscnt 0x0
	v_pk_mul_f32 v[122:123], v[120:121], v[118:119] op_sel:[1,1] op_sel_hi:[0,1]
	s_delay_alu instid0(VALU_DEP_1) | instskip(SKIP_1) | instid1(VALU_DEP_2)
	v_pk_fma_f32 v[124:125], v[120:121], v[118:119], v[122:123] op_sel_hi:[1,0,1]
	v_pk_fma_f32 v[118:119], v[120:121], v[118:119], v[122:123] neg_lo:[0,0,1] neg_hi:[0,0,1]
	v_mov_b32_e32 v119, v125
	s_cbranch_execz .LBB120_199
	s_branch .LBB120_200
.LBB120_198:
                                        ; implicit-def: $vgpr118_vgpr119
.LBB120_199:
	ds_load_b64 v[118:119], v1
.LBB120_200:
	s_and_saveexec_b32 s44, s0
	s_cbranch_execz .LBB120_204
; %bb.201:
	v_subrev_nc_u32_e32 v120, 37, v0
	s_movk_i32 s45, 0x2f8
	s_mov_b32 s0, 0
.LBB120_202:                            ; =>This Inner Loop Header: Depth=1
	scratch_load_b64 v[122:123], off, s42
	v_dual_mov_b32 v121, s45 :: v_dual_add_nc_u32 v120, -1, v120
	s_add_co_i32 s45, s45, 8
	s_wait_xcnt 0x0
	s_add_co_i32 s42, s42, 8
	ds_load_b64 v[124:125], v121
	v_cmp_eq_u32_e32 vcc_lo, 0, v120
	s_or_b32 s0, vcc_lo, s0
	s_wait_loadcnt_dscnt 0x0
	v_pk_mul_f32 v[126:127], v[124:125], v[122:123] op_sel:[1,1] op_sel_hi:[0,1]
	s_delay_alu instid0(VALU_DEP_1) | instskip(SKIP_1) | instid1(VALU_DEP_2)
	v_pk_fma_f32 v[128:129], v[124:125], v[122:123], v[126:127] op_sel_hi:[1,0,1]
	v_pk_fma_f32 v[122:123], v[124:125], v[122:123], v[126:127] neg_lo:[0,0,1] neg_hi:[0,0,1]
	v_mov_b32_e32 v123, v129
	s_delay_alu instid0(VALU_DEP_1)
	v_pk_add_f32 v[118:119], v[118:119], v[122:123]
	s_and_not1_b32 exec_lo, exec_lo, s0
	s_cbranch_execnz .LBB120_202
; %bb.203:
	s_or_b32 exec_lo, exec_lo, s0
.LBB120_204:
	s_delay_alu instid0(SALU_CYCLE_1) | instskip(SKIP_4) | instid1(VALU_DEP_1)
	s_or_b32 exec_lo, exec_lo, s44
	v_mov_b32_e32 v120, 0
	ds_load_b64 v[120:121], v120 offset:288
	s_wait_dscnt 0x0
	v_pk_mul_f32 v[122:123], v[118:119], v[120:121] op_sel:[1,1] op_sel_hi:[0,1]
	v_pk_fma_f32 v[124:125], v[118:119], v[120:121], v[122:123] op_sel_hi:[1,0,1]
	v_pk_fma_f32 v[118:119], v[118:119], v[120:121], v[122:123] neg_lo:[0,0,1] neg_hi:[0,0,1]
	s_delay_alu instid0(VALU_DEP_2)
	v_mov_b32_e32 v119, v125
	scratch_store_b64 off, v[118:119], off offset:288
.LBB120_205:
	s_wait_xcnt 0x0
	s_or_b32 exec_lo, exec_lo, s43
	scratch_load_b64 v[118:119], off, off offset:280
	v_cmp_lt_u32_e64 s0, 35, v0
	s_wait_loadcnt 0x0
	ds_store_b64 v1, v[118:119]
	s_wait_storecnt_dscnt 0x0
	s_barrier_signal -1
	s_barrier_wait -1
	s_wait_xcnt 0x0
	s_and_saveexec_b32 s42, s0
	s_cbranch_execz .LBB120_215
; %bb.206:
	s_and_not1_b32 vcc_lo, exec_lo, s5
	s_cbranch_vccnz .LBB120_208
; %bb.207:
	scratch_load_b64 v[118:119], v59, off
	ds_load_b64 v[120:121], v1
	s_wait_loadcnt_dscnt 0x0
	v_pk_mul_f32 v[122:123], v[120:121], v[118:119] op_sel:[1,1] op_sel_hi:[0,1]
	s_delay_alu instid0(VALU_DEP_1) | instskip(SKIP_1) | instid1(VALU_DEP_2)
	v_pk_fma_f32 v[124:125], v[120:121], v[118:119], v[122:123] op_sel_hi:[1,0,1]
	v_pk_fma_f32 v[118:119], v[120:121], v[118:119], v[122:123] neg_lo:[0,0,1] neg_hi:[0,0,1]
	v_mov_b32_e32 v119, v125
	s_cbranch_execz .LBB120_209
	s_branch .LBB120_210
.LBB120_208:
                                        ; implicit-def: $vgpr118_vgpr119
.LBB120_209:
	ds_load_b64 v[118:119], v1
.LBB120_210:
	s_and_saveexec_b32 s43, s1
	s_cbranch_execz .LBB120_214
; %bb.211:
	v_subrev_nc_u32_e32 v120, 36, v0
	s_movk_i32 s44, 0x2f0
	s_mov_b32 s1, 0
.LBB120_212:                            ; =>This Inner Loop Header: Depth=1
	scratch_load_b64 v[122:123], off, s41
	v_dual_mov_b32 v121, s44 :: v_dual_add_nc_u32 v120, -1, v120
	s_add_co_i32 s44, s44, 8
	s_wait_xcnt 0x0
	s_add_co_i32 s41, s41, 8
	ds_load_b64 v[124:125], v121
	v_cmp_eq_u32_e32 vcc_lo, 0, v120
	s_or_b32 s1, vcc_lo, s1
	s_wait_loadcnt_dscnt 0x0
	v_pk_mul_f32 v[126:127], v[124:125], v[122:123] op_sel:[1,1] op_sel_hi:[0,1]
	s_delay_alu instid0(VALU_DEP_1) | instskip(SKIP_1) | instid1(VALU_DEP_2)
	v_pk_fma_f32 v[128:129], v[124:125], v[122:123], v[126:127] op_sel_hi:[1,0,1]
	v_pk_fma_f32 v[122:123], v[124:125], v[122:123], v[126:127] neg_lo:[0,0,1] neg_hi:[0,0,1]
	v_mov_b32_e32 v123, v129
	s_delay_alu instid0(VALU_DEP_1)
	v_pk_add_f32 v[118:119], v[118:119], v[122:123]
	s_and_not1_b32 exec_lo, exec_lo, s1
	s_cbranch_execnz .LBB120_212
; %bb.213:
	s_or_b32 exec_lo, exec_lo, s1
.LBB120_214:
	s_delay_alu instid0(SALU_CYCLE_1) | instskip(SKIP_4) | instid1(VALU_DEP_1)
	s_or_b32 exec_lo, exec_lo, s43
	v_mov_b32_e32 v120, 0
	ds_load_b64 v[120:121], v120 offset:280
	s_wait_dscnt 0x0
	v_pk_mul_f32 v[122:123], v[118:119], v[120:121] op_sel:[1,1] op_sel_hi:[0,1]
	v_pk_fma_f32 v[124:125], v[118:119], v[120:121], v[122:123] op_sel_hi:[1,0,1]
	v_pk_fma_f32 v[118:119], v[118:119], v[120:121], v[122:123] neg_lo:[0,0,1] neg_hi:[0,0,1]
	s_delay_alu instid0(VALU_DEP_2)
	v_mov_b32_e32 v119, v125
	scratch_store_b64 off, v[118:119], off offset:280
.LBB120_215:
	s_wait_xcnt 0x0
	s_or_b32 exec_lo, exec_lo, s42
	scratch_load_b64 v[118:119], off, off offset:272
	v_cmp_lt_u32_e64 s1, 34, v0
	s_wait_loadcnt 0x0
	ds_store_b64 v1, v[118:119]
	s_wait_storecnt_dscnt 0x0
	s_barrier_signal -1
	s_barrier_wait -1
	s_wait_xcnt 0x0
	s_and_saveexec_b32 s41, s1
	s_cbranch_execz .LBB120_225
; %bb.216:
	s_and_not1_b32 vcc_lo, exec_lo, s5
	s_cbranch_vccnz .LBB120_218
; %bb.217:
	scratch_load_b64 v[118:119], v59, off
	ds_load_b64 v[120:121], v1
	s_wait_loadcnt_dscnt 0x0
	v_pk_mul_f32 v[122:123], v[120:121], v[118:119] op_sel:[1,1] op_sel_hi:[0,1]
	s_delay_alu instid0(VALU_DEP_1) | instskip(SKIP_1) | instid1(VALU_DEP_2)
	v_pk_fma_f32 v[124:125], v[120:121], v[118:119], v[122:123] op_sel_hi:[1,0,1]
	v_pk_fma_f32 v[118:119], v[120:121], v[118:119], v[122:123] neg_lo:[0,0,1] neg_hi:[0,0,1]
	v_mov_b32_e32 v119, v125
	s_cbranch_execz .LBB120_219
	s_branch .LBB120_220
.LBB120_218:
                                        ; implicit-def: $vgpr118_vgpr119
.LBB120_219:
	ds_load_b64 v[118:119], v1
.LBB120_220:
	s_and_saveexec_b32 s42, s0
	s_cbranch_execz .LBB120_224
; %bb.221:
	v_subrev_nc_u32_e32 v120, 35, v0
	s_movk_i32 s43, 0x2e8
	s_mov_b32 s0, 0
.LBB120_222:                            ; =>This Inner Loop Header: Depth=1
	scratch_load_b64 v[122:123], off, s40
	v_dual_mov_b32 v121, s43 :: v_dual_add_nc_u32 v120, -1, v120
	s_add_co_i32 s43, s43, 8
	s_wait_xcnt 0x0
	s_add_co_i32 s40, s40, 8
	ds_load_b64 v[124:125], v121
	v_cmp_eq_u32_e32 vcc_lo, 0, v120
	s_or_b32 s0, vcc_lo, s0
	s_wait_loadcnt_dscnt 0x0
	v_pk_mul_f32 v[126:127], v[124:125], v[122:123] op_sel:[1,1] op_sel_hi:[0,1]
	s_delay_alu instid0(VALU_DEP_1) | instskip(SKIP_1) | instid1(VALU_DEP_2)
	v_pk_fma_f32 v[128:129], v[124:125], v[122:123], v[126:127] op_sel_hi:[1,0,1]
	v_pk_fma_f32 v[122:123], v[124:125], v[122:123], v[126:127] neg_lo:[0,0,1] neg_hi:[0,0,1]
	v_mov_b32_e32 v123, v129
	s_delay_alu instid0(VALU_DEP_1)
	v_pk_add_f32 v[118:119], v[118:119], v[122:123]
	s_and_not1_b32 exec_lo, exec_lo, s0
	s_cbranch_execnz .LBB120_222
; %bb.223:
	s_or_b32 exec_lo, exec_lo, s0
.LBB120_224:
	s_delay_alu instid0(SALU_CYCLE_1) | instskip(SKIP_4) | instid1(VALU_DEP_1)
	s_or_b32 exec_lo, exec_lo, s42
	v_mov_b32_e32 v120, 0
	ds_load_b64 v[120:121], v120 offset:272
	s_wait_dscnt 0x0
	v_pk_mul_f32 v[122:123], v[118:119], v[120:121] op_sel:[1,1] op_sel_hi:[0,1]
	v_pk_fma_f32 v[124:125], v[118:119], v[120:121], v[122:123] op_sel_hi:[1,0,1]
	v_pk_fma_f32 v[118:119], v[118:119], v[120:121], v[122:123] neg_lo:[0,0,1] neg_hi:[0,0,1]
	s_delay_alu instid0(VALU_DEP_2)
	v_mov_b32_e32 v119, v125
	scratch_store_b64 off, v[118:119], off offset:272
.LBB120_225:
	s_wait_xcnt 0x0
	s_or_b32 exec_lo, exec_lo, s41
	scratch_load_b64 v[118:119], off, off offset:264
	v_cmp_lt_u32_e64 s0, 33, v0
	s_wait_loadcnt 0x0
	ds_store_b64 v1, v[118:119]
	s_wait_storecnt_dscnt 0x0
	s_barrier_signal -1
	s_barrier_wait -1
	s_wait_xcnt 0x0
	s_and_saveexec_b32 s40, s0
	s_cbranch_execz .LBB120_235
; %bb.226:
	s_and_not1_b32 vcc_lo, exec_lo, s5
	s_cbranch_vccnz .LBB120_228
; %bb.227:
	scratch_load_b64 v[118:119], v59, off
	ds_load_b64 v[120:121], v1
	s_wait_loadcnt_dscnt 0x0
	v_pk_mul_f32 v[122:123], v[120:121], v[118:119] op_sel:[1,1] op_sel_hi:[0,1]
	s_delay_alu instid0(VALU_DEP_1) | instskip(SKIP_1) | instid1(VALU_DEP_2)
	v_pk_fma_f32 v[124:125], v[120:121], v[118:119], v[122:123] op_sel_hi:[1,0,1]
	v_pk_fma_f32 v[118:119], v[120:121], v[118:119], v[122:123] neg_lo:[0,0,1] neg_hi:[0,0,1]
	v_mov_b32_e32 v119, v125
	s_cbranch_execz .LBB120_229
	s_branch .LBB120_230
.LBB120_228:
                                        ; implicit-def: $vgpr118_vgpr119
.LBB120_229:
	ds_load_b64 v[118:119], v1
.LBB120_230:
	s_and_saveexec_b32 s41, s1
	s_cbranch_execz .LBB120_234
; %bb.231:
	v_subrev_nc_u32_e32 v120, 34, v0
	s_movk_i32 s42, 0x2e0
	s_mov_b32 s1, 0
.LBB120_232:                            ; =>This Inner Loop Header: Depth=1
	scratch_load_b64 v[122:123], off, s39
	v_dual_mov_b32 v121, s42 :: v_dual_add_nc_u32 v120, -1, v120
	s_add_co_i32 s42, s42, 8
	s_wait_xcnt 0x0
	s_add_co_i32 s39, s39, 8
	ds_load_b64 v[124:125], v121
	v_cmp_eq_u32_e32 vcc_lo, 0, v120
	s_or_b32 s1, vcc_lo, s1
	s_wait_loadcnt_dscnt 0x0
	v_pk_mul_f32 v[126:127], v[124:125], v[122:123] op_sel:[1,1] op_sel_hi:[0,1]
	s_delay_alu instid0(VALU_DEP_1) | instskip(SKIP_1) | instid1(VALU_DEP_2)
	v_pk_fma_f32 v[128:129], v[124:125], v[122:123], v[126:127] op_sel_hi:[1,0,1]
	v_pk_fma_f32 v[122:123], v[124:125], v[122:123], v[126:127] neg_lo:[0,0,1] neg_hi:[0,0,1]
	v_mov_b32_e32 v123, v129
	s_delay_alu instid0(VALU_DEP_1)
	v_pk_add_f32 v[118:119], v[118:119], v[122:123]
	s_and_not1_b32 exec_lo, exec_lo, s1
	s_cbranch_execnz .LBB120_232
; %bb.233:
	s_or_b32 exec_lo, exec_lo, s1
.LBB120_234:
	s_delay_alu instid0(SALU_CYCLE_1) | instskip(SKIP_4) | instid1(VALU_DEP_1)
	s_or_b32 exec_lo, exec_lo, s41
	v_mov_b32_e32 v120, 0
	ds_load_b64 v[120:121], v120 offset:264
	s_wait_dscnt 0x0
	v_pk_mul_f32 v[122:123], v[118:119], v[120:121] op_sel:[1,1] op_sel_hi:[0,1]
	v_pk_fma_f32 v[124:125], v[118:119], v[120:121], v[122:123] op_sel_hi:[1,0,1]
	v_pk_fma_f32 v[118:119], v[118:119], v[120:121], v[122:123] neg_lo:[0,0,1] neg_hi:[0,0,1]
	s_delay_alu instid0(VALU_DEP_2)
	v_mov_b32_e32 v119, v125
	scratch_store_b64 off, v[118:119], off offset:264
.LBB120_235:
	s_wait_xcnt 0x0
	s_or_b32 exec_lo, exec_lo, s40
	scratch_load_b64 v[118:119], off, off offset:256
	v_cmp_lt_u32_e64 s1, 32, v0
	s_wait_loadcnt 0x0
	ds_store_b64 v1, v[118:119]
	s_wait_storecnt_dscnt 0x0
	s_barrier_signal -1
	s_barrier_wait -1
	s_wait_xcnt 0x0
	s_and_saveexec_b32 s39, s1
	s_cbranch_execz .LBB120_245
; %bb.236:
	s_and_not1_b32 vcc_lo, exec_lo, s5
	s_cbranch_vccnz .LBB120_238
; %bb.237:
	scratch_load_b64 v[118:119], v59, off
	ds_load_b64 v[120:121], v1
	s_wait_loadcnt_dscnt 0x0
	v_pk_mul_f32 v[122:123], v[120:121], v[118:119] op_sel:[1,1] op_sel_hi:[0,1]
	s_delay_alu instid0(VALU_DEP_1) | instskip(SKIP_1) | instid1(VALU_DEP_2)
	v_pk_fma_f32 v[124:125], v[120:121], v[118:119], v[122:123] op_sel_hi:[1,0,1]
	v_pk_fma_f32 v[118:119], v[120:121], v[118:119], v[122:123] neg_lo:[0,0,1] neg_hi:[0,0,1]
	v_mov_b32_e32 v119, v125
	s_cbranch_execz .LBB120_239
	s_branch .LBB120_240
.LBB120_238:
                                        ; implicit-def: $vgpr118_vgpr119
.LBB120_239:
	ds_load_b64 v[118:119], v1
.LBB120_240:
	s_and_saveexec_b32 s40, s0
	s_cbranch_execz .LBB120_244
; %bb.241:
	v_subrev_nc_u32_e32 v120, 33, v0
	s_movk_i32 s41, 0x2d8
	s_mov_b32 s0, 0
.LBB120_242:                            ; =>This Inner Loop Header: Depth=1
	scratch_load_b64 v[122:123], off, s38
	v_dual_mov_b32 v121, s41 :: v_dual_add_nc_u32 v120, -1, v120
	s_add_co_i32 s41, s41, 8
	s_wait_xcnt 0x0
	s_add_co_i32 s38, s38, 8
	ds_load_b64 v[124:125], v121
	v_cmp_eq_u32_e32 vcc_lo, 0, v120
	s_or_b32 s0, vcc_lo, s0
	s_wait_loadcnt_dscnt 0x0
	v_pk_mul_f32 v[126:127], v[124:125], v[122:123] op_sel:[1,1] op_sel_hi:[0,1]
	s_delay_alu instid0(VALU_DEP_1) | instskip(SKIP_1) | instid1(VALU_DEP_2)
	v_pk_fma_f32 v[128:129], v[124:125], v[122:123], v[126:127] op_sel_hi:[1,0,1]
	v_pk_fma_f32 v[122:123], v[124:125], v[122:123], v[126:127] neg_lo:[0,0,1] neg_hi:[0,0,1]
	v_mov_b32_e32 v123, v129
	s_delay_alu instid0(VALU_DEP_1)
	v_pk_add_f32 v[118:119], v[118:119], v[122:123]
	s_and_not1_b32 exec_lo, exec_lo, s0
	s_cbranch_execnz .LBB120_242
; %bb.243:
	s_or_b32 exec_lo, exec_lo, s0
.LBB120_244:
	s_delay_alu instid0(SALU_CYCLE_1) | instskip(SKIP_4) | instid1(VALU_DEP_1)
	s_or_b32 exec_lo, exec_lo, s40
	v_mov_b32_e32 v120, 0
	ds_load_b64 v[120:121], v120 offset:256
	s_wait_dscnt 0x0
	v_pk_mul_f32 v[122:123], v[118:119], v[120:121] op_sel:[1,1] op_sel_hi:[0,1]
	v_pk_fma_f32 v[124:125], v[118:119], v[120:121], v[122:123] op_sel_hi:[1,0,1]
	v_pk_fma_f32 v[118:119], v[118:119], v[120:121], v[122:123] neg_lo:[0,0,1] neg_hi:[0,0,1]
	s_delay_alu instid0(VALU_DEP_2)
	v_mov_b32_e32 v119, v125
	scratch_store_b64 off, v[118:119], off offset:256
.LBB120_245:
	s_wait_xcnt 0x0
	s_or_b32 exec_lo, exec_lo, s39
	scratch_load_b64 v[118:119], off, off offset:248
	v_cmp_lt_u32_e64 s0, 31, v0
	s_wait_loadcnt 0x0
	ds_store_b64 v1, v[118:119]
	s_wait_storecnt_dscnt 0x0
	s_barrier_signal -1
	s_barrier_wait -1
	s_wait_xcnt 0x0
	s_and_saveexec_b32 s38, s0
	s_cbranch_execz .LBB120_255
; %bb.246:
	s_and_not1_b32 vcc_lo, exec_lo, s5
	s_cbranch_vccnz .LBB120_248
; %bb.247:
	scratch_load_b64 v[118:119], v59, off
	ds_load_b64 v[120:121], v1
	s_wait_loadcnt_dscnt 0x0
	v_pk_mul_f32 v[122:123], v[120:121], v[118:119] op_sel:[1,1] op_sel_hi:[0,1]
	s_delay_alu instid0(VALU_DEP_1) | instskip(SKIP_1) | instid1(VALU_DEP_2)
	v_pk_fma_f32 v[124:125], v[120:121], v[118:119], v[122:123] op_sel_hi:[1,0,1]
	v_pk_fma_f32 v[118:119], v[120:121], v[118:119], v[122:123] neg_lo:[0,0,1] neg_hi:[0,0,1]
	v_mov_b32_e32 v119, v125
	s_cbranch_execz .LBB120_249
	s_branch .LBB120_250
.LBB120_248:
                                        ; implicit-def: $vgpr118_vgpr119
.LBB120_249:
	ds_load_b64 v[118:119], v1
.LBB120_250:
	s_and_saveexec_b32 s39, s1
	s_cbranch_execz .LBB120_254
; %bb.251:
	v_subrev_nc_u32_e32 v120, 32, v0
	s_movk_i32 s40, 0x2d0
	s_mov_b32 s1, 0
.LBB120_252:                            ; =>This Inner Loop Header: Depth=1
	scratch_load_b64 v[122:123], off, s37
	v_dual_mov_b32 v121, s40 :: v_dual_add_nc_u32 v120, -1, v120
	s_add_co_i32 s40, s40, 8
	s_wait_xcnt 0x0
	s_add_co_i32 s37, s37, 8
	ds_load_b64 v[124:125], v121
	v_cmp_eq_u32_e32 vcc_lo, 0, v120
	s_or_b32 s1, vcc_lo, s1
	s_wait_loadcnt_dscnt 0x0
	v_pk_mul_f32 v[126:127], v[124:125], v[122:123] op_sel:[1,1] op_sel_hi:[0,1]
	s_delay_alu instid0(VALU_DEP_1) | instskip(SKIP_1) | instid1(VALU_DEP_2)
	v_pk_fma_f32 v[128:129], v[124:125], v[122:123], v[126:127] op_sel_hi:[1,0,1]
	v_pk_fma_f32 v[122:123], v[124:125], v[122:123], v[126:127] neg_lo:[0,0,1] neg_hi:[0,0,1]
	v_mov_b32_e32 v123, v129
	s_delay_alu instid0(VALU_DEP_1)
	v_pk_add_f32 v[118:119], v[118:119], v[122:123]
	s_and_not1_b32 exec_lo, exec_lo, s1
	s_cbranch_execnz .LBB120_252
; %bb.253:
	s_or_b32 exec_lo, exec_lo, s1
.LBB120_254:
	s_delay_alu instid0(SALU_CYCLE_1) | instskip(SKIP_4) | instid1(VALU_DEP_1)
	s_or_b32 exec_lo, exec_lo, s39
	v_mov_b32_e32 v120, 0
	ds_load_b64 v[120:121], v120 offset:248
	s_wait_dscnt 0x0
	v_pk_mul_f32 v[122:123], v[118:119], v[120:121] op_sel:[1,1] op_sel_hi:[0,1]
	v_pk_fma_f32 v[124:125], v[118:119], v[120:121], v[122:123] op_sel_hi:[1,0,1]
	v_pk_fma_f32 v[118:119], v[118:119], v[120:121], v[122:123] neg_lo:[0,0,1] neg_hi:[0,0,1]
	s_delay_alu instid0(VALU_DEP_2)
	v_mov_b32_e32 v119, v125
	scratch_store_b64 off, v[118:119], off offset:248
.LBB120_255:
	s_wait_xcnt 0x0
	s_or_b32 exec_lo, exec_lo, s38
	scratch_load_b64 v[118:119], off, off offset:240
	v_cmp_lt_u32_e64 s1, 30, v0
	s_wait_loadcnt 0x0
	ds_store_b64 v1, v[118:119]
	s_wait_storecnt_dscnt 0x0
	s_barrier_signal -1
	s_barrier_wait -1
	s_wait_xcnt 0x0
	s_and_saveexec_b32 s37, s1
	s_cbranch_execz .LBB120_265
; %bb.256:
	s_and_not1_b32 vcc_lo, exec_lo, s5
	s_cbranch_vccnz .LBB120_258
; %bb.257:
	scratch_load_b64 v[118:119], v59, off
	ds_load_b64 v[120:121], v1
	s_wait_loadcnt_dscnt 0x0
	v_pk_mul_f32 v[122:123], v[120:121], v[118:119] op_sel:[1,1] op_sel_hi:[0,1]
	s_delay_alu instid0(VALU_DEP_1) | instskip(SKIP_1) | instid1(VALU_DEP_2)
	v_pk_fma_f32 v[124:125], v[120:121], v[118:119], v[122:123] op_sel_hi:[1,0,1]
	v_pk_fma_f32 v[118:119], v[120:121], v[118:119], v[122:123] neg_lo:[0,0,1] neg_hi:[0,0,1]
	v_mov_b32_e32 v119, v125
	s_cbranch_execz .LBB120_259
	s_branch .LBB120_260
.LBB120_258:
                                        ; implicit-def: $vgpr118_vgpr119
.LBB120_259:
	ds_load_b64 v[118:119], v1
.LBB120_260:
	s_and_saveexec_b32 s38, s0
	s_cbranch_execz .LBB120_264
; %bb.261:
	v_subrev_nc_u32_e32 v120, 31, v0
	s_movk_i32 s39, 0x2c8
	s_mov_b32 s0, 0
.LBB120_262:                            ; =>This Inner Loop Header: Depth=1
	scratch_load_b64 v[122:123], off, s36
	v_dual_mov_b32 v121, s39 :: v_dual_add_nc_u32 v120, -1, v120
	s_add_co_i32 s39, s39, 8
	s_wait_xcnt 0x0
	s_add_co_i32 s36, s36, 8
	ds_load_b64 v[124:125], v121
	v_cmp_eq_u32_e32 vcc_lo, 0, v120
	s_or_b32 s0, vcc_lo, s0
	s_wait_loadcnt_dscnt 0x0
	v_pk_mul_f32 v[126:127], v[124:125], v[122:123] op_sel:[1,1] op_sel_hi:[0,1]
	s_delay_alu instid0(VALU_DEP_1) | instskip(SKIP_1) | instid1(VALU_DEP_2)
	v_pk_fma_f32 v[128:129], v[124:125], v[122:123], v[126:127] op_sel_hi:[1,0,1]
	v_pk_fma_f32 v[122:123], v[124:125], v[122:123], v[126:127] neg_lo:[0,0,1] neg_hi:[0,0,1]
	v_mov_b32_e32 v123, v129
	s_delay_alu instid0(VALU_DEP_1)
	v_pk_add_f32 v[118:119], v[118:119], v[122:123]
	s_and_not1_b32 exec_lo, exec_lo, s0
	s_cbranch_execnz .LBB120_262
; %bb.263:
	s_or_b32 exec_lo, exec_lo, s0
.LBB120_264:
	s_delay_alu instid0(SALU_CYCLE_1) | instskip(SKIP_4) | instid1(VALU_DEP_1)
	s_or_b32 exec_lo, exec_lo, s38
	v_mov_b32_e32 v120, 0
	ds_load_b64 v[120:121], v120 offset:240
	s_wait_dscnt 0x0
	v_pk_mul_f32 v[122:123], v[118:119], v[120:121] op_sel:[1,1] op_sel_hi:[0,1]
	v_pk_fma_f32 v[124:125], v[118:119], v[120:121], v[122:123] op_sel_hi:[1,0,1]
	v_pk_fma_f32 v[118:119], v[118:119], v[120:121], v[122:123] neg_lo:[0,0,1] neg_hi:[0,0,1]
	s_delay_alu instid0(VALU_DEP_2)
	v_mov_b32_e32 v119, v125
	scratch_store_b64 off, v[118:119], off offset:240
.LBB120_265:
	s_wait_xcnt 0x0
	s_or_b32 exec_lo, exec_lo, s37
	scratch_load_b64 v[118:119], off, off offset:232
	v_cmp_lt_u32_e64 s0, 29, v0
	s_wait_loadcnt 0x0
	ds_store_b64 v1, v[118:119]
	s_wait_storecnt_dscnt 0x0
	s_barrier_signal -1
	s_barrier_wait -1
	s_wait_xcnt 0x0
	s_and_saveexec_b32 s36, s0
	s_cbranch_execz .LBB120_275
; %bb.266:
	s_and_not1_b32 vcc_lo, exec_lo, s5
	s_cbranch_vccnz .LBB120_268
; %bb.267:
	scratch_load_b64 v[118:119], v59, off
	ds_load_b64 v[120:121], v1
	s_wait_loadcnt_dscnt 0x0
	v_pk_mul_f32 v[122:123], v[120:121], v[118:119] op_sel:[1,1] op_sel_hi:[0,1]
	s_delay_alu instid0(VALU_DEP_1) | instskip(SKIP_1) | instid1(VALU_DEP_2)
	v_pk_fma_f32 v[124:125], v[120:121], v[118:119], v[122:123] op_sel_hi:[1,0,1]
	v_pk_fma_f32 v[118:119], v[120:121], v[118:119], v[122:123] neg_lo:[0,0,1] neg_hi:[0,0,1]
	v_mov_b32_e32 v119, v125
	s_cbranch_execz .LBB120_269
	s_branch .LBB120_270
.LBB120_268:
                                        ; implicit-def: $vgpr118_vgpr119
.LBB120_269:
	ds_load_b64 v[118:119], v1
.LBB120_270:
	s_and_saveexec_b32 s37, s1
	s_cbranch_execz .LBB120_274
; %bb.271:
	v_subrev_nc_u32_e32 v120, 30, v0
	s_movk_i32 s38, 0x2c0
	s_mov_b32 s1, 0
.LBB120_272:                            ; =>This Inner Loop Header: Depth=1
	scratch_load_b64 v[122:123], off, s35
	v_dual_mov_b32 v121, s38 :: v_dual_add_nc_u32 v120, -1, v120
	s_add_co_i32 s38, s38, 8
	s_wait_xcnt 0x0
	s_add_co_i32 s35, s35, 8
	ds_load_b64 v[124:125], v121
	v_cmp_eq_u32_e32 vcc_lo, 0, v120
	s_or_b32 s1, vcc_lo, s1
	s_wait_loadcnt_dscnt 0x0
	v_pk_mul_f32 v[126:127], v[124:125], v[122:123] op_sel:[1,1] op_sel_hi:[0,1]
	s_delay_alu instid0(VALU_DEP_1) | instskip(SKIP_1) | instid1(VALU_DEP_2)
	v_pk_fma_f32 v[128:129], v[124:125], v[122:123], v[126:127] op_sel_hi:[1,0,1]
	v_pk_fma_f32 v[122:123], v[124:125], v[122:123], v[126:127] neg_lo:[0,0,1] neg_hi:[0,0,1]
	v_mov_b32_e32 v123, v129
	s_delay_alu instid0(VALU_DEP_1)
	v_pk_add_f32 v[118:119], v[118:119], v[122:123]
	s_and_not1_b32 exec_lo, exec_lo, s1
	s_cbranch_execnz .LBB120_272
; %bb.273:
	s_or_b32 exec_lo, exec_lo, s1
.LBB120_274:
	s_delay_alu instid0(SALU_CYCLE_1) | instskip(SKIP_4) | instid1(VALU_DEP_1)
	s_or_b32 exec_lo, exec_lo, s37
	v_mov_b32_e32 v120, 0
	ds_load_b64 v[120:121], v120 offset:232
	s_wait_dscnt 0x0
	v_pk_mul_f32 v[122:123], v[118:119], v[120:121] op_sel:[1,1] op_sel_hi:[0,1]
	v_pk_fma_f32 v[124:125], v[118:119], v[120:121], v[122:123] op_sel_hi:[1,0,1]
	v_pk_fma_f32 v[118:119], v[118:119], v[120:121], v[122:123] neg_lo:[0,0,1] neg_hi:[0,0,1]
	s_delay_alu instid0(VALU_DEP_2)
	v_mov_b32_e32 v119, v125
	scratch_store_b64 off, v[118:119], off offset:232
.LBB120_275:
	s_wait_xcnt 0x0
	s_or_b32 exec_lo, exec_lo, s36
	scratch_load_b64 v[118:119], off, off offset:224
	v_cmp_lt_u32_e64 s1, 28, v0
	s_wait_loadcnt 0x0
	ds_store_b64 v1, v[118:119]
	s_wait_storecnt_dscnt 0x0
	s_barrier_signal -1
	s_barrier_wait -1
	s_wait_xcnt 0x0
	s_and_saveexec_b32 s35, s1
	s_cbranch_execz .LBB120_285
; %bb.276:
	s_and_not1_b32 vcc_lo, exec_lo, s5
	s_cbranch_vccnz .LBB120_278
; %bb.277:
	scratch_load_b64 v[118:119], v59, off
	ds_load_b64 v[120:121], v1
	s_wait_loadcnt_dscnt 0x0
	v_pk_mul_f32 v[122:123], v[120:121], v[118:119] op_sel:[1,1] op_sel_hi:[0,1]
	s_delay_alu instid0(VALU_DEP_1) | instskip(SKIP_1) | instid1(VALU_DEP_2)
	v_pk_fma_f32 v[124:125], v[120:121], v[118:119], v[122:123] op_sel_hi:[1,0,1]
	v_pk_fma_f32 v[118:119], v[120:121], v[118:119], v[122:123] neg_lo:[0,0,1] neg_hi:[0,0,1]
	v_mov_b32_e32 v119, v125
	s_cbranch_execz .LBB120_279
	s_branch .LBB120_280
.LBB120_278:
                                        ; implicit-def: $vgpr118_vgpr119
.LBB120_279:
	ds_load_b64 v[118:119], v1
.LBB120_280:
	s_and_saveexec_b32 s36, s0
	s_cbranch_execz .LBB120_284
; %bb.281:
	v_subrev_nc_u32_e32 v120, 29, v0
	s_movk_i32 s37, 0x2b8
	s_mov_b32 s0, 0
.LBB120_282:                            ; =>This Inner Loop Header: Depth=1
	scratch_load_b64 v[122:123], off, s34
	v_dual_mov_b32 v121, s37 :: v_dual_add_nc_u32 v120, -1, v120
	s_add_co_i32 s37, s37, 8
	s_wait_xcnt 0x0
	s_add_co_i32 s34, s34, 8
	ds_load_b64 v[124:125], v121
	v_cmp_eq_u32_e32 vcc_lo, 0, v120
	s_or_b32 s0, vcc_lo, s0
	s_wait_loadcnt_dscnt 0x0
	v_pk_mul_f32 v[126:127], v[124:125], v[122:123] op_sel:[1,1] op_sel_hi:[0,1]
	s_delay_alu instid0(VALU_DEP_1) | instskip(SKIP_1) | instid1(VALU_DEP_2)
	v_pk_fma_f32 v[128:129], v[124:125], v[122:123], v[126:127] op_sel_hi:[1,0,1]
	v_pk_fma_f32 v[122:123], v[124:125], v[122:123], v[126:127] neg_lo:[0,0,1] neg_hi:[0,0,1]
	v_mov_b32_e32 v123, v129
	s_delay_alu instid0(VALU_DEP_1)
	v_pk_add_f32 v[118:119], v[118:119], v[122:123]
	s_and_not1_b32 exec_lo, exec_lo, s0
	s_cbranch_execnz .LBB120_282
; %bb.283:
	s_or_b32 exec_lo, exec_lo, s0
.LBB120_284:
	s_delay_alu instid0(SALU_CYCLE_1) | instskip(SKIP_4) | instid1(VALU_DEP_1)
	s_or_b32 exec_lo, exec_lo, s36
	v_mov_b32_e32 v120, 0
	ds_load_b64 v[120:121], v120 offset:224
	s_wait_dscnt 0x0
	v_pk_mul_f32 v[122:123], v[118:119], v[120:121] op_sel:[1,1] op_sel_hi:[0,1]
	v_pk_fma_f32 v[124:125], v[118:119], v[120:121], v[122:123] op_sel_hi:[1,0,1]
	v_pk_fma_f32 v[118:119], v[118:119], v[120:121], v[122:123] neg_lo:[0,0,1] neg_hi:[0,0,1]
	s_delay_alu instid0(VALU_DEP_2)
	v_mov_b32_e32 v119, v125
	scratch_store_b64 off, v[118:119], off offset:224
.LBB120_285:
	s_wait_xcnt 0x0
	s_or_b32 exec_lo, exec_lo, s35
	scratch_load_b64 v[118:119], off, off offset:216
	v_cmp_lt_u32_e64 s0, 27, v0
	s_wait_loadcnt 0x0
	ds_store_b64 v1, v[118:119]
	s_wait_storecnt_dscnt 0x0
	s_barrier_signal -1
	s_barrier_wait -1
	s_wait_xcnt 0x0
	s_and_saveexec_b32 s34, s0
	s_cbranch_execz .LBB120_295
; %bb.286:
	s_and_not1_b32 vcc_lo, exec_lo, s5
	s_cbranch_vccnz .LBB120_288
; %bb.287:
	scratch_load_b64 v[118:119], v59, off
	ds_load_b64 v[120:121], v1
	s_wait_loadcnt_dscnt 0x0
	v_pk_mul_f32 v[122:123], v[120:121], v[118:119] op_sel:[1,1] op_sel_hi:[0,1]
	s_delay_alu instid0(VALU_DEP_1) | instskip(SKIP_1) | instid1(VALU_DEP_2)
	v_pk_fma_f32 v[124:125], v[120:121], v[118:119], v[122:123] op_sel_hi:[1,0,1]
	v_pk_fma_f32 v[118:119], v[120:121], v[118:119], v[122:123] neg_lo:[0,0,1] neg_hi:[0,0,1]
	v_mov_b32_e32 v119, v125
	s_cbranch_execz .LBB120_289
	s_branch .LBB120_290
.LBB120_288:
                                        ; implicit-def: $vgpr118_vgpr119
.LBB120_289:
	ds_load_b64 v[118:119], v1
.LBB120_290:
	s_and_saveexec_b32 s35, s1
	s_cbranch_execz .LBB120_294
; %bb.291:
	v_subrev_nc_u32_e32 v120, 28, v0
	s_movk_i32 s36, 0x2b0
	s_mov_b32 s1, 0
.LBB120_292:                            ; =>This Inner Loop Header: Depth=1
	scratch_load_b64 v[122:123], off, s33
	v_dual_mov_b32 v121, s36 :: v_dual_add_nc_u32 v120, -1, v120
	s_add_co_i32 s36, s36, 8
	s_wait_xcnt 0x0
	s_add_co_i32 s33, s33, 8
	ds_load_b64 v[124:125], v121
	v_cmp_eq_u32_e32 vcc_lo, 0, v120
	s_or_b32 s1, vcc_lo, s1
	s_wait_loadcnt_dscnt 0x0
	v_pk_mul_f32 v[126:127], v[124:125], v[122:123] op_sel:[1,1] op_sel_hi:[0,1]
	s_delay_alu instid0(VALU_DEP_1) | instskip(SKIP_1) | instid1(VALU_DEP_2)
	v_pk_fma_f32 v[128:129], v[124:125], v[122:123], v[126:127] op_sel_hi:[1,0,1]
	v_pk_fma_f32 v[122:123], v[124:125], v[122:123], v[126:127] neg_lo:[0,0,1] neg_hi:[0,0,1]
	v_mov_b32_e32 v123, v129
	s_delay_alu instid0(VALU_DEP_1)
	v_pk_add_f32 v[118:119], v[118:119], v[122:123]
	s_and_not1_b32 exec_lo, exec_lo, s1
	s_cbranch_execnz .LBB120_292
; %bb.293:
	s_or_b32 exec_lo, exec_lo, s1
.LBB120_294:
	s_delay_alu instid0(SALU_CYCLE_1) | instskip(SKIP_4) | instid1(VALU_DEP_1)
	s_or_b32 exec_lo, exec_lo, s35
	v_mov_b32_e32 v120, 0
	ds_load_b64 v[120:121], v120 offset:216
	s_wait_dscnt 0x0
	v_pk_mul_f32 v[122:123], v[118:119], v[120:121] op_sel:[1,1] op_sel_hi:[0,1]
	v_pk_fma_f32 v[124:125], v[118:119], v[120:121], v[122:123] op_sel_hi:[1,0,1]
	v_pk_fma_f32 v[118:119], v[118:119], v[120:121], v[122:123] neg_lo:[0,0,1] neg_hi:[0,0,1]
	s_delay_alu instid0(VALU_DEP_2)
	v_mov_b32_e32 v119, v125
	scratch_store_b64 off, v[118:119], off offset:216
.LBB120_295:
	s_wait_xcnt 0x0
	s_or_b32 exec_lo, exec_lo, s34
	scratch_load_b64 v[118:119], off, off offset:208
	v_cmp_lt_u32_e64 s1, 26, v0
	s_wait_loadcnt 0x0
	ds_store_b64 v1, v[118:119]
	s_wait_storecnt_dscnt 0x0
	s_barrier_signal -1
	s_barrier_wait -1
	s_wait_xcnt 0x0
	s_and_saveexec_b32 s33, s1
	s_cbranch_execz .LBB120_305
; %bb.296:
	s_and_not1_b32 vcc_lo, exec_lo, s5
	s_cbranch_vccnz .LBB120_298
; %bb.297:
	scratch_load_b64 v[118:119], v59, off
	ds_load_b64 v[120:121], v1
	s_wait_loadcnt_dscnt 0x0
	v_pk_mul_f32 v[122:123], v[120:121], v[118:119] op_sel:[1,1] op_sel_hi:[0,1]
	s_delay_alu instid0(VALU_DEP_1) | instskip(SKIP_1) | instid1(VALU_DEP_2)
	v_pk_fma_f32 v[124:125], v[120:121], v[118:119], v[122:123] op_sel_hi:[1,0,1]
	v_pk_fma_f32 v[118:119], v[120:121], v[118:119], v[122:123] neg_lo:[0,0,1] neg_hi:[0,0,1]
	v_mov_b32_e32 v119, v125
	s_cbranch_execz .LBB120_299
	s_branch .LBB120_300
.LBB120_298:
                                        ; implicit-def: $vgpr118_vgpr119
.LBB120_299:
	ds_load_b64 v[118:119], v1
.LBB120_300:
	s_and_saveexec_b32 s34, s0
	s_cbranch_execz .LBB120_304
; %bb.301:
	v_subrev_nc_u32_e32 v120, 27, v0
	s_movk_i32 s35, 0x2a8
	s_mov_b32 s0, 0
.LBB120_302:                            ; =>This Inner Loop Header: Depth=1
	scratch_load_b64 v[122:123], off, s31
	v_dual_mov_b32 v121, s35 :: v_dual_add_nc_u32 v120, -1, v120
	s_add_co_i32 s35, s35, 8
	s_wait_xcnt 0x0
	s_add_co_i32 s31, s31, 8
	ds_load_b64 v[124:125], v121
	v_cmp_eq_u32_e32 vcc_lo, 0, v120
	s_or_b32 s0, vcc_lo, s0
	s_wait_loadcnt_dscnt 0x0
	v_pk_mul_f32 v[126:127], v[124:125], v[122:123] op_sel:[1,1] op_sel_hi:[0,1]
	s_delay_alu instid0(VALU_DEP_1) | instskip(SKIP_1) | instid1(VALU_DEP_2)
	v_pk_fma_f32 v[128:129], v[124:125], v[122:123], v[126:127] op_sel_hi:[1,0,1]
	v_pk_fma_f32 v[122:123], v[124:125], v[122:123], v[126:127] neg_lo:[0,0,1] neg_hi:[0,0,1]
	v_mov_b32_e32 v123, v129
	s_delay_alu instid0(VALU_DEP_1)
	v_pk_add_f32 v[118:119], v[118:119], v[122:123]
	s_and_not1_b32 exec_lo, exec_lo, s0
	s_cbranch_execnz .LBB120_302
; %bb.303:
	s_or_b32 exec_lo, exec_lo, s0
.LBB120_304:
	s_delay_alu instid0(SALU_CYCLE_1) | instskip(SKIP_4) | instid1(VALU_DEP_1)
	s_or_b32 exec_lo, exec_lo, s34
	v_mov_b32_e32 v120, 0
	ds_load_b64 v[120:121], v120 offset:208
	s_wait_dscnt 0x0
	v_pk_mul_f32 v[122:123], v[118:119], v[120:121] op_sel:[1,1] op_sel_hi:[0,1]
	v_pk_fma_f32 v[124:125], v[118:119], v[120:121], v[122:123] op_sel_hi:[1,0,1]
	v_pk_fma_f32 v[118:119], v[118:119], v[120:121], v[122:123] neg_lo:[0,0,1] neg_hi:[0,0,1]
	s_delay_alu instid0(VALU_DEP_2)
	v_mov_b32_e32 v119, v125
	scratch_store_b64 off, v[118:119], off offset:208
.LBB120_305:
	s_wait_xcnt 0x0
	s_or_b32 exec_lo, exec_lo, s33
	scratch_load_b64 v[118:119], off, off offset:200
	v_cmp_lt_u32_e64 s0, 25, v0
	s_wait_loadcnt 0x0
	ds_store_b64 v1, v[118:119]
	s_wait_storecnt_dscnt 0x0
	s_barrier_signal -1
	s_barrier_wait -1
	s_wait_xcnt 0x0
	s_and_saveexec_b32 s31, s0
	s_cbranch_execz .LBB120_315
; %bb.306:
	s_and_not1_b32 vcc_lo, exec_lo, s5
	s_cbranch_vccnz .LBB120_308
; %bb.307:
	scratch_load_b64 v[118:119], v59, off
	ds_load_b64 v[120:121], v1
	s_wait_loadcnt_dscnt 0x0
	v_pk_mul_f32 v[122:123], v[120:121], v[118:119] op_sel:[1,1] op_sel_hi:[0,1]
	s_delay_alu instid0(VALU_DEP_1) | instskip(SKIP_1) | instid1(VALU_DEP_2)
	v_pk_fma_f32 v[124:125], v[120:121], v[118:119], v[122:123] op_sel_hi:[1,0,1]
	v_pk_fma_f32 v[118:119], v[120:121], v[118:119], v[122:123] neg_lo:[0,0,1] neg_hi:[0,0,1]
	v_mov_b32_e32 v119, v125
	s_cbranch_execz .LBB120_309
	s_branch .LBB120_310
.LBB120_308:
                                        ; implicit-def: $vgpr118_vgpr119
.LBB120_309:
	ds_load_b64 v[118:119], v1
.LBB120_310:
	s_and_saveexec_b32 s33, s1
	s_cbranch_execz .LBB120_314
; %bb.311:
	v_subrev_nc_u32_e32 v120, 26, v0
	s_movk_i32 s34, 0x2a0
	s_mov_b32 s1, 0
.LBB120_312:                            ; =>This Inner Loop Header: Depth=1
	scratch_load_b64 v[122:123], off, s30
	v_dual_mov_b32 v121, s34 :: v_dual_add_nc_u32 v120, -1, v120
	s_add_co_i32 s34, s34, 8
	s_wait_xcnt 0x0
	s_add_co_i32 s30, s30, 8
	ds_load_b64 v[124:125], v121
	v_cmp_eq_u32_e32 vcc_lo, 0, v120
	s_or_b32 s1, vcc_lo, s1
	s_wait_loadcnt_dscnt 0x0
	v_pk_mul_f32 v[126:127], v[124:125], v[122:123] op_sel:[1,1] op_sel_hi:[0,1]
	s_delay_alu instid0(VALU_DEP_1) | instskip(SKIP_1) | instid1(VALU_DEP_2)
	v_pk_fma_f32 v[128:129], v[124:125], v[122:123], v[126:127] op_sel_hi:[1,0,1]
	v_pk_fma_f32 v[122:123], v[124:125], v[122:123], v[126:127] neg_lo:[0,0,1] neg_hi:[0,0,1]
	v_mov_b32_e32 v123, v129
	s_delay_alu instid0(VALU_DEP_1)
	v_pk_add_f32 v[118:119], v[118:119], v[122:123]
	s_and_not1_b32 exec_lo, exec_lo, s1
	s_cbranch_execnz .LBB120_312
; %bb.313:
	s_or_b32 exec_lo, exec_lo, s1
.LBB120_314:
	s_delay_alu instid0(SALU_CYCLE_1) | instskip(SKIP_4) | instid1(VALU_DEP_1)
	s_or_b32 exec_lo, exec_lo, s33
	v_mov_b32_e32 v120, 0
	ds_load_b64 v[120:121], v120 offset:200
	s_wait_dscnt 0x0
	v_pk_mul_f32 v[122:123], v[118:119], v[120:121] op_sel:[1,1] op_sel_hi:[0,1]
	v_pk_fma_f32 v[124:125], v[118:119], v[120:121], v[122:123] op_sel_hi:[1,0,1]
	v_pk_fma_f32 v[118:119], v[118:119], v[120:121], v[122:123] neg_lo:[0,0,1] neg_hi:[0,0,1]
	s_delay_alu instid0(VALU_DEP_2)
	v_mov_b32_e32 v119, v125
	scratch_store_b64 off, v[118:119], off offset:200
.LBB120_315:
	s_wait_xcnt 0x0
	s_or_b32 exec_lo, exec_lo, s31
	scratch_load_b64 v[118:119], off, off offset:192
	v_cmp_lt_u32_e64 s1, 24, v0
	s_wait_loadcnt 0x0
	ds_store_b64 v1, v[118:119]
	s_wait_storecnt_dscnt 0x0
	s_barrier_signal -1
	s_barrier_wait -1
	s_wait_xcnt 0x0
	s_and_saveexec_b32 s30, s1
	s_cbranch_execz .LBB120_325
; %bb.316:
	s_and_not1_b32 vcc_lo, exec_lo, s5
	s_cbranch_vccnz .LBB120_318
; %bb.317:
	scratch_load_b64 v[118:119], v59, off
	ds_load_b64 v[120:121], v1
	s_wait_loadcnt_dscnt 0x0
	v_pk_mul_f32 v[122:123], v[120:121], v[118:119] op_sel:[1,1] op_sel_hi:[0,1]
	s_delay_alu instid0(VALU_DEP_1) | instskip(SKIP_1) | instid1(VALU_DEP_2)
	v_pk_fma_f32 v[124:125], v[120:121], v[118:119], v[122:123] op_sel_hi:[1,0,1]
	v_pk_fma_f32 v[118:119], v[120:121], v[118:119], v[122:123] neg_lo:[0,0,1] neg_hi:[0,0,1]
	v_mov_b32_e32 v119, v125
	s_cbranch_execz .LBB120_319
	s_branch .LBB120_320
.LBB120_318:
                                        ; implicit-def: $vgpr118_vgpr119
.LBB120_319:
	ds_load_b64 v[118:119], v1
.LBB120_320:
	s_and_saveexec_b32 s31, s0
	s_cbranch_execz .LBB120_324
; %bb.321:
	v_subrev_nc_u32_e32 v120, 25, v0
	s_movk_i32 s33, 0x298
	s_mov_b32 s0, 0
.LBB120_322:                            ; =>This Inner Loop Header: Depth=1
	scratch_load_b64 v[122:123], off, s29
	v_dual_mov_b32 v121, s33 :: v_dual_add_nc_u32 v120, -1, v120
	s_add_co_i32 s33, s33, 8
	s_wait_xcnt 0x0
	s_add_co_i32 s29, s29, 8
	ds_load_b64 v[124:125], v121
	v_cmp_eq_u32_e32 vcc_lo, 0, v120
	s_or_b32 s0, vcc_lo, s0
	s_wait_loadcnt_dscnt 0x0
	v_pk_mul_f32 v[126:127], v[124:125], v[122:123] op_sel:[1,1] op_sel_hi:[0,1]
	s_delay_alu instid0(VALU_DEP_1) | instskip(SKIP_1) | instid1(VALU_DEP_2)
	v_pk_fma_f32 v[128:129], v[124:125], v[122:123], v[126:127] op_sel_hi:[1,0,1]
	v_pk_fma_f32 v[122:123], v[124:125], v[122:123], v[126:127] neg_lo:[0,0,1] neg_hi:[0,0,1]
	v_mov_b32_e32 v123, v129
	s_delay_alu instid0(VALU_DEP_1)
	v_pk_add_f32 v[118:119], v[118:119], v[122:123]
	s_and_not1_b32 exec_lo, exec_lo, s0
	s_cbranch_execnz .LBB120_322
; %bb.323:
	s_or_b32 exec_lo, exec_lo, s0
.LBB120_324:
	s_delay_alu instid0(SALU_CYCLE_1) | instskip(SKIP_4) | instid1(VALU_DEP_1)
	s_or_b32 exec_lo, exec_lo, s31
	v_mov_b32_e32 v120, 0
	ds_load_b64 v[120:121], v120 offset:192
	s_wait_dscnt 0x0
	v_pk_mul_f32 v[122:123], v[118:119], v[120:121] op_sel:[1,1] op_sel_hi:[0,1]
	v_pk_fma_f32 v[124:125], v[118:119], v[120:121], v[122:123] op_sel_hi:[1,0,1]
	v_pk_fma_f32 v[118:119], v[118:119], v[120:121], v[122:123] neg_lo:[0,0,1] neg_hi:[0,0,1]
	s_delay_alu instid0(VALU_DEP_2)
	v_mov_b32_e32 v119, v125
	scratch_store_b64 off, v[118:119], off offset:192
.LBB120_325:
	s_wait_xcnt 0x0
	s_or_b32 exec_lo, exec_lo, s30
	scratch_load_b64 v[118:119], off, off offset:184
	v_cmp_lt_u32_e64 s0, 23, v0
	s_wait_loadcnt 0x0
	ds_store_b64 v1, v[118:119]
	s_wait_storecnt_dscnt 0x0
	s_barrier_signal -1
	s_barrier_wait -1
	s_wait_xcnt 0x0
	s_and_saveexec_b32 s29, s0
	s_cbranch_execz .LBB120_335
; %bb.326:
	s_and_not1_b32 vcc_lo, exec_lo, s5
	s_cbranch_vccnz .LBB120_328
; %bb.327:
	scratch_load_b64 v[118:119], v59, off
	ds_load_b64 v[120:121], v1
	s_wait_loadcnt_dscnt 0x0
	v_pk_mul_f32 v[122:123], v[120:121], v[118:119] op_sel:[1,1] op_sel_hi:[0,1]
	s_delay_alu instid0(VALU_DEP_1) | instskip(SKIP_1) | instid1(VALU_DEP_2)
	v_pk_fma_f32 v[124:125], v[120:121], v[118:119], v[122:123] op_sel_hi:[1,0,1]
	v_pk_fma_f32 v[118:119], v[120:121], v[118:119], v[122:123] neg_lo:[0,0,1] neg_hi:[0,0,1]
	v_mov_b32_e32 v119, v125
	s_cbranch_execz .LBB120_329
	s_branch .LBB120_330
.LBB120_328:
                                        ; implicit-def: $vgpr118_vgpr119
.LBB120_329:
	ds_load_b64 v[118:119], v1
.LBB120_330:
	s_and_saveexec_b32 s30, s1
	s_cbranch_execz .LBB120_334
; %bb.331:
	v_subrev_nc_u32_e32 v120, 24, v0
	s_movk_i32 s31, 0x290
	s_mov_b32 s1, 0
.LBB120_332:                            ; =>This Inner Loop Header: Depth=1
	scratch_load_b64 v[122:123], off, s28
	v_dual_mov_b32 v121, s31 :: v_dual_add_nc_u32 v120, -1, v120
	s_add_co_i32 s31, s31, 8
	s_wait_xcnt 0x0
	s_add_co_i32 s28, s28, 8
	ds_load_b64 v[124:125], v121
	v_cmp_eq_u32_e32 vcc_lo, 0, v120
	s_or_b32 s1, vcc_lo, s1
	s_wait_loadcnt_dscnt 0x0
	v_pk_mul_f32 v[126:127], v[124:125], v[122:123] op_sel:[1,1] op_sel_hi:[0,1]
	s_delay_alu instid0(VALU_DEP_1) | instskip(SKIP_1) | instid1(VALU_DEP_2)
	v_pk_fma_f32 v[128:129], v[124:125], v[122:123], v[126:127] op_sel_hi:[1,0,1]
	v_pk_fma_f32 v[122:123], v[124:125], v[122:123], v[126:127] neg_lo:[0,0,1] neg_hi:[0,0,1]
	v_mov_b32_e32 v123, v129
	s_delay_alu instid0(VALU_DEP_1)
	v_pk_add_f32 v[118:119], v[118:119], v[122:123]
	s_and_not1_b32 exec_lo, exec_lo, s1
	s_cbranch_execnz .LBB120_332
; %bb.333:
	s_or_b32 exec_lo, exec_lo, s1
.LBB120_334:
	s_delay_alu instid0(SALU_CYCLE_1) | instskip(SKIP_4) | instid1(VALU_DEP_1)
	s_or_b32 exec_lo, exec_lo, s30
	v_mov_b32_e32 v120, 0
	ds_load_b64 v[120:121], v120 offset:184
	s_wait_dscnt 0x0
	v_pk_mul_f32 v[122:123], v[118:119], v[120:121] op_sel:[1,1] op_sel_hi:[0,1]
	v_pk_fma_f32 v[124:125], v[118:119], v[120:121], v[122:123] op_sel_hi:[1,0,1]
	v_pk_fma_f32 v[118:119], v[118:119], v[120:121], v[122:123] neg_lo:[0,0,1] neg_hi:[0,0,1]
	s_delay_alu instid0(VALU_DEP_2)
	v_mov_b32_e32 v119, v125
	scratch_store_b64 off, v[118:119], off offset:184
.LBB120_335:
	s_wait_xcnt 0x0
	s_or_b32 exec_lo, exec_lo, s29
	scratch_load_b64 v[118:119], off, off offset:176
	v_cmp_lt_u32_e64 s1, 22, v0
	s_wait_loadcnt 0x0
	ds_store_b64 v1, v[118:119]
	s_wait_storecnt_dscnt 0x0
	s_barrier_signal -1
	s_barrier_wait -1
	s_wait_xcnt 0x0
	s_and_saveexec_b32 s28, s1
	s_cbranch_execz .LBB120_345
; %bb.336:
	s_and_not1_b32 vcc_lo, exec_lo, s5
	s_cbranch_vccnz .LBB120_338
; %bb.337:
	scratch_load_b64 v[118:119], v59, off
	ds_load_b64 v[120:121], v1
	s_wait_loadcnt_dscnt 0x0
	v_pk_mul_f32 v[122:123], v[120:121], v[118:119] op_sel:[1,1] op_sel_hi:[0,1]
	s_delay_alu instid0(VALU_DEP_1) | instskip(SKIP_1) | instid1(VALU_DEP_2)
	v_pk_fma_f32 v[124:125], v[120:121], v[118:119], v[122:123] op_sel_hi:[1,0,1]
	v_pk_fma_f32 v[118:119], v[120:121], v[118:119], v[122:123] neg_lo:[0,0,1] neg_hi:[0,0,1]
	v_mov_b32_e32 v119, v125
	s_cbranch_execz .LBB120_339
	s_branch .LBB120_340
.LBB120_338:
                                        ; implicit-def: $vgpr118_vgpr119
.LBB120_339:
	ds_load_b64 v[118:119], v1
.LBB120_340:
	s_and_saveexec_b32 s29, s0
	s_cbranch_execz .LBB120_344
; %bb.341:
	v_subrev_nc_u32_e32 v120, 23, v0
	s_movk_i32 s30, 0x288
	s_mov_b32 s0, 0
.LBB120_342:                            ; =>This Inner Loop Header: Depth=1
	scratch_load_b64 v[122:123], off, s27
	v_dual_mov_b32 v121, s30 :: v_dual_add_nc_u32 v120, -1, v120
	s_add_co_i32 s30, s30, 8
	s_wait_xcnt 0x0
	s_add_co_i32 s27, s27, 8
	ds_load_b64 v[124:125], v121
	v_cmp_eq_u32_e32 vcc_lo, 0, v120
	s_or_b32 s0, vcc_lo, s0
	s_wait_loadcnt_dscnt 0x0
	v_pk_mul_f32 v[126:127], v[124:125], v[122:123] op_sel:[1,1] op_sel_hi:[0,1]
	s_delay_alu instid0(VALU_DEP_1) | instskip(SKIP_1) | instid1(VALU_DEP_2)
	v_pk_fma_f32 v[128:129], v[124:125], v[122:123], v[126:127] op_sel_hi:[1,0,1]
	v_pk_fma_f32 v[122:123], v[124:125], v[122:123], v[126:127] neg_lo:[0,0,1] neg_hi:[0,0,1]
	v_mov_b32_e32 v123, v129
	s_delay_alu instid0(VALU_DEP_1)
	v_pk_add_f32 v[118:119], v[118:119], v[122:123]
	s_and_not1_b32 exec_lo, exec_lo, s0
	s_cbranch_execnz .LBB120_342
; %bb.343:
	s_or_b32 exec_lo, exec_lo, s0
.LBB120_344:
	s_delay_alu instid0(SALU_CYCLE_1) | instskip(SKIP_4) | instid1(VALU_DEP_1)
	s_or_b32 exec_lo, exec_lo, s29
	v_mov_b32_e32 v120, 0
	ds_load_b64 v[120:121], v120 offset:176
	s_wait_dscnt 0x0
	v_pk_mul_f32 v[122:123], v[118:119], v[120:121] op_sel:[1,1] op_sel_hi:[0,1]
	v_pk_fma_f32 v[124:125], v[118:119], v[120:121], v[122:123] op_sel_hi:[1,0,1]
	v_pk_fma_f32 v[118:119], v[118:119], v[120:121], v[122:123] neg_lo:[0,0,1] neg_hi:[0,0,1]
	s_delay_alu instid0(VALU_DEP_2)
	v_mov_b32_e32 v119, v125
	scratch_store_b64 off, v[118:119], off offset:176
.LBB120_345:
	s_wait_xcnt 0x0
	s_or_b32 exec_lo, exec_lo, s28
	scratch_load_b64 v[118:119], off, off offset:168
	v_cmp_lt_u32_e64 s0, 21, v0
	s_wait_loadcnt 0x0
	ds_store_b64 v1, v[118:119]
	s_wait_storecnt_dscnt 0x0
	s_barrier_signal -1
	s_barrier_wait -1
	s_wait_xcnt 0x0
	s_and_saveexec_b32 s27, s0
	s_cbranch_execz .LBB120_355
; %bb.346:
	s_and_not1_b32 vcc_lo, exec_lo, s5
	s_cbranch_vccnz .LBB120_348
; %bb.347:
	scratch_load_b64 v[118:119], v59, off
	ds_load_b64 v[120:121], v1
	s_wait_loadcnt_dscnt 0x0
	v_pk_mul_f32 v[122:123], v[120:121], v[118:119] op_sel:[1,1] op_sel_hi:[0,1]
	s_delay_alu instid0(VALU_DEP_1) | instskip(SKIP_1) | instid1(VALU_DEP_2)
	v_pk_fma_f32 v[124:125], v[120:121], v[118:119], v[122:123] op_sel_hi:[1,0,1]
	v_pk_fma_f32 v[118:119], v[120:121], v[118:119], v[122:123] neg_lo:[0,0,1] neg_hi:[0,0,1]
	v_mov_b32_e32 v119, v125
	s_cbranch_execz .LBB120_349
	s_branch .LBB120_350
.LBB120_348:
                                        ; implicit-def: $vgpr118_vgpr119
.LBB120_349:
	ds_load_b64 v[118:119], v1
.LBB120_350:
	s_and_saveexec_b32 s28, s1
	s_cbranch_execz .LBB120_354
; %bb.351:
	v_subrev_nc_u32_e32 v120, 22, v0
	s_movk_i32 s29, 0x280
	s_mov_b32 s1, 0
.LBB120_352:                            ; =>This Inner Loop Header: Depth=1
	scratch_load_b64 v[122:123], off, s26
	v_dual_mov_b32 v121, s29 :: v_dual_add_nc_u32 v120, -1, v120
	s_add_co_i32 s29, s29, 8
	s_wait_xcnt 0x0
	s_add_co_i32 s26, s26, 8
	ds_load_b64 v[124:125], v121
	v_cmp_eq_u32_e32 vcc_lo, 0, v120
	s_or_b32 s1, vcc_lo, s1
	s_wait_loadcnt_dscnt 0x0
	v_pk_mul_f32 v[126:127], v[124:125], v[122:123] op_sel:[1,1] op_sel_hi:[0,1]
	s_delay_alu instid0(VALU_DEP_1) | instskip(SKIP_1) | instid1(VALU_DEP_2)
	v_pk_fma_f32 v[128:129], v[124:125], v[122:123], v[126:127] op_sel_hi:[1,0,1]
	v_pk_fma_f32 v[122:123], v[124:125], v[122:123], v[126:127] neg_lo:[0,0,1] neg_hi:[0,0,1]
	v_mov_b32_e32 v123, v129
	s_delay_alu instid0(VALU_DEP_1)
	v_pk_add_f32 v[118:119], v[118:119], v[122:123]
	s_and_not1_b32 exec_lo, exec_lo, s1
	s_cbranch_execnz .LBB120_352
; %bb.353:
	s_or_b32 exec_lo, exec_lo, s1
.LBB120_354:
	s_delay_alu instid0(SALU_CYCLE_1) | instskip(SKIP_4) | instid1(VALU_DEP_1)
	s_or_b32 exec_lo, exec_lo, s28
	v_mov_b32_e32 v120, 0
	ds_load_b64 v[120:121], v120 offset:168
	s_wait_dscnt 0x0
	v_pk_mul_f32 v[122:123], v[118:119], v[120:121] op_sel:[1,1] op_sel_hi:[0,1]
	v_pk_fma_f32 v[124:125], v[118:119], v[120:121], v[122:123] op_sel_hi:[1,0,1]
	v_pk_fma_f32 v[118:119], v[118:119], v[120:121], v[122:123] neg_lo:[0,0,1] neg_hi:[0,0,1]
	s_delay_alu instid0(VALU_DEP_2)
	v_mov_b32_e32 v119, v125
	scratch_store_b64 off, v[118:119], off offset:168
.LBB120_355:
	s_wait_xcnt 0x0
	s_or_b32 exec_lo, exec_lo, s27
	scratch_load_b64 v[118:119], off, off offset:160
	v_cmp_lt_u32_e64 s1, 20, v0
	s_wait_loadcnt 0x0
	ds_store_b64 v1, v[118:119]
	s_wait_storecnt_dscnt 0x0
	s_barrier_signal -1
	s_barrier_wait -1
	s_wait_xcnt 0x0
	s_and_saveexec_b32 s26, s1
	s_cbranch_execz .LBB120_365
; %bb.356:
	s_and_not1_b32 vcc_lo, exec_lo, s5
	s_cbranch_vccnz .LBB120_358
; %bb.357:
	scratch_load_b64 v[118:119], v59, off
	ds_load_b64 v[120:121], v1
	s_wait_loadcnt_dscnt 0x0
	v_pk_mul_f32 v[122:123], v[120:121], v[118:119] op_sel:[1,1] op_sel_hi:[0,1]
	s_delay_alu instid0(VALU_DEP_1) | instskip(SKIP_1) | instid1(VALU_DEP_2)
	v_pk_fma_f32 v[124:125], v[120:121], v[118:119], v[122:123] op_sel_hi:[1,0,1]
	v_pk_fma_f32 v[118:119], v[120:121], v[118:119], v[122:123] neg_lo:[0,0,1] neg_hi:[0,0,1]
	v_mov_b32_e32 v119, v125
	s_cbranch_execz .LBB120_359
	s_branch .LBB120_360
.LBB120_358:
                                        ; implicit-def: $vgpr118_vgpr119
.LBB120_359:
	ds_load_b64 v[118:119], v1
.LBB120_360:
	s_and_saveexec_b32 s27, s0
	s_cbranch_execz .LBB120_364
; %bb.361:
	v_subrev_nc_u32_e32 v120, 21, v0
	s_movk_i32 s28, 0x278
	s_mov_b32 s0, 0
.LBB120_362:                            ; =>This Inner Loop Header: Depth=1
	scratch_load_b64 v[122:123], off, s25
	v_dual_mov_b32 v121, s28 :: v_dual_add_nc_u32 v120, -1, v120
	s_add_co_i32 s28, s28, 8
	s_wait_xcnt 0x0
	s_add_co_i32 s25, s25, 8
	ds_load_b64 v[124:125], v121
	v_cmp_eq_u32_e32 vcc_lo, 0, v120
	s_or_b32 s0, vcc_lo, s0
	s_wait_loadcnt_dscnt 0x0
	v_pk_mul_f32 v[126:127], v[124:125], v[122:123] op_sel:[1,1] op_sel_hi:[0,1]
	s_delay_alu instid0(VALU_DEP_1) | instskip(SKIP_1) | instid1(VALU_DEP_2)
	v_pk_fma_f32 v[128:129], v[124:125], v[122:123], v[126:127] op_sel_hi:[1,0,1]
	v_pk_fma_f32 v[122:123], v[124:125], v[122:123], v[126:127] neg_lo:[0,0,1] neg_hi:[0,0,1]
	v_mov_b32_e32 v123, v129
	s_delay_alu instid0(VALU_DEP_1)
	v_pk_add_f32 v[118:119], v[118:119], v[122:123]
	s_and_not1_b32 exec_lo, exec_lo, s0
	s_cbranch_execnz .LBB120_362
; %bb.363:
	s_or_b32 exec_lo, exec_lo, s0
.LBB120_364:
	s_delay_alu instid0(SALU_CYCLE_1) | instskip(SKIP_4) | instid1(VALU_DEP_1)
	s_or_b32 exec_lo, exec_lo, s27
	v_mov_b32_e32 v120, 0
	ds_load_b64 v[120:121], v120 offset:160
	s_wait_dscnt 0x0
	v_pk_mul_f32 v[122:123], v[118:119], v[120:121] op_sel:[1,1] op_sel_hi:[0,1]
	v_pk_fma_f32 v[124:125], v[118:119], v[120:121], v[122:123] op_sel_hi:[1,0,1]
	v_pk_fma_f32 v[118:119], v[118:119], v[120:121], v[122:123] neg_lo:[0,0,1] neg_hi:[0,0,1]
	s_delay_alu instid0(VALU_DEP_2)
	v_mov_b32_e32 v119, v125
	scratch_store_b64 off, v[118:119], off offset:160
.LBB120_365:
	s_wait_xcnt 0x0
	s_or_b32 exec_lo, exec_lo, s26
	scratch_load_b64 v[118:119], off, off offset:152
	v_cmp_lt_u32_e64 s0, 19, v0
	s_wait_loadcnt 0x0
	ds_store_b64 v1, v[118:119]
	s_wait_storecnt_dscnt 0x0
	s_barrier_signal -1
	s_barrier_wait -1
	s_wait_xcnt 0x0
	s_and_saveexec_b32 s25, s0
	s_cbranch_execz .LBB120_375
; %bb.366:
	s_and_not1_b32 vcc_lo, exec_lo, s5
	s_cbranch_vccnz .LBB120_368
; %bb.367:
	scratch_load_b64 v[118:119], v59, off
	ds_load_b64 v[120:121], v1
	s_wait_loadcnt_dscnt 0x0
	v_pk_mul_f32 v[122:123], v[120:121], v[118:119] op_sel:[1,1] op_sel_hi:[0,1]
	s_delay_alu instid0(VALU_DEP_1) | instskip(SKIP_1) | instid1(VALU_DEP_2)
	v_pk_fma_f32 v[124:125], v[120:121], v[118:119], v[122:123] op_sel_hi:[1,0,1]
	v_pk_fma_f32 v[118:119], v[120:121], v[118:119], v[122:123] neg_lo:[0,0,1] neg_hi:[0,0,1]
	v_mov_b32_e32 v119, v125
	s_cbranch_execz .LBB120_369
	s_branch .LBB120_370
.LBB120_368:
                                        ; implicit-def: $vgpr118_vgpr119
.LBB120_369:
	ds_load_b64 v[118:119], v1
.LBB120_370:
	s_and_saveexec_b32 s26, s1
	s_cbranch_execz .LBB120_374
; %bb.371:
	v_subrev_nc_u32_e32 v120, 20, v0
	s_movk_i32 s27, 0x270
	s_mov_b32 s1, 0
.LBB120_372:                            ; =>This Inner Loop Header: Depth=1
	scratch_load_b64 v[122:123], off, s24
	v_dual_mov_b32 v121, s27 :: v_dual_add_nc_u32 v120, -1, v120
	s_add_co_i32 s27, s27, 8
	s_wait_xcnt 0x0
	s_add_co_i32 s24, s24, 8
	ds_load_b64 v[124:125], v121
	v_cmp_eq_u32_e32 vcc_lo, 0, v120
	s_or_b32 s1, vcc_lo, s1
	s_wait_loadcnt_dscnt 0x0
	v_pk_mul_f32 v[126:127], v[124:125], v[122:123] op_sel:[1,1] op_sel_hi:[0,1]
	s_delay_alu instid0(VALU_DEP_1) | instskip(SKIP_1) | instid1(VALU_DEP_2)
	v_pk_fma_f32 v[128:129], v[124:125], v[122:123], v[126:127] op_sel_hi:[1,0,1]
	v_pk_fma_f32 v[122:123], v[124:125], v[122:123], v[126:127] neg_lo:[0,0,1] neg_hi:[0,0,1]
	v_mov_b32_e32 v123, v129
	s_delay_alu instid0(VALU_DEP_1)
	v_pk_add_f32 v[118:119], v[118:119], v[122:123]
	s_and_not1_b32 exec_lo, exec_lo, s1
	s_cbranch_execnz .LBB120_372
; %bb.373:
	s_or_b32 exec_lo, exec_lo, s1
.LBB120_374:
	s_delay_alu instid0(SALU_CYCLE_1) | instskip(SKIP_4) | instid1(VALU_DEP_1)
	s_or_b32 exec_lo, exec_lo, s26
	v_mov_b32_e32 v120, 0
	ds_load_b64 v[120:121], v120 offset:152
	s_wait_dscnt 0x0
	v_pk_mul_f32 v[122:123], v[118:119], v[120:121] op_sel:[1,1] op_sel_hi:[0,1]
	v_pk_fma_f32 v[124:125], v[118:119], v[120:121], v[122:123] op_sel_hi:[1,0,1]
	v_pk_fma_f32 v[118:119], v[118:119], v[120:121], v[122:123] neg_lo:[0,0,1] neg_hi:[0,0,1]
	s_delay_alu instid0(VALU_DEP_2)
	v_mov_b32_e32 v119, v125
	scratch_store_b64 off, v[118:119], off offset:152
.LBB120_375:
	s_wait_xcnt 0x0
	s_or_b32 exec_lo, exec_lo, s25
	scratch_load_b64 v[118:119], off, off offset:144
	v_cmp_lt_u32_e64 s1, 18, v0
	s_wait_loadcnt 0x0
	ds_store_b64 v1, v[118:119]
	s_wait_storecnt_dscnt 0x0
	s_barrier_signal -1
	s_barrier_wait -1
	s_wait_xcnt 0x0
	s_and_saveexec_b32 s24, s1
	s_cbranch_execz .LBB120_385
; %bb.376:
	s_and_not1_b32 vcc_lo, exec_lo, s5
	s_cbranch_vccnz .LBB120_378
; %bb.377:
	scratch_load_b64 v[118:119], v59, off
	ds_load_b64 v[120:121], v1
	s_wait_loadcnt_dscnt 0x0
	v_pk_mul_f32 v[122:123], v[120:121], v[118:119] op_sel:[1,1] op_sel_hi:[0,1]
	s_delay_alu instid0(VALU_DEP_1) | instskip(SKIP_1) | instid1(VALU_DEP_2)
	v_pk_fma_f32 v[124:125], v[120:121], v[118:119], v[122:123] op_sel_hi:[1,0,1]
	v_pk_fma_f32 v[118:119], v[120:121], v[118:119], v[122:123] neg_lo:[0,0,1] neg_hi:[0,0,1]
	v_mov_b32_e32 v119, v125
	s_cbranch_execz .LBB120_379
	s_branch .LBB120_380
.LBB120_378:
                                        ; implicit-def: $vgpr118_vgpr119
.LBB120_379:
	ds_load_b64 v[118:119], v1
.LBB120_380:
	s_and_saveexec_b32 s25, s0
	s_cbranch_execz .LBB120_384
; %bb.381:
	v_subrev_nc_u32_e32 v120, 19, v0
	s_movk_i32 s26, 0x268
	s_mov_b32 s0, 0
.LBB120_382:                            ; =>This Inner Loop Header: Depth=1
	scratch_load_b64 v[122:123], off, s23
	v_dual_mov_b32 v121, s26 :: v_dual_add_nc_u32 v120, -1, v120
	s_add_co_i32 s26, s26, 8
	s_wait_xcnt 0x0
	s_add_co_i32 s23, s23, 8
	ds_load_b64 v[124:125], v121
	v_cmp_eq_u32_e32 vcc_lo, 0, v120
	s_or_b32 s0, vcc_lo, s0
	s_wait_loadcnt_dscnt 0x0
	v_pk_mul_f32 v[126:127], v[124:125], v[122:123] op_sel:[1,1] op_sel_hi:[0,1]
	s_delay_alu instid0(VALU_DEP_1) | instskip(SKIP_1) | instid1(VALU_DEP_2)
	v_pk_fma_f32 v[128:129], v[124:125], v[122:123], v[126:127] op_sel_hi:[1,0,1]
	v_pk_fma_f32 v[122:123], v[124:125], v[122:123], v[126:127] neg_lo:[0,0,1] neg_hi:[0,0,1]
	v_mov_b32_e32 v123, v129
	s_delay_alu instid0(VALU_DEP_1)
	v_pk_add_f32 v[118:119], v[118:119], v[122:123]
	s_and_not1_b32 exec_lo, exec_lo, s0
	s_cbranch_execnz .LBB120_382
; %bb.383:
	s_or_b32 exec_lo, exec_lo, s0
.LBB120_384:
	s_delay_alu instid0(SALU_CYCLE_1) | instskip(SKIP_4) | instid1(VALU_DEP_1)
	s_or_b32 exec_lo, exec_lo, s25
	v_mov_b32_e32 v120, 0
	ds_load_b64 v[120:121], v120 offset:144
	s_wait_dscnt 0x0
	v_pk_mul_f32 v[122:123], v[118:119], v[120:121] op_sel:[1,1] op_sel_hi:[0,1]
	v_pk_fma_f32 v[124:125], v[118:119], v[120:121], v[122:123] op_sel_hi:[1,0,1]
	v_pk_fma_f32 v[118:119], v[118:119], v[120:121], v[122:123] neg_lo:[0,0,1] neg_hi:[0,0,1]
	s_delay_alu instid0(VALU_DEP_2)
	v_mov_b32_e32 v119, v125
	scratch_store_b64 off, v[118:119], off offset:144
.LBB120_385:
	s_wait_xcnt 0x0
	s_or_b32 exec_lo, exec_lo, s24
	scratch_load_b64 v[118:119], off, off offset:136
	v_cmp_lt_u32_e64 s0, 17, v0
	s_wait_loadcnt 0x0
	ds_store_b64 v1, v[118:119]
	s_wait_storecnt_dscnt 0x0
	s_barrier_signal -1
	s_barrier_wait -1
	s_wait_xcnt 0x0
	s_and_saveexec_b32 s23, s0
	s_cbranch_execz .LBB120_395
; %bb.386:
	s_and_not1_b32 vcc_lo, exec_lo, s5
	s_cbranch_vccnz .LBB120_388
; %bb.387:
	scratch_load_b64 v[118:119], v59, off
	ds_load_b64 v[120:121], v1
	s_wait_loadcnt_dscnt 0x0
	v_pk_mul_f32 v[122:123], v[120:121], v[118:119] op_sel:[1,1] op_sel_hi:[0,1]
	s_delay_alu instid0(VALU_DEP_1) | instskip(SKIP_1) | instid1(VALU_DEP_2)
	v_pk_fma_f32 v[124:125], v[120:121], v[118:119], v[122:123] op_sel_hi:[1,0,1]
	v_pk_fma_f32 v[118:119], v[120:121], v[118:119], v[122:123] neg_lo:[0,0,1] neg_hi:[0,0,1]
	v_mov_b32_e32 v119, v125
	s_cbranch_execz .LBB120_389
	s_branch .LBB120_390
.LBB120_388:
                                        ; implicit-def: $vgpr118_vgpr119
.LBB120_389:
	ds_load_b64 v[118:119], v1
.LBB120_390:
	s_and_saveexec_b32 s24, s1
	s_cbranch_execz .LBB120_394
; %bb.391:
	v_subrev_nc_u32_e32 v120, 18, v0
	s_movk_i32 s25, 0x260
	s_mov_b32 s1, 0
.LBB120_392:                            ; =>This Inner Loop Header: Depth=1
	scratch_load_b64 v[122:123], off, s22
	v_dual_mov_b32 v121, s25 :: v_dual_add_nc_u32 v120, -1, v120
	s_add_co_i32 s25, s25, 8
	s_wait_xcnt 0x0
	s_add_co_i32 s22, s22, 8
	ds_load_b64 v[124:125], v121
	v_cmp_eq_u32_e32 vcc_lo, 0, v120
	s_or_b32 s1, vcc_lo, s1
	s_wait_loadcnt_dscnt 0x0
	v_pk_mul_f32 v[126:127], v[124:125], v[122:123] op_sel:[1,1] op_sel_hi:[0,1]
	s_delay_alu instid0(VALU_DEP_1) | instskip(SKIP_1) | instid1(VALU_DEP_2)
	v_pk_fma_f32 v[128:129], v[124:125], v[122:123], v[126:127] op_sel_hi:[1,0,1]
	v_pk_fma_f32 v[122:123], v[124:125], v[122:123], v[126:127] neg_lo:[0,0,1] neg_hi:[0,0,1]
	v_mov_b32_e32 v123, v129
	s_delay_alu instid0(VALU_DEP_1)
	v_pk_add_f32 v[118:119], v[118:119], v[122:123]
	s_and_not1_b32 exec_lo, exec_lo, s1
	s_cbranch_execnz .LBB120_392
; %bb.393:
	s_or_b32 exec_lo, exec_lo, s1
.LBB120_394:
	s_delay_alu instid0(SALU_CYCLE_1) | instskip(SKIP_4) | instid1(VALU_DEP_1)
	s_or_b32 exec_lo, exec_lo, s24
	v_mov_b32_e32 v120, 0
	ds_load_b64 v[120:121], v120 offset:136
	s_wait_dscnt 0x0
	v_pk_mul_f32 v[122:123], v[118:119], v[120:121] op_sel:[1,1] op_sel_hi:[0,1]
	v_pk_fma_f32 v[124:125], v[118:119], v[120:121], v[122:123] op_sel_hi:[1,0,1]
	v_pk_fma_f32 v[118:119], v[118:119], v[120:121], v[122:123] neg_lo:[0,0,1] neg_hi:[0,0,1]
	s_delay_alu instid0(VALU_DEP_2)
	v_mov_b32_e32 v119, v125
	scratch_store_b64 off, v[118:119], off offset:136
.LBB120_395:
	s_wait_xcnt 0x0
	s_or_b32 exec_lo, exec_lo, s23
	scratch_load_b64 v[118:119], off, off offset:128
	v_cmp_lt_u32_e64 s1, 16, v0
	s_wait_loadcnt 0x0
	ds_store_b64 v1, v[118:119]
	s_wait_storecnt_dscnt 0x0
	s_barrier_signal -1
	s_barrier_wait -1
	s_wait_xcnt 0x0
	s_and_saveexec_b32 s22, s1
	s_cbranch_execz .LBB120_405
; %bb.396:
	s_and_not1_b32 vcc_lo, exec_lo, s5
	s_cbranch_vccnz .LBB120_398
; %bb.397:
	scratch_load_b64 v[118:119], v59, off
	ds_load_b64 v[120:121], v1
	s_wait_loadcnt_dscnt 0x0
	v_pk_mul_f32 v[122:123], v[120:121], v[118:119] op_sel:[1,1] op_sel_hi:[0,1]
	s_delay_alu instid0(VALU_DEP_1) | instskip(SKIP_1) | instid1(VALU_DEP_2)
	v_pk_fma_f32 v[124:125], v[120:121], v[118:119], v[122:123] op_sel_hi:[1,0,1]
	v_pk_fma_f32 v[118:119], v[120:121], v[118:119], v[122:123] neg_lo:[0,0,1] neg_hi:[0,0,1]
	v_mov_b32_e32 v119, v125
	s_cbranch_execz .LBB120_399
	s_branch .LBB120_400
.LBB120_398:
                                        ; implicit-def: $vgpr118_vgpr119
.LBB120_399:
	ds_load_b64 v[118:119], v1
.LBB120_400:
	s_and_saveexec_b32 s23, s0
	s_cbranch_execz .LBB120_404
; %bb.401:
	v_subrev_nc_u32_e32 v120, 17, v0
	s_movk_i32 s24, 0x258
	s_mov_b32 s0, 0
.LBB120_402:                            ; =>This Inner Loop Header: Depth=1
	scratch_load_b64 v[122:123], off, s21
	v_dual_mov_b32 v121, s24 :: v_dual_add_nc_u32 v120, -1, v120
	s_add_co_i32 s24, s24, 8
	s_wait_xcnt 0x0
	s_add_co_i32 s21, s21, 8
	ds_load_b64 v[124:125], v121
	v_cmp_eq_u32_e32 vcc_lo, 0, v120
	s_or_b32 s0, vcc_lo, s0
	s_wait_loadcnt_dscnt 0x0
	v_pk_mul_f32 v[126:127], v[124:125], v[122:123] op_sel:[1,1] op_sel_hi:[0,1]
	s_delay_alu instid0(VALU_DEP_1) | instskip(SKIP_1) | instid1(VALU_DEP_2)
	v_pk_fma_f32 v[128:129], v[124:125], v[122:123], v[126:127] op_sel_hi:[1,0,1]
	v_pk_fma_f32 v[122:123], v[124:125], v[122:123], v[126:127] neg_lo:[0,0,1] neg_hi:[0,0,1]
	v_mov_b32_e32 v123, v129
	s_delay_alu instid0(VALU_DEP_1)
	v_pk_add_f32 v[118:119], v[118:119], v[122:123]
	s_and_not1_b32 exec_lo, exec_lo, s0
	s_cbranch_execnz .LBB120_402
; %bb.403:
	s_or_b32 exec_lo, exec_lo, s0
.LBB120_404:
	s_delay_alu instid0(SALU_CYCLE_1) | instskip(SKIP_4) | instid1(VALU_DEP_1)
	s_or_b32 exec_lo, exec_lo, s23
	v_mov_b32_e32 v120, 0
	ds_load_b64 v[120:121], v120 offset:128
	s_wait_dscnt 0x0
	v_pk_mul_f32 v[122:123], v[118:119], v[120:121] op_sel:[1,1] op_sel_hi:[0,1]
	v_pk_fma_f32 v[124:125], v[118:119], v[120:121], v[122:123] op_sel_hi:[1,0,1]
	v_pk_fma_f32 v[118:119], v[118:119], v[120:121], v[122:123] neg_lo:[0,0,1] neg_hi:[0,0,1]
	s_delay_alu instid0(VALU_DEP_2)
	v_mov_b32_e32 v119, v125
	scratch_store_b64 off, v[118:119], off offset:128
.LBB120_405:
	s_wait_xcnt 0x0
	s_or_b32 exec_lo, exec_lo, s22
	scratch_load_b64 v[118:119], off, off offset:120
	v_cmp_lt_u32_e64 s0, 15, v0
	s_wait_loadcnt 0x0
	ds_store_b64 v1, v[118:119]
	s_wait_storecnt_dscnt 0x0
	s_barrier_signal -1
	s_barrier_wait -1
	s_wait_xcnt 0x0
	s_and_saveexec_b32 s21, s0
	s_cbranch_execz .LBB120_415
; %bb.406:
	s_and_not1_b32 vcc_lo, exec_lo, s5
	s_cbranch_vccnz .LBB120_408
; %bb.407:
	scratch_load_b64 v[118:119], v59, off
	ds_load_b64 v[120:121], v1
	s_wait_loadcnt_dscnt 0x0
	v_pk_mul_f32 v[122:123], v[120:121], v[118:119] op_sel:[1,1] op_sel_hi:[0,1]
	s_delay_alu instid0(VALU_DEP_1) | instskip(SKIP_1) | instid1(VALU_DEP_2)
	v_pk_fma_f32 v[124:125], v[120:121], v[118:119], v[122:123] op_sel_hi:[1,0,1]
	v_pk_fma_f32 v[118:119], v[120:121], v[118:119], v[122:123] neg_lo:[0,0,1] neg_hi:[0,0,1]
	v_mov_b32_e32 v119, v125
	s_cbranch_execz .LBB120_409
	s_branch .LBB120_410
.LBB120_408:
                                        ; implicit-def: $vgpr118_vgpr119
.LBB120_409:
	ds_load_b64 v[118:119], v1
.LBB120_410:
	s_and_saveexec_b32 s22, s1
	s_cbranch_execz .LBB120_414
; %bb.411:
	v_add_nc_u32_e32 v120, -16, v0
	s_movk_i32 s23, 0x250
	s_mov_b32 s1, 0
.LBB120_412:                            ; =>This Inner Loop Header: Depth=1
	scratch_load_b64 v[122:123], off, s20
	v_dual_mov_b32 v121, s23 :: v_dual_add_nc_u32 v120, -1, v120
	s_add_co_i32 s23, s23, 8
	s_wait_xcnt 0x0
	s_add_co_i32 s20, s20, 8
	ds_load_b64 v[124:125], v121
	v_cmp_eq_u32_e32 vcc_lo, 0, v120
	s_or_b32 s1, vcc_lo, s1
	s_wait_loadcnt_dscnt 0x0
	v_pk_mul_f32 v[126:127], v[124:125], v[122:123] op_sel:[1,1] op_sel_hi:[0,1]
	s_delay_alu instid0(VALU_DEP_1) | instskip(SKIP_1) | instid1(VALU_DEP_2)
	v_pk_fma_f32 v[128:129], v[124:125], v[122:123], v[126:127] op_sel_hi:[1,0,1]
	v_pk_fma_f32 v[122:123], v[124:125], v[122:123], v[126:127] neg_lo:[0,0,1] neg_hi:[0,0,1]
	v_mov_b32_e32 v123, v129
	s_delay_alu instid0(VALU_DEP_1)
	v_pk_add_f32 v[118:119], v[118:119], v[122:123]
	s_and_not1_b32 exec_lo, exec_lo, s1
	s_cbranch_execnz .LBB120_412
; %bb.413:
	s_or_b32 exec_lo, exec_lo, s1
.LBB120_414:
	s_delay_alu instid0(SALU_CYCLE_1) | instskip(SKIP_4) | instid1(VALU_DEP_1)
	s_or_b32 exec_lo, exec_lo, s22
	v_mov_b32_e32 v120, 0
	ds_load_b64 v[120:121], v120 offset:120
	s_wait_dscnt 0x0
	v_pk_mul_f32 v[122:123], v[118:119], v[120:121] op_sel:[1,1] op_sel_hi:[0,1]
	v_pk_fma_f32 v[124:125], v[118:119], v[120:121], v[122:123] op_sel_hi:[1,0,1]
	v_pk_fma_f32 v[118:119], v[118:119], v[120:121], v[122:123] neg_lo:[0,0,1] neg_hi:[0,0,1]
	s_delay_alu instid0(VALU_DEP_2)
	v_mov_b32_e32 v119, v125
	scratch_store_b64 off, v[118:119], off offset:120
.LBB120_415:
	s_wait_xcnt 0x0
	s_or_b32 exec_lo, exec_lo, s21
	scratch_load_b64 v[118:119], off, off offset:112
	v_cmp_lt_u32_e64 s1, 14, v0
	s_wait_loadcnt 0x0
	ds_store_b64 v1, v[118:119]
	s_wait_storecnt_dscnt 0x0
	s_barrier_signal -1
	s_barrier_wait -1
	s_wait_xcnt 0x0
	s_and_saveexec_b32 s20, s1
	s_cbranch_execz .LBB120_425
; %bb.416:
	s_and_not1_b32 vcc_lo, exec_lo, s5
	s_cbranch_vccnz .LBB120_418
; %bb.417:
	scratch_load_b64 v[118:119], v59, off
	ds_load_b64 v[120:121], v1
	s_wait_loadcnt_dscnt 0x0
	v_pk_mul_f32 v[122:123], v[120:121], v[118:119] op_sel:[1,1] op_sel_hi:[0,1]
	s_delay_alu instid0(VALU_DEP_1) | instskip(SKIP_1) | instid1(VALU_DEP_2)
	v_pk_fma_f32 v[124:125], v[120:121], v[118:119], v[122:123] op_sel_hi:[1,0,1]
	v_pk_fma_f32 v[118:119], v[120:121], v[118:119], v[122:123] neg_lo:[0,0,1] neg_hi:[0,0,1]
	v_mov_b32_e32 v119, v125
	s_cbranch_execz .LBB120_419
	s_branch .LBB120_420
.LBB120_418:
                                        ; implicit-def: $vgpr118_vgpr119
.LBB120_419:
	ds_load_b64 v[118:119], v1
.LBB120_420:
	s_and_saveexec_b32 s21, s0
	s_cbranch_execz .LBB120_424
; %bb.421:
	v_add_nc_u32_e32 v120, -15, v0
	s_movk_i32 s22, 0x248
	s_mov_b32 s0, 0
.LBB120_422:                            ; =>This Inner Loop Header: Depth=1
	scratch_load_b64 v[122:123], off, s19
	v_dual_mov_b32 v121, s22 :: v_dual_add_nc_u32 v120, -1, v120
	s_add_co_i32 s22, s22, 8
	s_wait_xcnt 0x0
	s_add_co_i32 s19, s19, 8
	ds_load_b64 v[124:125], v121
	v_cmp_eq_u32_e32 vcc_lo, 0, v120
	s_or_b32 s0, vcc_lo, s0
	s_wait_loadcnt_dscnt 0x0
	v_pk_mul_f32 v[126:127], v[124:125], v[122:123] op_sel:[1,1] op_sel_hi:[0,1]
	s_delay_alu instid0(VALU_DEP_1) | instskip(SKIP_1) | instid1(VALU_DEP_2)
	v_pk_fma_f32 v[128:129], v[124:125], v[122:123], v[126:127] op_sel_hi:[1,0,1]
	v_pk_fma_f32 v[122:123], v[124:125], v[122:123], v[126:127] neg_lo:[0,0,1] neg_hi:[0,0,1]
	v_mov_b32_e32 v123, v129
	s_delay_alu instid0(VALU_DEP_1)
	v_pk_add_f32 v[118:119], v[118:119], v[122:123]
	s_and_not1_b32 exec_lo, exec_lo, s0
	s_cbranch_execnz .LBB120_422
; %bb.423:
	s_or_b32 exec_lo, exec_lo, s0
.LBB120_424:
	s_delay_alu instid0(SALU_CYCLE_1) | instskip(SKIP_4) | instid1(VALU_DEP_1)
	s_or_b32 exec_lo, exec_lo, s21
	v_mov_b32_e32 v120, 0
	ds_load_b64 v[120:121], v120 offset:112
	s_wait_dscnt 0x0
	v_pk_mul_f32 v[122:123], v[118:119], v[120:121] op_sel:[1,1] op_sel_hi:[0,1]
	v_pk_fma_f32 v[124:125], v[118:119], v[120:121], v[122:123] op_sel_hi:[1,0,1]
	v_pk_fma_f32 v[118:119], v[118:119], v[120:121], v[122:123] neg_lo:[0,0,1] neg_hi:[0,0,1]
	s_delay_alu instid0(VALU_DEP_2)
	v_mov_b32_e32 v119, v125
	scratch_store_b64 off, v[118:119], off offset:112
.LBB120_425:
	s_wait_xcnt 0x0
	s_or_b32 exec_lo, exec_lo, s20
	scratch_load_b64 v[118:119], off, off offset:104
	v_cmp_lt_u32_e64 s0, 13, v0
	s_wait_loadcnt 0x0
	ds_store_b64 v1, v[118:119]
	s_wait_storecnt_dscnt 0x0
	s_barrier_signal -1
	s_barrier_wait -1
	s_wait_xcnt 0x0
	s_and_saveexec_b32 s19, s0
	s_cbranch_execz .LBB120_435
; %bb.426:
	s_and_not1_b32 vcc_lo, exec_lo, s5
	s_cbranch_vccnz .LBB120_428
; %bb.427:
	scratch_load_b64 v[118:119], v59, off
	ds_load_b64 v[120:121], v1
	s_wait_loadcnt_dscnt 0x0
	v_pk_mul_f32 v[122:123], v[120:121], v[118:119] op_sel:[1,1] op_sel_hi:[0,1]
	s_delay_alu instid0(VALU_DEP_1) | instskip(SKIP_1) | instid1(VALU_DEP_2)
	v_pk_fma_f32 v[124:125], v[120:121], v[118:119], v[122:123] op_sel_hi:[1,0,1]
	v_pk_fma_f32 v[118:119], v[120:121], v[118:119], v[122:123] neg_lo:[0,0,1] neg_hi:[0,0,1]
	v_mov_b32_e32 v119, v125
	s_cbranch_execz .LBB120_429
	s_branch .LBB120_430
.LBB120_428:
                                        ; implicit-def: $vgpr118_vgpr119
.LBB120_429:
	ds_load_b64 v[118:119], v1
.LBB120_430:
	s_and_saveexec_b32 s20, s1
	s_cbranch_execz .LBB120_434
; %bb.431:
	v_add_nc_u32_e32 v120, -14, v0
	s_movk_i32 s21, 0x240
	s_mov_b32 s1, 0
.LBB120_432:                            ; =>This Inner Loop Header: Depth=1
	scratch_load_b64 v[122:123], off, s18
	v_dual_mov_b32 v121, s21 :: v_dual_add_nc_u32 v120, -1, v120
	s_add_co_i32 s21, s21, 8
	s_wait_xcnt 0x0
	s_add_co_i32 s18, s18, 8
	ds_load_b64 v[124:125], v121
	v_cmp_eq_u32_e32 vcc_lo, 0, v120
	s_or_b32 s1, vcc_lo, s1
	s_wait_loadcnt_dscnt 0x0
	v_pk_mul_f32 v[126:127], v[124:125], v[122:123] op_sel:[1,1] op_sel_hi:[0,1]
	s_delay_alu instid0(VALU_DEP_1) | instskip(SKIP_1) | instid1(VALU_DEP_2)
	v_pk_fma_f32 v[128:129], v[124:125], v[122:123], v[126:127] op_sel_hi:[1,0,1]
	v_pk_fma_f32 v[122:123], v[124:125], v[122:123], v[126:127] neg_lo:[0,0,1] neg_hi:[0,0,1]
	v_mov_b32_e32 v123, v129
	s_delay_alu instid0(VALU_DEP_1)
	v_pk_add_f32 v[118:119], v[118:119], v[122:123]
	s_and_not1_b32 exec_lo, exec_lo, s1
	s_cbranch_execnz .LBB120_432
; %bb.433:
	s_or_b32 exec_lo, exec_lo, s1
.LBB120_434:
	s_delay_alu instid0(SALU_CYCLE_1) | instskip(SKIP_4) | instid1(VALU_DEP_1)
	s_or_b32 exec_lo, exec_lo, s20
	v_mov_b32_e32 v120, 0
	ds_load_b64 v[120:121], v120 offset:104
	s_wait_dscnt 0x0
	v_pk_mul_f32 v[122:123], v[118:119], v[120:121] op_sel:[1,1] op_sel_hi:[0,1]
	v_pk_fma_f32 v[124:125], v[118:119], v[120:121], v[122:123] op_sel_hi:[1,0,1]
	v_pk_fma_f32 v[118:119], v[118:119], v[120:121], v[122:123] neg_lo:[0,0,1] neg_hi:[0,0,1]
	s_delay_alu instid0(VALU_DEP_2)
	v_mov_b32_e32 v119, v125
	scratch_store_b64 off, v[118:119], off offset:104
.LBB120_435:
	s_wait_xcnt 0x0
	s_or_b32 exec_lo, exec_lo, s19
	scratch_load_b64 v[118:119], off, off offset:96
	v_cmp_lt_u32_e64 s1, 12, v0
	s_wait_loadcnt 0x0
	ds_store_b64 v1, v[118:119]
	s_wait_storecnt_dscnt 0x0
	s_barrier_signal -1
	s_barrier_wait -1
	s_wait_xcnt 0x0
	s_and_saveexec_b32 s18, s1
	s_cbranch_execz .LBB120_445
; %bb.436:
	s_and_not1_b32 vcc_lo, exec_lo, s5
	s_cbranch_vccnz .LBB120_438
; %bb.437:
	scratch_load_b64 v[118:119], v59, off
	ds_load_b64 v[120:121], v1
	s_wait_loadcnt_dscnt 0x0
	v_pk_mul_f32 v[122:123], v[120:121], v[118:119] op_sel:[1,1] op_sel_hi:[0,1]
	s_delay_alu instid0(VALU_DEP_1) | instskip(SKIP_1) | instid1(VALU_DEP_2)
	v_pk_fma_f32 v[124:125], v[120:121], v[118:119], v[122:123] op_sel_hi:[1,0,1]
	v_pk_fma_f32 v[118:119], v[120:121], v[118:119], v[122:123] neg_lo:[0,0,1] neg_hi:[0,0,1]
	v_mov_b32_e32 v119, v125
	s_cbranch_execz .LBB120_439
	s_branch .LBB120_440
.LBB120_438:
                                        ; implicit-def: $vgpr118_vgpr119
.LBB120_439:
	ds_load_b64 v[118:119], v1
.LBB120_440:
	s_and_saveexec_b32 s19, s0
	s_cbranch_execz .LBB120_444
; %bb.441:
	v_add_nc_u32_e32 v120, -13, v0
	s_movk_i32 s20, 0x238
	s_mov_b32 s0, 0
.LBB120_442:                            ; =>This Inner Loop Header: Depth=1
	scratch_load_b64 v[122:123], off, s17
	v_dual_mov_b32 v121, s20 :: v_dual_add_nc_u32 v120, -1, v120
	s_add_co_i32 s20, s20, 8
	s_wait_xcnt 0x0
	s_add_co_i32 s17, s17, 8
	ds_load_b64 v[124:125], v121
	v_cmp_eq_u32_e32 vcc_lo, 0, v120
	s_or_b32 s0, vcc_lo, s0
	s_wait_loadcnt_dscnt 0x0
	v_pk_mul_f32 v[126:127], v[124:125], v[122:123] op_sel:[1,1] op_sel_hi:[0,1]
	s_delay_alu instid0(VALU_DEP_1) | instskip(SKIP_1) | instid1(VALU_DEP_2)
	v_pk_fma_f32 v[128:129], v[124:125], v[122:123], v[126:127] op_sel_hi:[1,0,1]
	v_pk_fma_f32 v[122:123], v[124:125], v[122:123], v[126:127] neg_lo:[0,0,1] neg_hi:[0,0,1]
	v_mov_b32_e32 v123, v129
	s_delay_alu instid0(VALU_DEP_1)
	v_pk_add_f32 v[118:119], v[118:119], v[122:123]
	s_and_not1_b32 exec_lo, exec_lo, s0
	s_cbranch_execnz .LBB120_442
; %bb.443:
	s_or_b32 exec_lo, exec_lo, s0
.LBB120_444:
	s_delay_alu instid0(SALU_CYCLE_1) | instskip(SKIP_4) | instid1(VALU_DEP_1)
	s_or_b32 exec_lo, exec_lo, s19
	v_mov_b32_e32 v120, 0
	ds_load_b64 v[120:121], v120 offset:96
	s_wait_dscnt 0x0
	v_pk_mul_f32 v[122:123], v[118:119], v[120:121] op_sel:[1,1] op_sel_hi:[0,1]
	v_pk_fma_f32 v[124:125], v[118:119], v[120:121], v[122:123] op_sel_hi:[1,0,1]
	v_pk_fma_f32 v[118:119], v[118:119], v[120:121], v[122:123] neg_lo:[0,0,1] neg_hi:[0,0,1]
	s_delay_alu instid0(VALU_DEP_2)
	v_mov_b32_e32 v119, v125
	scratch_store_b64 off, v[118:119], off offset:96
.LBB120_445:
	s_wait_xcnt 0x0
	s_or_b32 exec_lo, exec_lo, s18
	scratch_load_b64 v[118:119], off, off offset:88
	v_cmp_lt_u32_e64 s0, 11, v0
	s_wait_loadcnt 0x0
	ds_store_b64 v1, v[118:119]
	s_wait_storecnt_dscnt 0x0
	s_barrier_signal -1
	s_barrier_wait -1
	s_wait_xcnt 0x0
	s_and_saveexec_b32 s17, s0
	s_cbranch_execz .LBB120_455
; %bb.446:
	s_and_not1_b32 vcc_lo, exec_lo, s5
	s_cbranch_vccnz .LBB120_448
; %bb.447:
	scratch_load_b64 v[118:119], v59, off
	ds_load_b64 v[120:121], v1
	s_wait_loadcnt_dscnt 0x0
	v_pk_mul_f32 v[122:123], v[120:121], v[118:119] op_sel:[1,1] op_sel_hi:[0,1]
	s_delay_alu instid0(VALU_DEP_1) | instskip(SKIP_1) | instid1(VALU_DEP_2)
	v_pk_fma_f32 v[124:125], v[120:121], v[118:119], v[122:123] op_sel_hi:[1,0,1]
	v_pk_fma_f32 v[118:119], v[120:121], v[118:119], v[122:123] neg_lo:[0,0,1] neg_hi:[0,0,1]
	v_mov_b32_e32 v119, v125
	s_cbranch_execz .LBB120_449
	s_branch .LBB120_450
.LBB120_448:
                                        ; implicit-def: $vgpr118_vgpr119
.LBB120_449:
	ds_load_b64 v[118:119], v1
.LBB120_450:
	s_and_saveexec_b32 s18, s1
	s_cbranch_execz .LBB120_454
; %bb.451:
	v_add_nc_u32_e32 v120, -12, v0
	s_movk_i32 s19, 0x230
	s_mov_b32 s1, 0
.LBB120_452:                            ; =>This Inner Loop Header: Depth=1
	scratch_load_b64 v[122:123], off, s16
	v_dual_mov_b32 v121, s19 :: v_dual_add_nc_u32 v120, -1, v120
	s_add_co_i32 s19, s19, 8
	s_wait_xcnt 0x0
	s_add_co_i32 s16, s16, 8
	ds_load_b64 v[124:125], v121
	v_cmp_eq_u32_e32 vcc_lo, 0, v120
	s_or_b32 s1, vcc_lo, s1
	s_wait_loadcnt_dscnt 0x0
	v_pk_mul_f32 v[126:127], v[124:125], v[122:123] op_sel:[1,1] op_sel_hi:[0,1]
	s_delay_alu instid0(VALU_DEP_1) | instskip(SKIP_1) | instid1(VALU_DEP_2)
	v_pk_fma_f32 v[128:129], v[124:125], v[122:123], v[126:127] op_sel_hi:[1,0,1]
	v_pk_fma_f32 v[122:123], v[124:125], v[122:123], v[126:127] neg_lo:[0,0,1] neg_hi:[0,0,1]
	v_mov_b32_e32 v123, v129
	s_delay_alu instid0(VALU_DEP_1)
	v_pk_add_f32 v[118:119], v[118:119], v[122:123]
	s_and_not1_b32 exec_lo, exec_lo, s1
	s_cbranch_execnz .LBB120_452
; %bb.453:
	s_or_b32 exec_lo, exec_lo, s1
.LBB120_454:
	s_delay_alu instid0(SALU_CYCLE_1) | instskip(SKIP_4) | instid1(VALU_DEP_1)
	s_or_b32 exec_lo, exec_lo, s18
	v_mov_b32_e32 v120, 0
	ds_load_b64 v[120:121], v120 offset:88
	s_wait_dscnt 0x0
	v_pk_mul_f32 v[122:123], v[118:119], v[120:121] op_sel:[1,1] op_sel_hi:[0,1]
	v_pk_fma_f32 v[124:125], v[118:119], v[120:121], v[122:123] op_sel_hi:[1,0,1]
	v_pk_fma_f32 v[118:119], v[118:119], v[120:121], v[122:123] neg_lo:[0,0,1] neg_hi:[0,0,1]
	s_delay_alu instid0(VALU_DEP_2)
	v_mov_b32_e32 v119, v125
	scratch_store_b64 off, v[118:119], off offset:88
.LBB120_455:
	s_wait_xcnt 0x0
	s_or_b32 exec_lo, exec_lo, s17
	scratch_load_b64 v[118:119], off, off offset:80
	v_cmp_lt_u32_e64 s1, 10, v0
	s_wait_loadcnt 0x0
	ds_store_b64 v1, v[118:119]
	s_wait_storecnt_dscnt 0x0
	s_barrier_signal -1
	s_barrier_wait -1
	s_wait_xcnt 0x0
	s_and_saveexec_b32 s16, s1
	s_cbranch_execz .LBB120_465
; %bb.456:
	s_and_not1_b32 vcc_lo, exec_lo, s5
	s_cbranch_vccnz .LBB120_458
; %bb.457:
	scratch_load_b64 v[118:119], v59, off
	ds_load_b64 v[120:121], v1
	s_wait_loadcnt_dscnt 0x0
	v_pk_mul_f32 v[122:123], v[120:121], v[118:119] op_sel:[1,1] op_sel_hi:[0,1]
	s_delay_alu instid0(VALU_DEP_1) | instskip(SKIP_1) | instid1(VALU_DEP_2)
	v_pk_fma_f32 v[124:125], v[120:121], v[118:119], v[122:123] op_sel_hi:[1,0,1]
	v_pk_fma_f32 v[118:119], v[120:121], v[118:119], v[122:123] neg_lo:[0,0,1] neg_hi:[0,0,1]
	v_mov_b32_e32 v119, v125
	s_cbranch_execz .LBB120_459
	s_branch .LBB120_460
.LBB120_458:
                                        ; implicit-def: $vgpr118_vgpr119
.LBB120_459:
	ds_load_b64 v[118:119], v1
.LBB120_460:
	s_and_saveexec_b32 s17, s0
	s_cbranch_execz .LBB120_464
; %bb.461:
	v_add_nc_u32_e32 v120, -11, v0
	s_movk_i32 s18, 0x228
	s_mov_b32 s0, 0
.LBB120_462:                            ; =>This Inner Loop Header: Depth=1
	scratch_load_b64 v[122:123], off, s15
	v_dual_mov_b32 v121, s18 :: v_dual_add_nc_u32 v120, -1, v120
	s_add_co_i32 s18, s18, 8
	s_wait_xcnt 0x0
	s_add_co_i32 s15, s15, 8
	ds_load_b64 v[124:125], v121
	v_cmp_eq_u32_e32 vcc_lo, 0, v120
	s_or_b32 s0, vcc_lo, s0
	s_wait_loadcnt_dscnt 0x0
	v_pk_mul_f32 v[126:127], v[124:125], v[122:123] op_sel:[1,1] op_sel_hi:[0,1]
	s_delay_alu instid0(VALU_DEP_1) | instskip(SKIP_1) | instid1(VALU_DEP_2)
	v_pk_fma_f32 v[128:129], v[124:125], v[122:123], v[126:127] op_sel_hi:[1,0,1]
	v_pk_fma_f32 v[122:123], v[124:125], v[122:123], v[126:127] neg_lo:[0,0,1] neg_hi:[0,0,1]
	v_mov_b32_e32 v123, v129
	s_delay_alu instid0(VALU_DEP_1)
	v_pk_add_f32 v[118:119], v[118:119], v[122:123]
	s_and_not1_b32 exec_lo, exec_lo, s0
	s_cbranch_execnz .LBB120_462
; %bb.463:
	s_or_b32 exec_lo, exec_lo, s0
.LBB120_464:
	s_delay_alu instid0(SALU_CYCLE_1) | instskip(SKIP_4) | instid1(VALU_DEP_1)
	s_or_b32 exec_lo, exec_lo, s17
	v_mov_b32_e32 v120, 0
	ds_load_b64 v[120:121], v120 offset:80
	s_wait_dscnt 0x0
	v_pk_mul_f32 v[122:123], v[118:119], v[120:121] op_sel:[1,1] op_sel_hi:[0,1]
	v_pk_fma_f32 v[124:125], v[118:119], v[120:121], v[122:123] op_sel_hi:[1,0,1]
	v_pk_fma_f32 v[118:119], v[118:119], v[120:121], v[122:123] neg_lo:[0,0,1] neg_hi:[0,0,1]
	s_delay_alu instid0(VALU_DEP_2)
	v_mov_b32_e32 v119, v125
	scratch_store_b64 off, v[118:119], off offset:80
.LBB120_465:
	s_wait_xcnt 0x0
	s_or_b32 exec_lo, exec_lo, s16
	scratch_load_b64 v[118:119], off, off offset:72
	v_cmp_lt_u32_e64 s0, 9, v0
	s_wait_loadcnt 0x0
	ds_store_b64 v1, v[118:119]
	s_wait_storecnt_dscnt 0x0
	s_barrier_signal -1
	s_barrier_wait -1
	s_wait_xcnt 0x0
	s_and_saveexec_b32 s15, s0
	s_cbranch_execz .LBB120_475
; %bb.466:
	s_and_not1_b32 vcc_lo, exec_lo, s5
	s_cbranch_vccnz .LBB120_468
; %bb.467:
	scratch_load_b64 v[118:119], v59, off
	ds_load_b64 v[120:121], v1
	s_wait_loadcnt_dscnt 0x0
	v_pk_mul_f32 v[122:123], v[120:121], v[118:119] op_sel:[1,1] op_sel_hi:[0,1]
	s_delay_alu instid0(VALU_DEP_1) | instskip(SKIP_1) | instid1(VALU_DEP_2)
	v_pk_fma_f32 v[124:125], v[120:121], v[118:119], v[122:123] op_sel_hi:[1,0,1]
	v_pk_fma_f32 v[118:119], v[120:121], v[118:119], v[122:123] neg_lo:[0,0,1] neg_hi:[0,0,1]
	v_mov_b32_e32 v119, v125
	s_cbranch_execz .LBB120_469
	s_branch .LBB120_470
.LBB120_468:
                                        ; implicit-def: $vgpr118_vgpr119
.LBB120_469:
	ds_load_b64 v[118:119], v1
.LBB120_470:
	s_and_saveexec_b32 s16, s1
	s_cbranch_execz .LBB120_474
; %bb.471:
	v_add_nc_u32_e32 v120, -10, v0
	s_movk_i32 s17, 0x220
	s_mov_b32 s1, 0
.LBB120_472:                            ; =>This Inner Loop Header: Depth=1
	scratch_load_b64 v[122:123], off, s14
	v_dual_mov_b32 v121, s17 :: v_dual_add_nc_u32 v120, -1, v120
	s_add_co_i32 s17, s17, 8
	s_wait_xcnt 0x0
	s_add_co_i32 s14, s14, 8
	ds_load_b64 v[124:125], v121
	v_cmp_eq_u32_e32 vcc_lo, 0, v120
	s_or_b32 s1, vcc_lo, s1
	s_wait_loadcnt_dscnt 0x0
	v_pk_mul_f32 v[126:127], v[124:125], v[122:123] op_sel:[1,1] op_sel_hi:[0,1]
	s_delay_alu instid0(VALU_DEP_1) | instskip(SKIP_1) | instid1(VALU_DEP_2)
	v_pk_fma_f32 v[128:129], v[124:125], v[122:123], v[126:127] op_sel_hi:[1,0,1]
	v_pk_fma_f32 v[122:123], v[124:125], v[122:123], v[126:127] neg_lo:[0,0,1] neg_hi:[0,0,1]
	v_mov_b32_e32 v123, v129
	s_delay_alu instid0(VALU_DEP_1)
	v_pk_add_f32 v[118:119], v[118:119], v[122:123]
	s_and_not1_b32 exec_lo, exec_lo, s1
	s_cbranch_execnz .LBB120_472
; %bb.473:
	s_or_b32 exec_lo, exec_lo, s1
.LBB120_474:
	s_delay_alu instid0(SALU_CYCLE_1) | instskip(SKIP_4) | instid1(VALU_DEP_1)
	s_or_b32 exec_lo, exec_lo, s16
	v_mov_b32_e32 v120, 0
	ds_load_b64 v[120:121], v120 offset:72
	s_wait_dscnt 0x0
	v_pk_mul_f32 v[122:123], v[118:119], v[120:121] op_sel:[1,1] op_sel_hi:[0,1]
	v_pk_fma_f32 v[124:125], v[118:119], v[120:121], v[122:123] op_sel_hi:[1,0,1]
	v_pk_fma_f32 v[118:119], v[118:119], v[120:121], v[122:123] neg_lo:[0,0,1] neg_hi:[0,0,1]
	s_delay_alu instid0(VALU_DEP_2)
	v_mov_b32_e32 v119, v125
	scratch_store_b64 off, v[118:119], off offset:72
.LBB120_475:
	s_wait_xcnt 0x0
	s_or_b32 exec_lo, exec_lo, s15
	scratch_load_b64 v[118:119], off, off offset:64
	v_cmp_lt_u32_e64 s1, 8, v0
	s_wait_loadcnt 0x0
	ds_store_b64 v1, v[118:119]
	s_wait_storecnt_dscnt 0x0
	s_barrier_signal -1
	s_barrier_wait -1
	s_wait_xcnt 0x0
	s_and_saveexec_b32 s14, s1
	s_cbranch_execz .LBB120_485
; %bb.476:
	s_and_not1_b32 vcc_lo, exec_lo, s5
	s_cbranch_vccnz .LBB120_478
; %bb.477:
	scratch_load_b64 v[118:119], v59, off
	ds_load_b64 v[120:121], v1
	s_wait_loadcnt_dscnt 0x0
	v_pk_mul_f32 v[122:123], v[120:121], v[118:119] op_sel:[1,1] op_sel_hi:[0,1]
	s_delay_alu instid0(VALU_DEP_1) | instskip(SKIP_1) | instid1(VALU_DEP_2)
	v_pk_fma_f32 v[124:125], v[120:121], v[118:119], v[122:123] op_sel_hi:[1,0,1]
	v_pk_fma_f32 v[118:119], v[120:121], v[118:119], v[122:123] neg_lo:[0,0,1] neg_hi:[0,0,1]
	v_mov_b32_e32 v119, v125
	s_cbranch_execz .LBB120_479
	s_branch .LBB120_480
.LBB120_478:
                                        ; implicit-def: $vgpr118_vgpr119
.LBB120_479:
	ds_load_b64 v[118:119], v1
.LBB120_480:
	s_and_saveexec_b32 s15, s0
	s_cbranch_execz .LBB120_484
; %bb.481:
	v_add_nc_u32_e32 v120, -9, v0
	s_movk_i32 s16, 0x218
	s_mov_b32 s0, 0
.LBB120_482:                            ; =>This Inner Loop Header: Depth=1
	scratch_load_b64 v[122:123], off, s13
	v_dual_mov_b32 v121, s16 :: v_dual_add_nc_u32 v120, -1, v120
	s_add_co_i32 s16, s16, 8
	s_wait_xcnt 0x0
	s_add_co_i32 s13, s13, 8
	ds_load_b64 v[124:125], v121
	v_cmp_eq_u32_e32 vcc_lo, 0, v120
	s_or_b32 s0, vcc_lo, s0
	s_wait_loadcnt_dscnt 0x0
	v_pk_mul_f32 v[126:127], v[124:125], v[122:123] op_sel:[1,1] op_sel_hi:[0,1]
	s_delay_alu instid0(VALU_DEP_1) | instskip(SKIP_1) | instid1(VALU_DEP_2)
	v_pk_fma_f32 v[128:129], v[124:125], v[122:123], v[126:127] op_sel_hi:[1,0,1]
	v_pk_fma_f32 v[122:123], v[124:125], v[122:123], v[126:127] neg_lo:[0,0,1] neg_hi:[0,0,1]
	v_mov_b32_e32 v123, v129
	s_delay_alu instid0(VALU_DEP_1)
	v_pk_add_f32 v[118:119], v[118:119], v[122:123]
	s_and_not1_b32 exec_lo, exec_lo, s0
	s_cbranch_execnz .LBB120_482
; %bb.483:
	s_or_b32 exec_lo, exec_lo, s0
.LBB120_484:
	s_delay_alu instid0(SALU_CYCLE_1) | instskip(SKIP_4) | instid1(VALU_DEP_1)
	s_or_b32 exec_lo, exec_lo, s15
	v_mov_b32_e32 v120, 0
	ds_load_b64 v[120:121], v120 offset:64
	s_wait_dscnt 0x0
	v_pk_mul_f32 v[122:123], v[118:119], v[120:121] op_sel:[1,1] op_sel_hi:[0,1]
	v_pk_fma_f32 v[124:125], v[118:119], v[120:121], v[122:123] op_sel_hi:[1,0,1]
	v_pk_fma_f32 v[118:119], v[118:119], v[120:121], v[122:123] neg_lo:[0,0,1] neg_hi:[0,0,1]
	s_delay_alu instid0(VALU_DEP_2)
	v_mov_b32_e32 v119, v125
	scratch_store_b64 off, v[118:119], off offset:64
.LBB120_485:
	s_wait_xcnt 0x0
	s_or_b32 exec_lo, exec_lo, s14
	scratch_load_b64 v[118:119], off, off offset:56
	v_cmp_lt_u32_e64 s0, 7, v0
	s_wait_loadcnt 0x0
	ds_store_b64 v1, v[118:119]
	s_wait_storecnt_dscnt 0x0
	s_barrier_signal -1
	s_barrier_wait -1
	s_wait_xcnt 0x0
	s_and_saveexec_b32 s13, s0
	s_cbranch_execz .LBB120_495
; %bb.486:
	s_and_not1_b32 vcc_lo, exec_lo, s5
	s_cbranch_vccnz .LBB120_488
; %bb.487:
	scratch_load_b64 v[118:119], v59, off
	ds_load_b64 v[120:121], v1
	s_wait_loadcnt_dscnt 0x0
	v_pk_mul_f32 v[122:123], v[120:121], v[118:119] op_sel:[1,1] op_sel_hi:[0,1]
	s_delay_alu instid0(VALU_DEP_1) | instskip(SKIP_1) | instid1(VALU_DEP_2)
	v_pk_fma_f32 v[124:125], v[120:121], v[118:119], v[122:123] op_sel_hi:[1,0,1]
	v_pk_fma_f32 v[118:119], v[120:121], v[118:119], v[122:123] neg_lo:[0,0,1] neg_hi:[0,0,1]
	v_mov_b32_e32 v119, v125
	s_cbranch_execz .LBB120_489
	s_branch .LBB120_490
.LBB120_488:
                                        ; implicit-def: $vgpr118_vgpr119
.LBB120_489:
	ds_load_b64 v[118:119], v1
.LBB120_490:
	s_and_saveexec_b32 s14, s1
	s_cbranch_execz .LBB120_494
; %bb.491:
	v_add_nc_u32_e32 v120, -8, v0
	s_movk_i32 s15, 0x210
	s_mov_b32 s1, 0
.LBB120_492:                            ; =>This Inner Loop Header: Depth=1
	scratch_load_b64 v[122:123], off, s12
	v_dual_mov_b32 v121, s15 :: v_dual_add_nc_u32 v120, -1, v120
	s_add_co_i32 s15, s15, 8
	s_wait_xcnt 0x0
	s_add_co_i32 s12, s12, 8
	ds_load_b64 v[124:125], v121
	v_cmp_eq_u32_e32 vcc_lo, 0, v120
	s_or_b32 s1, vcc_lo, s1
	s_wait_loadcnt_dscnt 0x0
	v_pk_mul_f32 v[126:127], v[124:125], v[122:123] op_sel:[1,1] op_sel_hi:[0,1]
	s_delay_alu instid0(VALU_DEP_1) | instskip(SKIP_1) | instid1(VALU_DEP_2)
	v_pk_fma_f32 v[128:129], v[124:125], v[122:123], v[126:127] op_sel_hi:[1,0,1]
	v_pk_fma_f32 v[122:123], v[124:125], v[122:123], v[126:127] neg_lo:[0,0,1] neg_hi:[0,0,1]
	v_mov_b32_e32 v123, v129
	s_delay_alu instid0(VALU_DEP_1)
	v_pk_add_f32 v[118:119], v[118:119], v[122:123]
	s_and_not1_b32 exec_lo, exec_lo, s1
	s_cbranch_execnz .LBB120_492
; %bb.493:
	s_or_b32 exec_lo, exec_lo, s1
.LBB120_494:
	s_delay_alu instid0(SALU_CYCLE_1) | instskip(SKIP_4) | instid1(VALU_DEP_1)
	s_or_b32 exec_lo, exec_lo, s14
	v_mov_b32_e32 v120, 0
	ds_load_b64 v[120:121], v120 offset:56
	s_wait_dscnt 0x0
	v_pk_mul_f32 v[122:123], v[118:119], v[120:121] op_sel:[1,1] op_sel_hi:[0,1]
	v_pk_fma_f32 v[124:125], v[118:119], v[120:121], v[122:123] op_sel_hi:[1,0,1]
	v_pk_fma_f32 v[118:119], v[118:119], v[120:121], v[122:123] neg_lo:[0,0,1] neg_hi:[0,0,1]
	s_delay_alu instid0(VALU_DEP_2)
	v_mov_b32_e32 v119, v125
	scratch_store_b64 off, v[118:119], off offset:56
.LBB120_495:
	s_wait_xcnt 0x0
	s_or_b32 exec_lo, exec_lo, s13
	scratch_load_b64 v[118:119], off, off offset:48
	v_cmp_lt_u32_e64 s1, 6, v0
	s_wait_loadcnt 0x0
	ds_store_b64 v1, v[118:119]
	s_wait_storecnt_dscnt 0x0
	s_barrier_signal -1
	s_barrier_wait -1
	s_wait_xcnt 0x0
	s_and_saveexec_b32 s12, s1
	s_cbranch_execz .LBB120_505
; %bb.496:
	s_and_not1_b32 vcc_lo, exec_lo, s5
	s_cbranch_vccnz .LBB120_498
; %bb.497:
	scratch_load_b64 v[118:119], v59, off
	ds_load_b64 v[120:121], v1
	s_wait_loadcnt_dscnt 0x0
	v_pk_mul_f32 v[122:123], v[120:121], v[118:119] op_sel:[1,1] op_sel_hi:[0,1]
	s_delay_alu instid0(VALU_DEP_1) | instskip(SKIP_1) | instid1(VALU_DEP_2)
	v_pk_fma_f32 v[124:125], v[120:121], v[118:119], v[122:123] op_sel_hi:[1,0,1]
	v_pk_fma_f32 v[118:119], v[120:121], v[118:119], v[122:123] neg_lo:[0,0,1] neg_hi:[0,0,1]
	v_mov_b32_e32 v119, v125
	s_cbranch_execz .LBB120_499
	s_branch .LBB120_500
.LBB120_498:
                                        ; implicit-def: $vgpr118_vgpr119
.LBB120_499:
	ds_load_b64 v[118:119], v1
.LBB120_500:
	s_and_saveexec_b32 s13, s0
	s_cbranch_execz .LBB120_504
; %bb.501:
	v_add_nc_u32_e32 v120, -7, v0
	s_movk_i32 s14, 0x208
	s_mov_b32 s0, 0
.LBB120_502:                            ; =>This Inner Loop Header: Depth=1
	scratch_load_b64 v[122:123], off, s11
	v_dual_mov_b32 v121, s14 :: v_dual_add_nc_u32 v120, -1, v120
	s_add_co_i32 s14, s14, 8
	s_wait_xcnt 0x0
	s_add_co_i32 s11, s11, 8
	ds_load_b64 v[124:125], v121
	v_cmp_eq_u32_e32 vcc_lo, 0, v120
	s_or_b32 s0, vcc_lo, s0
	s_wait_loadcnt_dscnt 0x0
	v_pk_mul_f32 v[126:127], v[124:125], v[122:123] op_sel:[1,1] op_sel_hi:[0,1]
	s_delay_alu instid0(VALU_DEP_1) | instskip(SKIP_1) | instid1(VALU_DEP_2)
	v_pk_fma_f32 v[128:129], v[124:125], v[122:123], v[126:127] op_sel_hi:[1,0,1]
	v_pk_fma_f32 v[122:123], v[124:125], v[122:123], v[126:127] neg_lo:[0,0,1] neg_hi:[0,0,1]
	v_mov_b32_e32 v123, v129
	s_delay_alu instid0(VALU_DEP_1)
	v_pk_add_f32 v[118:119], v[118:119], v[122:123]
	s_and_not1_b32 exec_lo, exec_lo, s0
	s_cbranch_execnz .LBB120_502
; %bb.503:
	s_or_b32 exec_lo, exec_lo, s0
.LBB120_504:
	s_delay_alu instid0(SALU_CYCLE_1) | instskip(SKIP_4) | instid1(VALU_DEP_1)
	s_or_b32 exec_lo, exec_lo, s13
	v_mov_b32_e32 v120, 0
	ds_load_b64 v[120:121], v120 offset:48
	s_wait_dscnt 0x0
	v_pk_mul_f32 v[122:123], v[118:119], v[120:121] op_sel:[1,1] op_sel_hi:[0,1]
	v_pk_fma_f32 v[124:125], v[118:119], v[120:121], v[122:123] op_sel_hi:[1,0,1]
	v_pk_fma_f32 v[118:119], v[118:119], v[120:121], v[122:123] neg_lo:[0,0,1] neg_hi:[0,0,1]
	s_delay_alu instid0(VALU_DEP_2)
	v_mov_b32_e32 v119, v125
	scratch_store_b64 off, v[118:119], off offset:48
.LBB120_505:
	s_wait_xcnt 0x0
	s_or_b32 exec_lo, exec_lo, s12
	scratch_load_b64 v[118:119], off, off offset:40
	v_cmp_lt_u32_e64 s0, 5, v0
	s_wait_loadcnt 0x0
	ds_store_b64 v1, v[118:119]
	s_wait_storecnt_dscnt 0x0
	s_barrier_signal -1
	s_barrier_wait -1
	s_wait_xcnt 0x0
	s_and_saveexec_b32 s11, s0
	s_cbranch_execz .LBB120_515
; %bb.506:
	s_and_not1_b32 vcc_lo, exec_lo, s5
	s_cbranch_vccnz .LBB120_508
; %bb.507:
	scratch_load_b64 v[118:119], v59, off
	ds_load_b64 v[120:121], v1
	s_wait_loadcnt_dscnt 0x0
	v_pk_mul_f32 v[122:123], v[120:121], v[118:119] op_sel:[1,1] op_sel_hi:[0,1]
	s_delay_alu instid0(VALU_DEP_1) | instskip(SKIP_1) | instid1(VALU_DEP_2)
	v_pk_fma_f32 v[124:125], v[120:121], v[118:119], v[122:123] op_sel_hi:[1,0,1]
	v_pk_fma_f32 v[118:119], v[120:121], v[118:119], v[122:123] neg_lo:[0,0,1] neg_hi:[0,0,1]
	v_mov_b32_e32 v119, v125
	s_cbranch_execz .LBB120_509
	s_branch .LBB120_510
.LBB120_508:
                                        ; implicit-def: $vgpr118_vgpr119
.LBB120_509:
	ds_load_b64 v[118:119], v1
.LBB120_510:
	s_and_saveexec_b32 s12, s1
	s_cbranch_execz .LBB120_514
; %bb.511:
	v_add_nc_u32_e32 v120, -6, v0
	s_movk_i32 s13, 0x200
	s_mov_b32 s1, 0
.LBB120_512:                            ; =>This Inner Loop Header: Depth=1
	scratch_load_b64 v[122:123], off, s10
	v_dual_mov_b32 v121, s13 :: v_dual_add_nc_u32 v120, -1, v120
	s_add_co_i32 s13, s13, 8
	s_wait_xcnt 0x0
	s_add_co_i32 s10, s10, 8
	ds_load_b64 v[124:125], v121
	v_cmp_eq_u32_e32 vcc_lo, 0, v120
	s_or_b32 s1, vcc_lo, s1
	s_wait_loadcnt_dscnt 0x0
	v_pk_mul_f32 v[126:127], v[124:125], v[122:123] op_sel:[1,1] op_sel_hi:[0,1]
	s_delay_alu instid0(VALU_DEP_1) | instskip(SKIP_1) | instid1(VALU_DEP_2)
	v_pk_fma_f32 v[128:129], v[124:125], v[122:123], v[126:127] op_sel_hi:[1,0,1]
	v_pk_fma_f32 v[122:123], v[124:125], v[122:123], v[126:127] neg_lo:[0,0,1] neg_hi:[0,0,1]
	v_mov_b32_e32 v123, v129
	s_delay_alu instid0(VALU_DEP_1)
	v_pk_add_f32 v[118:119], v[118:119], v[122:123]
	s_and_not1_b32 exec_lo, exec_lo, s1
	s_cbranch_execnz .LBB120_512
; %bb.513:
	s_or_b32 exec_lo, exec_lo, s1
.LBB120_514:
	s_delay_alu instid0(SALU_CYCLE_1) | instskip(SKIP_4) | instid1(VALU_DEP_1)
	s_or_b32 exec_lo, exec_lo, s12
	v_mov_b32_e32 v120, 0
	ds_load_b64 v[120:121], v120 offset:40
	s_wait_dscnt 0x0
	v_pk_mul_f32 v[122:123], v[118:119], v[120:121] op_sel:[1,1] op_sel_hi:[0,1]
	v_pk_fma_f32 v[124:125], v[118:119], v[120:121], v[122:123] op_sel_hi:[1,0,1]
	v_pk_fma_f32 v[118:119], v[118:119], v[120:121], v[122:123] neg_lo:[0,0,1] neg_hi:[0,0,1]
	s_delay_alu instid0(VALU_DEP_2)
	v_mov_b32_e32 v119, v125
	scratch_store_b64 off, v[118:119], off offset:40
.LBB120_515:
	s_wait_xcnt 0x0
	s_or_b32 exec_lo, exec_lo, s11
	scratch_load_b64 v[118:119], off, off offset:32
	v_cmp_lt_u32_e64 s1, 4, v0
	s_wait_loadcnt 0x0
	ds_store_b64 v1, v[118:119]
	s_wait_storecnt_dscnt 0x0
	s_barrier_signal -1
	s_barrier_wait -1
	s_wait_xcnt 0x0
	s_and_saveexec_b32 s10, s1
	s_cbranch_execz .LBB120_525
; %bb.516:
	s_and_not1_b32 vcc_lo, exec_lo, s5
	s_cbranch_vccnz .LBB120_518
; %bb.517:
	scratch_load_b64 v[118:119], v59, off
	ds_load_b64 v[120:121], v1
	s_wait_loadcnt_dscnt 0x0
	v_pk_mul_f32 v[122:123], v[120:121], v[118:119] op_sel:[1,1] op_sel_hi:[0,1]
	s_delay_alu instid0(VALU_DEP_1) | instskip(SKIP_1) | instid1(VALU_DEP_2)
	v_pk_fma_f32 v[124:125], v[120:121], v[118:119], v[122:123] op_sel_hi:[1,0,1]
	v_pk_fma_f32 v[118:119], v[120:121], v[118:119], v[122:123] neg_lo:[0,0,1] neg_hi:[0,0,1]
	v_mov_b32_e32 v119, v125
	s_cbranch_execz .LBB120_519
	s_branch .LBB120_520
.LBB120_518:
                                        ; implicit-def: $vgpr118_vgpr119
.LBB120_519:
	ds_load_b64 v[118:119], v1
.LBB120_520:
	s_and_saveexec_b32 s11, s0
	s_cbranch_execz .LBB120_524
; %bb.521:
	v_add_nc_u32_e32 v120, -5, v0
	s_movk_i32 s12, 0x1f8
	s_mov_b32 s0, 0
.LBB120_522:                            ; =>This Inner Loop Header: Depth=1
	scratch_load_b64 v[122:123], off, s9
	v_dual_mov_b32 v121, s12 :: v_dual_add_nc_u32 v120, -1, v120
	s_add_co_i32 s12, s12, 8
	s_wait_xcnt 0x0
	s_add_co_i32 s9, s9, 8
	ds_load_b64 v[124:125], v121
	v_cmp_eq_u32_e32 vcc_lo, 0, v120
	s_or_b32 s0, vcc_lo, s0
	s_wait_loadcnt_dscnt 0x0
	v_pk_mul_f32 v[126:127], v[124:125], v[122:123] op_sel:[1,1] op_sel_hi:[0,1]
	s_delay_alu instid0(VALU_DEP_1) | instskip(SKIP_1) | instid1(VALU_DEP_2)
	v_pk_fma_f32 v[128:129], v[124:125], v[122:123], v[126:127] op_sel_hi:[1,0,1]
	v_pk_fma_f32 v[122:123], v[124:125], v[122:123], v[126:127] neg_lo:[0,0,1] neg_hi:[0,0,1]
	v_mov_b32_e32 v123, v129
	s_delay_alu instid0(VALU_DEP_1)
	v_pk_add_f32 v[118:119], v[118:119], v[122:123]
	s_and_not1_b32 exec_lo, exec_lo, s0
	s_cbranch_execnz .LBB120_522
; %bb.523:
	s_or_b32 exec_lo, exec_lo, s0
.LBB120_524:
	s_delay_alu instid0(SALU_CYCLE_1) | instskip(SKIP_4) | instid1(VALU_DEP_1)
	s_or_b32 exec_lo, exec_lo, s11
	v_mov_b32_e32 v120, 0
	ds_load_b64 v[120:121], v120 offset:32
	s_wait_dscnt 0x0
	v_pk_mul_f32 v[122:123], v[118:119], v[120:121] op_sel:[1,1] op_sel_hi:[0,1]
	v_pk_fma_f32 v[124:125], v[118:119], v[120:121], v[122:123] op_sel_hi:[1,0,1]
	v_pk_fma_f32 v[118:119], v[118:119], v[120:121], v[122:123] neg_lo:[0,0,1] neg_hi:[0,0,1]
	s_delay_alu instid0(VALU_DEP_2)
	v_mov_b32_e32 v119, v125
	scratch_store_b64 off, v[118:119], off offset:32
.LBB120_525:
	s_wait_xcnt 0x0
	s_or_b32 exec_lo, exec_lo, s10
	scratch_load_b64 v[118:119], off, off offset:24
	v_cmp_lt_u32_e64 s0, 3, v0
	s_wait_loadcnt 0x0
	ds_store_b64 v1, v[118:119]
	s_wait_storecnt_dscnt 0x0
	s_barrier_signal -1
	s_barrier_wait -1
	s_wait_xcnt 0x0
	s_and_saveexec_b32 s9, s0
	s_cbranch_execz .LBB120_535
; %bb.526:
	s_and_not1_b32 vcc_lo, exec_lo, s5
	s_cbranch_vccnz .LBB120_528
; %bb.527:
	scratch_load_b64 v[118:119], v59, off
	ds_load_b64 v[120:121], v1
	s_wait_loadcnt_dscnt 0x0
	v_pk_mul_f32 v[122:123], v[120:121], v[118:119] op_sel:[1,1] op_sel_hi:[0,1]
	s_delay_alu instid0(VALU_DEP_1) | instskip(SKIP_1) | instid1(VALU_DEP_2)
	v_pk_fma_f32 v[124:125], v[120:121], v[118:119], v[122:123] op_sel_hi:[1,0,1]
	v_pk_fma_f32 v[118:119], v[120:121], v[118:119], v[122:123] neg_lo:[0,0,1] neg_hi:[0,0,1]
	v_mov_b32_e32 v119, v125
	s_cbranch_execz .LBB120_529
	s_branch .LBB120_530
.LBB120_528:
                                        ; implicit-def: $vgpr118_vgpr119
.LBB120_529:
	ds_load_b64 v[118:119], v1
.LBB120_530:
	s_and_saveexec_b32 s10, s1
	s_cbranch_execz .LBB120_534
; %bb.531:
	v_add_nc_u32_e32 v120, -4, v0
	s_movk_i32 s11, 0x1f0
	s_mov_b32 s1, 0
.LBB120_532:                            ; =>This Inner Loop Header: Depth=1
	scratch_load_b64 v[122:123], off, s8
	v_dual_mov_b32 v121, s11 :: v_dual_add_nc_u32 v120, -1, v120
	s_add_co_i32 s11, s11, 8
	s_wait_xcnt 0x0
	s_add_co_i32 s8, s8, 8
	ds_load_b64 v[124:125], v121
	v_cmp_eq_u32_e32 vcc_lo, 0, v120
	s_or_b32 s1, vcc_lo, s1
	s_wait_loadcnt_dscnt 0x0
	v_pk_mul_f32 v[126:127], v[124:125], v[122:123] op_sel:[1,1] op_sel_hi:[0,1]
	s_delay_alu instid0(VALU_DEP_1) | instskip(SKIP_1) | instid1(VALU_DEP_2)
	v_pk_fma_f32 v[128:129], v[124:125], v[122:123], v[126:127] op_sel_hi:[1,0,1]
	v_pk_fma_f32 v[122:123], v[124:125], v[122:123], v[126:127] neg_lo:[0,0,1] neg_hi:[0,0,1]
	v_mov_b32_e32 v123, v129
	s_delay_alu instid0(VALU_DEP_1)
	v_pk_add_f32 v[118:119], v[118:119], v[122:123]
	s_and_not1_b32 exec_lo, exec_lo, s1
	s_cbranch_execnz .LBB120_532
; %bb.533:
	s_or_b32 exec_lo, exec_lo, s1
.LBB120_534:
	s_delay_alu instid0(SALU_CYCLE_1) | instskip(SKIP_4) | instid1(VALU_DEP_1)
	s_or_b32 exec_lo, exec_lo, s10
	v_mov_b32_e32 v120, 0
	ds_load_b64 v[120:121], v120 offset:24
	s_wait_dscnt 0x0
	v_pk_mul_f32 v[122:123], v[118:119], v[120:121] op_sel:[1,1] op_sel_hi:[0,1]
	v_pk_fma_f32 v[124:125], v[118:119], v[120:121], v[122:123] op_sel_hi:[1,0,1]
	v_pk_fma_f32 v[118:119], v[118:119], v[120:121], v[122:123] neg_lo:[0,0,1] neg_hi:[0,0,1]
	s_delay_alu instid0(VALU_DEP_2)
	v_mov_b32_e32 v119, v125
	scratch_store_b64 off, v[118:119], off offset:24
.LBB120_535:
	s_wait_xcnt 0x0
	s_or_b32 exec_lo, exec_lo, s9
	scratch_load_b64 v[118:119], off, off offset:16
	v_cmp_lt_u32_e64 s1, 2, v0
	s_wait_loadcnt 0x0
	ds_store_b64 v1, v[118:119]
	s_wait_storecnt_dscnt 0x0
	s_barrier_signal -1
	s_barrier_wait -1
	s_wait_xcnt 0x0
	s_and_saveexec_b32 s8, s1
	s_cbranch_execz .LBB120_545
; %bb.536:
	s_and_not1_b32 vcc_lo, exec_lo, s5
	s_cbranch_vccnz .LBB120_538
; %bb.537:
	scratch_load_b64 v[118:119], v59, off
	ds_load_b64 v[120:121], v1
	s_wait_loadcnt_dscnt 0x0
	v_pk_mul_f32 v[122:123], v[120:121], v[118:119] op_sel:[1,1] op_sel_hi:[0,1]
	s_delay_alu instid0(VALU_DEP_1) | instskip(SKIP_1) | instid1(VALU_DEP_2)
	v_pk_fma_f32 v[124:125], v[120:121], v[118:119], v[122:123] op_sel_hi:[1,0,1]
	v_pk_fma_f32 v[118:119], v[120:121], v[118:119], v[122:123] neg_lo:[0,0,1] neg_hi:[0,0,1]
	v_mov_b32_e32 v119, v125
	s_cbranch_execz .LBB120_539
	s_branch .LBB120_540
.LBB120_538:
                                        ; implicit-def: $vgpr118_vgpr119
.LBB120_539:
	ds_load_b64 v[118:119], v1
.LBB120_540:
	s_and_saveexec_b32 s9, s0
	s_cbranch_execz .LBB120_544
; %bb.541:
	v_add_nc_u32_e32 v120, -3, v0
	s_movk_i32 s10, 0x1e8
	s_mov_b32 s0, 0
.LBB120_542:                            ; =>This Inner Loop Header: Depth=1
	scratch_load_b64 v[122:123], off, s7
	v_dual_mov_b32 v121, s10 :: v_dual_add_nc_u32 v120, -1, v120
	s_add_co_i32 s10, s10, 8
	s_wait_xcnt 0x0
	s_add_co_i32 s7, s7, 8
	ds_load_b64 v[124:125], v121
	v_cmp_eq_u32_e32 vcc_lo, 0, v120
	s_or_b32 s0, vcc_lo, s0
	s_wait_loadcnt_dscnt 0x0
	v_pk_mul_f32 v[126:127], v[124:125], v[122:123] op_sel:[1,1] op_sel_hi:[0,1]
	s_delay_alu instid0(VALU_DEP_1) | instskip(SKIP_1) | instid1(VALU_DEP_2)
	v_pk_fma_f32 v[128:129], v[124:125], v[122:123], v[126:127] op_sel_hi:[1,0,1]
	v_pk_fma_f32 v[122:123], v[124:125], v[122:123], v[126:127] neg_lo:[0,0,1] neg_hi:[0,0,1]
	v_mov_b32_e32 v123, v129
	s_delay_alu instid0(VALU_DEP_1)
	v_pk_add_f32 v[118:119], v[118:119], v[122:123]
	s_and_not1_b32 exec_lo, exec_lo, s0
	s_cbranch_execnz .LBB120_542
; %bb.543:
	s_or_b32 exec_lo, exec_lo, s0
.LBB120_544:
	s_delay_alu instid0(SALU_CYCLE_1) | instskip(SKIP_4) | instid1(VALU_DEP_1)
	s_or_b32 exec_lo, exec_lo, s9
	v_mov_b32_e32 v120, 0
	ds_load_b64 v[120:121], v120 offset:16
	s_wait_dscnt 0x0
	v_pk_mul_f32 v[122:123], v[118:119], v[120:121] op_sel:[1,1] op_sel_hi:[0,1]
	v_pk_fma_f32 v[124:125], v[118:119], v[120:121], v[122:123] op_sel_hi:[1,0,1]
	v_pk_fma_f32 v[118:119], v[118:119], v[120:121], v[122:123] neg_lo:[0,0,1] neg_hi:[0,0,1]
	s_delay_alu instid0(VALU_DEP_2)
	v_mov_b32_e32 v119, v125
	scratch_store_b64 off, v[118:119], off offset:16
.LBB120_545:
	s_wait_xcnt 0x0
	s_or_b32 exec_lo, exec_lo, s8
	scratch_load_b64 v[118:119], off, off offset:8
	v_cmp_lt_u32_e64 s0, 1, v0
	s_wait_loadcnt 0x0
	ds_store_b64 v1, v[118:119]
	s_wait_storecnt_dscnt 0x0
	s_barrier_signal -1
	s_barrier_wait -1
	s_wait_xcnt 0x0
	s_and_saveexec_b32 s7, s0
	s_cbranch_execz .LBB120_555
; %bb.546:
	s_and_not1_b32 vcc_lo, exec_lo, s5
	s_cbranch_vccnz .LBB120_548
; %bb.547:
	scratch_load_b64 v[118:119], v59, off
	ds_load_b64 v[120:121], v1
	s_wait_loadcnt_dscnt 0x0
	v_pk_mul_f32 v[122:123], v[120:121], v[118:119] op_sel:[1,1] op_sel_hi:[0,1]
	s_delay_alu instid0(VALU_DEP_1) | instskip(SKIP_1) | instid1(VALU_DEP_2)
	v_pk_fma_f32 v[124:125], v[120:121], v[118:119], v[122:123] op_sel_hi:[1,0,1]
	v_pk_fma_f32 v[118:119], v[120:121], v[118:119], v[122:123] neg_lo:[0,0,1] neg_hi:[0,0,1]
	v_mov_b32_e32 v119, v125
	s_cbranch_execz .LBB120_549
	s_branch .LBB120_550
.LBB120_548:
                                        ; implicit-def: $vgpr118_vgpr119
.LBB120_549:
	ds_load_b64 v[118:119], v1
.LBB120_550:
	s_and_saveexec_b32 s8, s1
	s_cbranch_execz .LBB120_554
; %bb.551:
	v_add_nc_u32_e32 v120, -2, v0
	s_movk_i32 s9, 0x1e0
	s_mov_b32 s1, 0
.LBB120_552:                            ; =>This Inner Loop Header: Depth=1
	scratch_load_b64 v[122:123], off, s6
	v_dual_mov_b32 v121, s9 :: v_dual_add_nc_u32 v120, -1, v120
	s_add_co_i32 s9, s9, 8
	s_wait_xcnt 0x0
	s_add_co_i32 s6, s6, 8
	ds_load_b64 v[124:125], v121
	v_cmp_eq_u32_e32 vcc_lo, 0, v120
	s_or_b32 s1, vcc_lo, s1
	s_wait_loadcnt_dscnt 0x0
	v_pk_mul_f32 v[126:127], v[124:125], v[122:123] op_sel:[1,1] op_sel_hi:[0,1]
	s_delay_alu instid0(VALU_DEP_1) | instskip(SKIP_1) | instid1(VALU_DEP_2)
	v_pk_fma_f32 v[128:129], v[124:125], v[122:123], v[126:127] op_sel_hi:[1,0,1]
	v_pk_fma_f32 v[122:123], v[124:125], v[122:123], v[126:127] neg_lo:[0,0,1] neg_hi:[0,0,1]
	v_mov_b32_e32 v123, v129
	s_delay_alu instid0(VALU_DEP_1)
	v_pk_add_f32 v[118:119], v[118:119], v[122:123]
	s_and_not1_b32 exec_lo, exec_lo, s1
	s_cbranch_execnz .LBB120_552
; %bb.553:
	s_or_b32 exec_lo, exec_lo, s1
.LBB120_554:
	s_delay_alu instid0(SALU_CYCLE_1) | instskip(SKIP_4) | instid1(VALU_DEP_1)
	s_or_b32 exec_lo, exec_lo, s8
	v_mov_b32_e32 v120, 0
	ds_load_b64 v[120:121], v120 offset:8
	s_wait_dscnt 0x0
	v_pk_mul_f32 v[122:123], v[118:119], v[120:121] op_sel:[1,1] op_sel_hi:[0,1]
	v_pk_fma_f32 v[124:125], v[118:119], v[120:121], v[122:123] op_sel_hi:[1,0,1]
	v_pk_fma_f32 v[118:119], v[118:119], v[120:121], v[122:123] neg_lo:[0,0,1] neg_hi:[0,0,1]
	s_delay_alu instid0(VALU_DEP_2)
	v_mov_b32_e32 v119, v125
	scratch_store_b64 off, v[118:119], off offset:8
.LBB120_555:
	s_wait_xcnt 0x0
	s_or_b32 exec_lo, exec_lo, s7
	scratch_load_b64 v[118:119], off, off
	s_mov_b32 s6, 0
	s_mov_b32 s1, 0
	s_mov_b32 s8, exec_lo
                                        ; implicit-def: $vgpr170
                                        ; implicit-def: $sgpr7
	s_wait_loadcnt 0x0
	ds_store_b64 v1, v[118:119]
	s_wait_storecnt_dscnt 0x0
	s_barrier_signal -1
	s_barrier_wait -1
	s_wait_xcnt 0x0
	v_cmpx_ne_u32_e32 0, v0
	s_cbranch_execz .LBB120_565
; %bb.556:
	s_and_not1_b32 vcc_lo, exec_lo, s5
	s_cbranch_vccnz .LBB120_558
; %bb.557:
	scratch_load_b64 v[120:121], v59, off
	ds_load_b64 v[122:123], v1
	s_wait_loadcnt_dscnt 0x0
	v_dual_mul_f32 v118, v123, v121 :: v_dual_mul_f32 v119, v122, v121
	s_delay_alu instid0(VALU_DEP_1)
	v_dual_fma_f32 v118, v122, v120, -v118 :: v_dual_fmac_f32 v119, v123, v120
	s_and_not1_b32 vcc_lo, exec_lo, s1
	s_cbranch_vccz .LBB120_559
	s_branch .LBB120_560
.LBB120_558:
                                        ; implicit-def: $vgpr118
.LBB120_559:
	ds_load_b64 v[118:119], v1
.LBB120_560:
	s_and_saveexec_b32 s1, s0
	s_cbranch_execz .LBB120_564
; %bb.561:
	v_add_nc_u32_e32 v120, -1, v0
	s_movk_i32 s7, 0x1d8
	s_mov_b32 s0, 0
.LBB120_562:                            ; =>This Inner Loop Header: Depth=1
	scratch_load_b64 v[122:123], off, s4
	v_mov_b32_e32 v121, s7
	s_add_co_i32 s7, s7, 8
	s_wait_xcnt 0x0
	s_add_co_i32 s4, s4, 8
	v_add_nc_u32_e32 v120, -1, v120
	ds_load_b64 v[124:125], v121
	v_cmp_eq_u32_e32 vcc_lo, 0, v120
	s_or_b32 s0, vcc_lo, s0
	s_wait_loadcnt_dscnt 0x0
	v_dual_mul_f32 v121, v125, v123 :: v_dual_mul_f32 v123, v124, v123
	s_delay_alu instid0(VALU_DEP_1) | instskip(NEXT) | instid1(VALU_DEP_1)
	v_dual_fma_f32 v121, v124, v122, -v121 :: v_dual_fmac_f32 v123, v125, v122
	v_dual_add_f32 v118, v118, v121 :: v_dual_add_f32 v119, v119, v123
	s_and_not1_b32 exec_lo, exec_lo, s0
	s_cbranch_execnz .LBB120_562
; %bb.563:
	s_or_b32 exec_lo, exec_lo, s0
.LBB120_564:
	s_delay_alu instid0(SALU_CYCLE_1)
	s_or_b32 exec_lo, exec_lo, s1
	v_mov_b32_e32 v120, 0
	s_mov_b32 s1, exec_lo
	s_or_b32 s7, 0, 4
	ds_load_b64 v[120:121], v120
	s_wait_dscnt 0x0
	v_dual_mul_f32 v122, v119, v121 :: v_dual_mul_f32 v170, v118, v121
	s_delay_alu instid0(VALU_DEP_1) | instskip(NEXT) | instid1(VALU_DEP_2)
	v_fma_f32 v118, v118, v120, -v122
	v_fmac_f32_e32 v170, v119, v120
	scratch_store_b32 off, v118, off
.LBB120_565:
	s_wait_xcnt 0x0
	s_or_b32 exec_lo, exec_lo, s8
	s_delay_alu instid0(SALU_CYCLE_1)
	s_and_b32 vcc_lo, exec_lo, s6
	s_cbranch_vccz .LBB120_1121
.LBB120_566:
	scratch_load_b64 v[118:119], off, off offset:8
	v_cmp_eq_u32_e64 s0, 0, v0
	s_wait_loadcnt 0x0
	ds_store_b64 v1, v[118:119]
	s_wait_storecnt_dscnt 0x0
	s_barrier_signal -1
	s_barrier_wait -1
	s_wait_xcnt 0x0
	s_and_saveexec_b32 s4, s0
	s_cbranch_execz .LBB120_572
; %bb.567:
	s_and_b32 vcc_lo, exec_lo, s5
	s_cbranch_vccz .LBB120_569
; %bb.568:
	scratch_load_b64 v[118:119], v59, off
	ds_load_b64 v[120:121], v1
	s_wait_loadcnt_dscnt 0x0
	v_pk_mul_f32 v[122:123], v[120:121], v[118:119] op_sel:[1,1] op_sel_hi:[0,1]
	v_pk_mul_f32 v[124:125], v[120:121], v[118:119] op_sel_hi:[1,0]
	s_delay_alu instid0(VALU_DEP_2) | instskip(NEXT) | instid1(VALU_DEP_2)
	v_pk_fma_f32 v[118:119], v[120:121], v[118:119], v[122:123] op_sel_hi:[1,0,1]
	v_sub_f32_e32 v118, v124, v122
	s_cbranch_execz .LBB120_570
	s_branch .LBB120_571
.LBB120_569:
                                        ; implicit-def: $vgpr119
.LBB120_570:
	ds_load_b64 v[118:119], v1
.LBB120_571:
	s_wait_dscnt 0x0
	v_dual_mov_b32 v120, 0 :: v_dual_mov_b32 v122, v119
	v_mov_b32_e32 v123, v118
	ds_load_b64 v[120:121], v120 offset:8
	s_wait_dscnt 0x0
	v_pk_mul_f32 v[122:123], v[122:123], v[120:121] op_sel:[0,1]
	s_delay_alu instid0(VALU_DEP_1) | instskip(SKIP_1) | instid1(VALU_DEP_2)
	v_pk_fma_f32 v[124:125], v[118:119], v[120:121], v[122:123] op_sel_hi:[1,0,1]
	v_pk_fma_f32 v[118:119], v[118:119], v[120:121], v[122:123] neg_lo:[0,0,1] neg_hi:[0,0,1]
	v_mov_b32_e32 v119, v125
	scratch_store_b64 off, v[118:119], off offset:8
.LBB120_572:
	s_wait_xcnt 0x0
	s_or_b32 exec_lo, exec_lo, s4
	scratch_load_b64 v[118:119], off, off offset:16
	v_cndmask_b32_e64 v120, 0, 1, s5
	s_mov_b32 s4, exec_lo
	s_wait_loadcnt 0x0
	ds_store_b64 v1, v[118:119]
	s_wait_storecnt_dscnt 0x0
	s_barrier_signal -1
	s_barrier_wait -1
	s_wait_xcnt 0x0
	v_cmpx_gt_u32_e32 2, v0
	s_cbranch_execz .LBB120_580
; %bb.573:
	s_and_not1_b32 vcc_lo, exec_lo, s5
	s_cbranch_vccnz .LBB120_575
; %bb.574:
	scratch_load_b64 v[118:119], v59, off
	ds_load_b64 v[122:123], v1
	s_wait_loadcnt_dscnt 0x0
	v_pk_mul_f32 v[124:125], v[122:123], v[118:119] op_sel:[1,1] op_sel_hi:[0,1]
	s_delay_alu instid0(VALU_DEP_1) | instskip(SKIP_1) | instid1(VALU_DEP_2)
	v_pk_fma_f32 v[126:127], v[122:123], v[118:119], v[124:125] op_sel_hi:[1,0,1]
	v_pk_fma_f32 v[118:119], v[122:123], v[118:119], v[124:125] neg_lo:[0,0,1] neg_hi:[0,0,1]
	v_mov_b32_e32 v119, v127
	s_cbranch_execz .LBB120_576
	s_branch .LBB120_577
.LBB120_575:
                                        ; implicit-def: $vgpr118_vgpr119
.LBB120_576:
	ds_load_b64 v[118:119], v1
.LBB120_577:
	s_and_saveexec_b32 s5, s0
	s_cbranch_execz .LBB120_579
; %bb.578:
	scratch_load_b64 v[122:123], off, off offset:8
	v_mov_b32_e32 v121, 0
	ds_load_b64 v[124:125], v121 offset:472
	s_wait_loadcnt_dscnt 0x0
	v_pk_mul_f32 v[126:127], v[124:125], v[122:123] op_sel:[1,1] op_sel_hi:[0,1]
	s_delay_alu instid0(VALU_DEP_1) | instskip(SKIP_1) | instid1(VALU_DEP_2)
	v_pk_fma_f32 v[128:129], v[124:125], v[122:123], v[126:127] op_sel_hi:[1,0,1]
	v_pk_fma_f32 v[122:123], v[124:125], v[122:123], v[126:127] neg_lo:[0,0,1] neg_hi:[0,0,1]
	v_mov_b32_e32 v123, v129
	s_delay_alu instid0(VALU_DEP_1)
	v_pk_add_f32 v[118:119], v[118:119], v[122:123]
.LBB120_579:
	s_or_b32 exec_lo, exec_lo, s5
	v_mov_b32_e32 v121, 0
	ds_load_b64 v[122:123], v121 offset:16
	s_wait_dscnt 0x0
	v_pk_mul_f32 v[124:125], v[118:119], v[122:123] op_sel:[1,1] op_sel_hi:[0,1]
	s_delay_alu instid0(VALU_DEP_1) | instskip(SKIP_1) | instid1(VALU_DEP_2)
	v_pk_fma_f32 v[126:127], v[118:119], v[122:123], v[124:125] op_sel_hi:[1,0,1]
	v_pk_fma_f32 v[118:119], v[118:119], v[122:123], v[124:125] neg_lo:[0,0,1] neg_hi:[0,0,1]
	v_mov_b32_e32 v119, v127
	scratch_store_b64 off, v[118:119], off offset:16
.LBB120_580:
	s_wait_xcnt 0x0
	s_or_b32 exec_lo, exec_lo, s4
	scratch_load_b64 v[118:119], off, off offset:24
	s_mov_b32 s4, exec_lo
	s_wait_loadcnt 0x0
	ds_store_b64 v1, v[118:119]
	s_wait_storecnt_dscnt 0x0
	s_barrier_signal -1
	s_barrier_wait -1
	s_wait_xcnt 0x0
	v_cmpx_gt_u32_e32 3, v0
	s_cbranch_execz .LBB120_590
; %bb.581:
	v_cmp_ne_u32_e32 vcc_lo, 1, v120
	s_cbranch_vccnz .LBB120_583
; %bb.582:
	scratch_load_b64 v[118:119], v59, off
	ds_load_b64 v[122:123], v1
	s_wait_loadcnt_dscnt 0x0
	v_pk_mul_f32 v[124:125], v[122:123], v[118:119] op_sel:[1,1] op_sel_hi:[0,1]
	s_delay_alu instid0(VALU_DEP_1) | instskip(SKIP_1) | instid1(VALU_DEP_2)
	v_pk_fma_f32 v[126:127], v[122:123], v[118:119], v[124:125] op_sel_hi:[1,0,1]
	v_pk_fma_f32 v[118:119], v[122:123], v[118:119], v[124:125] neg_lo:[0,0,1] neg_hi:[0,0,1]
	v_mov_b32_e32 v119, v127
	s_cbranch_execz .LBB120_584
	s_branch .LBB120_585
.LBB120_583:
                                        ; implicit-def: $vgpr118_vgpr119
.LBB120_584:
	ds_load_b64 v[118:119], v1
.LBB120_585:
	s_mov_b32 s5, exec_lo
	v_cmpx_ne_u32_e32 2, v0
	s_cbranch_execz .LBB120_589
; %bb.586:
	scratch_load_b64 v[122:123], v59, off offset:8
	ds_load_b64 v[124:125], v1 offset:8
	s_wait_loadcnt_dscnt 0x0
	v_pk_mul_f32 v[126:127], v[124:125], v[122:123] op_sel:[1,1] op_sel_hi:[0,1]
	s_delay_alu instid0(VALU_DEP_1) | instskip(SKIP_1) | instid1(VALU_DEP_2)
	v_pk_fma_f32 v[128:129], v[124:125], v[122:123], v[126:127] op_sel_hi:[1,0,1]
	v_pk_fma_f32 v[122:123], v[124:125], v[122:123], v[126:127] neg_lo:[0,0,1] neg_hi:[0,0,1]
	v_mov_b32_e32 v123, v129
	s_delay_alu instid0(VALU_DEP_1)
	v_pk_add_f32 v[118:119], v[118:119], v[122:123]
	s_and_saveexec_b32 s6, s0
	s_cbranch_execz .LBB120_588
; %bb.587:
	scratch_load_b64 v[122:123], off, off offset:16
	v_mov_b32_e32 v121, 0
	ds_load_b64 v[124:125], v121 offset:480
	s_wait_loadcnt_dscnt 0x0
	v_pk_mul_f32 v[126:127], v[124:125], v[122:123] op_sel:[1,1] op_sel_hi:[0,1]
	s_delay_alu instid0(VALU_DEP_1) | instskip(SKIP_1) | instid1(VALU_DEP_2)
	v_pk_fma_f32 v[128:129], v[124:125], v[122:123], v[126:127] op_sel_hi:[1,0,1]
	v_pk_fma_f32 v[122:123], v[124:125], v[122:123], v[126:127] neg_lo:[0,0,1] neg_hi:[0,0,1]
	v_mov_b32_e32 v123, v129
	s_delay_alu instid0(VALU_DEP_1)
	v_pk_add_f32 v[118:119], v[118:119], v[122:123]
.LBB120_588:
	s_or_b32 exec_lo, exec_lo, s6
.LBB120_589:
	s_delay_alu instid0(SALU_CYCLE_1) | instskip(SKIP_4) | instid1(VALU_DEP_1)
	s_or_b32 exec_lo, exec_lo, s5
	v_mov_b32_e32 v121, 0
	ds_load_b64 v[122:123], v121 offset:24
	s_wait_dscnt 0x0
	v_pk_mul_f32 v[124:125], v[118:119], v[122:123] op_sel:[1,1] op_sel_hi:[0,1]
	v_pk_fma_f32 v[126:127], v[118:119], v[122:123], v[124:125] op_sel_hi:[1,0,1]
	v_pk_fma_f32 v[118:119], v[118:119], v[122:123], v[124:125] neg_lo:[0,0,1] neg_hi:[0,0,1]
	s_delay_alu instid0(VALU_DEP_2)
	v_mov_b32_e32 v119, v127
	scratch_store_b64 off, v[118:119], off offset:24
.LBB120_590:
	s_wait_xcnt 0x0
	s_or_b32 exec_lo, exec_lo, s4
	scratch_load_b64 v[118:119], off, off offset:32
	s_mov_b32 s0, exec_lo
	s_wait_loadcnt 0x0
	ds_store_b64 v1, v[118:119]
	s_wait_storecnt_dscnt 0x0
	s_barrier_signal -1
	s_barrier_wait -1
	s_wait_xcnt 0x0
	v_cmpx_gt_u32_e32 4, v0
	s_cbranch_execz .LBB120_600
; %bb.591:
	v_cmp_ne_u32_e32 vcc_lo, 1, v120
	s_cbranch_vccnz .LBB120_593
; %bb.592:
	scratch_load_b64 v[118:119], v59, off
	ds_load_b64 v[122:123], v1
	s_wait_loadcnt_dscnt 0x0
	v_pk_mul_f32 v[124:125], v[122:123], v[118:119] op_sel:[1,1] op_sel_hi:[0,1]
	s_delay_alu instid0(VALU_DEP_1) | instskip(SKIP_1) | instid1(VALU_DEP_2)
	v_pk_fma_f32 v[126:127], v[122:123], v[118:119], v[124:125] op_sel_hi:[1,0,1]
	v_pk_fma_f32 v[118:119], v[122:123], v[118:119], v[124:125] neg_lo:[0,0,1] neg_hi:[0,0,1]
	v_mov_b32_e32 v119, v127
	s_cbranch_execz .LBB120_594
	s_branch .LBB120_595
.LBB120_593:
                                        ; implicit-def: $vgpr118_vgpr119
.LBB120_594:
	ds_load_b64 v[118:119], v1
.LBB120_595:
	s_mov_b32 s4, exec_lo
	v_cmpx_ne_u32_e32 3, v0
	s_cbranch_execz .LBB120_599
; %bb.596:
	v_add_nc_u32_e32 v121, 0x1d8, v58
	v_add3_u32 v122, 0, v58, 8
	v_mov_b32_e32 v123, v0
	s_mov_b32 s5, 0
.LBB120_597:                            ; =>This Inner Loop Header: Depth=1
	scratch_load_b64 v[124:125], v122, off
	ds_load_b64 v[126:127], v121
	s_wait_xcnt 0x0
	v_dual_add_nc_u32 v121, 8, v121 :: v_dual_add_nc_u32 v122, 8, v122
	s_wait_loadcnt_dscnt 0x0
	v_pk_mul_f32 v[128:129], v[126:127], v[124:125] op_sel:[1,1] op_sel_hi:[0,1]
	s_delay_alu instid0(VALU_DEP_1) | instskip(SKIP_2) | instid1(VALU_DEP_3)
	v_pk_fma_f32 v[130:131], v[126:127], v[124:125], v[128:129] op_sel_hi:[1,0,1]
	v_add_nc_u32_e32 v123, 1, v123
	v_pk_fma_f32 v[124:125], v[126:127], v[124:125], v[128:129] neg_lo:[0,0,1] neg_hi:[0,0,1]
	v_mov_b32_e32 v125, v131
	s_delay_alu instid0(VALU_DEP_3) | instskip(NEXT) | instid1(VALU_DEP_2)
	v_cmp_lt_u32_e32 vcc_lo, 2, v123
	v_pk_add_f32 v[118:119], v[118:119], v[124:125]
	s_or_b32 s5, vcc_lo, s5
	s_delay_alu instid0(SALU_CYCLE_1)
	s_and_not1_b32 exec_lo, exec_lo, s5
	s_cbranch_execnz .LBB120_597
; %bb.598:
	s_or_b32 exec_lo, exec_lo, s5
.LBB120_599:
	s_delay_alu instid0(SALU_CYCLE_1) | instskip(SKIP_4) | instid1(VALU_DEP_1)
	s_or_b32 exec_lo, exec_lo, s4
	v_mov_b32_e32 v121, 0
	ds_load_b64 v[122:123], v121 offset:32
	s_wait_dscnt 0x0
	v_pk_mul_f32 v[124:125], v[118:119], v[122:123] op_sel:[1,1] op_sel_hi:[0,1]
	v_pk_fma_f32 v[126:127], v[118:119], v[122:123], v[124:125] op_sel_hi:[1,0,1]
	v_pk_fma_f32 v[118:119], v[118:119], v[122:123], v[124:125] neg_lo:[0,0,1] neg_hi:[0,0,1]
	s_delay_alu instid0(VALU_DEP_2)
	v_mov_b32_e32 v119, v127
	scratch_store_b64 off, v[118:119], off offset:32
.LBB120_600:
	s_wait_xcnt 0x0
	s_or_b32 exec_lo, exec_lo, s0
	scratch_load_b64 v[118:119], off, off offset:40
	s_mov_b32 s0, exec_lo
	s_wait_loadcnt 0x0
	ds_store_b64 v1, v[118:119]
	s_wait_storecnt_dscnt 0x0
	s_barrier_signal -1
	s_barrier_wait -1
	s_wait_xcnt 0x0
	v_cmpx_gt_u32_e32 5, v0
	s_cbranch_execz .LBB120_610
; %bb.601:
	v_cmp_ne_u32_e32 vcc_lo, 1, v120
	s_cbranch_vccnz .LBB120_603
; %bb.602:
	scratch_load_b64 v[118:119], v59, off
	ds_load_b64 v[122:123], v1
	s_wait_loadcnt_dscnt 0x0
	v_pk_mul_f32 v[124:125], v[122:123], v[118:119] op_sel:[1,1] op_sel_hi:[0,1]
	s_delay_alu instid0(VALU_DEP_1) | instskip(SKIP_1) | instid1(VALU_DEP_2)
	v_pk_fma_f32 v[126:127], v[122:123], v[118:119], v[124:125] op_sel_hi:[1,0,1]
	v_pk_fma_f32 v[118:119], v[122:123], v[118:119], v[124:125] neg_lo:[0,0,1] neg_hi:[0,0,1]
	v_mov_b32_e32 v119, v127
	s_cbranch_execz .LBB120_604
	s_branch .LBB120_605
.LBB120_603:
                                        ; implicit-def: $vgpr118_vgpr119
.LBB120_604:
	ds_load_b64 v[118:119], v1
.LBB120_605:
	s_mov_b32 s4, exec_lo
	v_cmpx_ne_u32_e32 4, v0
	s_cbranch_execz .LBB120_609
; %bb.606:
	v_add_nc_u32_e32 v121, 0x1d8, v58
	v_add3_u32 v122, 0, v58, 8
	v_mov_b32_e32 v123, v0
	s_mov_b32 s5, 0
.LBB120_607:                            ; =>This Inner Loop Header: Depth=1
	scratch_load_b64 v[124:125], v122, off
	ds_load_b64 v[126:127], v121
	s_wait_xcnt 0x0
	v_dual_add_nc_u32 v121, 8, v121 :: v_dual_add_nc_u32 v122, 8, v122
	s_wait_loadcnt_dscnt 0x0
	v_pk_mul_f32 v[128:129], v[126:127], v[124:125] op_sel:[1,1] op_sel_hi:[0,1]
	s_delay_alu instid0(VALU_DEP_1) | instskip(SKIP_2) | instid1(VALU_DEP_3)
	v_pk_fma_f32 v[130:131], v[126:127], v[124:125], v[128:129] op_sel_hi:[1,0,1]
	v_add_nc_u32_e32 v123, 1, v123
	v_pk_fma_f32 v[124:125], v[126:127], v[124:125], v[128:129] neg_lo:[0,0,1] neg_hi:[0,0,1]
	v_mov_b32_e32 v125, v131
	s_delay_alu instid0(VALU_DEP_3) | instskip(NEXT) | instid1(VALU_DEP_2)
	v_cmp_lt_u32_e32 vcc_lo, 3, v123
	v_pk_add_f32 v[118:119], v[118:119], v[124:125]
	s_or_b32 s5, vcc_lo, s5
	s_delay_alu instid0(SALU_CYCLE_1)
	s_and_not1_b32 exec_lo, exec_lo, s5
	s_cbranch_execnz .LBB120_607
; %bb.608:
	s_or_b32 exec_lo, exec_lo, s5
.LBB120_609:
	s_delay_alu instid0(SALU_CYCLE_1) | instskip(SKIP_4) | instid1(VALU_DEP_1)
	s_or_b32 exec_lo, exec_lo, s4
	v_mov_b32_e32 v121, 0
	ds_load_b64 v[122:123], v121 offset:40
	s_wait_dscnt 0x0
	v_pk_mul_f32 v[124:125], v[118:119], v[122:123] op_sel:[1,1] op_sel_hi:[0,1]
	v_pk_fma_f32 v[126:127], v[118:119], v[122:123], v[124:125] op_sel_hi:[1,0,1]
	v_pk_fma_f32 v[118:119], v[118:119], v[122:123], v[124:125] neg_lo:[0,0,1] neg_hi:[0,0,1]
	s_delay_alu instid0(VALU_DEP_2)
	v_mov_b32_e32 v119, v127
	scratch_store_b64 off, v[118:119], off offset:40
.LBB120_610:
	s_wait_xcnt 0x0
	s_or_b32 exec_lo, exec_lo, s0
	scratch_load_b64 v[118:119], off, off offset:48
	s_mov_b32 s0, exec_lo
	s_wait_loadcnt 0x0
	ds_store_b64 v1, v[118:119]
	s_wait_storecnt_dscnt 0x0
	s_barrier_signal -1
	s_barrier_wait -1
	s_wait_xcnt 0x0
	v_cmpx_gt_u32_e32 6, v0
	s_cbranch_execz .LBB120_620
; %bb.611:
	v_cmp_ne_u32_e32 vcc_lo, 1, v120
	s_cbranch_vccnz .LBB120_613
; %bb.612:
	scratch_load_b64 v[118:119], v59, off
	ds_load_b64 v[122:123], v1
	s_wait_loadcnt_dscnt 0x0
	v_pk_mul_f32 v[124:125], v[122:123], v[118:119] op_sel:[1,1] op_sel_hi:[0,1]
	s_delay_alu instid0(VALU_DEP_1) | instskip(SKIP_1) | instid1(VALU_DEP_2)
	v_pk_fma_f32 v[126:127], v[122:123], v[118:119], v[124:125] op_sel_hi:[1,0,1]
	v_pk_fma_f32 v[118:119], v[122:123], v[118:119], v[124:125] neg_lo:[0,0,1] neg_hi:[0,0,1]
	v_mov_b32_e32 v119, v127
	s_cbranch_execz .LBB120_614
	s_branch .LBB120_615
.LBB120_613:
                                        ; implicit-def: $vgpr118_vgpr119
.LBB120_614:
	ds_load_b64 v[118:119], v1
.LBB120_615:
	s_mov_b32 s4, exec_lo
	v_cmpx_ne_u32_e32 5, v0
	s_cbranch_execz .LBB120_619
; %bb.616:
	v_add_nc_u32_e32 v121, 0x1d8, v58
	v_add3_u32 v122, 0, v58, 8
	v_mov_b32_e32 v123, v0
	s_mov_b32 s5, 0
.LBB120_617:                            ; =>This Inner Loop Header: Depth=1
	scratch_load_b64 v[124:125], v122, off
	ds_load_b64 v[126:127], v121
	s_wait_xcnt 0x0
	v_dual_add_nc_u32 v121, 8, v121 :: v_dual_add_nc_u32 v122, 8, v122
	s_wait_loadcnt_dscnt 0x0
	v_pk_mul_f32 v[128:129], v[126:127], v[124:125] op_sel:[1,1] op_sel_hi:[0,1]
	s_delay_alu instid0(VALU_DEP_1) | instskip(SKIP_2) | instid1(VALU_DEP_3)
	v_pk_fma_f32 v[130:131], v[126:127], v[124:125], v[128:129] op_sel_hi:[1,0,1]
	v_add_nc_u32_e32 v123, 1, v123
	v_pk_fma_f32 v[124:125], v[126:127], v[124:125], v[128:129] neg_lo:[0,0,1] neg_hi:[0,0,1]
	v_mov_b32_e32 v125, v131
	s_delay_alu instid0(VALU_DEP_3) | instskip(NEXT) | instid1(VALU_DEP_2)
	v_cmp_lt_u32_e32 vcc_lo, 4, v123
	v_pk_add_f32 v[118:119], v[118:119], v[124:125]
	s_or_b32 s5, vcc_lo, s5
	s_delay_alu instid0(SALU_CYCLE_1)
	s_and_not1_b32 exec_lo, exec_lo, s5
	s_cbranch_execnz .LBB120_617
; %bb.618:
	s_or_b32 exec_lo, exec_lo, s5
.LBB120_619:
	s_delay_alu instid0(SALU_CYCLE_1) | instskip(SKIP_4) | instid1(VALU_DEP_1)
	s_or_b32 exec_lo, exec_lo, s4
	v_mov_b32_e32 v121, 0
	ds_load_b64 v[122:123], v121 offset:48
	s_wait_dscnt 0x0
	v_pk_mul_f32 v[124:125], v[118:119], v[122:123] op_sel:[1,1] op_sel_hi:[0,1]
	v_pk_fma_f32 v[126:127], v[118:119], v[122:123], v[124:125] op_sel_hi:[1,0,1]
	v_pk_fma_f32 v[118:119], v[118:119], v[122:123], v[124:125] neg_lo:[0,0,1] neg_hi:[0,0,1]
	s_delay_alu instid0(VALU_DEP_2)
	v_mov_b32_e32 v119, v127
	scratch_store_b64 off, v[118:119], off offset:48
.LBB120_620:
	s_wait_xcnt 0x0
	s_or_b32 exec_lo, exec_lo, s0
	scratch_load_b64 v[118:119], off, off offset:56
	s_mov_b32 s0, exec_lo
	s_wait_loadcnt 0x0
	ds_store_b64 v1, v[118:119]
	s_wait_storecnt_dscnt 0x0
	s_barrier_signal -1
	s_barrier_wait -1
	s_wait_xcnt 0x0
	v_cmpx_gt_u32_e32 7, v0
	s_cbranch_execz .LBB120_630
; %bb.621:
	v_cmp_ne_u32_e32 vcc_lo, 1, v120
	s_cbranch_vccnz .LBB120_623
; %bb.622:
	scratch_load_b64 v[118:119], v59, off
	ds_load_b64 v[122:123], v1
	s_wait_loadcnt_dscnt 0x0
	v_pk_mul_f32 v[124:125], v[122:123], v[118:119] op_sel:[1,1] op_sel_hi:[0,1]
	s_delay_alu instid0(VALU_DEP_1) | instskip(SKIP_1) | instid1(VALU_DEP_2)
	v_pk_fma_f32 v[126:127], v[122:123], v[118:119], v[124:125] op_sel_hi:[1,0,1]
	v_pk_fma_f32 v[118:119], v[122:123], v[118:119], v[124:125] neg_lo:[0,0,1] neg_hi:[0,0,1]
	v_mov_b32_e32 v119, v127
	s_cbranch_execz .LBB120_624
	s_branch .LBB120_625
.LBB120_623:
                                        ; implicit-def: $vgpr118_vgpr119
.LBB120_624:
	ds_load_b64 v[118:119], v1
.LBB120_625:
	s_mov_b32 s4, exec_lo
	v_cmpx_ne_u32_e32 6, v0
	s_cbranch_execz .LBB120_629
; %bb.626:
	v_add_nc_u32_e32 v121, 0x1d8, v58
	v_add3_u32 v122, 0, v58, 8
	v_mov_b32_e32 v123, v0
	s_mov_b32 s5, 0
.LBB120_627:                            ; =>This Inner Loop Header: Depth=1
	scratch_load_b64 v[124:125], v122, off
	ds_load_b64 v[126:127], v121
	s_wait_xcnt 0x0
	v_dual_add_nc_u32 v121, 8, v121 :: v_dual_add_nc_u32 v122, 8, v122
	s_wait_loadcnt_dscnt 0x0
	v_pk_mul_f32 v[128:129], v[126:127], v[124:125] op_sel:[1,1] op_sel_hi:[0,1]
	s_delay_alu instid0(VALU_DEP_1) | instskip(SKIP_2) | instid1(VALU_DEP_3)
	v_pk_fma_f32 v[130:131], v[126:127], v[124:125], v[128:129] op_sel_hi:[1,0,1]
	v_add_nc_u32_e32 v123, 1, v123
	v_pk_fma_f32 v[124:125], v[126:127], v[124:125], v[128:129] neg_lo:[0,0,1] neg_hi:[0,0,1]
	v_mov_b32_e32 v125, v131
	s_delay_alu instid0(VALU_DEP_3) | instskip(NEXT) | instid1(VALU_DEP_2)
	v_cmp_lt_u32_e32 vcc_lo, 5, v123
	v_pk_add_f32 v[118:119], v[118:119], v[124:125]
	s_or_b32 s5, vcc_lo, s5
	s_delay_alu instid0(SALU_CYCLE_1)
	s_and_not1_b32 exec_lo, exec_lo, s5
	s_cbranch_execnz .LBB120_627
; %bb.628:
	s_or_b32 exec_lo, exec_lo, s5
.LBB120_629:
	s_delay_alu instid0(SALU_CYCLE_1) | instskip(SKIP_4) | instid1(VALU_DEP_1)
	s_or_b32 exec_lo, exec_lo, s4
	v_mov_b32_e32 v121, 0
	ds_load_b64 v[122:123], v121 offset:56
	s_wait_dscnt 0x0
	v_pk_mul_f32 v[124:125], v[118:119], v[122:123] op_sel:[1,1] op_sel_hi:[0,1]
	v_pk_fma_f32 v[126:127], v[118:119], v[122:123], v[124:125] op_sel_hi:[1,0,1]
	v_pk_fma_f32 v[118:119], v[118:119], v[122:123], v[124:125] neg_lo:[0,0,1] neg_hi:[0,0,1]
	s_delay_alu instid0(VALU_DEP_2)
	v_mov_b32_e32 v119, v127
	scratch_store_b64 off, v[118:119], off offset:56
.LBB120_630:
	s_wait_xcnt 0x0
	s_or_b32 exec_lo, exec_lo, s0
	scratch_load_b64 v[118:119], off, off offset:64
	s_mov_b32 s0, exec_lo
	s_wait_loadcnt 0x0
	ds_store_b64 v1, v[118:119]
	s_wait_storecnt_dscnt 0x0
	s_barrier_signal -1
	s_barrier_wait -1
	s_wait_xcnt 0x0
	v_cmpx_gt_u32_e32 8, v0
	s_cbranch_execz .LBB120_640
; %bb.631:
	v_cmp_ne_u32_e32 vcc_lo, 1, v120
	s_cbranch_vccnz .LBB120_633
; %bb.632:
	scratch_load_b64 v[118:119], v59, off
	ds_load_b64 v[122:123], v1
	s_wait_loadcnt_dscnt 0x0
	v_pk_mul_f32 v[124:125], v[122:123], v[118:119] op_sel:[1,1] op_sel_hi:[0,1]
	s_delay_alu instid0(VALU_DEP_1) | instskip(SKIP_1) | instid1(VALU_DEP_2)
	v_pk_fma_f32 v[126:127], v[122:123], v[118:119], v[124:125] op_sel_hi:[1,0,1]
	v_pk_fma_f32 v[118:119], v[122:123], v[118:119], v[124:125] neg_lo:[0,0,1] neg_hi:[0,0,1]
	v_mov_b32_e32 v119, v127
	s_cbranch_execz .LBB120_634
	s_branch .LBB120_635
.LBB120_633:
                                        ; implicit-def: $vgpr118_vgpr119
.LBB120_634:
	ds_load_b64 v[118:119], v1
.LBB120_635:
	s_mov_b32 s4, exec_lo
	v_cmpx_ne_u32_e32 7, v0
	s_cbranch_execz .LBB120_639
; %bb.636:
	v_add_nc_u32_e32 v121, 0x1d8, v58
	v_add3_u32 v122, 0, v58, 8
	v_mov_b32_e32 v123, v0
	s_mov_b32 s5, 0
.LBB120_637:                            ; =>This Inner Loop Header: Depth=1
	scratch_load_b64 v[124:125], v122, off
	ds_load_b64 v[126:127], v121
	s_wait_xcnt 0x0
	v_dual_add_nc_u32 v121, 8, v121 :: v_dual_add_nc_u32 v122, 8, v122
	s_wait_loadcnt_dscnt 0x0
	v_pk_mul_f32 v[128:129], v[126:127], v[124:125] op_sel:[1,1] op_sel_hi:[0,1]
	s_delay_alu instid0(VALU_DEP_1) | instskip(SKIP_2) | instid1(VALU_DEP_3)
	v_pk_fma_f32 v[130:131], v[126:127], v[124:125], v[128:129] op_sel_hi:[1,0,1]
	v_add_nc_u32_e32 v123, 1, v123
	v_pk_fma_f32 v[124:125], v[126:127], v[124:125], v[128:129] neg_lo:[0,0,1] neg_hi:[0,0,1]
	v_mov_b32_e32 v125, v131
	s_delay_alu instid0(VALU_DEP_3) | instskip(NEXT) | instid1(VALU_DEP_2)
	v_cmp_lt_u32_e32 vcc_lo, 6, v123
	v_pk_add_f32 v[118:119], v[118:119], v[124:125]
	s_or_b32 s5, vcc_lo, s5
	s_delay_alu instid0(SALU_CYCLE_1)
	s_and_not1_b32 exec_lo, exec_lo, s5
	s_cbranch_execnz .LBB120_637
; %bb.638:
	s_or_b32 exec_lo, exec_lo, s5
.LBB120_639:
	s_delay_alu instid0(SALU_CYCLE_1) | instskip(SKIP_4) | instid1(VALU_DEP_1)
	s_or_b32 exec_lo, exec_lo, s4
	v_mov_b32_e32 v121, 0
	ds_load_b64 v[122:123], v121 offset:64
	s_wait_dscnt 0x0
	v_pk_mul_f32 v[124:125], v[118:119], v[122:123] op_sel:[1,1] op_sel_hi:[0,1]
	v_pk_fma_f32 v[126:127], v[118:119], v[122:123], v[124:125] op_sel_hi:[1,0,1]
	v_pk_fma_f32 v[118:119], v[118:119], v[122:123], v[124:125] neg_lo:[0,0,1] neg_hi:[0,0,1]
	s_delay_alu instid0(VALU_DEP_2)
	v_mov_b32_e32 v119, v127
	scratch_store_b64 off, v[118:119], off offset:64
.LBB120_640:
	s_wait_xcnt 0x0
	s_or_b32 exec_lo, exec_lo, s0
	scratch_load_b64 v[118:119], off, off offset:72
	s_mov_b32 s0, exec_lo
	s_wait_loadcnt 0x0
	ds_store_b64 v1, v[118:119]
	s_wait_storecnt_dscnt 0x0
	s_barrier_signal -1
	s_barrier_wait -1
	s_wait_xcnt 0x0
	v_cmpx_gt_u32_e32 9, v0
	s_cbranch_execz .LBB120_650
; %bb.641:
	v_cmp_ne_u32_e32 vcc_lo, 1, v120
	s_cbranch_vccnz .LBB120_643
; %bb.642:
	scratch_load_b64 v[118:119], v59, off
	ds_load_b64 v[122:123], v1
	s_wait_loadcnt_dscnt 0x0
	v_pk_mul_f32 v[124:125], v[122:123], v[118:119] op_sel:[1,1] op_sel_hi:[0,1]
	s_delay_alu instid0(VALU_DEP_1) | instskip(SKIP_1) | instid1(VALU_DEP_2)
	v_pk_fma_f32 v[126:127], v[122:123], v[118:119], v[124:125] op_sel_hi:[1,0,1]
	v_pk_fma_f32 v[118:119], v[122:123], v[118:119], v[124:125] neg_lo:[0,0,1] neg_hi:[0,0,1]
	v_mov_b32_e32 v119, v127
	s_cbranch_execz .LBB120_644
	s_branch .LBB120_645
.LBB120_643:
                                        ; implicit-def: $vgpr118_vgpr119
.LBB120_644:
	ds_load_b64 v[118:119], v1
.LBB120_645:
	s_mov_b32 s4, exec_lo
	v_cmpx_ne_u32_e32 8, v0
	s_cbranch_execz .LBB120_649
; %bb.646:
	v_add_nc_u32_e32 v121, 0x1d8, v58
	v_add3_u32 v122, 0, v58, 8
	v_mov_b32_e32 v123, v0
	s_mov_b32 s5, 0
.LBB120_647:                            ; =>This Inner Loop Header: Depth=1
	scratch_load_b64 v[124:125], v122, off
	ds_load_b64 v[126:127], v121
	s_wait_xcnt 0x0
	v_dual_add_nc_u32 v121, 8, v121 :: v_dual_add_nc_u32 v122, 8, v122
	s_wait_loadcnt_dscnt 0x0
	v_pk_mul_f32 v[128:129], v[126:127], v[124:125] op_sel:[1,1] op_sel_hi:[0,1]
	s_delay_alu instid0(VALU_DEP_1) | instskip(SKIP_2) | instid1(VALU_DEP_3)
	v_pk_fma_f32 v[130:131], v[126:127], v[124:125], v[128:129] op_sel_hi:[1,0,1]
	v_add_nc_u32_e32 v123, 1, v123
	v_pk_fma_f32 v[124:125], v[126:127], v[124:125], v[128:129] neg_lo:[0,0,1] neg_hi:[0,0,1]
	v_mov_b32_e32 v125, v131
	s_delay_alu instid0(VALU_DEP_3) | instskip(NEXT) | instid1(VALU_DEP_2)
	v_cmp_lt_u32_e32 vcc_lo, 7, v123
	v_pk_add_f32 v[118:119], v[118:119], v[124:125]
	s_or_b32 s5, vcc_lo, s5
	s_delay_alu instid0(SALU_CYCLE_1)
	s_and_not1_b32 exec_lo, exec_lo, s5
	s_cbranch_execnz .LBB120_647
; %bb.648:
	s_or_b32 exec_lo, exec_lo, s5
.LBB120_649:
	s_delay_alu instid0(SALU_CYCLE_1) | instskip(SKIP_4) | instid1(VALU_DEP_1)
	s_or_b32 exec_lo, exec_lo, s4
	v_mov_b32_e32 v121, 0
	ds_load_b64 v[122:123], v121 offset:72
	s_wait_dscnt 0x0
	v_pk_mul_f32 v[124:125], v[118:119], v[122:123] op_sel:[1,1] op_sel_hi:[0,1]
	v_pk_fma_f32 v[126:127], v[118:119], v[122:123], v[124:125] op_sel_hi:[1,0,1]
	v_pk_fma_f32 v[118:119], v[118:119], v[122:123], v[124:125] neg_lo:[0,0,1] neg_hi:[0,0,1]
	s_delay_alu instid0(VALU_DEP_2)
	v_mov_b32_e32 v119, v127
	scratch_store_b64 off, v[118:119], off offset:72
.LBB120_650:
	s_wait_xcnt 0x0
	s_or_b32 exec_lo, exec_lo, s0
	scratch_load_b64 v[118:119], off, off offset:80
	s_mov_b32 s0, exec_lo
	s_wait_loadcnt 0x0
	ds_store_b64 v1, v[118:119]
	s_wait_storecnt_dscnt 0x0
	s_barrier_signal -1
	s_barrier_wait -1
	s_wait_xcnt 0x0
	v_cmpx_gt_u32_e32 10, v0
	s_cbranch_execz .LBB120_660
; %bb.651:
	v_cmp_ne_u32_e32 vcc_lo, 1, v120
	s_cbranch_vccnz .LBB120_653
; %bb.652:
	scratch_load_b64 v[118:119], v59, off
	ds_load_b64 v[122:123], v1
	s_wait_loadcnt_dscnt 0x0
	v_pk_mul_f32 v[124:125], v[122:123], v[118:119] op_sel:[1,1] op_sel_hi:[0,1]
	s_delay_alu instid0(VALU_DEP_1) | instskip(SKIP_1) | instid1(VALU_DEP_2)
	v_pk_fma_f32 v[126:127], v[122:123], v[118:119], v[124:125] op_sel_hi:[1,0,1]
	v_pk_fma_f32 v[118:119], v[122:123], v[118:119], v[124:125] neg_lo:[0,0,1] neg_hi:[0,0,1]
	v_mov_b32_e32 v119, v127
	s_cbranch_execz .LBB120_654
	s_branch .LBB120_655
.LBB120_653:
                                        ; implicit-def: $vgpr118_vgpr119
.LBB120_654:
	ds_load_b64 v[118:119], v1
.LBB120_655:
	s_mov_b32 s4, exec_lo
	v_cmpx_ne_u32_e32 9, v0
	s_cbranch_execz .LBB120_659
; %bb.656:
	v_add_nc_u32_e32 v121, 0x1d8, v58
	v_add3_u32 v122, 0, v58, 8
	v_mov_b32_e32 v123, v0
	s_mov_b32 s5, 0
.LBB120_657:                            ; =>This Inner Loop Header: Depth=1
	scratch_load_b64 v[124:125], v122, off
	ds_load_b64 v[126:127], v121
	s_wait_xcnt 0x0
	v_dual_add_nc_u32 v121, 8, v121 :: v_dual_add_nc_u32 v122, 8, v122
	s_wait_loadcnt_dscnt 0x0
	v_pk_mul_f32 v[128:129], v[126:127], v[124:125] op_sel:[1,1] op_sel_hi:[0,1]
	s_delay_alu instid0(VALU_DEP_1) | instskip(SKIP_2) | instid1(VALU_DEP_3)
	v_pk_fma_f32 v[130:131], v[126:127], v[124:125], v[128:129] op_sel_hi:[1,0,1]
	v_add_nc_u32_e32 v123, 1, v123
	v_pk_fma_f32 v[124:125], v[126:127], v[124:125], v[128:129] neg_lo:[0,0,1] neg_hi:[0,0,1]
	v_mov_b32_e32 v125, v131
	s_delay_alu instid0(VALU_DEP_3) | instskip(NEXT) | instid1(VALU_DEP_2)
	v_cmp_lt_u32_e32 vcc_lo, 8, v123
	v_pk_add_f32 v[118:119], v[118:119], v[124:125]
	s_or_b32 s5, vcc_lo, s5
	s_delay_alu instid0(SALU_CYCLE_1)
	s_and_not1_b32 exec_lo, exec_lo, s5
	s_cbranch_execnz .LBB120_657
; %bb.658:
	s_or_b32 exec_lo, exec_lo, s5
.LBB120_659:
	s_delay_alu instid0(SALU_CYCLE_1) | instskip(SKIP_4) | instid1(VALU_DEP_1)
	s_or_b32 exec_lo, exec_lo, s4
	v_mov_b32_e32 v121, 0
	ds_load_b64 v[122:123], v121 offset:80
	s_wait_dscnt 0x0
	v_pk_mul_f32 v[124:125], v[118:119], v[122:123] op_sel:[1,1] op_sel_hi:[0,1]
	v_pk_fma_f32 v[126:127], v[118:119], v[122:123], v[124:125] op_sel_hi:[1,0,1]
	v_pk_fma_f32 v[118:119], v[118:119], v[122:123], v[124:125] neg_lo:[0,0,1] neg_hi:[0,0,1]
	s_delay_alu instid0(VALU_DEP_2)
	v_mov_b32_e32 v119, v127
	scratch_store_b64 off, v[118:119], off offset:80
.LBB120_660:
	s_wait_xcnt 0x0
	s_or_b32 exec_lo, exec_lo, s0
	scratch_load_b64 v[118:119], off, off offset:88
	s_mov_b32 s0, exec_lo
	s_wait_loadcnt 0x0
	ds_store_b64 v1, v[118:119]
	s_wait_storecnt_dscnt 0x0
	s_barrier_signal -1
	s_barrier_wait -1
	s_wait_xcnt 0x0
	v_cmpx_gt_u32_e32 11, v0
	s_cbranch_execz .LBB120_670
; %bb.661:
	v_cmp_ne_u32_e32 vcc_lo, 1, v120
	s_cbranch_vccnz .LBB120_663
; %bb.662:
	scratch_load_b64 v[118:119], v59, off
	ds_load_b64 v[122:123], v1
	s_wait_loadcnt_dscnt 0x0
	v_pk_mul_f32 v[124:125], v[122:123], v[118:119] op_sel:[1,1] op_sel_hi:[0,1]
	s_delay_alu instid0(VALU_DEP_1) | instskip(SKIP_1) | instid1(VALU_DEP_2)
	v_pk_fma_f32 v[126:127], v[122:123], v[118:119], v[124:125] op_sel_hi:[1,0,1]
	v_pk_fma_f32 v[118:119], v[122:123], v[118:119], v[124:125] neg_lo:[0,0,1] neg_hi:[0,0,1]
	v_mov_b32_e32 v119, v127
	s_cbranch_execz .LBB120_664
	s_branch .LBB120_665
.LBB120_663:
                                        ; implicit-def: $vgpr118_vgpr119
.LBB120_664:
	ds_load_b64 v[118:119], v1
.LBB120_665:
	s_mov_b32 s4, exec_lo
	v_cmpx_ne_u32_e32 10, v0
	s_cbranch_execz .LBB120_669
; %bb.666:
	v_add_nc_u32_e32 v121, 0x1d8, v58
	v_add3_u32 v122, 0, v58, 8
	v_mov_b32_e32 v123, v0
	s_mov_b32 s5, 0
.LBB120_667:                            ; =>This Inner Loop Header: Depth=1
	scratch_load_b64 v[124:125], v122, off
	ds_load_b64 v[126:127], v121
	s_wait_xcnt 0x0
	v_dual_add_nc_u32 v121, 8, v121 :: v_dual_add_nc_u32 v122, 8, v122
	s_wait_loadcnt_dscnt 0x0
	v_pk_mul_f32 v[128:129], v[126:127], v[124:125] op_sel:[1,1] op_sel_hi:[0,1]
	s_delay_alu instid0(VALU_DEP_1) | instskip(SKIP_2) | instid1(VALU_DEP_3)
	v_pk_fma_f32 v[130:131], v[126:127], v[124:125], v[128:129] op_sel_hi:[1,0,1]
	v_add_nc_u32_e32 v123, 1, v123
	v_pk_fma_f32 v[124:125], v[126:127], v[124:125], v[128:129] neg_lo:[0,0,1] neg_hi:[0,0,1]
	v_mov_b32_e32 v125, v131
	s_delay_alu instid0(VALU_DEP_3) | instskip(NEXT) | instid1(VALU_DEP_2)
	v_cmp_lt_u32_e32 vcc_lo, 9, v123
	v_pk_add_f32 v[118:119], v[118:119], v[124:125]
	s_or_b32 s5, vcc_lo, s5
	s_delay_alu instid0(SALU_CYCLE_1)
	s_and_not1_b32 exec_lo, exec_lo, s5
	s_cbranch_execnz .LBB120_667
; %bb.668:
	s_or_b32 exec_lo, exec_lo, s5
.LBB120_669:
	s_delay_alu instid0(SALU_CYCLE_1) | instskip(SKIP_4) | instid1(VALU_DEP_1)
	s_or_b32 exec_lo, exec_lo, s4
	v_mov_b32_e32 v121, 0
	ds_load_b64 v[122:123], v121 offset:88
	s_wait_dscnt 0x0
	v_pk_mul_f32 v[124:125], v[118:119], v[122:123] op_sel:[1,1] op_sel_hi:[0,1]
	v_pk_fma_f32 v[126:127], v[118:119], v[122:123], v[124:125] op_sel_hi:[1,0,1]
	v_pk_fma_f32 v[118:119], v[118:119], v[122:123], v[124:125] neg_lo:[0,0,1] neg_hi:[0,0,1]
	s_delay_alu instid0(VALU_DEP_2)
	v_mov_b32_e32 v119, v127
	scratch_store_b64 off, v[118:119], off offset:88
.LBB120_670:
	s_wait_xcnt 0x0
	s_or_b32 exec_lo, exec_lo, s0
	scratch_load_b64 v[118:119], off, off offset:96
	s_mov_b32 s0, exec_lo
	s_wait_loadcnt 0x0
	ds_store_b64 v1, v[118:119]
	s_wait_storecnt_dscnt 0x0
	s_barrier_signal -1
	s_barrier_wait -1
	s_wait_xcnt 0x0
	v_cmpx_gt_u32_e32 12, v0
	s_cbranch_execz .LBB120_680
; %bb.671:
	v_cmp_ne_u32_e32 vcc_lo, 1, v120
	s_cbranch_vccnz .LBB120_673
; %bb.672:
	scratch_load_b64 v[118:119], v59, off
	ds_load_b64 v[122:123], v1
	s_wait_loadcnt_dscnt 0x0
	v_pk_mul_f32 v[124:125], v[122:123], v[118:119] op_sel:[1,1] op_sel_hi:[0,1]
	s_delay_alu instid0(VALU_DEP_1) | instskip(SKIP_1) | instid1(VALU_DEP_2)
	v_pk_fma_f32 v[126:127], v[122:123], v[118:119], v[124:125] op_sel_hi:[1,0,1]
	v_pk_fma_f32 v[118:119], v[122:123], v[118:119], v[124:125] neg_lo:[0,0,1] neg_hi:[0,0,1]
	v_mov_b32_e32 v119, v127
	s_cbranch_execz .LBB120_674
	s_branch .LBB120_675
.LBB120_673:
                                        ; implicit-def: $vgpr118_vgpr119
.LBB120_674:
	ds_load_b64 v[118:119], v1
.LBB120_675:
	s_mov_b32 s4, exec_lo
	v_cmpx_ne_u32_e32 11, v0
	s_cbranch_execz .LBB120_679
; %bb.676:
	v_add_nc_u32_e32 v121, 0x1d8, v58
	v_add3_u32 v122, 0, v58, 8
	v_mov_b32_e32 v123, v0
	s_mov_b32 s5, 0
.LBB120_677:                            ; =>This Inner Loop Header: Depth=1
	scratch_load_b64 v[124:125], v122, off
	ds_load_b64 v[126:127], v121
	s_wait_xcnt 0x0
	v_dual_add_nc_u32 v121, 8, v121 :: v_dual_add_nc_u32 v122, 8, v122
	s_wait_loadcnt_dscnt 0x0
	v_pk_mul_f32 v[128:129], v[126:127], v[124:125] op_sel:[1,1] op_sel_hi:[0,1]
	s_delay_alu instid0(VALU_DEP_1) | instskip(SKIP_2) | instid1(VALU_DEP_3)
	v_pk_fma_f32 v[130:131], v[126:127], v[124:125], v[128:129] op_sel_hi:[1,0,1]
	v_add_nc_u32_e32 v123, 1, v123
	v_pk_fma_f32 v[124:125], v[126:127], v[124:125], v[128:129] neg_lo:[0,0,1] neg_hi:[0,0,1]
	v_mov_b32_e32 v125, v131
	s_delay_alu instid0(VALU_DEP_3) | instskip(NEXT) | instid1(VALU_DEP_2)
	v_cmp_lt_u32_e32 vcc_lo, 10, v123
	v_pk_add_f32 v[118:119], v[118:119], v[124:125]
	s_or_b32 s5, vcc_lo, s5
	s_delay_alu instid0(SALU_CYCLE_1)
	s_and_not1_b32 exec_lo, exec_lo, s5
	s_cbranch_execnz .LBB120_677
; %bb.678:
	s_or_b32 exec_lo, exec_lo, s5
.LBB120_679:
	s_delay_alu instid0(SALU_CYCLE_1) | instskip(SKIP_4) | instid1(VALU_DEP_1)
	s_or_b32 exec_lo, exec_lo, s4
	v_mov_b32_e32 v121, 0
	ds_load_b64 v[122:123], v121 offset:96
	s_wait_dscnt 0x0
	v_pk_mul_f32 v[124:125], v[118:119], v[122:123] op_sel:[1,1] op_sel_hi:[0,1]
	v_pk_fma_f32 v[126:127], v[118:119], v[122:123], v[124:125] op_sel_hi:[1,0,1]
	v_pk_fma_f32 v[118:119], v[118:119], v[122:123], v[124:125] neg_lo:[0,0,1] neg_hi:[0,0,1]
	s_delay_alu instid0(VALU_DEP_2)
	v_mov_b32_e32 v119, v127
	scratch_store_b64 off, v[118:119], off offset:96
.LBB120_680:
	s_wait_xcnt 0x0
	s_or_b32 exec_lo, exec_lo, s0
	scratch_load_b64 v[118:119], off, off offset:104
	s_mov_b32 s0, exec_lo
	s_wait_loadcnt 0x0
	ds_store_b64 v1, v[118:119]
	s_wait_storecnt_dscnt 0x0
	s_barrier_signal -1
	s_barrier_wait -1
	s_wait_xcnt 0x0
	v_cmpx_gt_u32_e32 13, v0
	s_cbranch_execz .LBB120_690
; %bb.681:
	v_cmp_ne_u32_e32 vcc_lo, 1, v120
	s_cbranch_vccnz .LBB120_683
; %bb.682:
	scratch_load_b64 v[118:119], v59, off
	ds_load_b64 v[122:123], v1
	s_wait_loadcnt_dscnt 0x0
	v_pk_mul_f32 v[124:125], v[122:123], v[118:119] op_sel:[1,1] op_sel_hi:[0,1]
	s_delay_alu instid0(VALU_DEP_1) | instskip(SKIP_1) | instid1(VALU_DEP_2)
	v_pk_fma_f32 v[126:127], v[122:123], v[118:119], v[124:125] op_sel_hi:[1,0,1]
	v_pk_fma_f32 v[118:119], v[122:123], v[118:119], v[124:125] neg_lo:[0,0,1] neg_hi:[0,0,1]
	v_mov_b32_e32 v119, v127
	s_cbranch_execz .LBB120_684
	s_branch .LBB120_685
.LBB120_683:
                                        ; implicit-def: $vgpr118_vgpr119
.LBB120_684:
	ds_load_b64 v[118:119], v1
.LBB120_685:
	s_mov_b32 s4, exec_lo
	v_cmpx_ne_u32_e32 12, v0
	s_cbranch_execz .LBB120_689
; %bb.686:
	v_add_nc_u32_e32 v121, 0x1d8, v58
	v_add3_u32 v122, 0, v58, 8
	v_mov_b32_e32 v123, v0
	s_mov_b32 s5, 0
.LBB120_687:                            ; =>This Inner Loop Header: Depth=1
	scratch_load_b64 v[124:125], v122, off
	ds_load_b64 v[126:127], v121
	s_wait_xcnt 0x0
	v_dual_add_nc_u32 v121, 8, v121 :: v_dual_add_nc_u32 v122, 8, v122
	s_wait_loadcnt_dscnt 0x0
	v_pk_mul_f32 v[128:129], v[126:127], v[124:125] op_sel:[1,1] op_sel_hi:[0,1]
	s_delay_alu instid0(VALU_DEP_1) | instskip(SKIP_2) | instid1(VALU_DEP_3)
	v_pk_fma_f32 v[130:131], v[126:127], v[124:125], v[128:129] op_sel_hi:[1,0,1]
	v_add_nc_u32_e32 v123, 1, v123
	v_pk_fma_f32 v[124:125], v[126:127], v[124:125], v[128:129] neg_lo:[0,0,1] neg_hi:[0,0,1]
	v_mov_b32_e32 v125, v131
	s_delay_alu instid0(VALU_DEP_3) | instskip(NEXT) | instid1(VALU_DEP_2)
	v_cmp_lt_u32_e32 vcc_lo, 11, v123
	v_pk_add_f32 v[118:119], v[118:119], v[124:125]
	s_or_b32 s5, vcc_lo, s5
	s_delay_alu instid0(SALU_CYCLE_1)
	s_and_not1_b32 exec_lo, exec_lo, s5
	s_cbranch_execnz .LBB120_687
; %bb.688:
	s_or_b32 exec_lo, exec_lo, s5
.LBB120_689:
	s_delay_alu instid0(SALU_CYCLE_1) | instskip(SKIP_4) | instid1(VALU_DEP_1)
	s_or_b32 exec_lo, exec_lo, s4
	v_mov_b32_e32 v121, 0
	ds_load_b64 v[122:123], v121 offset:104
	s_wait_dscnt 0x0
	v_pk_mul_f32 v[124:125], v[118:119], v[122:123] op_sel:[1,1] op_sel_hi:[0,1]
	v_pk_fma_f32 v[126:127], v[118:119], v[122:123], v[124:125] op_sel_hi:[1,0,1]
	v_pk_fma_f32 v[118:119], v[118:119], v[122:123], v[124:125] neg_lo:[0,0,1] neg_hi:[0,0,1]
	s_delay_alu instid0(VALU_DEP_2)
	v_mov_b32_e32 v119, v127
	scratch_store_b64 off, v[118:119], off offset:104
.LBB120_690:
	s_wait_xcnt 0x0
	s_or_b32 exec_lo, exec_lo, s0
	scratch_load_b64 v[118:119], off, off offset:112
	s_mov_b32 s0, exec_lo
	s_wait_loadcnt 0x0
	ds_store_b64 v1, v[118:119]
	s_wait_storecnt_dscnt 0x0
	s_barrier_signal -1
	s_barrier_wait -1
	s_wait_xcnt 0x0
	v_cmpx_gt_u32_e32 14, v0
	s_cbranch_execz .LBB120_700
; %bb.691:
	v_cmp_ne_u32_e32 vcc_lo, 1, v120
	s_cbranch_vccnz .LBB120_693
; %bb.692:
	scratch_load_b64 v[118:119], v59, off
	ds_load_b64 v[122:123], v1
	s_wait_loadcnt_dscnt 0x0
	v_pk_mul_f32 v[124:125], v[122:123], v[118:119] op_sel:[1,1] op_sel_hi:[0,1]
	s_delay_alu instid0(VALU_DEP_1) | instskip(SKIP_1) | instid1(VALU_DEP_2)
	v_pk_fma_f32 v[126:127], v[122:123], v[118:119], v[124:125] op_sel_hi:[1,0,1]
	v_pk_fma_f32 v[118:119], v[122:123], v[118:119], v[124:125] neg_lo:[0,0,1] neg_hi:[0,0,1]
	v_mov_b32_e32 v119, v127
	s_cbranch_execz .LBB120_694
	s_branch .LBB120_695
.LBB120_693:
                                        ; implicit-def: $vgpr118_vgpr119
.LBB120_694:
	ds_load_b64 v[118:119], v1
.LBB120_695:
	s_mov_b32 s4, exec_lo
	v_cmpx_ne_u32_e32 13, v0
	s_cbranch_execz .LBB120_699
; %bb.696:
	v_add_nc_u32_e32 v121, 0x1d8, v58
	v_add3_u32 v122, 0, v58, 8
	v_mov_b32_e32 v123, v0
	s_mov_b32 s5, 0
.LBB120_697:                            ; =>This Inner Loop Header: Depth=1
	scratch_load_b64 v[124:125], v122, off
	ds_load_b64 v[126:127], v121
	s_wait_xcnt 0x0
	v_dual_add_nc_u32 v121, 8, v121 :: v_dual_add_nc_u32 v122, 8, v122
	s_wait_loadcnt_dscnt 0x0
	v_pk_mul_f32 v[128:129], v[126:127], v[124:125] op_sel:[1,1] op_sel_hi:[0,1]
	s_delay_alu instid0(VALU_DEP_1) | instskip(SKIP_2) | instid1(VALU_DEP_3)
	v_pk_fma_f32 v[130:131], v[126:127], v[124:125], v[128:129] op_sel_hi:[1,0,1]
	v_add_nc_u32_e32 v123, 1, v123
	v_pk_fma_f32 v[124:125], v[126:127], v[124:125], v[128:129] neg_lo:[0,0,1] neg_hi:[0,0,1]
	v_mov_b32_e32 v125, v131
	s_delay_alu instid0(VALU_DEP_3) | instskip(NEXT) | instid1(VALU_DEP_2)
	v_cmp_lt_u32_e32 vcc_lo, 12, v123
	v_pk_add_f32 v[118:119], v[118:119], v[124:125]
	s_or_b32 s5, vcc_lo, s5
	s_delay_alu instid0(SALU_CYCLE_1)
	s_and_not1_b32 exec_lo, exec_lo, s5
	s_cbranch_execnz .LBB120_697
; %bb.698:
	s_or_b32 exec_lo, exec_lo, s5
.LBB120_699:
	s_delay_alu instid0(SALU_CYCLE_1) | instskip(SKIP_4) | instid1(VALU_DEP_1)
	s_or_b32 exec_lo, exec_lo, s4
	v_mov_b32_e32 v121, 0
	ds_load_b64 v[122:123], v121 offset:112
	s_wait_dscnt 0x0
	v_pk_mul_f32 v[124:125], v[118:119], v[122:123] op_sel:[1,1] op_sel_hi:[0,1]
	v_pk_fma_f32 v[126:127], v[118:119], v[122:123], v[124:125] op_sel_hi:[1,0,1]
	v_pk_fma_f32 v[118:119], v[118:119], v[122:123], v[124:125] neg_lo:[0,0,1] neg_hi:[0,0,1]
	s_delay_alu instid0(VALU_DEP_2)
	v_mov_b32_e32 v119, v127
	scratch_store_b64 off, v[118:119], off offset:112
.LBB120_700:
	s_wait_xcnt 0x0
	s_or_b32 exec_lo, exec_lo, s0
	scratch_load_b64 v[118:119], off, off offset:120
	s_mov_b32 s0, exec_lo
	s_wait_loadcnt 0x0
	ds_store_b64 v1, v[118:119]
	s_wait_storecnt_dscnt 0x0
	s_barrier_signal -1
	s_barrier_wait -1
	s_wait_xcnt 0x0
	v_cmpx_gt_u32_e32 15, v0
	s_cbranch_execz .LBB120_710
; %bb.701:
	v_cmp_ne_u32_e32 vcc_lo, 1, v120
	s_cbranch_vccnz .LBB120_703
; %bb.702:
	scratch_load_b64 v[118:119], v59, off
	ds_load_b64 v[122:123], v1
	s_wait_loadcnt_dscnt 0x0
	v_pk_mul_f32 v[124:125], v[122:123], v[118:119] op_sel:[1,1] op_sel_hi:[0,1]
	s_delay_alu instid0(VALU_DEP_1) | instskip(SKIP_1) | instid1(VALU_DEP_2)
	v_pk_fma_f32 v[126:127], v[122:123], v[118:119], v[124:125] op_sel_hi:[1,0,1]
	v_pk_fma_f32 v[118:119], v[122:123], v[118:119], v[124:125] neg_lo:[0,0,1] neg_hi:[0,0,1]
	v_mov_b32_e32 v119, v127
	s_cbranch_execz .LBB120_704
	s_branch .LBB120_705
.LBB120_703:
                                        ; implicit-def: $vgpr118_vgpr119
.LBB120_704:
	ds_load_b64 v[118:119], v1
.LBB120_705:
	s_mov_b32 s4, exec_lo
	v_cmpx_ne_u32_e32 14, v0
	s_cbranch_execz .LBB120_709
; %bb.706:
	v_add_nc_u32_e32 v121, 0x1d8, v58
	v_add3_u32 v122, 0, v58, 8
	v_mov_b32_e32 v123, v0
	s_mov_b32 s5, 0
.LBB120_707:                            ; =>This Inner Loop Header: Depth=1
	scratch_load_b64 v[124:125], v122, off
	ds_load_b64 v[126:127], v121
	s_wait_xcnt 0x0
	v_dual_add_nc_u32 v121, 8, v121 :: v_dual_add_nc_u32 v122, 8, v122
	s_wait_loadcnt_dscnt 0x0
	v_pk_mul_f32 v[128:129], v[126:127], v[124:125] op_sel:[1,1] op_sel_hi:[0,1]
	s_delay_alu instid0(VALU_DEP_1) | instskip(SKIP_2) | instid1(VALU_DEP_3)
	v_pk_fma_f32 v[130:131], v[126:127], v[124:125], v[128:129] op_sel_hi:[1,0,1]
	v_add_nc_u32_e32 v123, 1, v123
	v_pk_fma_f32 v[124:125], v[126:127], v[124:125], v[128:129] neg_lo:[0,0,1] neg_hi:[0,0,1]
	v_mov_b32_e32 v125, v131
	s_delay_alu instid0(VALU_DEP_3) | instskip(NEXT) | instid1(VALU_DEP_2)
	v_cmp_lt_u32_e32 vcc_lo, 13, v123
	v_pk_add_f32 v[118:119], v[118:119], v[124:125]
	s_or_b32 s5, vcc_lo, s5
	s_delay_alu instid0(SALU_CYCLE_1)
	s_and_not1_b32 exec_lo, exec_lo, s5
	s_cbranch_execnz .LBB120_707
; %bb.708:
	s_or_b32 exec_lo, exec_lo, s5
.LBB120_709:
	s_delay_alu instid0(SALU_CYCLE_1) | instskip(SKIP_4) | instid1(VALU_DEP_1)
	s_or_b32 exec_lo, exec_lo, s4
	v_mov_b32_e32 v121, 0
	ds_load_b64 v[122:123], v121 offset:120
	s_wait_dscnt 0x0
	v_pk_mul_f32 v[124:125], v[118:119], v[122:123] op_sel:[1,1] op_sel_hi:[0,1]
	v_pk_fma_f32 v[126:127], v[118:119], v[122:123], v[124:125] op_sel_hi:[1,0,1]
	v_pk_fma_f32 v[118:119], v[118:119], v[122:123], v[124:125] neg_lo:[0,0,1] neg_hi:[0,0,1]
	s_delay_alu instid0(VALU_DEP_2)
	v_mov_b32_e32 v119, v127
	scratch_store_b64 off, v[118:119], off offset:120
.LBB120_710:
	s_wait_xcnt 0x0
	s_or_b32 exec_lo, exec_lo, s0
	scratch_load_b64 v[118:119], off, off offset:128
	s_mov_b32 s0, exec_lo
	s_wait_loadcnt 0x0
	ds_store_b64 v1, v[118:119]
	s_wait_storecnt_dscnt 0x0
	s_barrier_signal -1
	s_barrier_wait -1
	s_wait_xcnt 0x0
	v_cmpx_gt_u32_e32 16, v0
	s_cbranch_execz .LBB120_720
; %bb.711:
	v_cmp_ne_u32_e32 vcc_lo, 1, v120
	s_cbranch_vccnz .LBB120_713
; %bb.712:
	scratch_load_b64 v[118:119], v59, off
	ds_load_b64 v[122:123], v1
	s_wait_loadcnt_dscnt 0x0
	v_pk_mul_f32 v[124:125], v[122:123], v[118:119] op_sel:[1,1] op_sel_hi:[0,1]
	s_delay_alu instid0(VALU_DEP_1) | instskip(SKIP_1) | instid1(VALU_DEP_2)
	v_pk_fma_f32 v[126:127], v[122:123], v[118:119], v[124:125] op_sel_hi:[1,0,1]
	v_pk_fma_f32 v[118:119], v[122:123], v[118:119], v[124:125] neg_lo:[0,0,1] neg_hi:[0,0,1]
	v_mov_b32_e32 v119, v127
	s_cbranch_execz .LBB120_714
	s_branch .LBB120_715
.LBB120_713:
                                        ; implicit-def: $vgpr118_vgpr119
.LBB120_714:
	ds_load_b64 v[118:119], v1
.LBB120_715:
	s_mov_b32 s4, exec_lo
	v_cmpx_ne_u32_e32 15, v0
	s_cbranch_execz .LBB120_719
; %bb.716:
	v_add_nc_u32_e32 v121, 0x1d8, v58
	v_add3_u32 v122, 0, v58, 8
	v_mov_b32_e32 v123, v0
	s_mov_b32 s5, 0
.LBB120_717:                            ; =>This Inner Loop Header: Depth=1
	scratch_load_b64 v[124:125], v122, off
	ds_load_b64 v[126:127], v121
	s_wait_xcnt 0x0
	v_dual_add_nc_u32 v121, 8, v121 :: v_dual_add_nc_u32 v122, 8, v122
	s_wait_loadcnt_dscnt 0x0
	v_pk_mul_f32 v[128:129], v[126:127], v[124:125] op_sel:[1,1] op_sel_hi:[0,1]
	s_delay_alu instid0(VALU_DEP_1) | instskip(SKIP_2) | instid1(VALU_DEP_3)
	v_pk_fma_f32 v[130:131], v[126:127], v[124:125], v[128:129] op_sel_hi:[1,0,1]
	v_add_nc_u32_e32 v123, 1, v123
	v_pk_fma_f32 v[124:125], v[126:127], v[124:125], v[128:129] neg_lo:[0,0,1] neg_hi:[0,0,1]
	v_mov_b32_e32 v125, v131
	s_delay_alu instid0(VALU_DEP_3) | instskip(NEXT) | instid1(VALU_DEP_2)
	v_cmp_lt_u32_e32 vcc_lo, 14, v123
	v_pk_add_f32 v[118:119], v[118:119], v[124:125]
	s_or_b32 s5, vcc_lo, s5
	s_delay_alu instid0(SALU_CYCLE_1)
	s_and_not1_b32 exec_lo, exec_lo, s5
	s_cbranch_execnz .LBB120_717
; %bb.718:
	s_or_b32 exec_lo, exec_lo, s5
.LBB120_719:
	s_delay_alu instid0(SALU_CYCLE_1) | instskip(SKIP_4) | instid1(VALU_DEP_1)
	s_or_b32 exec_lo, exec_lo, s4
	v_mov_b32_e32 v121, 0
	ds_load_b64 v[122:123], v121 offset:128
	s_wait_dscnt 0x0
	v_pk_mul_f32 v[124:125], v[118:119], v[122:123] op_sel:[1,1] op_sel_hi:[0,1]
	v_pk_fma_f32 v[126:127], v[118:119], v[122:123], v[124:125] op_sel_hi:[1,0,1]
	v_pk_fma_f32 v[118:119], v[118:119], v[122:123], v[124:125] neg_lo:[0,0,1] neg_hi:[0,0,1]
	s_delay_alu instid0(VALU_DEP_2)
	v_mov_b32_e32 v119, v127
	scratch_store_b64 off, v[118:119], off offset:128
.LBB120_720:
	s_wait_xcnt 0x0
	s_or_b32 exec_lo, exec_lo, s0
	scratch_load_b64 v[118:119], off, off offset:136
	s_mov_b32 s0, exec_lo
	s_wait_loadcnt 0x0
	ds_store_b64 v1, v[118:119]
	s_wait_storecnt_dscnt 0x0
	s_barrier_signal -1
	s_barrier_wait -1
	s_wait_xcnt 0x0
	v_cmpx_gt_u32_e32 17, v0
	s_cbranch_execz .LBB120_730
; %bb.721:
	v_cmp_ne_u32_e32 vcc_lo, 1, v120
	s_cbranch_vccnz .LBB120_723
; %bb.722:
	scratch_load_b64 v[118:119], v59, off
	ds_load_b64 v[122:123], v1
	s_wait_loadcnt_dscnt 0x0
	v_pk_mul_f32 v[124:125], v[122:123], v[118:119] op_sel:[1,1] op_sel_hi:[0,1]
	s_delay_alu instid0(VALU_DEP_1) | instskip(SKIP_1) | instid1(VALU_DEP_2)
	v_pk_fma_f32 v[126:127], v[122:123], v[118:119], v[124:125] op_sel_hi:[1,0,1]
	v_pk_fma_f32 v[118:119], v[122:123], v[118:119], v[124:125] neg_lo:[0,0,1] neg_hi:[0,0,1]
	v_mov_b32_e32 v119, v127
	s_cbranch_execz .LBB120_724
	s_branch .LBB120_725
.LBB120_723:
                                        ; implicit-def: $vgpr118_vgpr119
.LBB120_724:
	ds_load_b64 v[118:119], v1
.LBB120_725:
	s_mov_b32 s4, exec_lo
	v_cmpx_ne_u32_e32 16, v0
	s_cbranch_execz .LBB120_729
; %bb.726:
	v_add_nc_u32_e32 v121, 0x1d8, v58
	v_add3_u32 v122, 0, v58, 8
	v_mov_b32_e32 v123, v0
	s_mov_b32 s5, 0
.LBB120_727:                            ; =>This Inner Loop Header: Depth=1
	scratch_load_b64 v[124:125], v122, off
	ds_load_b64 v[126:127], v121
	s_wait_xcnt 0x0
	v_dual_add_nc_u32 v121, 8, v121 :: v_dual_add_nc_u32 v122, 8, v122
	s_wait_loadcnt_dscnt 0x0
	v_pk_mul_f32 v[128:129], v[126:127], v[124:125] op_sel:[1,1] op_sel_hi:[0,1]
	s_delay_alu instid0(VALU_DEP_1) | instskip(SKIP_2) | instid1(VALU_DEP_3)
	v_pk_fma_f32 v[130:131], v[126:127], v[124:125], v[128:129] op_sel_hi:[1,0,1]
	v_add_nc_u32_e32 v123, 1, v123
	v_pk_fma_f32 v[124:125], v[126:127], v[124:125], v[128:129] neg_lo:[0,0,1] neg_hi:[0,0,1]
	v_mov_b32_e32 v125, v131
	s_delay_alu instid0(VALU_DEP_3) | instskip(NEXT) | instid1(VALU_DEP_2)
	v_cmp_lt_u32_e32 vcc_lo, 15, v123
	v_pk_add_f32 v[118:119], v[118:119], v[124:125]
	s_or_b32 s5, vcc_lo, s5
	s_delay_alu instid0(SALU_CYCLE_1)
	s_and_not1_b32 exec_lo, exec_lo, s5
	s_cbranch_execnz .LBB120_727
; %bb.728:
	s_or_b32 exec_lo, exec_lo, s5
.LBB120_729:
	s_delay_alu instid0(SALU_CYCLE_1) | instskip(SKIP_4) | instid1(VALU_DEP_1)
	s_or_b32 exec_lo, exec_lo, s4
	v_mov_b32_e32 v121, 0
	ds_load_b64 v[122:123], v121 offset:136
	s_wait_dscnt 0x0
	v_pk_mul_f32 v[124:125], v[118:119], v[122:123] op_sel:[1,1] op_sel_hi:[0,1]
	v_pk_fma_f32 v[126:127], v[118:119], v[122:123], v[124:125] op_sel_hi:[1,0,1]
	v_pk_fma_f32 v[118:119], v[118:119], v[122:123], v[124:125] neg_lo:[0,0,1] neg_hi:[0,0,1]
	s_delay_alu instid0(VALU_DEP_2)
	v_mov_b32_e32 v119, v127
	scratch_store_b64 off, v[118:119], off offset:136
.LBB120_730:
	s_wait_xcnt 0x0
	s_or_b32 exec_lo, exec_lo, s0
	scratch_load_b64 v[118:119], off, off offset:144
	s_mov_b32 s0, exec_lo
	s_wait_loadcnt 0x0
	ds_store_b64 v1, v[118:119]
	s_wait_storecnt_dscnt 0x0
	s_barrier_signal -1
	s_barrier_wait -1
	s_wait_xcnt 0x0
	v_cmpx_gt_u32_e32 18, v0
	s_cbranch_execz .LBB120_740
; %bb.731:
	v_cmp_ne_u32_e32 vcc_lo, 1, v120
	s_cbranch_vccnz .LBB120_733
; %bb.732:
	scratch_load_b64 v[118:119], v59, off
	ds_load_b64 v[122:123], v1
	s_wait_loadcnt_dscnt 0x0
	v_pk_mul_f32 v[124:125], v[122:123], v[118:119] op_sel:[1,1] op_sel_hi:[0,1]
	s_delay_alu instid0(VALU_DEP_1) | instskip(SKIP_1) | instid1(VALU_DEP_2)
	v_pk_fma_f32 v[126:127], v[122:123], v[118:119], v[124:125] op_sel_hi:[1,0,1]
	v_pk_fma_f32 v[118:119], v[122:123], v[118:119], v[124:125] neg_lo:[0,0,1] neg_hi:[0,0,1]
	v_mov_b32_e32 v119, v127
	s_cbranch_execz .LBB120_734
	s_branch .LBB120_735
.LBB120_733:
                                        ; implicit-def: $vgpr118_vgpr119
.LBB120_734:
	ds_load_b64 v[118:119], v1
.LBB120_735:
	s_mov_b32 s4, exec_lo
	v_cmpx_ne_u32_e32 17, v0
	s_cbranch_execz .LBB120_739
; %bb.736:
	v_add_nc_u32_e32 v121, 0x1d8, v58
	v_add3_u32 v122, 0, v58, 8
	v_mov_b32_e32 v123, v0
	s_mov_b32 s5, 0
.LBB120_737:                            ; =>This Inner Loop Header: Depth=1
	scratch_load_b64 v[124:125], v122, off
	ds_load_b64 v[126:127], v121
	s_wait_xcnt 0x0
	v_dual_add_nc_u32 v121, 8, v121 :: v_dual_add_nc_u32 v122, 8, v122
	s_wait_loadcnt_dscnt 0x0
	v_pk_mul_f32 v[128:129], v[126:127], v[124:125] op_sel:[1,1] op_sel_hi:[0,1]
	s_delay_alu instid0(VALU_DEP_1) | instskip(SKIP_2) | instid1(VALU_DEP_3)
	v_pk_fma_f32 v[130:131], v[126:127], v[124:125], v[128:129] op_sel_hi:[1,0,1]
	v_add_nc_u32_e32 v123, 1, v123
	v_pk_fma_f32 v[124:125], v[126:127], v[124:125], v[128:129] neg_lo:[0,0,1] neg_hi:[0,0,1]
	v_mov_b32_e32 v125, v131
	s_delay_alu instid0(VALU_DEP_3) | instskip(NEXT) | instid1(VALU_DEP_2)
	v_cmp_lt_u32_e32 vcc_lo, 16, v123
	v_pk_add_f32 v[118:119], v[118:119], v[124:125]
	s_or_b32 s5, vcc_lo, s5
	s_delay_alu instid0(SALU_CYCLE_1)
	s_and_not1_b32 exec_lo, exec_lo, s5
	s_cbranch_execnz .LBB120_737
; %bb.738:
	s_or_b32 exec_lo, exec_lo, s5
.LBB120_739:
	s_delay_alu instid0(SALU_CYCLE_1) | instskip(SKIP_4) | instid1(VALU_DEP_1)
	s_or_b32 exec_lo, exec_lo, s4
	v_mov_b32_e32 v121, 0
	ds_load_b64 v[122:123], v121 offset:144
	s_wait_dscnt 0x0
	v_pk_mul_f32 v[124:125], v[118:119], v[122:123] op_sel:[1,1] op_sel_hi:[0,1]
	v_pk_fma_f32 v[126:127], v[118:119], v[122:123], v[124:125] op_sel_hi:[1,0,1]
	v_pk_fma_f32 v[118:119], v[118:119], v[122:123], v[124:125] neg_lo:[0,0,1] neg_hi:[0,0,1]
	s_delay_alu instid0(VALU_DEP_2)
	v_mov_b32_e32 v119, v127
	scratch_store_b64 off, v[118:119], off offset:144
.LBB120_740:
	s_wait_xcnt 0x0
	s_or_b32 exec_lo, exec_lo, s0
	scratch_load_b64 v[118:119], off, off offset:152
	s_mov_b32 s0, exec_lo
	s_wait_loadcnt 0x0
	ds_store_b64 v1, v[118:119]
	s_wait_storecnt_dscnt 0x0
	s_barrier_signal -1
	s_barrier_wait -1
	s_wait_xcnt 0x0
	v_cmpx_gt_u32_e32 19, v0
	s_cbranch_execz .LBB120_750
; %bb.741:
	v_cmp_ne_u32_e32 vcc_lo, 1, v120
	s_cbranch_vccnz .LBB120_743
; %bb.742:
	scratch_load_b64 v[118:119], v59, off
	ds_load_b64 v[122:123], v1
	s_wait_loadcnt_dscnt 0x0
	v_pk_mul_f32 v[124:125], v[122:123], v[118:119] op_sel:[1,1] op_sel_hi:[0,1]
	s_delay_alu instid0(VALU_DEP_1) | instskip(SKIP_1) | instid1(VALU_DEP_2)
	v_pk_fma_f32 v[126:127], v[122:123], v[118:119], v[124:125] op_sel_hi:[1,0,1]
	v_pk_fma_f32 v[118:119], v[122:123], v[118:119], v[124:125] neg_lo:[0,0,1] neg_hi:[0,0,1]
	v_mov_b32_e32 v119, v127
	s_cbranch_execz .LBB120_744
	s_branch .LBB120_745
.LBB120_743:
                                        ; implicit-def: $vgpr118_vgpr119
.LBB120_744:
	ds_load_b64 v[118:119], v1
.LBB120_745:
	s_mov_b32 s4, exec_lo
	v_cmpx_ne_u32_e32 18, v0
	s_cbranch_execz .LBB120_749
; %bb.746:
	v_add_nc_u32_e32 v121, 0x1d8, v58
	v_add3_u32 v122, 0, v58, 8
	v_mov_b32_e32 v123, v0
	s_mov_b32 s5, 0
.LBB120_747:                            ; =>This Inner Loop Header: Depth=1
	scratch_load_b64 v[124:125], v122, off
	ds_load_b64 v[126:127], v121
	s_wait_xcnt 0x0
	v_dual_add_nc_u32 v121, 8, v121 :: v_dual_add_nc_u32 v122, 8, v122
	s_wait_loadcnt_dscnt 0x0
	v_pk_mul_f32 v[128:129], v[126:127], v[124:125] op_sel:[1,1] op_sel_hi:[0,1]
	s_delay_alu instid0(VALU_DEP_1) | instskip(SKIP_2) | instid1(VALU_DEP_3)
	v_pk_fma_f32 v[130:131], v[126:127], v[124:125], v[128:129] op_sel_hi:[1,0,1]
	v_add_nc_u32_e32 v123, 1, v123
	v_pk_fma_f32 v[124:125], v[126:127], v[124:125], v[128:129] neg_lo:[0,0,1] neg_hi:[0,0,1]
	v_mov_b32_e32 v125, v131
	s_delay_alu instid0(VALU_DEP_3) | instskip(NEXT) | instid1(VALU_DEP_2)
	v_cmp_lt_u32_e32 vcc_lo, 17, v123
	v_pk_add_f32 v[118:119], v[118:119], v[124:125]
	s_or_b32 s5, vcc_lo, s5
	s_delay_alu instid0(SALU_CYCLE_1)
	s_and_not1_b32 exec_lo, exec_lo, s5
	s_cbranch_execnz .LBB120_747
; %bb.748:
	s_or_b32 exec_lo, exec_lo, s5
.LBB120_749:
	s_delay_alu instid0(SALU_CYCLE_1) | instskip(SKIP_4) | instid1(VALU_DEP_1)
	s_or_b32 exec_lo, exec_lo, s4
	v_mov_b32_e32 v121, 0
	ds_load_b64 v[122:123], v121 offset:152
	s_wait_dscnt 0x0
	v_pk_mul_f32 v[124:125], v[118:119], v[122:123] op_sel:[1,1] op_sel_hi:[0,1]
	v_pk_fma_f32 v[126:127], v[118:119], v[122:123], v[124:125] op_sel_hi:[1,0,1]
	v_pk_fma_f32 v[118:119], v[118:119], v[122:123], v[124:125] neg_lo:[0,0,1] neg_hi:[0,0,1]
	s_delay_alu instid0(VALU_DEP_2)
	v_mov_b32_e32 v119, v127
	scratch_store_b64 off, v[118:119], off offset:152
.LBB120_750:
	s_wait_xcnt 0x0
	s_or_b32 exec_lo, exec_lo, s0
	scratch_load_b64 v[118:119], off, off offset:160
	s_mov_b32 s0, exec_lo
	s_wait_loadcnt 0x0
	ds_store_b64 v1, v[118:119]
	s_wait_storecnt_dscnt 0x0
	s_barrier_signal -1
	s_barrier_wait -1
	s_wait_xcnt 0x0
	v_cmpx_gt_u32_e32 20, v0
	s_cbranch_execz .LBB120_760
; %bb.751:
	v_cmp_ne_u32_e32 vcc_lo, 1, v120
	s_cbranch_vccnz .LBB120_753
; %bb.752:
	scratch_load_b64 v[118:119], v59, off
	ds_load_b64 v[122:123], v1
	s_wait_loadcnt_dscnt 0x0
	v_pk_mul_f32 v[124:125], v[122:123], v[118:119] op_sel:[1,1] op_sel_hi:[0,1]
	s_delay_alu instid0(VALU_DEP_1) | instskip(SKIP_1) | instid1(VALU_DEP_2)
	v_pk_fma_f32 v[126:127], v[122:123], v[118:119], v[124:125] op_sel_hi:[1,0,1]
	v_pk_fma_f32 v[118:119], v[122:123], v[118:119], v[124:125] neg_lo:[0,0,1] neg_hi:[0,0,1]
	v_mov_b32_e32 v119, v127
	s_cbranch_execz .LBB120_754
	s_branch .LBB120_755
.LBB120_753:
                                        ; implicit-def: $vgpr118_vgpr119
.LBB120_754:
	ds_load_b64 v[118:119], v1
.LBB120_755:
	s_mov_b32 s4, exec_lo
	v_cmpx_ne_u32_e32 19, v0
	s_cbranch_execz .LBB120_759
; %bb.756:
	v_add_nc_u32_e32 v121, 0x1d8, v58
	v_add3_u32 v122, 0, v58, 8
	v_mov_b32_e32 v123, v0
	s_mov_b32 s5, 0
.LBB120_757:                            ; =>This Inner Loop Header: Depth=1
	scratch_load_b64 v[124:125], v122, off
	ds_load_b64 v[126:127], v121
	s_wait_xcnt 0x0
	v_dual_add_nc_u32 v121, 8, v121 :: v_dual_add_nc_u32 v122, 8, v122
	s_wait_loadcnt_dscnt 0x0
	v_pk_mul_f32 v[128:129], v[126:127], v[124:125] op_sel:[1,1] op_sel_hi:[0,1]
	s_delay_alu instid0(VALU_DEP_1) | instskip(SKIP_2) | instid1(VALU_DEP_3)
	v_pk_fma_f32 v[130:131], v[126:127], v[124:125], v[128:129] op_sel_hi:[1,0,1]
	v_add_nc_u32_e32 v123, 1, v123
	v_pk_fma_f32 v[124:125], v[126:127], v[124:125], v[128:129] neg_lo:[0,0,1] neg_hi:[0,0,1]
	v_mov_b32_e32 v125, v131
	s_delay_alu instid0(VALU_DEP_3) | instskip(NEXT) | instid1(VALU_DEP_2)
	v_cmp_lt_u32_e32 vcc_lo, 18, v123
	v_pk_add_f32 v[118:119], v[118:119], v[124:125]
	s_or_b32 s5, vcc_lo, s5
	s_delay_alu instid0(SALU_CYCLE_1)
	s_and_not1_b32 exec_lo, exec_lo, s5
	s_cbranch_execnz .LBB120_757
; %bb.758:
	s_or_b32 exec_lo, exec_lo, s5
.LBB120_759:
	s_delay_alu instid0(SALU_CYCLE_1) | instskip(SKIP_4) | instid1(VALU_DEP_1)
	s_or_b32 exec_lo, exec_lo, s4
	v_mov_b32_e32 v121, 0
	ds_load_b64 v[122:123], v121 offset:160
	s_wait_dscnt 0x0
	v_pk_mul_f32 v[124:125], v[118:119], v[122:123] op_sel:[1,1] op_sel_hi:[0,1]
	v_pk_fma_f32 v[126:127], v[118:119], v[122:123], v[124:125] op_sel_hi:[1,0,1]
	v_pk_fma_f32 v[118:119], v[118:119], v[122:123], v[124:125] neg_lo:[0,0,1] neg_hi:[0,0,1]
	s_delay_alu instid0(VALU_DEP_2)
	v_mov_b32_e32 v119, v127
	scratch_store_b64 off, v[118:119], off offset:160
.LBB120_760:
	s_wait_xcnt 0x0
	s_or_b32 exec_lo, exec_lo, s0
	scratch_load_b64 v[118:119], off, off offset:168
	s_mov_b32 s0, exec_lo
	s_wait_loadcnt 0x0
	ds_store_b64 v1, v[118:119]
	s_wait_storecnt_dscnt 0x0
	s_barrier_signal -1
	s_barrier_wait -1
	s_wait_xcnt 0x0
	v_cmpx_gt_u32_e32 21, v0
	s_cbranch_execz .LBB120_770
; %bb.761:
	v_cmp_ne_u32_e32 vcc_lo, 1, v120
	s_cbranch_vccnz .LBB120_763
; %bb.762:
	scratch_load_b64 v[118:119], v59, off
	ds_load_b64 v[122:123], v1
	s_wait_loadcnt_dscnt 0x0
	v_pk_mul_f32 v[124:125], v[122:123], v[118:119] op_sel:[1,1] op_sel_hi:[0,1]
	s_delay_alu instid0(VALU_DEP_1) | instskip(SKIP_1) | instid1(VALU_DEP_2)
	v_pk_fma_f32 v[126:127], v[122:123], v[118:119], v[124:125] op_sel_hi:[1,0,1]
	v_pk_fma_f32 v[118:119], v[122:123], v[118:119], v[124:125] neg_lo:[0,0,1] neg_hi:[0,0,1]
	v_mov_b32_e32 v119, v127
	s_cbranch_execz .LBB120_764
	s_branch .LBB120_765
.LBB120_763:
                                        ; implicit-def: $vgpr118_vgpr119
.LBB120_764:
	ds_load_b64 v[118:119], v1
.LBB120_765:
	s_mov_b32 s4, exec_lo
	v_cmpx_ne_u32_e32 20, v0
	s_cbranch_execz .LBB120_769
; %bb.766:
	v_add_nc_u32_e32 v121, 0x1d8, v58
	v_add3_u32 v122, 0, v58, 8
	v_mov_b32_e32 v123, v0
	s_mov_b32 s5, 0
.LBB120_767:                            ; =>This Inner Loop Header: Depth=1
	scratch_load_b64 v[124:125], v122, off
	ds_load_b64 v[126:127], v121
	s_wait_xcnt 0x0
	v_dual_add_nc_u32 v121, 8, v121 :: v_dual_add_nc_u32 v122, 8, v122
	s_wait_loadcnt_dscnt 0x0
	v_pk_mul_f32 v[128:129], v[126:127], v[124:125] op_sel:[1,1] op_sel_hi:[0,1]
	s_delay_alu instid0(VALU_DEP_1) | instskip(SKIP_2) | instid1(VALU_DEP_3)
	v_pk_fma_f32 v[130:131], v[126:127], v[124:125], v[128:129] op_sel_hi:[1,0,1]
	v_add_nc_u32_e32 v123, 1, v123
	v_pk_fma_f32 v[124:125], v[126:127], v[124:125], v[128:129] neg_lo:[0,0,1] neg_hi:[0,0,1]
	v_mov_b32_e32 v125, v131
	s_delay_alu instid0(VALU_DEP_3) | instskip(NEXT) | instid1(VALU_DEP_2)
	v_cmp_lt_u32_e32 vcc_lo, 19, v123
	v_pk_add_f32 v[118:119], v[118:119], v[124:125]
	s_or_b32 s5, vcc_lo, s5
	s_delay_alu instid0(SALU_CYCLE_1)
	s_and_not1_b32 exec_lo, exec_lo, s5
	s_cbranch_execnz .LBB120_767
; %bb.768:
	s_or_b32 exec_lo, exec_lo, s5
.LBB120_769:
	s_delay_alu instid0(SALU_CYCLE_1) | instskip(SKIP_4) | instid1(VALU_DEP_1)
	s_or_b32 exec_lo, exec_lo, s4
	v_mov_b32_e32 v121, 0
	ds_load_b64 v[122:123], v121 offset:168
	s_wait_dscnt 0x0
	v_pk_mul_f32 v[124:125], v[118:119], v[122:123] op_sel:[1,1] op_sel_hi:[0,1]
	v_pk_fma_f32 v[126:127], v[118:119], v[122:123], v[124:125] op_sel_hi:[1,0,1]
	v_pk_fma_f32 v[118:119], v[118:119], v[122:123], v[124:125] neg_lo:[0,0,1] neg_hi:[0,0,1]
	s_delay_alu instid0(VALU_DEP_2)
	v_mov_b32_e32 v119, v127
	scratch_store_b64 off, v[118:119], off offset:168
.LBB120_770:
	s_wait_xcnt 0x0
	s_or_b32 exec_lo, exec_lo, s0
	scratch_load_b64 v[118:119], off, off offset:176
	s_mov_b32 s0, exec_lo
	s_wait_loadcnt 0x0
	ds_store_b64 v1, v[118:119]
	s_wait_storecnt_dscnt 0x0
	s_barrier_signal -1
	s_barrier_wait -1
	s_wait_xcnt 0x0
	v_cmpx_gt_u32_e32 22, v0
	s_cbranch_execz .LBB120_780
; %bb.771:
	v_cmp_ne_u32_e32 vcc_lo, 1, v120
	s_cbranch_vccnz .LBB120_773
; %bb.772:
	scratch_load_b64 v[118:119], v59, off
	ds_load_b64 v[122:123], v1
	s_wait_loadcnt_dscnt 0x0
	v_pk_mul_f32 v[124:125], v[122:123], v[118:119] op_sel:[1,1] op_sel_hi:[0,1]
	s_delay_alu instid0(VALU_DEP_1) | instskip(SKIP_1) | instid1(VALU_DEP_2)
	v_pk_fma_f32 v[126:127], v[122:123], v[118:119], v[124:125] op_sel_hi:[1,0,1]
	v_pk_fma_f32 v[118:119], v[122:123], v[118:119], v[124:125] neg_lo:[0,0,1] neg_hi:[0,0,1]
	v_mov_b32_e32 v119, v127
	s_cbranch_execz .LBB120_774
	s_branch .LBB120_775
.LBB120_773:
                                        ; implicit-def: $vgpr118_vgpr119
.LBB120_774:
	ds_load_b64 v[118:119], v1
.LBB120_775:
	s_mov_b32 s4, exec_lo
	v_cmpx_ne_u32_e32 21, v0
	s_cbranch_execz .LBB120_779
; %bb.776:
	v_add_nc_u32_e32 v121, 0x1d8, v58
	v_add3_u32 v122, 0, v58, 8
	v_mov_b32_e32 v123, v0
	s_mov_b32 s5, 0
.LBB120_777:                            ; =>This Inner Loop Header: Depth=1
	scratch_load_b64 v[124:125], v122, off
	ds_load_b64 v[126:127], v121
	s_wait_xcnt 0x0
	v_dual_add_nc_u32 v121, 8, v121 :: v_dual_add_nc_u32 v122, 8, v122
	s_wait_loadcnt_dscnt 0x0
	v_pk_mul_f32 v[128:129], v[126:127], v[124:125] op_sel:[1,1] op_sel_hi:[0,1]
	s_delay_alu instid0(VALU_DEP_1) | instskip(SKIP_2) | instid1(VALU_DEP_3)
	v_pk_fma_f32 v[130:131], v[126:127], v[124:125], v[128:129] op_sel_hi:[1,0,1]
	v_add_nc_u32_e32 v123, 1, v123
	v_pk_fma_f32 v[124:125], v[126:127], v[124:125], v[128:129] neg_lo:[0,0,1] neg_hi:[0,0,1]
	v_mov_b32_e32 v125, v131
	s_delay_alu instid0(VALU_DEP_3) | instskip(NEXT) | instid1(VALU_DEP_2)
	v_cmp_lt_u32_e32 vcc_lo, 20, v123
	v_pk_add_f32 v[118:119], v[118:119], v[124:125]
	s_or_b32 s5, vcc_lo, s5
	s_delay_alu instid0(SALU_CYCLE_1)
	s_and_not1_b32 exec_lo, exec_lo, s5
	s_cbranch_execnz .LBB120_777
; %bb.778:
	s_or_b32 exec_lo, exec_lo, s5
.LBB120_779:
	s_delay_alu instid0(SALU_CYCLE_1) | instskip(SKIP_4) | instid1(VALU_DEP_1)
	s_or_b32 exec_lo, exec_lo, s4
	v_mov_b32_e32 v121, 0
	ds_load_b64 v[122:123], v121 offset:176
	s_wait_dscnt 0x0
	v_pk_mul_f32 v[124:125], v[118:119], v[122:123] op_sel:[1,1] op_sel_hi:[0,1]
	v_pk_fma_f32 v[126:127], v[118:119], v[122:123], v[124:125] op_sel_hi:[1,0,1]
	v_pk_fma_f32 v[118:119], v[118:119], v[122:123], v[124:125] neg_lo:[0,0,1] neg_hi:[0,0,1]
	s_delay_alu instid0(VALU_DEP_2)
	v_mov_b32_e32 v119, v127
	scratch_store_b64 off, v[118:119], off offset:176
.LBB120_780:
	s_wait_xcnt 0x0
	s_or_b32 exec_lo, exec_lo, s0
	scratch_load_b64 v[118:119], off, off offset:184
	s_mov_b32 s0, exec_lo
	s_wait_loadcnt 0x0
	ds_store_b64 v1, v[118:119]
	s_wait_storecnt_dscnt 0x0
	s_barrier_signal -1
	s_barrier_wait -1
	s_wait_xcnt 0x0
	v_cmpx_gt_u32_e32 23, v0
	s_cbranch_execz .LBB120_790
; %bb.781:
	v_cmp_ne_u32_e32 vcc_lo, 1, v120
	s_cbranch_vccnz .LBB120_783
; %bb.782:
	scratch_load_b64 v[118:119], v59, off
	ds_load_b64 v[122:123], v1
	s_wait_loadcnt_dscnt 0x0
	v_pk_mul_f32 v[124:125], v[122:123], v[118:119] op_sel:[1,1] op_sel_hi:[0,1]
	s_delay_alu instid0(VALU_DEP_1) | instskip(SKIP_1) | instid1(VALU_DEP_2)
	v_pk_fma_f32 v[126:127], v[122:123], v[118:119], v[124:125] op_sel_hi:[1,0,1]
	v_pk_fma_f32 v[118:119], v[122:123], v[118:119], v[124:125] neg_lo:[0,0,1] neg_hi:[0,0,1]
	v_mov_b32_e32 v119, v127
	s_cbranch_execz .LBB120_784
	s_branch .LBB120_785
.LBB120_783:
                                        ; implicit-def: $vgpr118_vgpr119
.LBB120_784:
	ds_load_b64 v[118:119], v1
.LBB120_785:
	s_mov_b32 s4, exec_lo
	v_cmpx_ne_u32_e32 22, v0
	s_cbranch_execz .LBB120_789
; %bb.786:
	v_add_nc_u32_e32 v121, 0x1d8, v58
	v_add3_u32 v122, 0, v58, 8
	v_mov_b32_e32 v123, v0
	s_mov_b32 s5, 0
.LBB120_787:                            ; =>This Inner Loop Header: Depth=1
	scratch_load_b64 v[124:125], v122, off
	ds_load_b64 v[126:127], v121
	s_wait_xcnt 0x0
	v_dual_add_nc_u32 v121, 8, v121 :: v_dual_add_nc_u32 v122, 8, v122
	s_wait_loadcnt_dscnt 0x0
	v_pk_mul_f32 v[128:129], v[126:127], v[124:125] op_sel:[1,1] op_sel_hi:[0,1]
	s_delay_alu instid0(VALU_DEP_1) | instskip(SKIP_2) | instid1(VALU_DEP_3)
	v_pk_fma_f32 v[130:131], v[126:127], v[124:125], v[128:129] op_sel_hi:[1,0,1]
	v_add_nc_u32_e32 v123, 1, v123
	v_pk_fma_f32 v[124:125], v[126:127], v[124:125], v[128:129] neg_lo:[0,0,1] neg_hi:[0,0,1]
	v_mov_b32_e32 v125, v131
	s_delay_alu instid0(VALU_DEP_3) | instskip(NEXT) | instid1(VALU_DEP_2)
	v_cmp_lt_u32_e32 vcc_lo, 21, v123
	v_pk_add_f32 v[118:119], v[118:119], v[124:125]
	s_or_b32 s5, vcc_lo, s5
	s_delay_alu instid0(SALU_CYCLE_1)
	s_and_not1_b32 exec_lo, exec_lo, s5
	s_cbranch_execnz .LBB120_787
; %bb.788:
	s_or_b32 exec_lo, exec_lo, s5
.LBB120_789:
	s_delay_alu instid0(SALU_CYCLE_1) | instskip(SKIP_4) | instid1(VALU_DEP_1)
	s_or_b32 exec_lo, exec_lo, s4
	v_mov_b32_e32 v121, 0
	ds_load_b64 v[122:123], v121 offset:184
	s_wait_dscnt 0x0
	v_pk_mul_f32 v[124:125], v[118:119], v[122:123] op_sel:[1,1] op_sel_hi:[0,1]
	v_pk_fma_f32 v[126:127], v[118:119], v[122:123], v[124:125] op_sel_hi:[1,0,1]
	v_pk_fma_f32 v[118:119], v[118:119], v[122:123], v[124:125] neg_lo:[0,0,1] neg_hi:[0,0,1]
	s_delay_alu instid0(VALU_DEP_2)
	v_mov_b32_e32 v119, v127
	scratch_store_b64 off, v[118:119], off offset:184
.LBB120_790:
	s_wait_xcnt 0x0
	s_or_b32 exec_lo, exec_lo, s0
	scratch_load_b64 v[118:119], off, off offset:192
	s_mov_b32 s0, exec_lo
	s_wait_loadcnt 0x0
	ds_store_b64 v1, v[118:119]
	s_wait_storecnt_dscnt 0x0
	s_barrier_signal -1
	s_barrier_wait -1
	s_wait_xcnt 0x0
	v_cmpx_gt_u32_e32 24, v0
	s_cbranch_execz .LBB120_800
; %bb.791:
	v_cmp_ne_u32_e32 vcc_lo, 1, v120
	s_cbranch_vccnz .LBB120_793
; %bb.792:
	scratch_load_b64 v[118:119], v59, off
	ds_load_b64 v[122:123], v1
	s_wait_loadcnt_dscnt 0x0
	v_pk_mul_f32 v[124:125], v[122:123], v[118:119] op_sel:[1,1] op_sel_hi:[0,1]
	s_delay_alu instid0(VALU_DEP_1) | instskip(SKIP_1) | instid1(VALU_DEP_2)
	v_pk_fma_f32 v[126:127], v[122:123], v[118:119], v[124:125] op_sel_hi:[1,0,1]
	v_pk_fma_f32 v[118:119], v[122:123], v[118:119], v[124:125] neg_lo:[0,0,1] neg_hi:[0,0,1]
	v_mov_b32_e32 v119, v127
	s_cbranch_execz .LBB120_794
	s_branch .LBB120_795
.LBB120_793:
                                        ; implicit-def: $vgpr118_vgpr119
.LBB120_794:
	ds_load_b64 v[118:119], v1
.LBB120_795:
	s_mov_b32 s4, exec_lo
	v_cmpx_ne_u32_e32 23, v0
	s_cbranch_execz .LBB120_799
; %bb.796:
	v_add_nc_u32_e32 v121, 0x1d8, v58
	v_add3_u32 v122, 0, v58, 8
	v_mov_b32_e32 v123, v0
	s_mov_b32 s5, 0
.LBB120_797:                            ; =>This Inner Loop Header: Depth=1
	scratch_load_b64 v[124:125], v122, off
	ds_load_b64 v[126:127], v121
	s_wait_xcnt 0x0
	v_dual_add_nc_u32 v121, 8, v121 :: v_dual_add_nc_u32 v122, 8, v122
	s_wait_loadcnt_dscnt 0x0
	v_pk_mul_f32 v[128:129], v[126:127], v[124:125] op_sel:[1,1] op_sel_hi:[0,1]
	s_delay_alu instid0(VALU_DEP_1) | instskip(SKIP_2) | instid1(VALU_DEP_3)
	v_pk_fma_f32 v[130:131], v[126:127], v[124:125], v[128:129] op_sel_hi:[1,0,1]
	v_add_nc_u32_e32 v123, 1, v123
	v_pk_fma_f32 v[124:125], v[126:127], v[124:125], v[128:129] neg_lo:[0,0,1] neg_hi:[0,0,1]
	v_mov_b32_e32 v125, v131
	s_delay_alu instid0(VALU_DEP_3) | instskip(NEXT) | instid1(VALU_DEP_2)
	v_cmp_lt_u32_e32 vcc_lo, 22, v123
	v_pk_add_f32 v[118:119], v[118:119], v[124:125]
	s_or_b32 s5, vcc_lo, s5
	s_delay_alu instid0(SALU_CYCLE_1)
	s_and_not1_b32 exec_lo, exec_lo, s5
	s_cbranch_execnz .LBB120_797
; %bb.798:
	s_or_b32 exec_lo, exec_lo, s5
.LBB120_799:
	s_delay_alu instid0(SALU_CYCLE_1) | instskip(SKIP_4) | instid1(VALU_DEP_1)
	s_or_b32 exec_lo, exec_lo, s4
	v_mov_b32_e32 v121, 0
	ds_load_b64 v[122:123], v121 offset:192
	s_wait_dscnt 0x0
	v_pk_mul_f32 v[124:125], v[118:119], v[122:123] op_sel:[1,1] op_sel_hi:[0,1]
	v_pk_fma_f32 v[126:127], v[118:119], v[122:123], v[124:125] op_sel_hi:[1,0,1]
	v_pk_fma_f32 v[118:119], v[118:119], v[122:123], v[124:125] neg_lo:[0,0,1] neg_hi:[0,0,1]
	s_delay_alu instid0(VALU_DEP_2)
	v_mov_b32_e32 v119, v127
	scratch_store_b64 off, v[118:119], off offset:192
.LBB120_800:
	s_wait_xcnt 0x0
	s_or_b32 exec_lo, exec_lo, s0
	scratch_load_b64 v[118:119], off, off offset:200
	s_mov_b32 s0, exec_lo
	s_wait_loadcnt 0x0
	ds_store_b64 v1, v[118:119]
	s_wait_storecnt_dscnt 0x0
	s_barrier_signal -1
	s_barrier_wait -1
	s_wait_xcnt 0x0
	v_cmpx_gt_u32_e32 25, v0
	s_cbranch_execz .LBB120_810
; %bb.801:
	v_cmp_ne_u32_e32 vcc_lo, 1, v120
	s_cbranch_vccnz .LBB120_803
; %bb.802:
	scratch_load_b64 v[118:119], v59, off
	ds_load_b64 v[122:123], v1
	s_wait_loadcnt_dscnt 0x0
	v_pk_mul_f32 v[124:125], v[122:123], v[118:119] op_sel:[1,1] op_sel_hi:[0,1]
	s_delay_alu instid0(VALU_DEP_1) | instskip(SKIP_1) | instid1(VALU_DEP_2)
	v_pk_fma_f32 v[126:127], v[122:123], v[118:119], v[124:125] op_sel_hi:[1,0,1]
	v_pk_fma_f32 v[118:119], v[122:123], v[118:119], v[124:125] neg_lo:[0,0,1] neg_hi:[0,0,1]
	v_mov_b32_e32 v119, v127
	s_cbranch_execz .LBB120_804
	s_branch .LBB120_805
.LBB120_803:
                                        ; implicit-def: $vgpr118_vgpr119
.LBB120_804:
	ds_load_b64 v[118:119], v1
.LBB120_805:
	s_mov_b32 s4, exec_lo
	v_cmpx_ne_u32_e32 24, v0
	s_cbranch_execz .LBB120_809
; %bb.806:
	v_add_nc_u32_e32 v121, 0x1d8, v58
	v_add3_u32 v122, 0, v58, 8
	v_mov_b32_e32 v123, v0
	s_mov_b32 s5, 0
.LBB120_807:                            ; =>This Inner Loop Header: Depth=1
	scratch_load_b64 v[124:125], v122, off
	ds_load_b64 v[126:127], v121
	s_wait_xcnt 0x0
	v_dual_add_nc_u32 v121, 8, v121 :: v_dual_add_nc_u32 v122, 8, v122
	s_wait_loadcnt_dscnt 0x0
	v_pk_mul_f32 v[128:129], v[126:127], v[124:125] op_sel:[1,1] op_sel_hi:[0,1]
	s_delay_alu instid0(VALU_DEP_1) | instskip(SKIP_2) | instid1(VALU_DEP_3)
	v_pk_fma_f32 v[130:131], v[126:127], v[124:125], v[128:129] op_sel_hi:[1,0,1]
	v_add_nc_u32_e32 v123, 1, v123
	v_pk_fma_f32 v[124:125], v[126:127], v[124:125], v[128:129] neg_lo:[0,0,1] neg_hi:[0,0,1]
	v_mov_b32_e32 v125, v131
	s_delay_alu instid0(VALU_DEP_3) | instskip(NEXT) | instid1(VALU_DEP_2)
	v_cmp_lt_u32_e32 vcc_lo, 23, v123
	v_pk_add_f32 v[118:119], v[118:119], v[124:125]
	s_or_b32 s5, vcc_lo, s5
	s_delay_alu instid0(SALU_CYCLE_1)
	s_and_not1_b32 exec_lo, exec_lo, s5
	s_cbranch_execnz .LBB120_807
; %bb.808:
	s_or_b32 exec_lo, exec_lo, s5
.LBB120_809:
	s_delay_alu instid0(SALU_CYCLE_1) | instskip(SKIP_4) | instid1(VALU_DEP_1)
	s_or_b32 exec_lo, exec_lo, s4
	v_mov_b32_e32 v121, 0
	ds_load_b64 v[122:123], v121 offset:200
	s_wait_dscnt 0x0
	v_pk_mul_f32 v[124:125], v[118:119], v[122:123] op_sel:[1,1] op_sel_hi:[0,1]
	v_pk_fma_f32 v[126:127], v[118:119], v[122:123], v[124:125] op_sel_hi:[1,0,1]
	v_pk_fma_f32 v[118:119], v[118:119], v[122:123], v[124:125] neg_lo:[0,0,1] neg_hi:[0,0,1]
	s_delay_alu instid0(VALU_DEP_2)
	v_mov_b32_e32 v119, v127
	scratch_store_b64 off, v[118:119], off offset:200
.LBB120_810:
	s_wait_xcnt 0x0
	s_or_b32 exec_lo, exec_lo, s0
	scratch_load_b64 v[118:119], off, off offset:208
	s_mov_b32 s0, exec_lo
	s_wait_loadcnt 0x0
	ds_store_b64 v1, v[118:119]
	s_wait_storecnt_dscnt 0x0
	s_barrier_signal -1
	s_barrier_wait -1
	s_wait_xcnt 0x0
	v_cmpx_gt_u32_e32 26, v0
	s_cbranch_execz .LBB120_820
; %bb.811:
	v_cmp_ne_u32_e32 vcc_lo, 1, v120
	s_cbranch_vccnz .LBB120_813
; %bb.812:
	scratch_load_b64 v[118:119], v59, off
	ds_load_b64 v[122:123], v1
	s_wait_loadcnt_dscnt 0x0
	v_pk_mul_f32 v[124:125], v[122:123], v[118:119] op_sel:[1,1] op_sel_hi:[0,1]
	s_delay_alu instid0(VALU_DEP_1) | instskip(SKIP_1) | instid1(VALU_DEP_2)
	v_pk_fma_f32 v[126:127], v[122:123], v[118:119], v[124:125] op_sel_hi:[1,0,1]
	v_pk_fma_f32 v[118:119], v[122:123], v[118:119], v[124:125] neg_lo:[0,0,1] neg_hi:[0,0,1]
	v_mov_b32_e32 v119, v127
	s_cbranch_execz .LBB120_814
	s_branch .LBB120_815
.LBB120_813:
                                        ; implicit-def: $vgpr118_vgpr119
.LBB120_814:
	ds_load_b64 v[118:119], v1
.LBB120_815:
	s_mov_b32 s4, exec_lo
	v_cmpx_ne_u32_e32 25, v0
	s_cbranch_execz .LBB120_819
; %bb.816:
	v_add_nc_u32_e32 v121, 0x1d8, v58
	v_add3_u32 v122, 0, v58, 8
	v_mov_b32_e32 v123, v0
	s_mov_b32 s5, 0
.LBB120_817:                            ; =>This Inner Loop Header: Depth=1
	scratch_load_b64 v[124:125], v122, off
	ds_load_b64 v[126:127], v121
	s_wait_xcnt 0x0
	v_dual_add_nc_u32 v121, 8, v121 :: v_dual_add_nc_u32 v122, 8, v122
	s_wait_loadcnt_dscnt 0x0
	v_pk_mul_f32 v[128:129], v[126:127], v[124:125] op_sel:[1,1] op_sel_hi:[0,1]
	s_delay_alu instid0(VALU_DEP_1) | instskip(SKIP_2) | instid1(VALU_DEP_3)
	v_pk_fma_f32 v[130:131], v[126:127], v[124:125], v[128:129] op_sel_hi:[1,0,1]
	v_add_nc_u32_e32 v123, 1, v123
	v_pk_fma_f32 v[124:125], v[126:127], v[124:125], v[128:129] neg_lo:[0,0,1] neg_hi:[0,0,1]
	v_mov_b32_e32 v125, v131
	s_delay_alu instid0(VALU_DEP_3) | instskip(NEXT) | instid1(VALU_DEP_2)
	v_cmp_lt_u32_e32 vcc_lo, 24, v123
	v_pk_add_f32 v[118:119], v[118:119], v[124:125]
	s_or_b32 s5, vcc_lo, s5
	s_delay_alu instid0(SALU_CYCLE_1)
	s_and_not1_b32 exec_lo, exec_lo, s5
	s_cbranch_execnz .LBB120_817
; %bb.818:
	s_or_b32 exec_lo, exec_lo, s5
.LBB120_819:
	s_delay_alu instid0(SALU_CYCLE_1) | instskip(SKIP_4) | instid1(VALU_DEP_1)
	s_or_b32 exec_lo, exec_lo, s4
	v_mov_b32_e32 v121, 0
	ds_load_b64 v[122:123], v121 offset:208
	s_wait_dscnt 0x0
	v_pk_mul_f32 v[124:125], v[118:119], v[122:123] op_sel:[1,1] op_sel_hi:[0,1]
	v_pk_fma_f32 v[126:127], v[118:119], v[122:123], v[124:125] op_sel_hi:[1,0,1]
	v_pk_fma_f32 v[118:119], v[118:119], v[122:123], v[124:125] neg_lo:[0,0,1] neg_hi:[0,0,1]
	s_delay_alu instid0(VALU_DEP_2)
	v_mov_b32_e32 v119, v127
	scratch_store_b64 off, v[118:119], off offset:208
.LBB120_820:
	s_wait_xcnt 0x0
	s_or_b32 exec_lo, exec_lo, s0
	scratch_load_b64 v[118:119], off, off offset:216
	s_mov_b32 s0, exec_lo
	s_wait_loadcnt 0x0
	ds_store_b64 v1, v[118:119]
	s_wait_storecnt_dscnt 0x0
	s_barrier_signal -1
	s_barrier_wait -1
	s_wait_xcnt 0x0
	v_cmpx_gt_u32_e32 27, v0
	s_cbranch_execz .LBB120_830
; %bb.821:
	v_cmp_ne_u32_e32 vcc_lo, 1, v120
	s_cbranch_vccnz .LBB120_823
; %bb.822:
	scratch_load_b64 v[118:119], v59, off
	ds_load_b64 v[122:123], v1
	s_wait_loadcnt_dscnt 0x0
	v_pk_mul_f32 v[124:125], v[122:123], v[118:119] op_sel:[1,1] op_sel_hi:[0,1]
	s_delay_alu instid0(VALU_DEP_1) | instskip(SKIP_1) | instid1(VALU_DEP_2)
	v_pk_fma_f32 v[126:127], v[122:123], v[118:119], v[124:125] op_sel_hi:[1,0,1]
	v_pk_fma_f32 v[118:119], v[122:123], v[118:119], v[124:125] neg_lo:[0,0,1] neg_hi:[0,0,1]
	v_mov_b32_e32 v119, v127
	s_cbranch_execz .LBB120_824
	s_branch .LBB120_825
.LBB120_823:
                                        ; implicit-def: $vgpr118_vgpr119
.LBB120_824:
	ds_load_b64 v[118:119], v1
.LBB120_825:
	s_mov_b32 s4, exec_lo
	v_cmpx_ne_u32_e32 26, v0
	s_cbranch_execz .LBB120_829
; %bb.826:
	v_add_nc_u32_e32 v121, 0x1d8, v58
	v_add3_u32 v122, 0, v58, 8
	v_mov_b32_e32 v123, v0
	s_mov_b32 s5, 0
.LBB120_827:                            ; =>This Inner Loop Header: Depth=1
	scratch_load_b64 v[124:125], v122, off
	ds_load_b64 v[126:127], v121
	s_wait_xcnt 0x0
	v_dual_add_nc_u32 v121, 8, v121 :: v_dual_add_nc_u32 v122, 8, v122
	s_wait_loadcnt_dscnt 0x0
	v_pk_mul_f32 v[128:129], v[126:127], v[124:125] op_sel:[1,1] op_sel_hi:[0,1]
	s_delay_alu instid0(VALU_DEP_1) | instskip(SKIP_2) | instid1(VALU_DEP_3)
	v_pk_fma_f32 v[130:131], v[126:127], v[124:125], v[128:129] op_sel_hi:[1,0,1]
	v_add_nc_u32_e32 v123, 1, v123
	v_pk_fma_f32 v[124:125], v[126:127], v[124:125], v[128:129] neg_lo:[0,0,1] neg_hi:[0,0,1]
	v_mov_b32_e32 v125, v131
	s_delay_alu instid0(VALU_DEP_3) | instskip(NEXT) | instid1(VALU_DEP_2)
	v_cmp_lt_u32_e32 vcc_lo, 25, v123
	v_pk_add_f32 v[118:119], v[118:119], v[124:125]
	s_or_b32 s5, vcc_lo, s5
	s_delay_alu instid0(SALU_CYCLE_1)
	s_and_not1_b32 exec_lo, exec_lo, s5
	s_cbranch_execnz .LBB120_827
; %bb.828:
	s_or_b32 exec_lo, exec_lo, s5
.LBB120_829:
	s_delay_alu instid0(SALU_CYCLE_1) | instskip(SKIP_4) | instid1(VALU_DEP_1)
	s_or_b32 exec_lo, exec_lo, s4
	v_mov_b32_e32 v121, 0
	ds_load_b64 v[122:123], v121 offset:216
	s_wait_dscnt 0x0
	v_pk_mul_f32 v[124:125], v[118:119], v[122:123] op_sel:[1,1] op_sel_hi:[0,1]
	v_pk_fma_f32 v[126:127], v[118:119], v[122:123], v[124:125] op_sel_hi:[1,0,1]
	v_pk_fma_f32 v[118:119], v[118:119], v[122:123], v[124:125] neg_lo:[0,0,1] neg_hi:[0,0,1]
	s_delay_alu instid0(VALU_DEP_2)
	v_mov_b32_e32 v119, v127
	scratch_store_b64 off, v[118:119], off offset:216
.LBB120_830:
	s_wait_xcnt 0x0
	s_or_b32 exec_lo, exec_lo, s0
	scratch_load_b64 v[118:119], off, off offset:224
	s_mov_b32 s0, exec_lo
	s_wait_loadcnt 0x0
	ds_store_b64 v1, v[118:119]
	s_wait_storecnt_dscnt 0x0
	s_barrier_signal -1
	s_barrier_wait -1
	s_wait_xcnt 0x0
	v_cmpx_gt_u32_e32 28, v0
	s_cbranch_execz .LBB120_840
; %bb.831:
	v_cmp_ne_u32_e32 vcc_lo, 1, v120
	s_cbranch_vccnz .LBB120_833
; %bb.832:
	scratch_load_b64 v[118:119], v59, off
	ds_load_b64 v[122:123], v1
	s_wait_loadcnt_dscnt 0x0
	v_pk_mul_f32 v[124:125], v[122:123], v[118:119] op_sel:[1,1] op_sel_hi:[0,1]
	s_delay_alu instid0(VALU_DEP_1) | instskip(SKIP_1) | instid1(VALU_DEP_2)
	v_pk_fma_f32 v[126:127], v[122:123], v[118:119], v[124:125] op_sel_hi:[1,0,1]
	v_pk_fma_f32 v[118:119], v[122:123], v[118:119], v[124:125] neg_lo:[0,0,1] neg_hi:[0,0,1]
	v_mov_b32_e32 v119, v127
	s_cbranch_execz .LBB120_834
	s_branch .LBB120_835
.LBB120_833:
                                        ; implicit-def: $vgpr118_vgpr119
.LBB120_834:
	ds_load_b64 v[118:119], v1
.LBB120_835:
	s_mov_b32 s4, exec_lo
	v_cmpx_ne_u32_e32 27, v0
	s_cbranch_execz .LBB120_839
; %bb.836:
	v_add_nc_u32_e32 v121, 0x1d8, v58
	v_add3_u32 v122, 0, v58, 8
	v_mov_b32_e32 v123, v0
	s_mov_b32 s5, 0
.LBB120_837:                            ; =>This Inner Loop Header: Depth=1
	scratch_load_b64 v[124:125], v122, off
	ds_load_b64 v[126:127], v121
	s_wait_xcnt 0x0
	v_dual_add_nc_u32 v121, 8, v121 :: v_dual_add_nc_u32 v122, 8, v122
	s_wait_loadcnt_dscnt 0x0
	v_pk_mul_f32 v[128:129], v[126:127], v[124:125] op_sel:[1,1] op_sel_hi:[0,1]
	s_delay_alu instid0(VALU_DEP_1) | instskip(SKIP_2) | instid1(VALU_DEP_3)
	v_pk_fma_f32 v[130:131], v[126:127], v[124:125], v[128:129] op_sel_hi:[1,0,1]
	v_add_nc_u32_e32 v123, 1, v123
	v_pk_fma_f32 v[124:125], v[126:127], v[124:125], v[128:129] neg_lo:[0,0,1] neg_hi:[0,0,1]
	v_mov_b32_e32 v125, v131
	s_delay_alu instid0(VALU_DEP_3) | instskip(NEXT) | instid1(VALU_DEP_2)
	v_cmp_lt_u32_e32 vcc_lo, 26, v123
	v_pk_add_f32 v[118:119], v[118:119], v[124:125]
	s_or_b32 s5, vcc_lo, s5
	s_delay_alu instid0(SALU_CYCLE_1)
	s_and_not1_b32 exec_lo, exec_lo, s5
	s_cbranch_execnz .LBB120_837
; %bb.838:
	s_or_b32 exec_lo, exec_lo, s5
.LBB120_839:
	s_delay_alu instid0(SALU_CYCLE_1) | instskip(SKIP_4) | instid1(VALU_DEP_1)
	s_or_b32 exec_lo, exec_lo, s4
	v_mov_b32_e32 v121, 0
	ds_load_b64 v[122:123], v121 offset:224
	s_wait_dscnt 0x0
	v_pk_mul_f32 v[124:125], v[118:119], v[122:123] op_sel:[1,1] op_sel_hi:[0,1]
	v_pk_fma_f32 v[126:127], v[118:119], v[122:123], v[124:125] op_sel_hi:[1,0,1]
	v_pk_fma_f32 v[118:119], v[118:119], v[122:123], v[124:125] neg_lo:[0,0,1] neg_hi:[0,0,1]
	s_delay_alu instid0(VALU_DEP_2)
	v_mov_b32_e32 v119, v127
	scratch_store_b64 off, v[118:119], off offset:224
.LBB120_840:
	s_wait_xcnt 0x0
	s_or_b32 exec_lo, exec_lo, s0
	scratch_load_b64 v[118:119], off, off offset:232
	s_mov_b32 s0, exec_lo
	s_wait_loadcnt 0x0
	ds_store_b64 v1, v[118:119]
	s_wait_storecnt_dscnt 0x0
	s_barrier_signal -1
	s_barrier_wait -1
	s_wait_xcnt 0x0
	v_cmpx_gt_u32_e32 29, v0
	s_cbranch_execz .LBB120_850
; %bb.841:
	v_cmp_ne_u32_e32 vcc_lo, 1, v120
	s_cbranch_vccnz .LBB120_843
; %bb.842:
	scratch_load_b64 v[118:119], v59, off
	ds_load_b64 v[122:123], v1
	s_wait_loadcnt_dscnt 0x0
	v_pk_mul_f32 v[124:125], v[122:123], v[118:119] op_sel:[1,1] op_sel_hi:[0,1]
	s_delay_alu instid0(VALU_DEP_1) | instskip(SKIP_1) | instid1(VALU_DEP_2)
	v_pk_fma_f32 v[126:127], v[122:123], v[118:119], v[124:125] op_sel_hi:[1,0,1]
	v_pk_fma_f32 v[118:119], v[122:123], v[118:119], v[124:125] neg_lo:[0,0,1] neg_hi:[0,0,1]
	v_mov_b32_e32 v119, v127
	s_cbranch_execz .LBB120_844
	s_branch .LBB120_845
.LBB120_843:
                                        ; implicit-def: $vgpr118_vgpr119
.LBB120_844:
	ds_load_b64 v[118:119], v1
.LBB120_845:
	s_mov_b32 s4, exec_lo
	v_cmpx_ne_u32_e32 28, v0
	s_cbranch_execz .LBB120_849
; %bb.846:
	v_add_nc_u32_e32 v121, 0x1d8, v58
	v_add3_u32 v122, 0, v58, 8
	v_mov_b32_e32 v123, v0
	s_mov_b32 s5, 0
.LBB120_847:                            ; =>This Inner Loop Header: Depth=1
	scratch_load_b64 v[124:125], v122, off
	ds_load_b64 v[126:127], v121
	s_wait_xcnt 0x0
	v_dual_add_nc_u32 v121, 8, v121 :: v_dual_add_nc_u32 v122, 8, v122
	s_wait_loadcnt_dscnt 0x0
	v_pk_mul_f32 v[128:129], v[126:127], v[124:125] op_sel:[1,1] op_sel_hi:[0,1]
	s_delay_alu instid0(VALU_DEP_1) | instskip(SKIP_2) | instid1(VALU_DEP_3)
	v_pk_fma_f32 v[130:131], v[126:127], v[124:125], v[128:129] op_sel_hi:[1,0,1]
	v_add_nc_u32_e32 v123, 1, v123
	v_pk_fma_f32 v[124:125], v[126:127], v[124:125], v[128:129] neg_lo:[0,0,1] neg_hi:[0,0,1]
	v_mov_b32_e32 v125, v131
	s_delay_alu instid0(VALU_DEP_3) | instskip(NEXT) | instid1(VALU_DEP_2)
	v_cmp_lt_u32_e32 vcc_lo, 27, v123
	v_pk_add_f32 v[118:119], v[118:119], v[124:125]
	s_or_b32 s5, vcc_lo, s5
	s_delay_alu instid0(SALU_CYCLE_1)
	s_and_not1_b32 exec_lo, exec_lo, s5
	s_cbranch_execnz .LBB120_847
; %bb.848:
	s_or_b32 exec_lo, exec_lo, s5
.LBB120_849:
	s_delay_alu instid0(SALU_CYCLE_1) | instskip(SKIP_4) | instid1(VALU_DEP_1)
	s_or_b32 exec_lo, exec_lo, s4
	v_mov_b32_e32 v121, 0
	ds_load_b64 v[122:123], v121 offset:232
	s_wait_dscnt 0x0
	v_pk_mul_f32 v[124:125], v[118:119], v[122:123] op_sel:[1,1] op_sel_hi:[0,1]
	v_pk_fma_f32 v[126:127], v[118:119], v[122:123], v[124:125] op_sel_hi:[1,0,1]
	v_pk_fma_f32 v[118:119], v[118:119], v[122:123], v[124:125] neg_lo:[0,0,1] neg_hi:[0,0,1]
	s_delay_alu instid0(VALU_DEP_2)
	v_mov_b32_e32 v119, v127
	scratch_store_b64 off, v[118:119], off offset:232
.LBB120_850:
	s_wait_xcnt 0x0
	s_or_b32 exec_lo, exec_lo, s0
	scratch_load_b64 v[118:119], off, off offset:240
	s_mov_b32 s0, exec_lo
	s_wait_loadcnt 0x0
	ds_store_b64 v1, v[118:119]
	s_wait_storecnt_dscnt 0x0
	s_barrier_signal -1
	s_barrier_wait -1
	s_wait_xcnt 0x0
	v_cmpx_gt_u32_e32 30, v0
	s_cbranch_execz .LBB120_860
; %bb.851:
	v_cmp_ne_u32_e32 vcc_lo, 1, v120
	s_cbranch_vccnz .LBB120_853
; %bb.852:
	scratch_load_b64 v[118:119], v59, off
	ds_load_b64 v[122:123], v1
	s_wait_loadcnt_dscnt 0x0
	v_pk_mul_f32 v[124:125], v[122:123], v[118:119] op_sel:[1,1] op_sel_hi:[0,1]
	s_delay_alu instid0(VALU_DEP_1) | instskip(SKIP_1) | instid1(VALU_DEP_2)
	v_pk_fma_f32 v[126:127], v[122:123], v[118:119], v[124:125] op_sel_hi:[1,0,1]
	v_pk_fma_f32 v[118:119], v[122:123], v[118:119], v[124:125] neg_lo:[0,0,1] neg_hi:[0,0,1]
	v_mov_b32_e32 v119, v127
	s_cbranch_execz .LBB120_854
	s_branch .LBB120_855
.LBB120_853:
                                        ; implicit-def: $vgpr118_vgpr119
.LBB120_854:
	ds_load_b64 v[118:119], v1
.LBB120_855:
	s_mov_b32 s4, exec_lo
	v_cmpx_ne_u32_e32 29, v0
	s_cbranch_execz .LBB120_859
; %bb.856:
	v_add_nc_u32_e32 v121, 0x1d8, v58
	v_add3_u32 v122, 0, v58, 8
	v_mov_b32_e32 v123, v0
	s_mov_b32 s5, 0
.LBB120_857:                            ; =>This Inner Loop Header: Depth=1
	scratch_load_b64 v[124:125], v122, off
	ds_load_b64 v[126:127], v121
	s_wait_xcnt 0x0
	v_dual_add_nc_u32 v121, 8, v121 :: v_dual_add_nc_u32 v122, 8, v122
	s_wait_loadcnt_dscnt 0x0
	v_pk_mul_f32 v[128:129], v[126:127], v[124:125] op_sel:[1,1] op_sel_hi:[0,1]
	s_delay_alu instid0(VALU_DEP_1) | instskip(SKIP_2) | instid1(VALU_DEP_3)
	v_pk_fma_f32 v[130:131], v[126:127], v[124:125], v[128:129] op_sel_hi:[1,0,1]
	v_add_nc_u32_e32 v123, 1, v123
	v_pk_fma_f32 v[124:125], v[126:127], v[124:125], v[128:129] neg_lo:[0,0,1] neg_hi:[0,0,1]
	v_mov_b32_e32 v125, v131
	s_delay_alu instid0(VALU_DEP_3) | instskip(NEXT) | instid1(VALU_DEP_2)
	v_cmp_lt_u32_e32 vcc_lo, 28, v123
	v_pk_add_f32 v[118:119], v[118:119], v[124:125]
	s_or_b32 s5, vcc_lo, s5
	s_delay_alu instid0(SALU_CYCLE_1)
	s_and_not1_b32 exec_lo, exec_lo, s5
	s_cbranch_execnz .LBB120_857
; %bb.858:
	s_or_b32 exec_lo, exec_lo, s5
.LBB120_859:
	s_delay_alu instid0(SALU_CYCLE_1) | instskip(SKIP_4) | instid1(VALU_DEP_1)
	s_or_b32 exec_lo, exec_lo, s4
	v_mov_b32_e32 v121, 0
	ds_load_b64 v[122:123], v121 offset:240
	s_wait_dscnt 0x0
	v_pk_mul_f32 v[124:125], v[118:119], v[122:123] op_sel:[1,1] op_sel_hi:[0,1]
	v_pk_fma_f32 v[126:127], v[118:119], v[122:123], v[124:125] op_sel_hi:[1,0,1]
	v_pk_fma_f32 v[118:119], v[118:119], v[122:123], v[124:125] neg_lo:[0,0,1] neg_hi:[0,0,1]
	s_delay_alu instid0(VALU_DEP_2)
	v_mov_b32_e32 v119, v127
	scratch_store_b64 off, v[118:119], off offset:240
.LBB120_860:
	s_wait_xcnt 0x0
	s_or_b32 exec_lo, exec_lo, s0
	scratch_load_b64 v[118:119], off, off offset:248
	s_mov_b32 s0, exec_lo
	s_wait_loadcnt 0x0
	ds_store_b64 v1, v[118:119]
	s_wait_storecnt_dscnt 0x0
	s_barrier_signal -1
	s_barrier_wait -1
	s_wait_xcnt 0x0
	v_cmpx_gt_u32_e32 31, v0
	s_cbranch_execz .LBB120_870
; %bb.861:
	v_cmp_ne_u32_e32 vcc_lo, 1, v120
	s_cbranch_vccnz .LBB120_863
; %bb.862:
	scratch_load_b64 v[118:119], v59, off
	ds_load_b64 v[122:123], v1
	s_wait_loadcnt_dscnt 0x0
	v_pk_mul_f32 v[124:125], v[122:123], v[118:119] op_sel:[1,1] op_sel_hi:[0,1]
	s_delay_alu instid0(VALU_DEP_1) | instskip(SKIP_1) | instid1(VALU_DEP_2)
	v_pk_fma_f32 v[126:127], v[122:123], v[118:119], v[124:125] op_sel_hi:[1,0,1]
	v_pk_fma_f32 v[118:119], v[122:123], v[118:119], v[124:125] neg_lo:[0,0,1] neg_hi:[0,0,1]
	v_mov_b32_e32 v119, v127
	s_cbranch_execz .LBB120_864
	s_branch .LBB120_865
.LBB120_863:
                                        ; implicit-def: $vgpr118_vgpr119
.LBB120_864:
	ds_load_b64 v[118:119], v1
.LBB120_865:
	s_mov_b32 s4, exec_lo
	v_cmpx_ne_u32_e32 30, v0
	s_cbranch_execz .LBB120_869
; %bb.866:
	v_add_nc_u32_e32 v121, 0x1d8, v58
	v_add3_u32 v122, 0, v58, 8
	v_mov_b32_e32 v123, v0
	s_mov_b32 s5, 0
.LBB120_867:                            ; =>This Inner Loop Header: Depth=1
	scratch_load_b64 v[124:125], v122, off
	ds_load_b64 v[126:127], v121
	s_wait_xcnt 0x0
	v_dual_add_nc_u32 v121, 8, v121 :: v_dual_add_nc_u32 v122, 8, v122
	s_wait_loadcnt_dscnt 0x0
	v_pk_mul_f32 v[128:129], v[126:127], v[124:125] op_sel:[1,1] op_sel_hi:[0,1]
	s_delay_alu instid0(VALU_DEP_1) | instskip(SKIP_2) | instid1(VALU_DEP_3)
	v_pk_fma_f32 v[130:131], v[126:127], v[124:125], v[128:129] op_sel_hi:[1,0,1]
	v_add_nc_u32_e32 v123, 1, v123
	v_pk_fma_f32 v[124:125], v[126:127], v[124:125], v[128:129] neg_lo:[0,0,1] neg_hi:[0,0,1]
	v_mov_b32_e32 v125, v131
	s_delay_alu instid0(VALU_DEP_3) | instskip(NEXT) | instid1(VALU_DEP_2)
	v_cmp_lt_u32_e32 vcc_lo, 29, v123
	v_pk_add_f32 v[118:119], v[118:119], v[124:125]
	s_or_b32 s5, vcc_lo, s5
	s_delay_alu instid0(SALU_CYCLE_1)
	s_and_not1_b32 exec_lo, exec_lo, s5
	s_cbranch_execnz .LBB120_867
; %bb.868:
	s_or_b32 exec_lo, exec_lo, s5
.LBB120_869:
	s_delay_alu instid0(SALU_CYCLE_1) | instskip(SKIP_4) | instid1(VALU_DEP_1)
	s_or_b32 exec_lo, exec_lo, s4
	v_mov_b32_e32 v121, 0
	ds_load_b64 v[122:123], v121 offset:248
	s_wait_dscnt 0x0
	v_pk_mul_f32 v[124:125], v[118:119], v[122:123] op_sel:[1,1] op_sel_hi:[0,1]
	v_pk_fma_f32 v[126:127], v[118:119], v[122:123], v[124:125] op_sel_hi:[1,0,1]
	v_pk_fma_f32 v[118:119], v[118:119], v[122:123], v[124:125] neg_lo:[0,0,1] neg_hi:[0,0,1]
	s_delay_alu instid0(VALU_DEP_2)
	v_mov_b32_e32 v119, v127
	scratch_store_b64 off, v[118:119], off offset:248
.LBB120_870:
	s_wait_xcnt 0x0
	s_or_b32 exec_lo, exec_lo, s0
	scratch_load_b64 v[118:119], off, off offset:256
	s_mov_b32 s0, exec_lo
	s_wait_loadcnt 0x0
	ds_store_b64 v1, v[118:119]
	s_wait_storecnt_dscnt 0x0
	s_barrier_signal -1
	s_barrier_wait -1
	s_wait_xcnt 0x0
	v_cmpx_gt_u32_e32 32, v0
	s_cbranch_execz .LBB120_880
; %bb.871:
	v_cmp_ne_u32_e32 vcc_lo, 1, v120
	s_cbranch_vccnz .LBB120_873
; %bb.872:
	scratch_load_b64 v[118:119], v59, off
	ds_load_b64 v[122:123], v1
	s_wait_loadcnt_dscnt 0x0
	v_pk_mul_f32 v[124:125], v[122:123], v[118:119] op_sel:[1,1] op_sel_hi:[0,1]
	s_delay_alu instid0(VALU_DEP_1) | instskip(SKIP_1) | instid1(VALU_DEP_2)
	v_pk_fma_f32 v[126:127], v[122:123], v[118:119], v[124:125] op_sel_hi:[1,0,1]
	v_pk_fma_f32 v[118:119], v[122:123], v[118:119], v[124:125] neg_lo:[0,0,1] neg_hi:[0,0,1]
	v_mov_b32_e32 v119, v127
	s_cbranch_execz .LBB120_874
	s_branch .LBB120_875
.LBB120_873:
                                        ; implicit-def: $vgpr118_vgpr119
.LBB120_874:
	ds_load_b64 v[118:119], v1
.LBB120_875:
	s_mov_b32 s4, exec_lo
	v_cmpx_ne_u32_e32 31, v0
	s_cbranch_execz .LBB120_879
; %bb.876:
	v_add_nc_u32_e32 v121, 0x1d8, v58
	v_add3_u32 v122, 0, v58, 8
	v_mov_b32_e32 v123, v0
	s_mov_b32 s5, 0
.LBB120_877:                            ; =>This Inner Loop Header: Depth=1
	scratch_load_b64 v[124:125], v122, off
	ds_load_b64 v[126:127], v121
	s_wait_xcnt 0x0
	v_dual_add_nc_u32 v121, 8, v121 :: v_dual_add_nc_u32 v122, 8, v122
	s_wait_loadcnt_dscnt 0x0
	v_pk_mul_f32 v[128:129], v[126:127], v[124:125] op_sel:[1,1] op_sel_hi:[0,1]
	s_delay_alu instid0(VALU_DEP_1) | instskip(SKIP_2) | instid1(VALU_DEP_3)
	v_pk_fma_f32 v[130:131], v[126:127], v[124:125], v[128:129] op_sel_hi:[1,0,1]
	v_add_nc_u32_e32 v123, 1, v123
	v_pk_fma_f32 v[124:125], v[126:127], v[124:125], v[128:129] neg_lo:[0,0,1] neg_hi:[0,0,1]
	v_mov_b32_e32 v125, v131
	s_delay_alu instid0(VALU_DEP_3) | instskip(NEXT) | instid1(VALU_DEP_2)
	v_cmp_lt_u32_e32 vcc_lo, 30, v123
	v_pk_add_f32 v[118:119], v[118:119], v[124:125]
	s_or_b32 s5, vcc_lo, s5
	s_delay_alu instid0(SALU_CYCLE_1)
	s_and_not1_b32 exec_lo, exec_lo, s5
	s_cbranch_execnz .LBB120_877
; %bb.878:
	s_or_b32 exec_lo, exec_lo, s5
.LBB120_879:
	s_delay_alu instid0(SALU_CYCLE_1) | instskip(SKIP_4) | instid1(VALU_DEP_1)
	s_or_b32 exec_lo, exec_lo, s4
	v_mov_b32_e32 v121, 0
	ds_load_b64 v[122:123], v121 offset:256
	s_wait_dscnt 0x0
	v_pk_mul_f32 v[124:125], v[118:119], v[122:123] op_sel:[1,1] op_sel_hi:[0,1]
	v_pk_fma_f32 v[126:127], v[118:119], v[122:123], v[124:125] op_sel_hi:[1,0,1]
	v_pk_fma_f32 v[118:119], v[118:119], v[122:123], v[124:125] neg_lo:[0,0,1] neg_hi:[0,0,1]
	s_delay_alu instid0(VALU_DEP_2)
	v_mov_b32_e32 v119, v127
	scratch_store_b64 off, v[118:119], off offset:256
.LBB120_880:
	s_wait_xcnt 0x0
	s_or_b32 exec_lo, exec_lo, s0
	scratch_load_b64 v[118:119], off, off offset:264
	s_mov_b32 s0, exec_lo
	s_wait_loadcnt 0x0
	ds_store_b64 v1, v[118:119]
	s_wait_storecnt_dscnt 0x0
	s_barrier_signal -1
	s_barrier_wait -1
	s_wait_xcnt 0x0
	v_cmpx_gt_u32_e32 33, v0
	s_cbranch_execz .LBB120_890
; %bb.881:
	v_cmp_ne_u32_e32 vcc_lo, 1, v120
	s_cbranch_vccnz .LBB120_883
; %bb.882:
	scratch_load_b64 v[118:119], v59, off
	ds_load_b64 v[122:123], v1
	s_wait_loadcnt_dscnt 0x0
	v_pk_mul_f32 v[124:125], v[122:123], v[118:119] op_sel:[1,1] op_sel_hi:[0,1]
	s_delay_alu instid0(VALU_DEP_1) | instskip(SKIP_1) | instid1(VALU_DEP_2)
	v_pk_fma_f32 v[126:127], v[122:123], v[118:119], v[124:125] op_sel_hi:[1,0,1]
	v_pk_fma_f32 v[118:119], v[122:123], v[118:119], v[124:125] neg_lo:[0,0,1] neg_hi:[0,0,1]
	v_mov_b32_e32 v119, v127
	s_cbranch_execz .LBB120_884
	s_branch .LBB120_885
.LBB120_883:
                                        ; implicit-def: $vgpr118_vgpr119
.LBB120_884:
	ds_load_b64 v[118:119], v1
.LBB120_885:
	s_mov_b32 s4, exec_lo
	v_cmpx_ne_u32_e32 32, v0
	s_cbranch_execz .LBB120_889
; %bb.886:
	v_add_nc_u32_e32 v121, 0x1d8, v58
	v_add3_u32 v122, 0, v58, 8
	v_mov_b32_e32 v123, v0
	s_mov_b32 s5, 0
.LBB120_887:                            ; =>This Inner Loop Header: Depth=1
	scratch_load_b64 v[124:125], v122, off
	ds_load_b64 v[126:127], v121
	s_wait_xcnt 0x0
	v_dual_add_nc_u32 v121, 8, v121 :: v_dual_add_nc_u32 v122, 8, v122
	s_wait_loadcnt_dscnt 0x0
	v_pk_mul_f32 v[128:129], v[126:127], v[124:125] op_sel:[1,1] op_sel_hi:[0,1]
	s_delay_alu instid0(VALU_DEP_1) | instskip(SKIP_2) | instid1(VALU_DEP_3)
	v_pk_fma_f32 v[130:131], v[126:127], v[124:125], v[128:129] op_sel_hi:[1,0,1]
	v_add_nc_u32_e32 v123, 1, v123
	v_pk_fma_f32 v[124:125], v[126:127], v[124:125], v[128:129] neg_lo:[0,0,1] neg_hi:[0,0,1]
	v_mov_b32_e32 v125, v131
	s_delay_alu instid0(VALU_DEP_3) | instskip(NEXT) | instid1(VALU_DEP_2)
	v_cmp_lt_u32_e32 vcc_lo, 31, v123
	v_pk_add_f32 v[118:119], v[118:119], v[124:125]
	s_or_b32 s5, vcc_lo, s5
	s_delay_alu instid0(SALU_CYCLE_1)
	s_and_not1_b32 exec_lo, exec_lo, s5
	s_cbranch_execnz .LBB120_887
; %bb.888:
	s_or_b32 exec_lo, exec_lo, s5
.LBB120_889:
	s_delay_alu instid0(SALU_CYCLE_1) | instskip(SKIP_4) | instid1(VALU_DEP_1)
	s_or_b32 exec_lo, exec_lo, s4
	v_mov_b32_e32 v121, 0
	ds_load_b64 v[122:123], v121 offset:264
	s_wait_dscnt 0x0
	v_pk_mul_f32 v[124:125], v[118:119], v[122:123] op_sel:[1,1] op_sel_hi:[0,1]
	v_pk_fma_f32 v[126:127], v[118:119], v[122:123], v[124:125] op_sel_hi:[1,0,1]
	v_pk_fma_f32 v[118:119], v[118:119], v[122:123], v[124:125] neg_lo:[0,0,1] neg_hi:[0,0,1]
	s_delay_alu instid0(VALU_DEP_2)
	v_mov_b32_e32 v119, v127
	scratch_store_b64 off, v[118:119], off offset:264
.LBB120_890:
	s_wait_xcnt 0x0
	s_or_b32 exec_lo, exec_lo, s0
	scratch_load_b64 v[118:119], off, off offset:272
	s_mov_b32 s0, exec_lo
	s_wait_loadcnt 0x0
	ds_store_b64 v1, v[118:119]
	s_wait_storecnt_dscnt 0x0
	s_barrier_signal -1
	s_barrier_wait -1
	s_wait_xcnt 0x0
	v_cmpx_gt_u32_e32 34, v0
	s_cbranch_execz .LBB120_900
; %bb.891:
	v_cmp_ne_u32_e32 vcc_lo, 1, v120
	s_cbranch_vccnz .LBB120_893
; %bb.892:
	scratch_load_b64 v[118:119], v59, off
	ds_load_b64 v[122:123], v1
	s_wait_loadcnt_dscnt 0x0
	v_pk_mul_f32 v[124:125], v[122:123], v[118:119] op_sel:[1,1] op_sel_hi:[0,1]
	s_delay_alu instid0(VALU_DEP_1) | instskip(SKIP_1) | instid1(VALU_DEP_2)
	v_pk_fma_f32 v[126:127], v[122:123], v[118:119], v[124:125] op_sel_hi:[1,0,1]
	v_pk_fma_f32 v[118:119], v[122:123], v[118:119], v[124:125] neg_lo:[0,0,1] neg_hi:[0,0,1]
	v_mov_b32_e32 v119, v127
	s_cbranch_execz .LBB120_894
	s_branch .LBB120_895
.LBB120_893:
                                        ; implicit-def: $vgpr118_vgpr119
.LBB120_894:
	ds_load_b64 v[118:119], v1
.LBB120_895:
	s_mov_b32 s4, exec_lo
	v_cmpx_ne_u32_e32 33, v0
	s_cbranch_execz .LBB120_899
; %bb.896:
	v_add_nc_u32_e32 v121, 0x1d8, v58
	v_add3_u32 v122, 0, v58, 8
	v_mov_b32_e32 v123, v0
	s_mov_b32 s5, 0
.LBB120_897:                            ; =>This Inner Loop Header: Depth=1
	scratch_load_b64 v[124:125], v122, off
	ds_load_b64 v[126:127], v121
	s_wait_xcnt 0x0
	v_dual_add_nc_u32 v121, 8, v121 :: v_dual_add_nc_u32 v122, 8, v122
	s_wait_loadcnt_dscnt 0x0
	v_pk_mul_f32 v[128:129], v[126:127], v[124:125] op_sel:[1,1] op_sel_hi:[0,1]
	s_delay_alu instid0(VALU_DEP_1) | instskip(SKIP_2) | instid1(VALU_DEP_3)
	v_pk_fma_f32 v[130:131], v[126:127], v[124:125], v[128:129] op_sel_hi:[1,0,1]
	v_add_nc_u32_e32 v123, 1, v123
	v_pk_fma_f32 v[124:125], v[126:127], v[124:125], v[128:129] neg_lo:[0,0,1] neg_hi:[0,0,1]
	v_mov_b32_e32 v125, v131
	s_delay_alu instid0(VALU_DEP_3) | instskip(NEXT) | instid1(VALU_DEP_2)
	v_cmp_lt_u32_e32 vcc_lo, 32, v123
	v_pk_add_f32 v[118:119], v[118:119], v[124:125]
	s_or_b32 s5, vcc_lo, s5
	s_delay_alu instid0(SALU_CYCLE_1)
	s_and_not1_b32 exec_lo, exec_lo, s5
	s_cbranch_execnz .LBB120_897
; %bb.898:
	s_or_b32 exec_lo, exec_lo, s5
.LBB120_899:
	s_delay_alu instid0(SALU_CYCLE_1) | instskip(SKIP_4) | instid1(VALU_DEP_1)
	s_or_b32 exec_lo, exec_lo, s4
	v_mov_b32_e32 v121, 0
	ds_load_b64 v[122:123], v121 offset:272
	s_wait_dscnt 0x0
	v_pk_mul_f32 v[124:125], v[118:119], v[122:123] op_sel:[1,1] op_sel_hi:[0,1]
	v_pk_fma_f32 v[126:127], v[118:119], v[122:123], v[124:125] op_sel_hi:[1,0,1]
	v_pk_fma_f32 v[118:119], v[118:119], v[122:123], v[124:125] neg_lo:[0,0,1] neg_hi:[0,0,1]
	s_delay_alu instid0(VALU_DEP_2)
	v_mov_b32_e32 v119, v127
	scratch_store_b64 off, v[118:119], off offset:272
.LBB120_900:
	s_wait_xcnt 0x0
	s_or_b32 exec_lo, exec_lo, s0
	scratch_load_b64 v[118:119], off, off offset:280
	s_mov_b32 s0, exec_lo
	s_wait_loadcnt 0x0
	ds_store_b64 v1, v[118:119]
	s_wait_storecnt_dscnt 0x0
	s_barrier_signal -1
	s_barrier_wait -1
	s_wait_xcnt 0x0
	v_cmpx_gt_u32_e32 35, v0
	s_cbranch_execz .LBB120_910
; %bb.901:
	v_cmp_ne_u32_e32 vcc_lo, 1, v120
	s_cbranch_vccnz .LBB120_903
; %bb.902:
	scratch_load_b64 v[118:119], v59, off
	ds_load_b64 v[122:123], v1
	s_wait_loadcnt_dscnt 0x0
	v_pk_mul_f32 v[124:125], v[122:123], v[118:119] op_sel:[1,1] op_sel_hi:[0,1]
	s_delay_alu instid0(VALU_DEP_1) | instskip(SKIP_1) | instid1(VALU_DEP_2)
	v_pk_fma_f32 v[126:127], v[122:123], v[118:119], v[124:125] op_sel_hi:[1,0,1]
	v_pk_fma_f32 v[118:119], v[122:123], v[118:119], v[124:125] neg_lo:[0,0,1] neg_hi:[0,0,1]
	v_mov_b32_e32 v119, v127
	s_cbranch_execz .LBB120_904
	s_branch .LBB120_905
.LBB120_903:
                                        ; implicit-def: $vgpr118_vgpr119
.LBB120_904:
	ds_load_b64 v[118:119], v1
.LBB120_905:
	s_mov_b32 s4, exec_lo
	v_cmpx_ne_u32_e32 34, v0
	s_cbranch_execz .LBB120_909
; %bb.906:
	v_add_nc_u32_e32 v121, 0x1d8, v58
	v_add3_u32 v122, 0, v58, 8
	v_mov_b32_e32 v123, v0
	s_mov_b32 s5, 0
.LBB120_907:                            ; =>This Inner Loop Header: Depth=1
	scratch_load_b64 v[124:125], v122, off
	ds_load_b64 v[126:127], v121
	s_wait_xcnt 0x0
	v_dual_add_nc_u32 v121, 8, v121 :: v_dual_add_nc_u32 v122, 8, v122
	s_wait_loadcnt_dscnt 0x0
	v_pk_mul_f32 v[128:129], v[126:127], v[124:125] op_sel:[1,1] op_sel_hi:[0,1]
	s_delay_alu instid0(VALU_DEP_1) | instskip(SKIP_2) | instid1(VALU_DEP_3)
	v_pk_fma_f32 v[130:131], v[126:127], v[124:125], v[128:129] op_sel_hi:[1,0,1]
	v_add_nc_u32_e32 v123, 1, v123
	v_pk_fma_f32 v[124:125], v[126:127], v[124:125], v[128:129] neg_lo:[0,0,1] neg_hi:[0,0,1]
	v_mov_b32_e32 v125, v131
	s_delay_alu instid0(VALU_DEP_3) | instskip(NEXT) | instid1(VALU_DEP_2)
	v_cmp_lt_u32_e32 vcc_lo, 33, v123
	v_pk_add_f32 v[118:119], v[118:119], v[124:125]
	s_or_b32 s5, vcc_lo, s5
	s_delay_alu instid0(SALU_CYCLE_1)
	s_and_not1_b32 exec_lo, exec_lo, s5
	s_cbranch_execnz .LBB120_907
; %bb.908:
	s_or_b32 exec_lo, exec_lo, s5
.LBB120_909:
	s_delay_alu instid0(SALU_CYCLE_1) | instskip(SKIP_4) | instid1(VALU_DEP_1)
	s_or_b32 exec_lo, exec_lo, s4
	v_mov_b32_e32 v121, 0
	ds_load_b64 v[122:123], v121 offset:280
	s_wait_dscnt 0x0
	v_pk_mul_f32 v[124:125], v[118:119], v[122:123] op_sel:[1,1] op_sel_hi:[0,1]
	v_pk_fma_f32 v[126:127], v[118:119], v[122:123], v[124:125] op_sel_hi:[1,0,1]
	v_pk_fma_f32 v[118:119], v[118:119], v[122:123], v[124:125] neg_lo:[0,0,1] neg_hi:[0,0,1]
	s_delay_alu instid0(VALU_DEP_2)
	v_mov_b32_e32 v119, v127
	scratch_store_b64 off, v[118:119], off offset:280
.LBB120_910:
	s_wait_xcnt 0x0
	s_or_b32 exec_lo, exec_lo, s0
	scratch_load_b64 v[118:119], off, off offset:288
	s_mov_b32 s0, exec_lo
	s_wait_loadcnt 0x0
	ds_store_b64 v1, v[118:119]
	s_wait_storecnt_dscnt 0x0
	s_barrier_signal -1
	s_barrier_wait -1
	s_wait_xcnt 0x0
	v_cmpx_gt_u32_e32 36, v0
	s_cbranch_execz .LBB120_920
; %bb.911:
	v_cmp_ne_u32_e32 vcc_lo, 1, v120
	s_cbranch_vccnz .LBB120_913
; %bb.912:
	scratch_load_b64 v[118:119], v59, off
	ds_load_b64 v[122:123], v1
	s_wait_loadcnt_dscnt 0x0
	v_pk_mul_f32 v[124:125], v[122:123], v[118:119] op_sel:[1,1] op_sel_hi:[0,1]
	s_delay_alu instid0(VALU_DEP_1) | instskip(SKIP_1) | instid1(VALU_DEP_2)
	v_pk_fma_f32 v[126:127], v[122:123], v[118:119], v[124:125] op_sel_hi:[1,0,1]
	v_pk_fma_f32 v[118:119], v[122:123], v[118:119], v[124:125] neg_lo:[0,0,1] neg_hi:[0,0,1]
	v_mov_b32_e32 v119, v127
	s_cbranch_execz .LBB120_914
	s_branch .LBB120_915
.LBB120_913:
                                        ; implicit-def: $vgpr118_vgpr119
.LBB120_914:
	ds_load_b64 v[118:119], v1
.LBB120_915:
	s_mov_b32 s4, exec_lo
	v_cmpx_ne_u32_e32 35, v0
	s_cbranch_execz .LBB120_919
; %bb.916:
	v_add_nc_u32_e32 v121, 0x1d8, v58
	v_add3_u32 v122, 0, v58, 8
	v_mov_b32_e32 v123, v0
	s_mov_b32 s5, 0
.LBB120_917:                            ; =>This Inner Loop Header: Depth=1
	scratch_load_b64 v[124:125], v122, off
	ds_load_b64 v[126:127], v121
	s_wait_xcnt 0x0
	v_dual_add_nc_u32 v121, 8, v121 :: v_dual_add_nc_u32 v122, 8, v122
	s_wait_loadcnt_dscnt 0x0
	v_pk_mul_f32 v[128:129], v[126:127], v[124:125] op_sel:[1,1] op_sel_hi:[0,1]
	s_delay_alu instid0(VALU_DEP_1) | instskip(SKIP_2) | instid1(VALU_DEP_3)
	v_pk_fma_f32 v[130:131], v[126:127], v[124:125], v[128:129] op_sel_hi:[1,0,1]
	v_add_nc_u32_e32 v123, 1, v123
	v_pk_fma_f32 v[124:125], v[126:127], v[124:125], v[128:129] neg_lo:[0,0,1] neg_hi:[0,0,1]
	v_mov_b32_e32 v125, v131
	s_delay_alu instid0(VALU_DEP_3) | instskip(NEXT) | instid1(VALU_DEP_2)
	v_cmp_lt_u32_e32 vcc_lo, 34, v123
	v_pk_add_f32 v[118:119], v[118:119], v[124:125]
	s_or_b32 s5, vcc_lo, s5
	s_delay_alu instid0(SALU_CYCLE_1)
	s_and_not1_b32 exec_lo, exec_lo, s5
	s_cbranch_execnz .LBB120_917
; %bb.918:
	s_or_b32 exec_lo, exec_lo, s5
.LBB120_919:
	s_delay_alu instid0(SALU_CYCLE_1) | instskip(SKIP_4) | instid1(VALU_DEP_1)
	s_or_b32 exec_lo, exec_lo, s4
	v_mov_b32_e32 v121, 0
	ds_load_b64 v[122:123], v121 offset:288
	s_wait_dscnt 0x0
	v_pk_mul_f32 v[124:125], v[118:119], v[122:123] op_sel:[1,1] op_sel_hi:[0,1]
	v_pk_fma_f32 v[126:127], v[118:119], v[122:123], v[124:125] op_sel_hi:[1,0,1]
	v_pk_fma_f32 v[118:119], v[118:119], v[122:123], v[124:125] neg_lo:[0,0,1] neg_hi:[0,0,1]
	s_delay_alu instid0(VALU_DEP_2)
	v_mov_b32_e32 v119, v127
	scratch_store_b64 off, v[118:119], off offset:288
.LBB120_920:
	s_wait_xcnt 0x0
	s_or_b32 exec_lo, exec_lo, s0
	scratch_load_b64 v[118:119], off, off offset:296
	s_mov_b32 s0, exec_lo
	s_wait_loadcnt 0x0
	ds_store_b64 v1, v[118:119]
	s_wait_storecnt_dscnt 0x0
	s_barrier_signal -1
	s_barrier_wait -1
	s_wait_xcnt 0x0
	v_cmpx_gt_u32_e32 37, v0
	s_cbranch_execz .LBB120_930
; %bb.921:
	v_cmp_ne_u32_e32 vcc_lo, 1, v120
	s_cbranch_vccnz .LBB120_923
; %bb.922:
	scratch_load_b64 v[118:119], v59, off
	ds_load_b64 v[122:123], v1
	s_wait_loadcnt_dscnt 0x0
	v_pk_mul_f32 v[124:125], v[122:123], v[118:119] op_sel:[1,1] op_sel_hi:[0,1]
	s_delay_alu instid0(VALU_DEP_1) | instskip(SKIP_1) | instid1(VALU_DEP_2)
	v_pk_fma_f32 v[126:127], v[122:123], v[118:119], v[124:125] op_sel_hi:[1,0,1]
	v_pk_fma_f32 v[118:119], v[122:123], v[118:119], v[124:125] neg_lo:[0,0,1] neg_hi:[0,0,1]
	v_mov_b32_e32 v119, v127
	s_cbranch_execz .LBB120_924
	s_branch .LBB120_925
.LBB120_923:
                                        ; implicit-def: $vgpr118_vgpr119
.LBB120_924:
	ds_load_b64 v[118:119], v1
.LBB120_925:
	s_mov_b32 s4, exec_lo
	v_cmpx_ne_u32_e32 36, v0
	s_cbranch_execz .LBB120_929
; %bb.926:
	v_add_nc_u32_e32 v121, 0x1d8, v58
	v_add3_u32 v122, 0, v58, 8
	v_mov_b32_e32 v123, v0
	s_mov_b32 s5, 0
.LBB120_927:                            ; =>This Inner Loop Header: Depth=1
	scratch_load_b64 v[124:125], v122, off
	ds_load_b64 v[126:127], v121
	s_wait_xcnt 0x0
	v_dual_add_nc_u32 v121, 8, v121 :: v_dual_add_nc_u32 v122, 8, v122
	s_wait_loadcnt_dscnt 0x0
	v_pk_mul_f32 v[128:129], v[126:127], v[124:125] op_sel:[1,1] op_sel_hi:[0,1]
	s_delay_alu instid0(VALU_DEP_1) | instskip(SKIP_2) | instid1(VALU_DEP_3)
	v_pk_fma_f32 v[130:131], v[126:127], v[124:125], v[128:129] op_sel_hi:[1,0,1]
	v_add_nc_u32_e32 v123, 1, v123
	v_pk_fma_f32 v[124:125], v[126:127], v[124:125], v[128:129] neg_lo:[0,0,1] neg_hi:[0,0,1]
	v_mov_b32_e32 v125, v131
	s_delay_alu instid0(VALU_DEP_3) | instskip(NEXT) | instid1(VALU_DEP_2)
	v_cmp_lt_u32_e32 vcc_lo, 35, v123
	v_pk_add_f32 v[118:119], v[118:119], v[124:125]
	s_or_b32 s5, vcc_lo, s5
	s_delay_alu instid0(SALU_CYCLE_1)
	s_and_not1_b32 exec_lo, exec_lo, s5
	s_cbranch_execnz .LBB120_927
; %bb.928:
	s_or_b32 exec_lo, exec_lo, s5
.LBB120_929:
	s_delay_alu instid0(SALU_CYCLE_1) | instskip(SKIP_4) | instid1(VALU_DEP_1)
	s_or_b32 exec_lo, exec_lo, s4
	v_mov_b32_e32 v121, 0
	ds_load_b64 v[122:123], v121 offset:296
	s_wait_dscnt 0x0
	v_pk_mul_f32 v[124:125], v[118:119], v[122:123] op_sel:[1,1] op_sel_hi:[0,1]
	v_pk_fma_f32 v[126:127], v[118:119], v[122:123], v[124:125] op_sel_hi:[1,0,1]
	v_pk_fma_f32 v[118:119], v[118:119], v[122:123], v[124:125] neg_lo:[0,0,1] neg_hi:[0,0,1]
	s_delay_alu instid0(VALU_DEP_2)
	v_mov_b32_e32 v119, v127
	scratch_store_b64 off, v[118:119], off offset:296
.LBB120_930:
	s_wait_xcnt 0x0
	s_or_b32 exec_lo, exec_lo, s0
	scratch_load_b64 v[118:119], off, off offset:304
	s_mov_b32 s0, exec_lo
	s_wait_loadcnt 0x0
	ds_store_b64 v1, v[118:119]
	s_wait_storecnt_dscnt 0x0
	s_barrier_signal -1
	s_barrier_wait -1
	s_wait_xcnt 0x0
	v_cmpx_gt_u32_e32 38, v0
	s_cbranch_execz .LBB120_940
; %bb.931:
	v_cmp_ne_u32_e32 vcc_lo, 1, v120
	s_cbranch_vccnz .LBB120_933
; %bb.932:
	scratch_load_b64 v[118:119], v59, off
	ds_load_b64 v[122:123], v1
	s_wait_loadcnt_dscnt 0x0
	v_pk_mul_f32 v[124:125], v[122:123], v[118:119] op_sel:[1,1] op_sel_hi:[0,1]
	s_delay_alu instid0(VALU_DEP_1) | instskip(SKIP_1) | instid1(VALU_DEP_2)
	v_pk_fma_f32 v[126:127], v[122:123], v[118:119], v[124:125] op_sel_hi:[1,0,1]
	v_pk_fma_f32 v[118:119], v[122:123], v[118:119], v[124:125] neg_lo:[0,0,1] neg_hi:[0,0,1]
	v_mov_b32_e32 v119, v127
	s_cbranch_execz .LBB120_934
	s_branch .LBB120_935
.LBB120_933:
                                        ; implicit-def: $vgpr118_vgpr119
.LBB120_934:
	ds_load_b64 v[118:119], v1
.LBB120_935:
	s_mov_b32 s4, exec_lo
	v_cmpx_ne_u32_e32 37, v0
	s_cbranch_execz .LBB120_939
; %bb.936:
	v_add_nc_u32_e32 v121, 0x1d8, v58
	v_add3_u32 v122, 0, v58, 8
	v_mov_b32_e32 v123, v0
	s_mov_b32 s5, 0
.LBB120_937:                            ; =>This Inner Loop Header: Depth=1
	scratch_load_b64 v[124:125], v122, off
	ds_load_b64 v[126:127], v121
	s_wait_xcnt 0x0
	v_dual_add_nc_u32 v121, 8, v121 :: v_dual_add_nc_u32 v122, 8, v122
	s_wait_loadcnt_dscnt 0x0
	v_pk_mul_f32 v[128:129], v[126:127], v[124:125] op_sel:[1,1] op_sel_hi:[0,1]
	s_delay_alu instid0(VALU_DEP_1) | instskip(SKIP_2) | instid1(VALU_DEP_3)
	v_pk_fma_f32 v[130:131], v[126:127], v[124:125], v[128:129] op_sel_hi:[1,0,1]
	v_add_nc_u32_e32 v123, 1, v123
	v_pk_fma_f32 v[124:125], v[126:127], v[124:125], v[128:129] neg_lo:[0,0,1] neg_hi:[0,0,1]
	v_mov_b32_e32 v125, v131
	s_delay_alu instid0(VALU_DEP_3) | instskip(NEXT) | instid1(VALU_DEP_2)
	v_cmp_lt_u32_e32 vcc_lo, 36, v123
	v_pk_add_f32 v[118:119], v[118:119], v[124:125]
	s_or_b32 s5, vcc_lo, s5
	s_delay_alu instid0(SALU_CYCLE_1)
	s_and_not1_b32 exec_lo, exec_lo, s5
	s_cbranch_execnz .LBB120_937
; %bb.938:
	s_or_b32 exec_lo, exec_lo, s5
.LBB120_939:
	s_delay_alu instid0(SALU_CYCLE_1) | instskip(SKIP_4) | instid1(VALU_DEP_1)
	s_or_b32 exec_lo, exec_lo, s4
	v_mov_b32_e32 v121, 0
	ds_load_b64 v[122:123], v121 offset:304
	s_wait_dscnt 0x0
	v_pk_mul_f32 v[124:125], v[118:119], v[122:123] op_sel:[1,1] op_sel_hi:[0,1]
	v_pk_fma_f32 v[126:127], v[118:119], v[122:123], v[124:125] op_sel_hi:[1,0,1]
	v_pk_fma_f32 v[118:119], v[118:119], v[122:123], v[124:125] neg_lo:[0,0,1] neg_hi:[0,0,1]
	s_delay_alu instid0(VALU_DEP_2)
	v_mov_b32_e32 v119, v127
	scratch_store_b64 off, v[118:119], off offset:304
.LBB120_940:
	s_wait_xcnt 0x0
	s_or_b32 exec_lo, exec_lo, s0
	scratch_load_b64 v[118:119], off, off offset:312
	s_mov_b32 s0, exec_lo
	s_wait_loadcnt 0x0
	ds_store_b64 v1, v[118:119]
	s_wait_storecnt_dscnt 0x0
	s_barrier_signal -1
	s_barrier_wait -1
	s_wait_xcnt 0x0
	v_cmpx_gt_u32_e32 39, v0
	s_cbranch_execz .LBB120_950
; %bb.941:
	v_cmp_ne_u32_e32 vcc_lo, 1, v120
	s_cbranch_vccnz .LBB120_943
; %bb.942:
	scratch_load_b64 v[118:119], v59, off
	ds_load_b64 v[122:123], v1
	s_wait_loadcnt_dscnt 0x0
	v_pk_mul_f32 v[124:125], v[122:123], v[118:119] op_sel:[1,1] op_sel_hi:[0,1]
	s_delay_alu instid0(VALU_DEP_1) | instskip(SKIP_1) | instid1(VALU_DEP_2)
	v_pk_fma_f32 v[126:127], v[122:123], v[118:119], v[124:125] op_sel_hi:[1,0,1]
	v_pk_fma_f32 v[118:119], v[122:123], v[118:119], v[124:125] neg_lo:[0,0,1] neg_hi:[0,0,1]
	v_mov_b32_e32 v119, v127
	s_cbranch_execz .LBB120_944
	s_branch .LBB120_945
.LBB120_943:
                                        ; implicit-def: $vgpr118_vgpr119
.LBB120_944:
	ds_load_b64 v[118:119], v1
.LBB120_945:
	s_mov_b32 s4, exec_lo
	v_cmpx_ne_u32_e32 38, v0
	s_cbranch_execz .LBB120_949
; %bb.946:
	v_add_nc_u32_e32 v121, 0x1d8, v58
	v_add3_u32 v122, 0, v58, 8
	v_mov_b32_e32 v123, v0
	s_mov_b32 s5, 0
.LBB120_947:                            ; =>This Inner Loop Header: Depth=1
	scratch_load_b64 v[124:125], v122, off
	ds_load_b64 v[126:127], v121
	s_wait_xcnt 0x0
	v_dual_add_nc_u32 v121, 8, v121 :: v_dual_add_nc_u32 v122, 8, v122
	s_wait_loadcnt_dscnt 0x0
	v_pk_mul_f32 v[128:129], v[126:127], v[124:125] op_sel:[1,1] op_sel_hi:[0,1]
	s_delay_alu instid0(VALU_DEP_1) | instskip(SKIP_2) | instid1(VALU_DEP_3)
	v_pk_fma_f32 v[130:131], v[126:127], v[124:125], v[128:129] op_sel_hi:[1,0,1]
	v_add_nc_u32_e32 v123, 1, v123
	v_pk_fma_f32 v[124:125], v[126:127], v[124:125], v[128:129] neg_lo:[0,0,1] neg_hi:[0,0,1]
	v_mov_b32_e32 v125, v131
	s_delay_alu instid0(VALU_DEP_3) | instskip(NEXT) | instid1(VALU_DEP_2)
	v_cmp_lt_u32_e32 vcc_lo, 37, v123
	v_pk_add_f32 v[118:119], v[118:119], v[124:125]
	s_or_b32 s5, vcc_lo, s5
	s_delay_alu instid0(SALU_CYCLE_1)
	s_and_not1_b32 exec_lo, exec_lo, s5
	s_cbranch_execnz .LBB120_947
; %bb.948:
	s_or_b32 exec_lo, exec_lo, s5
.LBB120_949:
	s_delay_alu instid0(SALU_CYCLE_1) | instskip(SKIP_4) | instid1(VALU_DEP_1)
	s_or_b32 exec_lo, exec_lo, s4
	v_mov_b32_e32 v121, 0
	ds_load_b64 v[122:123], v121 offset:312
	s_wait_dscnt 0x0
	v_pk_mul_f32 v[124:125], v[118:119], v[122:123] op_sel:[1,1] op_sel_hi:[0,1]
	v_pk_fma_f32 v[126:127], v[118:119], v[122:123], v[124:125] op_sel_hi:[1,0,1]
	v_pk_fma_f32 v[118:119], v[118:119], v[122:123], v[124:125] neg_lo:[0,0,1] neg_hi:[0,0,1]
	s_delay_alu instid0(VALU_DEP_2)
	v_mov_b32_e32 v119, v127
	scratch_store_b64 off, v[118:119], off offset:312
.LBB120_950:
	s_wait_xcnt 0x0
	s_or_b32 exec_lo, exec_lo, s0
	scratch_load_b64 v[118:119], off, off offset:320
	s_mov_b32 s0, exec_lo
	s_wait_loadcnt 0x0
	ds_store_b64 v1, v[118:119]
	s_wait_storecnt_dscnt 0x0
	s_barrier_signal -1
	s_barrier_wait -1
	s_wait_xcnt 0x0
	v_cmpx_gt_u32_e32 40, v0
	s_cbranch_execz .LBB120_960
; %bb.951:
	v_cmp_ne_u32_e32 vcc_lo, 1, v120
	s_cbranch_vccnz .LBB120_953
; %bb.952:
	scratch_load_b64 v[118:119], v59, off
	ds_load_b64 v[122:123], v1
	s_wait_loadcnt_dscnt 0x0
	v_pk_mul_f32 v[124:125], v[122:123], v[118:119] op_sel:[1,1] op_sel_hi:[0,1]
	s_delay_alu instid0(VALU_DEP_1) | instskip(SKIP_1) | instid1(VALU_DEP_2)
	v_pk_fma_f32 v[126:127], v[122:123], v[118:119], v[124:125] op_sel_hi:[1,0,1]
	v_pk_fma_f32 v[118:119], v[122:123], v[118:119], v[124:125] neg_lo:[0,0,1] neg_hi:[0,0,1]
	v_mov_b32_e32 v119, v127
	s_cbranch_execz .LBB120_954
	s_branch .LBB120_955
.LBB120_953:
                                        ; implicit-def: $vgpr118_vgpr119
.LBB120_954:
	ds_load_b64 v[118:119], v1
.LBB120_955:
	s_mov_b32 s4, exec_lo
	v_cmpx_ne_u32_e32 39, v0
	s_cbranch_execz .LBB120_959
; %bb.956:
	v_add_nc_u32_e32 v121, 0x1d8, v58
	v_add3_u32 v122, 0, v58, 8
	v_mov_b32_e32 v123, v0
	s_mov_b32 s5, 0
.LBB120_957:                            ; =>This Inner Loop Header: Depth=1
	scratch_load_b64 v[124:125], v122, off
	ds_load_b64 v[126:127], v121
	s_wait_xcnt 0x0
	v_dual_add_nc_u32 v121, 8, v121 :: v_dual_add_nc_u32 v122, 8, v122
	s_wait_loadcnt_dscnt 0x0
	v_pk_mul_f32 v[128:129], v[126:127], v[124:125] op_sel:[1,1] op_sel_hi:[0,1]
	s_delay_alu instid0(VALU_DEP_1) | instskip(SKIP_2) | instid1(VALU_DEP_3)
	v_pk_fma_f32 v[130:131], v[126:127], v[124:125], v[128:129] op_sel_hi:[1,0,1]
	v_add_nc_u32_e32 v123, 1, v123
	v_pk_fma_f32 v[124:125], v[126:127], v[124:125], v[128:129] neg_lo:[0,0,1] neg_hi:[0,0,1]
	v_mov_b32_e32 v125, v131
	s_delay_alu instid0(VALU_DEP_3) | instskip(NEXT) | instid1(VALU_DEP_2)
	v_cmp_lt_u32_e32 vcc_lo, 38, v123
	v_pk_add_f32 v[118:119], v[118:119], v[124:125]
	s_or_b32 s5, vcc_lo, s5
	s_delay_alu instid0(SALU_CYCLE_1)
	s_and_not1_b32 exec_lo, exec_lo, s5
	s_cbranch_execnz .LBB120_957
; %bb.958:
	s_or_b32 exec_lo, exec_lo, s5
.LBB120_959:
	s_delay_alu instid0(SALU_CYCLE_1) | instskip(SKIP_4) | instid1(VALU_DEP_1)
	s_or_b32 exec_lo, exec_lo, s4
	v_mov_b32_e32 v121, 0
	ds_load_b64 v[122:123], v121 offset:320
	s_wait_dscnt 0x0
	v_pk_mul_f32 v[124:125], v[118:119], v[122:123] op_sel:[1,1] op_sel_hi:[0,1]
	v_pk_fma_f32 v[126:127], v[118:119], v[122:123], v[124:125] op_sel_hi:[1,0,1]
	v_pk_fma_f32 v[118:119], v[118:119], v[122:123], v[124:125] neg_lo:[0,0,1] neg_hi:[0,0,1]
	s_delay_alu instid0(VALU_DEP_2)
	v_mov_b32_e32 v119, v127
	scratch_store_b64 off, v[118:119], off offset:320
.LBB120_960:
	s_wait_xcnt 0x0
	s_or_b32 exec_lo, exec_lo, s0
	scratch_load_b64 v[118:119], off, off offset:328
	s_mov_b32 s0, exec_lo
	s_wait_loadcnt 0x0
	ds_store_b64 v1, v[118:119]
	s_wait_storecnt_dscnt 0x0
	s_barrier_signal -1
	s_barrier_wait -1
	s_wait_xcnt 0x0
	v_cmpx_gt_u32_e32 41, v0
	s_cbranch_execz .LBB120_970
; %bb.961:
	v_cmp_ne_u32_e32 vcc_lo, 1, v120
	s_cbranch_vccnz .LBB120_963
; %bb.962:
	scratch_load_b64 v[118:119], v59, off
	ds_load_b64 v[122:123], v1
	s_wait_loadcnt_dscnt 0x0
	v_pk_mul_f32 v[124:125], v[122:123], v[118:119] op_sel:[1,1] op_sel_hi:[0,1]
	s_delay_alu instid0(VALU_DEP_1) | instskip(SKIP_1) | instid1(VALU_DEP_2)
	v_pk_fma_f32 v[126:127], v[122:123], v[118:119], v[124:125] op_sel_hi:[1,0,1]
	v_pk_fma_f32 v[118:119], v[122:123], v[118:119], v[124:125] neg_lo:[0,0,1] neg_hi:[0,0,1]
	v_mov_b32_e32 v119, v127
	s_cbranch_execz .LBB120_964
	s_branch .LBB120_965
.LBB120_963:
                                        ; implicit-def: $vgpr118_vgpr119
.LBB120_964:
	ds_load_b64 v[118:119], v1
.LBB120_965:
	s_mov_b32 s4, exec_lo
	v_cmpx_ne_u32_e32 40, v0
	s_cbranch_execz .LBB120_969
; %bb.966:
	v_add_nc_u32_e32 v121, 0x1d8, v58
	v_add3_u32 v122, 0, v58, 8
	v_mov_b32_e32 v123, v0
	s_mov_b32 s5, 0
.LBB120_967:                            ; =>This Inner Loop Header: Depth=1
	scratch_load_b64 v[124:125], v122, off
	ds_load_b64 v[126:127], v121
	s_wait_xcnt 0x0
	v_dual_add_nc_u32 v121, 8, v121 :: v_dual_add_nc_u32 v122, 8, v122
	s_wait_loadcnt_dscnt 0x0
	v_pk_mul_f32 v[128:129], v[126:127], v[124:125] op_sel:[1,1] op_sel_hi:[0,1]
	s_delay_alu instid0(VALU_DEP_1) | instskip(SKIP_2) | instid1(VALU_DEP_3)
	v_pk_fma_f32 v[130:131], v[126:127], v[124:125], v[128:129] op_sel_hi:[1,0,1]
	v_add_nc_u32_e32 v123, 1, v123
	v_pk_fma_f32 v[124:125], v[126:127], v[124:125], v[128:129] neg_lo:[0,0,1] neg_hi:[0,0,1]
	v_mov_b32_e32 v125, v131
	s_delay_alu instid0(VALU_DEP_3) | instskip(NEXT) | instid1(VALU_DEP_2)
	v_cmp_lt_u32_e32 vcc_lo, 39, v123
	v_pk_add_f32 v[118:119], v[118:119], v[124:125]
	s_or_b32 s5, vcc_lo, s5
	s_delay_alu instid0(SALU_CYCLE_1)
	s_and_not1_b32 exec_lo, exec_lo, s5
	s_cbranch_execnz .LBB120_967
; %bb.968:
	s_or_b32 exec_lo, exec_lo, s5
.LBB120_969:
	s_delay_alu instid0(SALU_CYCLE_1) | instskip(SKIP_4) | instid1(VALU_DEP_1)
	s_or_b32 exec_lo, exec_lo, s4
	v_mov_b32_e32 v121, 0
	ds_load_b64 v[122:123], v121 offset:328
	s_wait_dscnt 0x0
	v_pk_mul_f32 v[124:125], v[118:119], v[122:123] op_sel:[1,1] op_sel_hi:[0,1]
	v_pk_fma_f32 v[126:127], v[118:119], v[122:123], v[124:125] op_sel_hi:[1,0,1]
	v_pk_fma_f32 v[118:119], v[118:119], v[122:123], v[124:125] neg_lo:[0,0,1] neg_hi:[0,0,1]
	s_delay_alu instid0(VALU_DEP_2)
	v_mov_b32_e32 v119, v127
	scratch_store_b64 off, v[118:119], off offset:328
.LBB120_970:
	s_wait_xcnt 0x0
	s_or_b32 exec_lo, exec_lo, s0
	scratch_load_b64 v[118:119], off, off offset:336
	s_mov_b32 s0, exec_lo
	s_wait_loadcnt 0x0
	ds_store_b64 v1, v[118:119]
	s_wait_storecnt_dscnt 0x0
	s_barrier_signal -1
	s_barrier_wait -1
	s_wait_xcnt 0x0
	v_cmpx_gt_u32_e32 42, v0
	s_cbranch_execz .LBB120_980
; %bb.971:
	v_cmp_ne_u32_e32 vcc_lo, 1, v120
	s_cbranch_vccnz .LBB120_973
; %bb.972:
	scratch_load_b64 v[118:119], v59, off
	ds_load_b64 v[122:123], v1
	s_wait_loadcnt_dscnt 0x0
	v_pk_mul_f32 v[124:125], v[122:123], v[118:119] op_sel:[1,1] op_sel_hi:[0,1]
	s_delay_alu instid0(VALU_DEP_1) | instskip(SKIP_1) | instid1(VALU_DEP_2)
	v_pk_fma_f32 v[126:127], v[122:123], v[118:119], v[124:125] op_sel_hi:[1,0,1]
	v_pk_fma_f32 v[118:119], v[122:123], v[118:119], v[124:125] neg_lo:[0,0,1] neg_hi:[0,0,1]
	v_mov_b32_e32 v119, v127
	s_cbranch_execz .LBB120_974
	s_branch .LBB120_975
.LBB120_973:
                                        ; implicit-def: $vgpr118_vgpr119
.LBB120_974:
	ds_load_b64 v[118:119], v1
.LBB120_975:
	s_mov_b32 s4, exec_lo
	v_cmpx_ne_u32_e32 41, v0
	s_cbranch_execz .LBB120_979
; %bb.976:
	v_add_nc_u32_e32 v121, 0x1d8, v58
	v_add3_u32 v122, 0, v58, 8
	v_mov_b32_e32 v123, v0
	s_mov_b32 s5, 0
.LBB120_977:                            ; =>This Inner Loop Header: Depth=1
	scratch_load_b64 v[124:125], v122, off
	ds_load_b64 v[126:127], v121
	s_wait_xcnt 0x0
	v_dual_add_nc_u32 v121, 8, v121 :: v_dual_add_nc_u32 v122, 8, v122
	s_wait_loadcnt_dscnt 0x0
	v_pk_mul_f32 v[128:129], v[126:127], v[124:125] op_sel:[1,1] op_sel_hi:[0,1]
	s_delay_alu instid0(VALU_DEP_1) | instskip(SKIP_2) | instid1(VALU_DEP_3)
	v_pk_fma_f32 v[130:131], v[126:127], v[124:125], v[128:129] op_sel_hi:[1,0,1]
	v_add_nc_u32_e32 v123, 1, v123
	v_pk_fma_f32 v[124:125], v[126:127], v[124:125], v[128:129] neg_lo:[0,0,1] neg_hi:[0,0,1]
	v_mov_b32_e32 v125, v131
	s_delay_alu instid0(VALU_DEP_3) | instskip(NEXT) | instid1(VALU_DEP_2)
	v_cmp_lt_u32_e32 vcc_lo, 40, v123
	v_pk_add_f32 v[118:119], v[118:119], v[124:125]
	s_or_b32 s5, vcc_lo, s5
	s_delay_alu instid0(SALU_CYCLE_1)
	s_and_not1_b32 exec_lo, exec_lo, s5
	s_cbranch_execnz .LBB120_977
; %bb.978:
	s_or_b32 exec_lo, exec_lo, s5
.LBB120_979:
	s_delay_alu instid0(SALU_CYCLE_1) | instskip(SKIP_4) | instid1(VALU_DEP_1)
	s_or_b32 exec_lo, exec_lo, s4
	v_mov_b32_e32 v121, 0
	ds_load_b64 v[122:123], v121 offset:336
	s_wait_dscnt 0x0
	v_pk_mul_f32 v[124:125], v[118:119], v[122:123] op_sel:[1,1] op_sel_hi:[0,1]
	v_pk_fma_f32 v[126:127], v[118:119], v[122:123], v[124:125] op_sel_hi:[1,0,1]
	v_pk_fma_f32 v[118:119], v[118:119], v[122:123], v[124:125] neg_lo:[0,0,1] neg_hi:[0,0,1]
	s_delay_alu instid0(VALU_DEP_2)
	v_mov_b32_e32 v119, v127
	scratch_store_b64 off, v[118:119], off offset:336
.LBB120_980:
	s_wait_xcnt 0x0
	s_or_b32 exec_lo, exec_lo, s0
	scratch_load_b64 v[118:119], off, off offset:344
	s_mov_b32 s0, exec_lo
	s_wait_loadcnt 0x0
	ds_store_b64 v1, v[118:119]
	s_wait_storecnt_dscnt 0x0
	s_barrier_signal -1
	s_barrier_wait -1
	s_wait_xcnt 0x0
	v_cmpx_gt_u32_e32 43, v0
	s_cbranch_execz .LBB120_990
; %bb.981:
	v_cmp_ne_u32_e32 vcc_lo, 1, v120
	s_cbranch_vccnz .LBB120_983
; %bb.982:
	scratch_load_b64 v[118:119], v59, off
	ds_load_b64 v[122:123], v1
	s_wait_loadcnt_dscnt 0x0
	v_pk_mul_f32 v[124:125], v[122:123], v[118:119] op_sel:[1,1] op_sel_hi:[0,1]
	s_delay_alu instid0(VALU_DEP_1) | instskip(SKIP_1) | instid1(VALU_DEP_2)
	v_pk_fma_f32 v[126:127], v[122:123], v[118:119], v[124:125] op_sel_hi:[1,0,1]
	v_pk_fma_f32 v[118:119], v[122:123], v[118:119], v[124:125] neg_lo:[0,0,1] neg_hi:[0,0,1]
	v_mov_b32_e32 v119, v127
	s_cbranch_execz .LBB120_984
	s_branch .LBB120_985
.LBB120_983:
                                        ; implicit-def: $vgpr118_vgpr119
.LBB120_984:
	ds_load_b64 v[118:119], v1
.LBB120_985:
	s_mov_b32 s4, exec_lo
	v_cmpx_ne_u32_e32 42, v0
	s_cbranch_execz .LBB120_989
; %bb.986:
	v_add_nc_u32_e32 v121, 0x1d8, v58
	v_add3_u32 v122, 0, v58, 8
	v_mov_b32_e32 v123, v0
	s_mov_b32 s5, 0
.LBB120_987:                            ; =>This Inner Loop Header: Depth=1
	scratch_load_b64 v[124:125], v122, off
	ds_load_b64 v[126:127], v121
	s_wait_xcnt 0x0
	v_dual_add_nc_u32 v121, 8, v121 :: v_dual_add_nc_u32 v122, 8, v122
	s_wait_loadcnt_dscnt 0x0
	v_pk_mul_f32 v[128:129], v[126:127], v[124:125] op_sel:[1,1] op_sel_hi:[0,1]
	s_delay_alu instid0(VALU_DEP_1) | instskip(SKIP_2) | instid1(VALU_DEP_3)
	v_pk_fma_f32 v[130:131], v[126:127], v[124:125], v[128:129] op_sel_hi:[1,0,1]
	v_add_nc_u32_e32 v123, 1, v123
	v_pk_fma_f32 v[124:125], v[126:127], v[124:125], v[128:129] neg_lo:[0,0,1] neg_hi:[0,0,1]
	v_mov_b32_e32 v125, v131
	s_delay_alu instid0(VALU_DEP_3) | instskip(NEXT) | instid1(VALU_DEP_2)
	v_cmp_lt_u32_e32 vcc_lo, 41, v123
	v_pk_add_f32 v[118:119], v[118:119], v[124:125]
	s_or_b32 s5, vcc_lo, s5
	s_delay_alu instid0(SALU_CYCLE_1)
	s_and_not1_b32 exec_lo, exec_lo, s5
	s_cbranch_execnz .LBB120_987
; %bb.988:
	s_or_b32 exec_lo, exec_lo, s5
.LBB120_989:
	s_delay_alu instid0(SALU_CYCLE_1) | instskip(SKIP_4) | instid1(VALU_DEP_1)
	s_or_b32 exec_lo, exec_lo, s4
	v_mov_b32_e32 v121, 0
	ds_load_b64 v[122:123], v121 offset:344
	s_wait_dscnt 0x0
	v_pk_mul_f32 v[124:125], v[118:119], v[122:123] op_sel:[1,1] op_sel_hi:[0,1]
	v_pk_fma_f32 v[126:127], v[118:119], v[122:123], v[124:125] op_sel_hi:[1,0,1]
	v_pk_fma_f32 v[118:119], v[118:119], v[122:123], v[124:125] neg_lo:[0,0,1] neg_hi:[0,0,1]
	s_delay_alu instid0(VALU_DEP_2)
	v_mov_b32_e32 v119, v127
	scratch_store_b64 off, v[118:119], off offset:344
.LBB120_990:
	s_wait_xcnt 0x0
	s_or_b32 exec_lo, exec_lo, s0
	scratch_load_b64 v[118:119], off, off offset:352
	s_mov_b32 s0, exec_lo
	s_wait_loadcnt 0x0
	ds_store_b64 v1, v[118:119]
	s_wait_storecnt_dscnt 0x0
	s_barrier_signal -1
	s_barrier_wait -1
	s_wait_xcnt 0x0
	v_cmpx_gt_u32_e32 44, v0
	s_cbranch_execz .LBB120_1000
; %bb.991:
	v_cmp_ne_u32_e32 vcc_lo, 1, v120
	s_cbranch_vccnz .LBB120_993
; %bb.992:
	scratch_load_b64 v[118:119], v59, off
	ds_load_b64 v[122:123], v1
	s_wait_loadcnt_dscnt 0x0
	v_pk_mul_f32 v[124:125], v[122:123], v[118:119] op_sel:[1,1] op_sel_hi:[0,1]
	s_delay_alu instid0(VALU_DEP_1) | instskip(SKIP_1) | instid1(VALU_DEP_2)
	v_pk_fma_f32 v[126:127], v[122:123], v[118:119], v[124:125] op_sel_hi:[1,0,1]
	v_pk_fma_f32 v[118:119], v[122:123], v[118:119], v[124:125] neg_lo:[0,0,1] neg_hi:[0,0,1]
	v_mov_b32_e32 v119, v127
	s_cbranch_execz .LBB120_994
	s_branch .LBB120_995
.LBB120_993:
                                        ; implicit-def: $vgpr118_vgpr119
.LBB120_994:
	ds_load_b64 v[118:119], v1
.LBB120_995:
	s_mov_b32 s4, exec_lo
	v_cmpx_ne_u32_e32 43, v0
	s_cbranch_execz .LBB120_999
; %bb.996:
	v_add_nc_u32_e32 v121, 0x1d8, v58
	v_add3_u32 v122, 0, v58, 8
	v_mov_b32_e32 v123, v0
	s_mov_b32 s5, 0
.LBB120_997:                            ; =>This Inner Loop Header: Depth=1
	scratch_load_b64 v[124:125], v122, off
	ds_load_b64 v[126:127], v121
	s_wait_xcnt 0x0
	v_dual_add_nc_u32 v121, 8, v121 :: v_dual_add_nc_u32 v122, 8, v122
	s_wait_loadcnt_dscnt 0x0
	v_pk_mul_f32 v[128:129], v[126:127], v[124:125] op_sel:[1,1] op_sel_hi:[0,1]
	s_delay_alu instid0(VALU_DEP_1) | instskip(SKIP_2) | instid1(VALU_DEP_3)
	v_pk_fma_f32 v[130:131], v[126:127], v[124:125], v[128:129] op_sel_hi:[1,0,1]
	v_add_nc_u32_e32 v123, 1, v123
	v_pk_fma_f32 v[124:125], v[126:127], v[124:125], v[128:129] neg_lo:[0,0,1] neg_hi:[0,0,1]
	v_mov_b32_e32 v125, v131
	s_delay_alu instid0(VALU_DEP_3) | instskip(NEXT) | instid1(VALU_DEP_2)
	v_cmp_lt_u32_e32 vcc_lo, 42, v123
	v_pk_add_f32 v[118:119], v[118:119], v[124:125]
	s_or_b32 s5, vcc_lo, s5
	s_delay_alu instid0(SALU_CYCLE_1)
	s_and_not1_b32 exec_lo, exec_lo, s5
	s_cbranch_execnz .LBB120_997
; %bb.998:
	s_or_b32 exec_lo, exec_lo, s5
.LBB120_999:
	s_delay_alu instid0(SALU_CYCLE_1) | instskip(SKIP_4) | instid1(VALU_DEP_1)
	s_or_b32 exec_lo, exec_lo, s4
	v_mov_b32_e32 v121, 0
	ds_load_b64 v[122:123], v121 offset:352
	s_wait_dscnt 0x0
	v_pk_mul_f32 v[124:125], v[118:119], v[122:123] op_sel:[1,1] op_sel_hi:[0,1]
	v_pk_fma_f32 v[126:127], v[118:119], v[122:123], v[124:125] op_sel_hi:[1,0,1]
	v_pk_fma_f32 v[118:119], v[118:119], v[122:123], v[124:125] neg_lo:[0,0,1] neg_hi:[0,0,1]
	s_delay_alu instid0(VALU_DEP_2)
	v_mov_b32_e32 v119, v127
	scratch_store_b64 off, v[118:119], off offset:352
.LBB120_1000:
	s_wait_xcnt 0x0
	s_or_b32 exec_lo, exec_lo, s0
	scratch_load_b64 v[118:119], off, off offset:360
	s_mov_b32 s0, exec_lo
	s_wait_loadcnt 0x0
	ds_store_b64 v1, v[118:119]
	s_wait_storecnt_dscnt 0x0
	s_barrier_signal -1
	s_barrier_wait -1
	s_wait_xcnt 0x0
	v_cmpx_gt_u32_e32 45, v0
	s_cbranch_execz .LBB120_1010
; %bb.1001:
	v_cmp_ne_u32_e32 vcc_lo, 1, v120
	s_cbranch_vccnz .LBB120_1003
; %bb.1002:
	scratch_load_b64 v[118:119], v59, off
	ds_load_b64 v[122:123], v1
	s_wait_loadcnt_dscnt 0x0
	v_pk_mul_f32 v[124:125], v[122:123], v[118:119] op_sel:[1,1] op_sel_hi:[0,1]
	s_delay_alu instid0(VALU_DEP_1) | instskip(SKIP_1) | instid1(VALU_DEP_2)
	v_pk_fma_f32 v[126:127], v[122:123], v[118:119], v[124:125] op_sel_hi:[1,0,1]
	v_pk_fma_f32 v[118:119], v[122:123], v[118:119], v[124:125] neg_lo:[0,0,1] neg_hi:[0,0,1]
	v_mov_b32_e32 v119, v127
	s_cbranch_execz .LBB120_1004
	s_branch .LBB120_1005
.LBB120_1003:
                                        ; implicit-def: $vgpr118_vgpr119
.LBB120_1004:
	ds_load_b64 v[118:119], v1
.LBB120_1005:
	s_mov_b32 s4, exec_lo
	v_cmpx_ne_u32_e32 44, v0
	s_cbranch_execz .LBB120_1009
; %bb.1006:
	v_add_nc_u32_e32 v121, 0x1d8, v58
	v_add3_u32 v122, 0, v58, 8
	v_mov_b32_e32 v123, v0
	s_mov_b32 s5, 0
.LBB120_1007:                           ; =>This Inner Loop Header: Depth=1
	scratch_load_b64 v[124:125], v122, off
	ds_load_b64 v[126:127], v121
	s_wait_xcnt 0x0
	v_dual_add_nc_u32 v121, 8, v121 :: v_dual_add_nc_u32 v122, 8, v122
	s_wait_loadcnt_dscnt 0x0
	v_pk_mul_f32 v[128:129], v[126:127], v[124:125] op_sel:[1,1] op_sel_hi:[0,1]
	s_delay_alu instid0(VALU_DEP_1) | instskip(SKIP_2) | instid1(VALU_DEP_3)
	v_pk_fma_f32 v[130:131], v[126:127], v[124:125], v[128:129] op_sel_hi:[1,0,1]
	v_add_nc_u32_e32 v123, 1, v123
	v_pk_fma_f32 v[124:125], v[126:127], v[124:125], v[128:129] neg_lo:[0,0,1] neg_hi:[0,0,1]
	v_mov_b32_e32 v125, v131
	s_delay_alu instid0(VALU_DEP_3) | instskip(NEXT) | instid1(VALU_DEP_2)
	v_cmp_lt_u32_e32 vcc_lo, 43, v123
	v_pk_add_f32 v[118:119], v[118:119], v[124:125]
	s_or_b32 s5, vcc_lo, s5
	s_delay_alu instid0(SALU_CYCLE_1)
	s_and_not1_b32 exec_lo, exec_lo, s5
	s_cbranch_execnz .LBB120_1007
; %bb.1008:
	s_or_b32 exec_lo, exec_lo, s5
.LBB120_1009:
	s_delay_alu instid0(SALU_CYCLE_1) | instskip(SKIP_4) | instid1(VALU_DEP_1)
	s_or_b32 exec_lo, exec_lo, s4
	v_mov_b32_e32 v121, 0
	ds_load_b64 v[122:123], v121 offset:360
	s_wait_dscnt 0x0
	v_pk_mul_f32 v[124:125], v[118:119], v[122:123] op_sel:[1,1] op_sel_hi:[0,1]
	v_pk_fma_f32 v[126:127], v[118:119], v[122:123], v[124:125] op_sel_hi:[1,0,1]
	v_pk_fma_f32 v[118:119], v[118:119], v[122:123], v[124:125] neg_lo:[0,0,1] neg_hi:[0,0,1]
	s_delay_alu instid0(VALU_DEP_2)
	v_mov_b32_e32 v119, v127
	scratch_store_b64 off, v[118:119], off offset:360
.LBB120_1010:
	s_wait_xcnt 0x0
	s_or_b32 exec_lo, exec_lo, s0
	scratch_load_b64 v[118:119], off, off offset:368
	s_mov_b32 s0, exec_lo
	s_wait_loadcnt 0x0
	ds_store_b64 v1, v[118:119]
	s_wait_storecnt_dscnt 0x0
	s_barrier_signal -1
	s_barrier_wait -1
	s_wait_xcnt 0x0
	v_cmpx_gt_u32_e32 46, v0
	s_cbranch_execz .LBB120_1020
; %bb.1011:
	v_cmp_ne_u32_e32 vcc_lo, 1, v120
	s_cbranch_vccnz .LBB120_1013
; %bb.1012:
	scratch_load_b64 v[118:119], v59, off
	ds_load_b64 v[122:123], v1
	s_wait_loadcnt_dscnt 0x0
	v_pk_mul_f32 v[124:125], v[122:123], v[118:119] op_sel:[1,1] op_sel_hi:[0,1]
	s_delay_alu instid0(VALU_DEP_1) | instskip(SKIP_1) | instid1(VALU_DEP_2)
	v_pk_fma_f32 v[126:127], v[122:123], v[118:119], v[124:125] op_sel_hi:[1,0,1]
	v_pk_fma_f32 v[118:119], v[122:123], v[118:119], v[124:125] neg_lo:[0,0,1] neg_hi:[0,0,1]
	v_mov_b32_e32 v119, v127
	s_cbranch_execz .LBB120_1014
	s_branch .LBB120_1015
.LBB120_1013:
                                        ; implicit-def: $vgpr118_vgpr119
.LBB120_1014:
	ds_load_b64 v[118:119], v1
.LBB120_1015:
	s_mov_b32 s4, exec_lo
	v_cmpx_ne_u32_e32 45, v0
	s_cbranch_execz .LBB120_1019
; %bb.1016:
	v_add_nc_u32_e32 v121, 0x1d8, v58
	v_add3_u32 v122, 0, v58, 8
	v_mov_b32_e32 v123, v0
	s_mov_b32 s5, 0
.LBB120_1017:                           ; =>This Inner Loop Header: Depth=1
	scratch_load_b64 v[124:125], v122, off
	ds_load_b64 v[126:127], v121
	s_wait_xcnt 0x0
	v_dual_add_nc_u32 v121, 8, v121 :: v_dual_add_nc_u32 v122, 8, v122
	s_wait_loadcnt_dscnt 0x0
	v_pk_mul_f32 v[128:129], v[126:127], v[124:125] op_sel:[1,1] op_sel_hi:[0,1]
	s_delay_alu instid0(VALU_DEP_1) | instskip(SKIP_2) | instid1(VALU_DEP_3)
	v_pk_fma_f32 v[130:131], v[126:127], v[124:125], v[128:129] op_sel_hi:[1,0,1]
	v_add_nc_u32_e32 v123, 1, v123
	v_pk_fma_f32 v[124:125], v[126:127], v[124:125], v[128:129] neg_lo:[0,0,1] neg_hi:[0,0,1]
	v_mov_b32_e32 v125, v131
	s_delay_alu instid0(VALU_DEP_3) | instskip(NEXT) | instid1(VALU_DEP_2)
	v_cmp_lt_u32_e32 vcc_lo, 44, v123
	v_pk_add_f32 v[118:119], v[118:119], v[124:125]
	s_or_b32 s5, vcc_lo, s5
	s_delay_alu instid0(SALU_CYCLE_1)
	s_and_not1_b32 exec_lo, exec_lo, s5
	s_cbranch_execnz .LBB120_1017
; %bb.1018:
	s_or_b32 exec_lo, exec_lo, s5
.LBB120_1019:
	s_delay_alu instid0(SALU_CYCLE_1) | instskip(SKIP_4) | instid1(VALU_DEP_1)
	s_or_b32 exec_lo, exec_lo, s4
	v_mov_b32_e32 v121, 0
	ds_load_b64 v[122:123], v121 offset:368
	s_wait_dscnt 0x0
	v_pk_mul_f32 v[124:125], v[118:119], v[122:123] op_sel:[1,1] op_sel_hi:[0,1]
	v_pk_fma_f32 v[126:127], v[118:119], v[122:123], v[124:125] op_sel_hi:[1,0,1]
	v_pk_fma_f32 v[118:119], v[118:119], v[122:123], v[124:125] neg_lo:[0,0,1] neg_hi:[0,0,1]
	s_delay_alu instid0(VALU_DEP_2)
	v_mov_b32_e32 v119, v127
	scratch_store_b64 off, v[118:119], off offset:368
.LBB120_1020:
	s_wait_xcnt 0x0
	s_or_b32 exec_lo, exec_lo, s0
	scratch_load_b64 v[118:119], off, off offset:376
	s_mov_b32 s0, exec_lo
	s_wait_loadcnt 0x0
	ds_store_b64 v1, v[118:119]
	s_wait_storecnt_dscnt 0x0
	s_barrier_signal -1
	s_barrier_wait -1
	s_wait_xcnt 0x0
	v_cmpx_gt_u32_e32 47, v0
	s_cbranch_execz .LBB120_1030
; %bb.1021:
	v_cmp_ne_u32_e32 vcc_lo, 1, v120
	s_cbranch_vccnz .LBB120_1023
; %bb.1022:
	scratch_load_b64 v[118:119], v59, off
	ds_load_b64 v[122:123], v1
	s_wait_loadcnt_dscnt 0x0
	v_pk_mul_f32 v[124:125], v[122:123], v[118:119] op_sel:[1,1] op_sel_hi:[0,1]
	s_delay_alu instid0(VALU_DEP_1) | instskip(SKIP_1) | instid1(VALU_DEP_2)
	v_pk_fma_f32 v[126:127], v[122:123], v[118:119], v[124:125] op_sel_hi:[1,0,1]
	v_pk_fma_f32 v[118:119], v[122:123], v[118:119], v[124:125] neg_lo:[0,0,1] neg_hi:[0,0,1]
	v_mov_b32_e32 v119, v127
	s_cbranch_execz .LBB120_1024
	s_branch .LBB120_1025
.LBB120_1023:
                                        ; implicit-def: $vgpr118_vgpr119
.LBB120_1024:
	ds_load_b64 v[118:119], v1
.LBB120_1025:
	s_mov_b32 s4, exec_lo
	v_cmpx_ne_u32_e32 46, v0
	s_cbranch_execz .LBB120_1029
; %bb.1026:
	v_add_nc_u32_e32 v121, 0x1d8, v58
	v_add3_u32 v122, 0, v58, 8
	v_mov_b32_e32 v123, v0
	s_mov_b32 s5, 0
.LBB120_1027:                           ; =>This Inner Loop Header: Depth=1
	scratch_load_b64 v[124:125], v122, off
	ds_load_b64 v[126:127], v121
	s_wait_xcnt 0x0
	v_dual_add_nc_u32 v121, 8, v121 :: v_dual_add_nc_u32 v122, 8, v122
	s_wait_loadcnt_dscnt 0x0
	v_pk_mul_f32 v[128:129], v[126:127], v[124:125] op_sel:[1,1] op_sel_hi:[0,1]
	s_delay_alu instid0(VALU_DEP_1) | instskip(SKIP_2) | instid1(VALU_DEP_3)
	v_pk_fma_f32 v[130:131], v[126:127], v[124:125], v[128:129] op_sel_hi:[1,0,1]
	v_add_nc_u32_e32 v123, 1, v123
	v_pk_fma_f32 v[124:125], v[126:127], v[124:125], v[128:129] neg_lo:[0,0,1] neg_hi:[0,0,1]
	v_mov_b32_e32 v125, v131
	s_delay_alu instid0(VALU_DEP_3) | instskip(NEXT) | instid1(VALU_DEP_2)
	v_cmp_lt_u32_e32 vcc_lo, 45, v123
	v_pk_add_f32 v[118:119], v[118:119], v[124:125]
	s_or_b32 s5, vcc_lo, s5
	s_delay_alu instid0(SALU_CYCLE_1)
	s_and_not1_b32 exec_lo, exec_lo, s5
	s_cbranch_execnz .LBB120_1027
; %bb.1028:
	s_or_b32 exec_lo, exec_lo, s5
.LBB120_1029:
	s_delay_alu instid0(SALU_CYCLE_1) | instskip(SKIP_4) | instid1(VALU_DEP_1)
	s_or_b32 exec_lo, exec_lo, s4
	v_mov_b32_e32 v121, 0
	ds_load_b64 v[122:123], v121 offset:376
	s_wait_dscnt 0x0
	v_pk_mul_f32 v[124:125], v[118:119], v[122:123] op_sel:[1,1] op_sel_hi:[0,1]
	v_pk_fma_f32 v[126:127], v[118:119], v[122:123], v[124:125] op_sel_hi:[1,0,1]
	v_pk_fma_f32 v[118:119], v[118:119], v[122:123], v[124:125] neg_lo:[0,0,1] neg_hi:[0,0,1]
	s_delay_alu instid0(VALU_DEP_2)
	v_mov_b32_e32 v119, v127
	scratch_store_b64 off, v[118:119], off offset:376
.LBB120_1030:
	s_wait_xcnt 0x0
	s_or_b32 exec_lo, exec_lo, s0
	scratch_load_b64 v[118:119], off, off offset:384
	s_mov_b32 s0, exec_lo
	s_wait_loadcnt 0x0
	ds_store_b64 v1, v[118:119]
	s_wait_storecnt_dscnt 0x0
	s_barrier_signal -1
	s_barrier_wait -1
	s_wait_xcnt 0x0
	v_cmpx_gt_u32_e32 48, v0
	s_cbranch_execz .LBB120_1040
; %bb.1031:
	v_cmp_ne_u32_e32 vcc_lo, 1, v120
	s_cbranch_vccnz .LBB120_1033
; %bb.1032:
	scratch_load_b64 v[118:119], v59, off
	ds_load_b64 v[122:123], v1
	s_wait_loadcnt_dscnt 0x0
	v_pk_mul_f32 v[124:125], v[122:123], v[118:119] op_sel:[1,1] op_sel_hi:[0,1]
	s_delay_alu instid0(VALU_DEP_1) | instskip(SKIP_1) | instid1(VALU_DEP_2)
	v_pk_fma_f32 v[126:127], v[122:123], v[118:119], v[124:125] op_sel_hi:[1,0,1]
	v_pk_fma_f32 v[118:119], v[122:123], v[118:119], v[124:125] neg_lo:[0,0,1] neg_hi:[0,0,1]
	v_mov_b32_e32 v119, v127
	s_cbranch_execz .LBB120_1034
	s_branch .LBB120_1035
.LBB120_1033:
                                        ; implicit-def: $vgpr118_vgpr119
.LBB120_1034:
	ds_load_b64 v[118:119], v1
.LBB120_1035:
	s_mov_b32 s4, exec_lo
	v_cmpx_ne_u32_e32 47, v0
	s_cbranch_execz .LBB120_1039
; %bb.1036:
	v_add_nc_u32_e32 v121, 0x1d8, v58
	v_add3_u32 v122, 0, v58, 8
	v_mov_b32_e32 v123, v0
	s_mov_b32 s5, 0
.LBB120_1037:                           ; =>This Inner Loop Header: Depth=1
	scratch_load_b64 v[124:125], v122, off
	ds_load_b64 v[126:127], v121
	s_wait_xcnt 0x0
	v_dual_add_nc_u32 v121, 8, v121 :: v_dual_add_nc_u32 v122, 8, v122
	s_wait_loadcnt_dscnt 0x0
	v_pk_mul_f32 v[128:129], v[126:127], v[124:125] op_sel:[1,1] op_sel_hi:[0,1]
	s_delay_alu instid0(VALU_DEP_1) | instskip(SKIP_2) | instid1(VALU_DEP_3)
	v_pk_fma_f32 v[130:131], v[126:127], v[124:125], v[128:129] op_sel_hi:[1,0,1]
	v_add_nc_u32_e32 v123, 1, v123
	v_pk_fma_f32 v[124:125], v[126:127], v[124:125], v[128:129] neg_lo:[0,0,1] neg_hi:[0,0,1]
	v_mov_b32_e32 v125, v131
	s_delay_alu instid0(VALU_DEP_3) | instskip(NEXT) | instid1(VALU_DEP_2)
	v_cmp_lt_u32_e32 vcc_lo, 46, v123
	v_pk_add_f32 v[118:119], v[118:119], v[124:125]
	s_or_b32 s5, vcc_lo, s5
	s_delay_alu instid0(SALU_CYCLE_1)
	s_and_not1_b32 exec_lo, exec_lo, s5
	s_cbranch_execnz .LBB120_1037
; %bb.1038:
	s_or_b32 exec_lo, exec_lo, s5
.LBB120_1039:
	s_delay_alu instid0(SALU_CYCLE_1) | instskip(SKIP_4) | instid1(VALU_DEP_1)
	s_or_b32 exec_lo, exec_lo, s4
	v_mov_b32_e32 v121, 0
	ds_load_b64 v[122:123], v121 offset:384
	s_wait_dscnt 0x0
	v_pk_mul_f32 v[124:125], v[118:119], v[122:123] op_sel:[1,1] op_sel_hi:[0,1]
	v_pk_fma_f32 v[126:127], v[118:119], v[122:123], v[124:125] op_sel_hi:[1,0,1]
	v_pk_fma_f32 v[118:119], v[118:119], v[122:123], v[124:125] neg_lo:[0,0,1] neg_hi:[0,0,1]
	s_delay_alu instid0(VALU_DEP_2)
	v_mov_b32_e32 v119, v127
	scratch_store_b64 off, v[118:119], off offset:384
.LBB120_1040:
	s_wait_xcnt 0x0
	s_or_b32 exec_lo, exec_lo, s0
	scratch_load_b64 v[118:119], off, off offset:392
	s_mov_b32 s0, exec_lo
	s_wait_loadcnt 0x0
	ds_store_b64 v1, v[118:119]
	s_wait_storecnt_dscnt 0x0
	s_barrier_signal -1
	s_barrier_wait -1
	s_wait_xcnt 0x0
	v_cmpx_gt_u32_e32 49, v0
	s_cbranch_execz .LBB120_1050
; %bb.1041:
	v_cmp_ne_u32_e32 vcc_lo, 1, v120
	s_cbranch_vccnz .LBB120_1043
; %bb.1042:
	scratch_load_b64 v[118:119], v59, off
	ds_load_b64 v[122:123], v1
	s_wait_loadcnt_dscnt 0x0
	v_pk_mul_f32 v[124:125], v[122:123], v[118:119] op_sel:[1,1] op_sel_hi:[0,1]
	s_delay_alu instid0(VALU_DEP_1) | instskip(SKIP_1) | instid1(VALU_DEP_2)
	v_pk_fma_f32 v[126:127], v[122:123], v[118:119], v[124:125] op_sel_hi:[1,0,1]
	v_pk_fma_f32 v[118:119], v[122:123], v[118:119], v[124:125] neg_lo:[0,0,1] neg_hi:[0,0,1]
	v_mov_b32_e32 v119, v127
	s_cbranch_execz .LBB120_1044
	s_branch .LBB120_1045
.LBB120_1043:
                                        ; implicit-def: $vgpr118_vgpr119
.LBB120_1044:
	ds_load_b64 v[118:119], v1
.LBB120_1045:
	s_mov_b32 s4, exec_lo
	v_cmpx_ne_u32_e32 48, v0
	s_cbranch_execz .LBB120_1049
; %bb.1046:
	v_add_nc_u32_e32 v121, 0x1d8, v58
	v_add3_u32 v122, 0, v58, 8
	v_mov_b32_e32 v123, v0
	s_mov_b32 s5, 0
.LBB120_1047:                           ; =>This Inner Loop Header: Depth=1
	scratch_load_b64 v[124:125], v122, off
	ds_load_b64 v[126:127], v121
	s_wait_xcnt 0x0
	v_dual_add_nc_u32 v121, 8, v121 :: v_dual_add_nc_u32 v122, 8, v122
	s_wait_loadcnt_dscnt 0x0
	v_pk_mul_f32 v[128:129], v[126:127], v[124:125] op_sel:[1,1] op_sel_hi:[0,1]
	s_delay_alu instid0(VALU_DEP_1) | instskip(SKIP_2) | instid1(VALU_DEP_3)
	v_pk_fma_f32 v[130:131], v[126:127], v[124:125], v[128:129] op_sel_hi:[1,0,1]
	v_add_nc_u32_e32 v123, 1, v123
	v_pk_fma_f32 v[124:125], v[126:127], v[124:125], v[128:129] neg_lo:[0,0,1] neg_hi:[0,0,1]
	v_mov_b32_e32 v125, v131
	s_delay_alu instid0(VALU_DEP_3) | instskip(NEXT) | instid1(VALU_DEP_2)
	v_cmp_lt_u32_e32 vcc_lo, 47, v123
	v_pk_add_f32 v[118:119], v[118:119], v[124:125]
	s_or_b32 s5, vcc_lo, s5
	s_delay_alu instid0(SALU_CYCLE_1)
	s_and_not1_b32 exec_lo, exec_lo, s5
	s_cbranch_execnz .LBB120_1047
; %bb.1048:
	s_or_b32 exec_lo, exec_lo, s5
.LBB120_1049:
	s_delay_alu instid0(SALU_CYCLE_1) | instskip(SKIP_4) | instid1(VALU_DEP_1)
	s_or_b32 exec_lo, exec_lo, s4
	v_mov_b32_e32 v121, 0
	ds_load_b64 v[122:123], v121 offset:392
	s_wait_dscnt 0x0
	v_pk_mul_f32 v[124:125], v[118:119], v[122:123] op_sel:[1,1] op_sel_hi:[0,1]
	v_pk_fma_f32 v[126:127], v[118:119], v[122:123], v[124:125] op_sel_hi:[1,0,1]
	v_pk_fma_f32 v[118:119], v[118:119], v[122:123], v[124:125] neg_lo:[0,0,1] neg_hi:[0,0,1]
	s_delay_alu instid0(VALU_DEP_2)
	v_mov_b32_e32 v119, v127
	scratch_store_b64 off, v[118:119], off offset:392
.LBB120_1050:
	s_wait_xcnt 0x0
	s_or_b32 exec_lo, exec_lo, s0
	scratch_load_b64 v[118:119], off, off offset:400
	s_mov_b32 s0, exec_lo
	s_wait_loadcnt 0x0
	ds_store_b64 v1, v[118:119]
	s_wait_storecnt_dscnt 0x0
	s_barrier_signal -1
	s_barrier_wait -1
	s_wait_xcnt 0x0
	v_cmpx_gt_u32_e32 50, v0
	s_cbranch_execz .LBB120_1060
; %bb.1051:
	v_cmp_ne_u32_e32 vcc_lo, 1, v120
	s_cbranch_vccnz .LBB120_1053
; %bb.1052:
	scratch_load_b64 v[118:119], v59, off
	ds_load_b64 v[122:123], v1
	s_wait_loadcnt_dscnt 0x0
	v_pk_mul_f32 v[124:125], v[122:123], v[118:119] op_sel:[1,1] op_sel_hi:[0,1]
	s_delay_alu instid0(VALU_DEP_1) | instskip(SKIP_1) | instid1(VALU_DEP_2)
	v_pk_fma_f32 v[126:127], v[122:123], v[118:119], v[124:125] op_sel_hi:[1,0,1]
	v_pk_fma_f32 v[118:119], v[122:123], v[118:119], v[124:125] neg_lo:[0,0,1] neg_hi:[0,0,1]
	v_mov_b32_e32 v119, v127
	s_cbranch_execz .LBB120_1054
	s_branch .LBB120_1055
.LBB120_1053:
                                        ; implicit-def: $vgpr118_vgpr119
.LBB120_1054:
	ds_load_b64 v[118:119], v1
.LBB120_1055:
	s_mov_b32 s4, exec_lo
	v_cmpx_ne_u32_e32 49, v0
	s_cbranch_execz .LBB120_1059
; %bb.1056:
	v_add_nc_u32_e32 v121, 0x1d8, v58
	v_add3_u32 v122, 0, v58, 8
	v_mov_b32_e32 v123, v0
	s_mov_b32 s5, 0
.LBB120_1057:                           ; =>This Inner Loop Header: Depth=1
	scratch_load_b64 v[124:125], v122, off
	ds_load_b64 v[126:127], v121
	s_wait_xcnt 0x0
	v_dual_add_nc_u32 v121, 8, v121 :: v_dual_add_nc_u32 v122, 8, v122
	s_wait_loadcnt_dscnt 0x0
	v_pk_mul_f32 v[128:129], v[126:127], v[124:125] op_sel:[1,1] op_sel_hi:[0,1]
	s_delay_alu instid0(VALU_DEP_1) | instskip(SKIP_2) | instid1(VALU_DEP_3)
	v_pk_fma_f32 v[130:131], v[126:127], v[124:125], v[128:129] op_sel_hi:[1,0,1]
	v_add_nc_u32_e32 v123, 1, v123
	v_pk_fma_f32 v[124:125], v[126:127], v[124:125], v[128:129] neg_lo:[0,0,1] neg_hi:[0,0,1]
	v_mov_b32_e32 v125, v131
	s_delay_alu instid0(VALU_DEP_3) | instskip(NEXT) | instid1(VALU_DEP_2)
	v_cmp_lt_u32_e32 vcc_lo, 48, v123
	v_pk_add_f32 v[118:119], v[118:119], v[124:125]
	s_or_b32 s5, vcc_lo, s5
	s_delay_alu instid0(SALU_CYCLE_1)
	s_and_not1_b32 exec_lo, exec_lo, s5
	s_cbranch_execnz .LBB120_1057
; %bb.1058:
	s_or_b32 exec_lo, exec_lo, s5
.LBB120_1059:
	s_delay_alu instid0(SALU_CYCLE_1) | instskip(SKIP_4) | instid1(VALU_DEP_1)
	s_or_b32 exec_lo, exec_lo, s4
	v_mov_b32_e32 v121, 0
	ds_load_b64 v[122:123], v121 offset:400
	s_wait_dscnt 0x0
	v_pk_mul_f32 v[124:125], v[118:119], v[122:123] op_sel:[1,1] op_sel_hi:[0,1]
	v_pk_fma_f32 v[126:127], v[118:119], v[122:123], v[124:125] op_sel_hi:[1,0,1]
	v_pk_fma_f32 v[118:119], v[118:119], v[122:123], v[124:125] neg_lo:[0,0,1] neg_hi:[0,0,1]
	s_delay_alu instid0(VALU_DEP_2)
	v_mov_b32_e32 v119, v127
	scratch_store_b64 off, v[118:119], off offset:400
.LBB120_1060:
	s_wait_xcnt 0x0
	s_or_b32 exec_lo, exec_lo, s0
	scratch_load_b64 v[118:119], off, off offset:408
	s_mov_b32 s0, exec_lo
	s_wait_loadcnt 0x0
	ds_store_b64 v1, v[118:119]
	s_wait_storecnt_dscnt 0x0
	s_barrier_signal -1
	s_barrier_wait -1
	s_wait_xcnt 0x0
	v_cmpx_gt_u32_e32 51, v0
	s_cbranch_execz .LBB120_1070
; %bb.1061:
	v_cmp_ne_u32_e32 vcc_lo, 1, v120
	s_cbranch_vccnz .LBB120_1063
; %bb.1062:
	scratch_load_b64 v[118:119], v59, off
	ds_load_b64 v[122:123], v1
	s_wait_loadcnt_dscnt 0x0
	v_pk_mul_f32 v[124:125], v[122:123], v[118:119] op_sel:[1,1] op_sel_hi:[0,1]
	s_delay_alu instid0(VALU_DEP_1) | instskip(SKIP_1) | instid1(VALU_DEP_2)
	v_pk_fma_f32 v[126:127], v[122:123], v[118:119], v[124:125] op_sel_hi:[1,0,1]
	v_pk_fma_f32 v[118:119], v[122:123], v[118:119], v[124:125] neg_lo:[0,0,1] neg_hi:[0,0,1]
	v_mov_b32_e32 v119, v127
	s_cbranch_execz .LBB120_1064
	s_branch .LBB120_1065
.LBB120_1063:
                                        ; implicit-def: $vgpr118_vgpr119
.LBB120_1064:
	ds_load_b64 v[118:119], v1
.LBB120_1065:
	s_mov_b32 s4, exec_lo
	v_cmpx_ne_u32_e32 50, v0
	s_cbranch_execz .LBB120_1069
; %bb.1066:
	v_add_nc_u32_e32 v121, 0x1d8, v58
	v_add3_u32 v122, 0, v58, 8
	v_mov_b32_e32 v123, v0
	s_mov_b32 s5, 0
.LBB120_1067:                           ; =>This Inner Loop Header: Depth=1
	scratch_load_b64 v[124:125], v122, off
	ds_load_b64 v[126:127], v121
	s_wait_xcnt 0x0
	v_dual_add_nc_u32 v121, 8, v121 :: v_dual_add_nc_u32 v122, 8, v122
	s_wait_loadcnt_dscnt 0x0
	v_pk_mul_f32 v[128:129], v[126:127], v[124:125] op_sel:[1,1] op_sel_hi:[0,1]
	s_delay_alu instid0(VALU_DEP_1) | instskip(SKIP_2) | instid1(VALU_DEP_3)
	v_pk_fma_f32 v[130:131], v[126:127], v[124:125], v[128:129] op_sel_hi:[1,0,1]
	v_add_nc_u32_e32 v123, 1, v123
	v_pk_fma_f32 v[124:125], v[126:127], v[124:125], v[128:129] neg_lo:[0,0,1] neg_hi:[0,0,1]
	v_mov_b32_e32 v125, v131
	s_delay_alu instid0(VALU_DEP_3) | instskip(NEXT) | instid1(VALU_DEP_2)
	v_cmp_lt_u32_e32 vcc_lo, 49, v123
	v_pk_add_f32 v[118:119], v[118:119], v[124:125]
	s_or_b32 s5, vcc_lo, s5
	s_delay_alu instid0(SALU_CYCLE_1)
	s_and_not1_b32 exec_lo, exec_lo, s5
	s_cbranch_execnz .LBB120_1067
; %bb.1068:
	s_or_b32 exec_lo, exec_lo, s5
.LBB120_1069:
	s_delay_alu instid0(SALU_CYCLE_1) | instskip(SKIP_4) | instid1(VALU_DEP_1)
	s_or_b32 exec_lo, exec_lo, s4
	v_mov_b32_e32 v121, 0
	ds_load_b64 v[122:123], v121 offset:408
	s_wait_dscnt 0x0
	v_pk_mul_f32 v[124:125], v[118:119], v[122:123] op_sel:[1,1] op_sel_hi:[0,1]
	v_pk_fma_f32 v[126:127], v[118:119], v[122:123], v[124:125] op_sel_hi:[1,0,1]
	v_pk_fma_f32 v[118:119], v[118:119], v[122:123], v[124:125] neg_lo:[0,0,1] neg_hi:[0,0,1]
	s_delay_alu instid0(VALU_DEP_2)
	v_mov_b32_e32 v119, v127
	scratch_store_b64 off, v[118:119], off offset:408
.LBB120_1070:
	s_wait_xcnt 0x0
	s_or_b32 exec_lo, exec_lo, s0
	scratch_load_b64 v[118:119], off, off offset:416
	s_mov_b32 s0, exec_lo
	s_wait_loadcnt 0x0
	ds_store_b64 v1, v[118:119]
	s_wait_storecnt_dscnt 0x0
	s_barrier_signal -1
	s_barrier_wait -1
	s_wait_xcnt 0x0
	v_cmpx_gt_u32_e32 52, v0
	s_cbranch_execz .LBB120_1080
; %bb.1071:
	v_cmp_ne_u32_e32 vcc_lo, 1, v120
	s_cbranch_vccnz .LBB120_1073
; %bb.1072:
	scratch_load_b64 v[118:119], v59, off
	ds_load_b64 v[122:123], v1
	s_wait_loadcnt_dscnt 0x0
	v_pk_mul_f32 v[124:125], v[122:123], v[118:119] op_sel:[1,1] op_sel_hi:[0,1]
	s_delay_alu instid0(VALU_DEP_1) | instskip(SKIP_1) | instid1(VALU_DEP_2)
	v_pk_fma_f32 v[126:127], v[122:123], v[118:119], v[124:125] op_sel_hi:[1,0,1]
	v_pk_fma_f32 v[118:119], v[122:123], v[118:119], v[124:125] neg_lo:[0,0,1] neg_hi:[0,0,1]
	v_mov_b32_e32 v119, v127
	s_cbranch_execz .LBB120_1074
	s_branch .LBB120_1075
.LBB120_1073:
                                        ; implicit-def: $vgpr118_vgpr119
.LBB120_1074:
	ds_load_b64 v[118:119], v1
.LBB120_1075:
	s_mov_b32 s4, exec_lo
	v_cmpx_ne_u32_e32 51, v0
	s_cbranch_execz .LBB120_1079
; %bb.1076:
	v_add_nc_u32_e32 v121, 0x1d8, v58
	v_add3_u32 v122, 0, v58, 8
	v_mov_b32_e32 v123, v0
	s_mov_b32 s5, 0
.LBB120_1077:                           ; =>This Inner Loop Header: Depth=1
	scratch_load_b64 v[124:125], v122, off
	ds_load_b64 v[126:127], v121
	s_wait_xcnt 0x0
	v_dual_add_nc_u32 v121, 8, v121 :: v_dual_add_nc_u32 v122, 8, v122
	s_wait_loadcnt_dscnt 0x0
	v_pk_mul_f32 v[128:129], v[126:127], v[124:125] op_sel:[1,1] op_sel_hi:[0,1]
	s_delay_alu instid0(VALU_DEP_1) | instskip(SKIP_2) | instid1(VALU_DEP_3)
	v_pk_fma_f32 v[130:131], v[126:127], v[124:125], v[128:129] op_sel_hi:[1,0,1]
	v_add_nc_u32_e32 v123, 1, v123
	v_pk_fma_f32 v[124:125], v[126:127], v[124:125], v[128:129] neg_lo:[0,0,1] neg_hi:[0,0,1]
	v_mov_b32_e32 v125, v131
	s_delay_alu instid0(VALU_DEP_3) | instskip(NEXT) | instid1(VALU_DEP_2)
	v_cmp_lt_u32_e32 vcc_lo, 50, v123
	v_pk_add_f32 v[118:119], v[118:119], v[124:125]
	s_or_b32 s5, vcc_lo, s5
	s_delay_alu instid0(SALU_CYCLE_1)
	s_and_not1_b32 exec_lo, exec_lo, s5
	s_cbranch_execnz .LBB120_1077
; %bb.1078:
	s_or_b32 exec_lo, exec_lo, s5
.LBB120_1079:
	s_delay_alu instid0(SALU_CYCLE_1) | instskip(SKIP_4) | instid1(VALU_DEP_1)
	s_or_b32 exec_lo, exec_lo, s4
	v_mov_b32_e32 v121, 0
	ds_load_b64 v[122:123], v121 offset:416
	s_wait_dscnt 0x0
	v_pk_mul_f32 v[124:125], v[118:119], v[122:123] op_sel:[1,1] op_sel_hi:[0,1]
	v_pk_fma_f32 v[126:127], v[118:119], v[122:123], v[124:125] op_sel_hi:[1,0,1]
	v_pk_fma_f32 v[118:119], v[118:119], v[122:123], v[124:125] neg_lo:[0,0,1] neg_hi:[0,0,1]
	s_delay_alu instid0(VALU_DEP_2)
	v_mov_b32_e32 v119, v127
	scratch_store_b64 off, v[118:119], off offset:416
.LBB120_1080:
	s_wait_xcnt 0x0
	s_or_b32 exec_lo, exec_lo, s0
	scratch_load_b64 v[118:119], off, off offset:424
	s_mov_b32 s0, exec_lo
	s_wait_loadcnt 0x0
	ds_store_b64 v1, v[118:119]
	s_wait_storecnt_dscnt 0x0
	s_barrier_signal -1
	s_barrier_wait -1
	s_wait_xcnt 0x0
	v_cmpx_gt_u32_e32 53, v0
	s_cbranch_execz .LBB120_1090
; %bb.1081:
	v_cmp_ne_u32_e32 vcc_lo, 1, v120
	s_cbranch_vccnz .LBB120_1083
; %bb.1082:
	scratch_load_b64 v[118:119], v59, off
	ds_load_b64 v[122:123], v1
	s_wait_loadcnt_dscnt 0x0
	v_pk_mul_f32 v[124:125], v[122:123], v[118:119] op_sel:[1,1] op_sel_hi:[0,1]
	s_delay_alu instid0(VALU_DEP_1) | instskip(SKIP_1) | instid1(VALU_DEP_2)
	v_pk_fma_f32 v[126:127], v[122:123], v[118:119], v[124:125] op_sel_hi:[1,0,1]
	v_pk_fma_f32 v[118:119], v[122:123], v[118:119], v[124:125] neg_lo:[0,0,1] neg_hi:[0,0,1]
	v_mov_b32_e32 v119, v127
	s_cbranch_execz .LBB120_1084
	s_branch .LBB120_1085
.LBB120_1083:
                                        ; implicit-def: $vgpr118_vgpr119
.LBB120_1084:
	ds_load_b64 v[118:119], v1
.LBB120_1085:
	s_mov_b32 s4, exec_lo
	v_cmpx_ne_u32_e32 52, v0
	s_cbranch_execz .LBB120_1089
; %bb.1086:
	v_add_nc_u32_e32 v121, 0x1d8, v58
	v_add3_u32 v122, 0, v58, 8
	v_mov_b32_e32 v123, v0
	s_mov_b32 s5, 0
.LBB120_1087:                           ; =>This Inner Loop Header: Depth=1
	scratch_load_b64 v[124:125], v122, off
	ds_load_b64 v[126:127], v121
	s_wait_xcnt 0x0
	v_dual_add_nc_u32 v121, 8, v121 :: v_dual_add_nc_u32 v122, 8, v122
	s_wait_loadcnt_dscnt 0x0
	v_pk_mul_f32 v[128:129], v[126:127], v[124:125] op_sel:[1,1] op_sel_hi:[0,1]
	s_delay_alu instid0(VALU_DEP_1) | instskip(SKIP_2) | instid1(VALU_DEP_3)
	v_pk_fma_f32 v[130:131], v[126:127], v[124:125], v[128:129] op_sel_hi:[1,0,1]
	v_add_nc_u32_e32 v123, 1, v123
	v_pk_fma_f32 v[124:125], v[126:127], v[124:125], v[128:129] neg_lo:[0,0,1] neg_hi:[0,0,1]
	v_mov_b32_e32 v125, v131
	s_delay_alu instid0(VALU_DEP_3) | instskip(NEXT) | instid1(VALU_DEP_2)
	v_cmp_lt_u32_e32 vcc_lo, 51, v123
	v_pk_add_f32 v[118:119], v[118:119], v[124:125]
	s_or_b32 s5, vcc_lo, s5
	s_delay_alu instid0(SALU_CYCLE_1)
	s_and_not1_b32 exec_lo, exec_lo, s5
	s_cbranch_execnz .LBB120_1087
; %bb.1088:
	s_or_b32 exec_lo, exec_lo, s5
.LBB120_1089:
	s_delay_alu instid0(SALU_CYCLE_1) | instskip(SKIP_4) | instid1(VALU_DEP_1)
	s_or_b32 exec_lo, exec_lo, s4
	v_mov_b32_e32 v121, 0
	ds_load_b64 v[122:123], v121 offset:424
	s_wait_dscnt 0x0
	v_pk_mul_f32 v[124:125], v[118:119], v[122:123] op_sel:[1,1] op_sel_hi:[0,1]
	v_pk_fma_f32 v[126:127], v[118:119], v[122:123], v[124:125] op_sel_hi:[1,0,1]
	v_pk_fma_f32 v[118:119], v[118:119], v[122:123], v[124:125] neg_lo:[0,0,1] neg_hi:[0,0,1]
	s_delay_alu instid0(VALU_DEP_2)
	v_mov_b32_e32 v119, v127
	scratch_store_b64 off, v[118:119], off offset:424
.LBB120_1090:
	s_wait_xcnt 0x0
	s_or_b32 exec_lo, exec_lo, s0
	scratch_load_b64 v[118:119], off, off offset:432
	s_mov_b32 s0, exec_lo
	s_wait_loadcnt 0x0
	ds_store_b64 v1, v[118:119]
	s_wait_storecnt_dscnt 0x0
	s_barrier_signal -1
	s_barrier_wait -1
	s_wait_xcnt 0x0
	v_cmpx_gt_u32_e32 54, v0
	s_cbranch_execz .LBB120_1100
; %bb.1091:
	v_cmp_ne_u32_e32 vcc_lo, 1, v120
	s_cbranch_vccnz .LBB120_1093
; %bb.1092:
	scratch_load_b64 v[118:119], v59, off
	ds_load_b64 v[122:123], v1
	s_wait_loadcnt_dscnt 0x0
	v_pk_mul_f32 v[124:125], v[122:123], v[118:119] op_sel:[1,1] op_sel_hi:[0,1]
	s_delay_alu instid0(VALU_DEP_1) | instskip(SKIP_1) | instid1(VALU_DEP_2)
	v_pk_fma_f32 v[126:127], v[122:123], v[118:119], v[124:125] op_sel_hi:[1,0,1]
	v_pk_fma_f32 v[118:119], v[122:123], v[118:119], v[124:125] neg_lo:[0,0,1] neg_hi:[0,0,1]
	v_mov_b32_e32 v119, v127
	s_cbranch_execz .LBB120_1094
	s_branch .LBB120_1095
.LBB120_1093:
                                        ; implicit-def: $vgpr118_vgpr119
.LBB120_1094:
	ds_load_b64 v[118:119], v1
.LBB120_1095:
	s_mov_b32 s4, exec_lo
	v_cmpx_ne_u32_e32 53, v0
	s_cbranch_execz .LBB120_1099
; %bb.1096:
	v_add_nc_u32_e32 v121, 0x1d8, v58
	v_add3_u32 v122, 0, v58, 8
	v_mov_b32_e32 v123, v0
	s_mov_b32 s5, 0
.LBB120_1097:                           ; =>This Inner Loop Header: Depth=1
	scratch_load_b64 v[124:125], v122, off
	ds_load_b64 v[126:127], v121
	s_wait_xcnt 0x0
	v_dual_add_nc_u32 v121, 8, v121 :: v_dual_add_nc_u32 v122, 8, v122
	s_wait_loadcnt_dscnt 0x0
	v_pk_mul_f32 v[128:129], v[126:127], v[124:125] op_sel:[1,1] op_sel_hi:[0,1]
	s_delay_alu instid0(VALU_DEP_1) | instskip(SKIP_2) | instid1(VALU_DEP_3)
	v_pk_fma_f32 v[130:131], v[126:127], v[124:125], v[128:129] op_sel_hi:[1,0,1]
	v_add_nc_u32_e32 v123, 1, v123
	v_pk_fma_f32 v[124:125], v[126:127], v[124:125], v[128:129] neg_lo:[0,0,1] neg_hi:[0,0,1]
	v_mov_b32_e32 v125, v131
	s_delay_alu instid0(VALU_DEP_3) | instskip(NEXT) | instid1(VALU_DEP_2)
	v_cmp_lt_u32_e32 vcc_lo, 52, v123
	v_pk_add_f32 v[118:119], v[118:119], v[124:125]
	s_or_b32 s5, vcc_lo, s5
	s_delay_alu instid0(SALU_CYCLE_1)
	s_and_not1_b32 exec_lo, exec_lo, s5
	s_cbranch_execnz .LBB120_1097
; %bb.1098:
	s_or_b32 exec_lo, exec_lo, s5
.LBB120_1099:
	s_delay_alu instid0(SALU_CYCLE_1) | instskip(SKIP_4) | instid1(VALU_DEP_1)
	s_or_b32 exec_lo, exec_lo, s4
	v_mov_b32_e32 v121, 0
	ds_load_b64 v[122:123], v121 offset:432
	s_wait_dscnt 0x0
	v_pk_mul_f32 v[124:125], v[118:119], v[122:123] op_sel:[1,1] op_sel_hi:[0,1]
	v_pk_fma_f32 v[126:127], v[118:119], v[122:123], v[124:125] op_sel_hi:[1,0,1]
	v_pk_fma_f32 v[118:119], v[118:119], v[122:123], v[124:125] neg_lo:[0,0,1] neg_hi:[0,0,1]
	s_delay_alu instid0(VALU_DEP_2)
	v_mov_b32_e32 v119, v127
	scratch_store_b64 off, v[118:119], off offset:432
.LBB120_1100:
	s_wait_xcnt 0x0
	s_or_b32 exec_lo, exec_lo, s0
	scratch_load_b64 v[118:119], off, off offset:440
	v_cmp_gt_u32_e64 s0, 55, v0
	s_wait_loadcnt 0x0
	ds_store_b64 v1, v[118:119]
	s_wait_storecnt_dscnt 0x0
	s_barrier_signal -1
	s_barrier_wait -1
	s_wait_xcnt 0x0
	s_and_saveexec_b32 s4, s0
	s_cbranch_execz .LBB120_1110
; %bb.1101:
	v_cmp_ne_u32_e32 vcc_lo, 1, v120
	s_cbranch_vccnz .LBB120_1103
; %bb.1102:
	scratch_load_b64 v[118:119], v59, off
	ds_load_b64 v[122:123], v1
	s_wait_loadcnt_dscnt 0x0
	v_pk_mul_f32 v[124:125], v[122:123], v[118:119] op_sel:[1,1] op_sel_hi:[0,1]
	s_delay_alu instid0(VALU_DEP_1) | instskip(SKIP_1) | instid1(VALU_DEP_2)
	v_pk_fma_f32 v[126:127], v[122:123], v[118:119], v[124:125] op_sel_hi:[1,0,1]
	v_pk_fma_f32 v[118:119], v[122:123], v[118:119], v[124:125] neg_lo:[0,0,1] neg_hi:[0,0,1]
	v_mov_b32_e32 v119, v127
	s_cbranch_execz .LBB120_1104
	s_branch .LBB120_1105
.LBB120_1103:
                                        ; implicit-def: $vgpr118_vgpr119
.LBB120_1104:
	ds_load_b64 v[118:119], v1
.LBB120_1105:
	s_mov_b32 s5, exec_lo
	v_cmpx_ne_u32_e32 54, v0
	s_cbranch_execz .LBB120_1109
; %bb.1106:
	v_add_nc_u32_e32 v121, 0x1d8, v58
	v_add3_u32 v122, 0, v58, 8
	v_mov_b32_e32 v123, v0
	s_mov_b32 s6, 0
.LBB120_1107:                           ; =>This Inner Loop Header: Depth=1
	scratch_load_b64 v[124:125], v122, off
	ds_load_b64 v[126:127], v121
	s_wait_xcnt 0x0
	v_dual_add_nc_u32 v121, 8, v121 :: v_dual_add_nc_u32 v122, 8, v122
	s_wait_loadcnt_dscnt 0x0
	v_pk_mul_f32 v[128:129], v[126:127], v[124:125] op_sel:[1,1] op_sel_hi:[0,1]
	s_delay_alu instid0(VALU_DEP_1) | instskip(SKIP_2) | instid1(VALU_DEP_3)
	v_pk_fma_f32 v[130:131], v[126:127], v[124:125], v[128:129] op_sel_hi:[1,0,1]
	v_add_nc_u32_e32 v123, 1, v123
	v_pk_fma_f32 v[124:125], v[126:127], v[124:125], v[128:129] neg_lo:[0,0,1] neg_hi:[0,0,1]
	v_mov_b32_e32 v125, v131
	s_delay_alu instid0(VALU_DEP_3) | instskip(NEXT) | instid1(VALU_DEP_2)
	v_cmp_lt_u32_e32 vcc_lo, 53, v123
	v_pk_add_f32 v[118:119], v[118:119], v[124:125]
	s_or_b32 s6, vcc_lo, s6
	s_delay_alu instid0(SALU_CYCLE_1)
	s_and_not1_b32 exec_lo, exec_lo, s6
	s_cbranch_execnz .LBB120_1107
; %bb.1108:
	s_or_b32 exec_lo, exec_lo, s6
.LBB120_1109:
	s_delay_alu instid0(SALU_CYCLE_1) | instskip(SKIP_4) | instid1(VALU_DEP_1)
	s_or_b32 exec_lo, exec_lo, s5
	v_mov_b32_e32 v121, 0
	ds_load_b64 v[122:123], v121 offset:440
	s_wait_dscnt 0x0
	v_pk_mul_f32 v[124:125], v[118:119], v[122:123] op_sel:[1,1] op_sel_hi:[0,1]
	v_pk_fma_f32 v[126:127], v[118:119], v[122:123], v[124:125] op_sel_hi:[1,0,1]
	v_pk_fma_f32 v[118:119], v[118:119], v[122:123], v[124:125] neg_lo:[0,0,1] neg_hi:[0,0,1]
	s_delay_alu instid0(VALU_DEP_2)
	v_mov_b32_e32 v119, v127
	scratch_store_b64 off, v[118:119], off offset:440
.LBB120_1110:
	s_wait_xcnt 0x0
	s_or_b32 exec_lo, exec_lo, s4
	scratch_load_b64 v[118:119], off, off offset:448
	s_mov_b32 s4, exec_lo
                                        ; implicit-def: $vgpr170
                                        ; implicit-def: $sgpr7
	s_wait_loadcnt 0x0
	ds_store_b64 v1, v[118:119]
	s_wait_storecnt_dscnt 0x0
	s_barrier_signal -1
	s_barrier_wait -1
	s_wait_xcnt 0x0
	v_cmpx_ne_u32_e32 56, v0
	s_cbranch_execz .LBB120_1120
; %bb.1111:
	v_cmp_ne_u32_e32 vcc_lo, 1, v120
	s_cbranch_vccnz .LBB120_1113
; %bb.1112:
	scratch_load_b64 v[120:121], v59, off
	ds_load_b64 v[122:123], v1
	s_wait_loadcnt_dscnt 0x0
	v_dual_mul_f32 v59, v123, v121 :: v_dual_mul_f32 v119, v122, v121
	s_delay_alu instid0(VALU_DEP_1) | instskip(NEXT) | instid1(VALU_DEP_2)
	v_fma_f32 v118, v122, v120, -v59
	v_fmac_f32_e32 v119, v123, v120
	s_cbranch_execz .LBB120_1114
	s_branch .LBB120_1115
.LBB120_1113:
                                        ; implicit-def: $vgpr119
.LBB120_1114:
	ds_load_b64 v[118:119], v1
.LBB120_1115:
	s_and_saveexec_b32 s5, s0
	s_cbranch_execz .LBB120_1119
; %bb.1116:
	v_add_nc_u32_e32 v1, 0x1d8, v58
	v_add3_u32 v58, 0, v58, 8
	s_mov_b32 s0, 0
.LBB120_1117:                           ; =>This Inner Loop Header: Depth=1
	scratch_load_b64 v[120:121], v58, off
	ds_load_b64 v[122:123], v1
	v_dual_add_nc_u32 v0, 1, v0 :: v_dual_add_nc_u32 v1, 8, v1
	s_delay_alu instid0(VALU_DEP_1) | instskip(SKIP_3) | instid1(VALU_DEP_1)
	v_cmp_lt_u32_e32 vcc_lo, 54, v0
	s_or_b32 s0, vcc_lo, s0
	s_wait_loadcnt_dscnt 0x0
	v_dual_mul_f32 v59, v123, v121 :: v_dual_mul_f32 v121, v122, v121
	v_dual_fma_f32 v59, v122, v120, -v59 :: v_dual_fmac_f32 v121, v123, v120
	s_delay_alu instid0(VALU_DEP_1) | instskip(NEXT) | instid1(VALU_DEP_2)
	v_dual_add_nc_u32 v58, 8, v58 :: v_dual_add_f32 v118, v118, v59
	v_add_f32_e32 v119, v119, v121
	s_and_not1_b32 exec_lo, exec_lo, s0
	s_cbranch_execnz .LBB120_1117
; %bb.1118:
	s_or_b32 exec_lo, exec_lo, s0
.LBB120_1119:
	s_delay_alu instid0(SALU_CYCLE_1)
	s_or_b32 exec_lo, exec_lo, s5
	v_mov_b32_e32 v0, 0
	s_movk_i32 s7, 0x1c4
	s_or_b32 s1, s1, exec_lo
	ds_load_b64 v[0:1], v0 offset:448
	s_wait_dscnt 0x0
	v_dual_mul_f32 v58, v119, v1 :: v_dual_mul_f32 v170, v118, v1
	s_delay_alu instid0(VALU_DEP_1) | instskip(NEXT) | instid1(VALU_DEP_2)
	v_fma_f32 v1, v118, v0, -v58
	v_fmac_f32_e32 v170, v119, v0
	scratch_store_b32 off, v1, off offset:448
.LBB120_1120:
	s_wait_xcnt 0x0
	s_or_b32 exec_lo, exec_lo, s4
.LBB120_1121:
	v_lshl_add_u64 v[168:169], v[6:7], 3, s[2:3]
	v_lshl_add_u64 v[166:167], v[8:9], 3, s[2:3]
	;; [unrolled: 1-line block ×55, first 2 shown]
	s_and_saveexec_b32 s0, s1
	s_cbranch_execz .LBB120_1123
; %bb.1122:
	scratch_store_b32 off, v170, s7
.LBB120_1123:
	s_wait_xcnt 0x0
	s_or_b32 exec_lo, exec_lo, s0
	scratch_load_b64 v[62:63], off, off
	s_wait_loadcnt 0x0
	flat_store_b64 v[2:3], v[62:63]
	scratch_load_b64 v[2:3], off, off offset:8
	s_wait_loadcnt 0x0
	flat_store_b64 v[4:5], v[2:3]
	scratch_load_b64 v[2:3], off, off offset:16
	;; [unrolled: 3-line block ×56, first 2 shown]
	s_wait_loadcnt 0x0
	flat_store_b64 v[0:1], v[2:3]
.LBB120_1124:
	s_sendmsg sendmsg(MSG_DEALLOC_VGPRS)
	s_endpgm
	.section	.rodata,"a",@progbits
	.p2align	6, 0x0
	.amdhsa_kernel _ZN9rocsolver6v33100L18trti2_kernel_smallILi57E19rocblas_complex_numIfEPKPS3_EEv13rocblas_fill_17rocblas_diagonal_T1_iil
		.amdhsa_group_segment_fixed_size 920
		.amdhsa_private_segment_fixed_size 464
		.amdhsa_kernarg_size 32
		.amdhsa_user_sgpr_count 2
		.amdhsa_user_sgpr_dispatch_ptr 0
		.amdhsa_user_sgpr_queue_ptr 0
		.amdhsa_user_sgpr_kernarg_segment_ptr 1
		.amdhsa_user_sgpr_dispatch_id 0
		.amdhsa_user_sgpr_kernarg_preload_length 0
		.amdhsa_user_sgpr_kernarg_preload_offset 0
		.amdhsa_user_sgpr_private_segment_size 0
		.amdhsa_wavefront_size32 1
		.amdhsa_uses_dynamic_stack 0
		.amdhsa_enable_private_segment 1
		.amdhsa_system_sgpr_workgroup_id_x 1
		.amdhsa_system_sgpr_workgroup_id_y 0
		.amdhsa_system_sgpr_workgroup_id_z 0
		.amdhsa_system_sgpr_workgroup_info 0
		.amdhsa_system_vgpr_workitem_id 0
		.amdhsa_next_free_vgpr 171
		.amdhsa_next_free_sgpr 63
		.amdhsa_named_barrier_count 0
		.amdhsa_reserve_vcc 1
		.amdhsa_float_round_mode_32 0
		.amdhsa_float_round_mode_16_64 0
		.amdhsa_float_denorm_mode_32 3
		.amdhsa_float_denorm_mode_16_64 3
		.amdhsa_fp16_overflow 0
		.amdhsa_memory_ordered 1
		.amdhsa_forward_progress 1
		.amdhsa_inst_pref_size 255
		.amdhsa_round_robin_scheduling 0
		.amdhsa_exception_fp_ieee_invalid_op 0
		.amdhsa_exception_fp_denorm_src 0
		.amdhsa_exception_fp_ieee_div_zero 0
		.amdhsa_exception_fp_ieee_overflow 0
		.amdhsa_exception_fp_ieee_underflow 0
		.amdhsa_exception_fp_ieee_inexact 0
		.amdhsa_exception_int_div_zero 0
	.end_amdhsa_kernel
	.section	.text._ZN9rocsolver6v33100L18trti2_kernel_smallILi57E19rocblas_complex_numIfEPKPS3_EEv13rocblas_fill_17rocblas_diagonal_T1_iil,"axG",@progbits,_ZN9rocsolver6v33100L18trti2_kernel_smallILi57E19rocblas_complex_numIfEPKPS3_EEv13rocblas_fill_17rocblas_diagonal_T1_iil,comdat
.Lfunc_end120:
	.size	_ZN9rocsolver6v33100L18trti2_kernel_smallILi57E19rocblas_complex_numIfEPKPS3_EEv13rocblas_fill_17rocblas_diagonal_T1_iil, .Lfunc_end120-_ZN9rocsolver6v33100L18trti2_kernel_smallILi57E19rocblas_complex_numIfEPKPS3_EEv13rocblas_fill_17rocblas_diagonal_T1_iil
                                        ; -- End function
	.set _ZN9rocsolver6v33100L18trti2_kernel_smallILi57E19rocblas_complex_numIfEPKPS3_EEv13rocblas_fill_17rocblas_diagonal_T1_iil.num_vgpr, 171
	.set _ZN9rocsolver6v33100L18trti2_kernel_smallILi57E19rocblas_complex_numIfEPKPS3_EEv13rocblas_fill_17rocblas_diagonal_T1_iil.num_agpr, 0
	.set _ZN9rocsolver6v33100L18trti2_kernel_smallILi57E19rocblas_complex_numIfEPKPS3_EEv13rocblas_fill_17rocblas_diagonal_T1_iil.numbered_sgpr, 63
	.set _ZN9rocsolver6v33100L18trti2_kernel_smallILi57E19rocblas_complex_numIfEPKPS3_EEv13rocblas_fill_17rocblas_diagonal_T1_iil.num_named_barrier, 0
	.set _ZN9rocsolver6v33100L18trti2_kernel_smallILi57E19rocblas_complex_numIfEPKPS3_EEv13rocblas_fill_17rocblas_diagonal_T1_iil.private_seg_size, 464
	.set _ZN9rocsolver6v33100L18trti2_kernel_smallILi57E19rocblas_complex_numIfEPKPS3_EEv13rocblas_fill_17rocblas_diagonal_T1_iil.uses_vcc, 1
	.set _ZN9rocsolver6v33100L18trti2_kernel_smallILi57E19rocblas_complex_numIfEPKPS3_EEv13rocblas_fill_17rocblas_diagonal_T1_iil.uses_flat_scratch, 0
	.set _ZN9rocsolver6v33100L18trti2_kernel_smallILi57E19rocblas_complex_numIfEPKPS3_EEv13rocblas_fill_17rocblas_diagonal_T1_iil.has_dyn_sized_stack, 0
	.set _ZN9rocsolver6v33100L18trti2_kernel_smallILi57E19rocblas_complex_numIfEPKPS3_EEv13rocblas_fill_17rocblas_diagonal_T1_iil.has_recursion, 0
	.set _ZN9rocsolver6v33100L18trti2_kernel_smallILi57E19rocblas_complex_numIfEPKPS3_EEv13rocblas_fill_17rocblas_diagonal_T1_iil.has_indirect_call, 0
	.section	.AMDGPU.csdata,"",@progbits
; Kernel info:
; codeLenInByte = 44060
; TotalNumSgprs: 65
; NumVgprs: 171
; ScratchSize: 464
; MemoryBound: 0
; FloatMode: 240
; IeeeMode: 1
; LDSByteSize: 920 bytes/workgroup (compile time only)
; SGPRBlocks: 0
; VGPRBlocks: 10
; NumSGPRsForWavesPerEU: 65
; NumVGPRsForWavesPerEU: 171
; NamedBarCnt: 0
; Occupancy: 5
; WaveLimiterHint : 1
; COMPUTE_PGM_RSRC2:SCRATCH_EN: 1
; COMPUTE_PGM_RSRC2:USER_SGPR: 2
; COMPUTE_PGM_RSRC2:TRAP_HANDLER: 0
; COMPUTE_PGM_RSRC2:TGID_X_EN: 1
; COMPUTE_PGM_RSRC2:TGID_Y_EN: 0
; COMPUTE_PGM_RSRC2:TGID_Z_EN: 0
; COMPUTE_PGM_RSRC2:TIDIG_COMP_CNT: 0
	.section	.text._ZN9rocsolver6v33100L18trti2_kernel_smallILi58E19rocblas_complex_numIfEPKPS3_EEv13rocblas_fill_17rocblas_diagonal_T1_iil,"axG",@progbits,_ZN9rocsolver6v33100L18trti2_kernel_smallILi58E19rocblas_complex_numIfEPKPS3_EEv13rocblas_fill_17rocblas_diagonal_T1_iil,comdat
	.globl	_ZN9rocsolver6v33100L18trti2_kernel_smallILi58E19rocblas_complex_numIfEPKPS3_EEv13rocblas_fill_17rocblas_diagonal_T1_iil ; -- Begin function _ZN9rocsolver6v33100L18trti2_kernel_smallILi58E19rocblas_complex_numIfEPKPS3_EEv13rocblas_fill_17rocblas_diagonal_T1_iil
	.p2align	8
	.type	_ZN9rocsolver6v33100L18trti2_kernel_smallILi58E19rocblas_complex_numIfEPKPS3_EEv13rocblas_fill_17rocblas_diagonal_T1_iil,@function
_ZN9rocsolver6v33100L18trti2_kernel_smallILi58E19rocblas_complex_numIfEPKPS3_EEv13rocblas_fill_17rocblas_diagonal_T1_iil: ; @_ZN9rocsolver6v33100L18trti2_kernel_smallILi58E19rocblas_complex_numIfEPKPS3_EEv13rocblas_fill_17rocblas_diagonal_T1_iil
; %bb.0:
	s_mov_b32 s2, exec_lo
	v_cmpx_gt_u32_e32 58, v0
	s_cbranch_execz .LBB121_1144
; %bb.1:
	s_clause 0x1
	s_load_b64 s[2:3], s[0:1], 0x10
	s_load_b128 s[4:7], s[0:1], 0x0
	s_wait_xcnt 0x0
	s_bfe_u32 s0, ttmp6, 0x4000c
	s_and_b32 s1, ttmp6, 15
	s_add_co_i32 s0, s0, 1
	s_getreg_b32 s8, hwreg(HW_REG_IB_STS2, 6, 4)
	s_mul_i32 s0, ttmp9, s0
	v_dual_mov_b32 v59, 0 :: v_dual_lshlrev_b32 v58, 3, v0
	s_add_co_i32 s0, s1, s0
	s_wait_kmcnt 0x0
	s_ashr_i32 s1, s2, 31
	s_cmp_eq_u32 s8, 0
	s_cselect_b32 s8, ttmp9, s0
	s_mov_b32 s0, s2
	s_ashr_i32 s9, s8, 31
	s_lshl_b64 s[0:1], s[0:1], 3
	s_lshl_b64 s[8:9], s[8:9], 3
	s_delay_alu instid0(SALU_CYCLE_1)
	s_add_nc_u64 s[6:7], s[6:7], s[8:9]
	s_load_b64 s[6:7], s[6:7], 0x0
	s_wait_kmcnt 0x0
	s_add_nc_u64 s[6:7], s[6:7], s[0:1]
	s_mov_b32 s0, s3
	flat_load_b64 v[6:7], v0, s[6:7] scale_offset
	v_add_nc_u64_e32 v[2:3], s[6:7], v[58:59]
	s_ashr_i32 s1, s3, 31
	s_cmp_lg_u32 s5, 0x84
	s_delay_alu instid0(VALU_DEP_1)
	v_lshl_add_u64 v[4:5], s[0:1], 3, v[2:3]
	s_mov_b32 s0, -1
	s_wait_loadcnt_dscnt 0x0
	scratch_store_b64 off, v[6:7], off
	flat_load_b64 v[8:9], v[4:5]
	s_wait_xcnt 0x1
	v_add3_u32 v6, s3, s3, v0
	s_wait_loadcnt_dscnt 0x0
	scratch_store_b64 off, v[8:9], off offset:8
	flat_load_b64 v[10:11], v6, s[6:7] scale_offset
	s_wait_xcnt 0x1
	v_add_nc_u32_e32 v8, s3, v6
	s_wait_loadcnt_dscnt 0x0
	scratch_store_b64 off, v[10:11], off offset:16
	flat_load_b64 v[12:13], v8, s[6:7] scale_offset
	s_wait_xcnt 0x1
	v_add_nc_u32_e32 v10, s3, v8
	;; [unrolled: 5-line block ×55, first 2 shown]
	s_cselect_b32 s3, -1, 0
	s_delay_alu instid0(SALU_CYCLE_1)
	s_and_b32 vcc_lo, exec_lo, s3
	s_wait_loadcnt_dscnt 0x0
	scratch_store_b64 off, v[120:121], off offset:448
	flat_load_b64 v[120:121], v118, s[6:7] scale_offset
	s_wait_loadcnt_dscnt 0x0
	scratch_store_b64 off, v[120:121], off offset:456
	s_cbranch_vccz .LBB121_7
; %bb.2:
	scratch_load_b64 v[120:121], v0, off scale_offset
                                        ; implicit-def: $vgpr125
                                        ; implicit-def: $vgpr122
	s_wait_loadcnt 0x0
	v_cmp_ngt_f32_e64 s0, |v120|, |v121|
	s_wait_xcnt 0x0
	s_and_saveexec_b32 s1, s0
	s_delay_alu instid0(SALU_CYCLE_1)
	s_xor_b32 s0, exec_lo, s1
	s_cbranch_execz .LBB121_4
; %bb.3:
	v_div_scale_f32 v1, null, v121, v121, v120
	v_div_scale_f32 v11, vcc_lo, v120, v121, v120
	s_delay_alu instid0(VALU_DEP_2) | instskip(SKIP_1) | instid1(TRANS32_DEP_1)
	v_rcp_f32_e32 v7, v1
	v_nop
	v_fma_f32 v9, -v1, v7, 1.0
	s_delay_alu instid0(VALU_DEP_1) | instskip(NEXT) | instid1(VALU_DEP_1)
	v_fmac_f32_e32 v7, v9, v7
	v_mul_f32_e32 v9, v11, v7
	s_delay_alu instid0(VALU_DEP_1) | instskip(NEXT) | instid1(VALU_DEP_1)
	v_fma_f32 v13, -v1, v9, v11
	v_fmac_f32_e32 v9, v13, v7
	s_delay_alu instid0(VALU_DEP_1) | instskip(NEXT) | instid1(VALU_DEP_1)
	v_fma_f32 v1, -v1, v9, v11
	v_div_fmas_f32 v1, v1, v7, v9
	s_delay_alu instid0(VALU_DEP_1) | instskip(NEXT) | instid1(VALU_DEP_1)
	v_div_fixup_f32 v1, v1, v121, v120
	v_fmac_f32_e32 v121, v120, v1
	s_delay_alu instid0(VALU_DEP_1) | instskip(NEXT) | instid1(VALU_DEP_1)
	v_div_scale_f32 v7, null, v121, v121, -1.0
	v_rcp_f32_e32 v9, v7
	v_nop
	s_delay_alu instid0(TRANS32_DEP_1) | instskip(NEXT) | instid1(VALU_DEP_1)
	v_fma_f32 v11, -v7, v9, 1.0
	v_fmac_f32_e32 v9, v11, v9
	v_div_scale_f32 v11, vcc_lo, -1.0, v121, -1.0
	s_delay_alu instid0(VALU_DEP_1) | instskip(NEXT) | instid1(VALU_DEP_1)
	v_mul_f32_e32 v13, v11, v9
	v_fma_f32 v15, -v7, v13, v11
	s_delay_alu instid0(VALU_DEP_1) | instskip(NEXT) | instid1(VALU_DEP_1)
	v_fmac_f32_e32 v13, v15, v9
	v_fma_f32 v7, -v7, v13, v11
	s_delay_alu instid0(VALU_DEP_1) | instskip(NEXT) | instid1(VALU_DEP_1)
	v_div_fmas_f32 v7, v7, v9, v13
	v_div_fixup_f32 v125, v7, v121, -1.0
                                        ; implicit-def: $vgpr120_vgpr121
	s_delay_alu instid0(VALU_DEP_1) | instskip(NEXT) | instid1(VALU_DEP_1)
	v_mul_f32_e32 v122, v1, v125
	v_xor_b32_e32 v124, 0x80000000, v122
.LBB121_4:
	s_or_saveexec_b32 s0, s0
	v_lshl_add_u32 v1, v0, 3, 0
	s_xor_b32 exec_lo, exec_lo, s0
	s_cbranch_execz .LBB121_6
; %bb.5:
	v_div_scale_f32 v7, null, v120, v120, v121
	v_div_scale_f32 v13, vcc_lo, v121, v120, v121
	s_delay_alu instid0(VALU_DEP_2) | instskip(SKIP_1) | instid1(TRANS32_DEP_1)
	v_rcp_f32_e32 v9, v7
	v_nop
	v_fma_f32 v11, -v7, v9, 1.0
	s_delay_alu instid0(VALU_DEP_1) | instskip(NEXT) | instid1(VALU_DEP_1)
	v_fmac_f32_e32 v9, v11, v9
	v_mul_f32_e32 v11, v13, v9
	s_delay_alu instid0(VALU_DEP_1) | instskip(NEXT) | instid1(VALU_DEP_1)
	v_fma_f32 v15, -v7, v11, v13
	v_fmac_f32_e32 v11, v15, v9
	s_delay_alu instid0(VALU_DEP_1) | instskip(NEXT) | instid1(VALU_DEP_1)
	v_fma_f32 v7, -v7, v11, v13
	v_div_fmas_f32 v7, v7, v9, v11
	s_delay_alu instid0(VALU_DEP_1) | instskip(NEXT) | instid1(VALU_DEP_1)
	v_div_fixup_f32 v7, v7, v120, v121
	v_fmac_f32_e32 v120, v121, v7
	s_delay_alu instid0(VALU_DEP_1) | instskip(SKIP_1) | instid1(VALU_DEP_2)
	v_div_scale_f32 v9, null, v120, v120, 1.0
	v_div_scale_f32 v15, vcc_lo, 1.0, v120, 1.0
	v_rcp_f32_e32 v11, v9
	v_nop
	s_delay_alu instid0(TRANS32_DEP_1) | instskip(NEXT) | instid1(VALU_DEP_1)
	v_fma_f32 v13, -v9, v11, 1.0
	v_fmac_f32_e32 v11, v13, v11
	s_delay_alu instid0(VALU_DEP_1) | instskip(NEXT) | instid1(VALU_DEP_1)
	v_mul_f32_e32 v13, v15, v11
	v_fma_f32 v17, -v9, v13, v15
	s_delay_alu instid0(VALU_DEP_1) | instskip(NEXT) | instid1(VALU_DEP_1)
	v_fmac_f32_e32 v13, v17, v11
	v_fma_f32 v9, -v9, v13, v15
	s_delay_alu instid0(VALU_DEP_1) | instskip(NEXT) | instid1(VALU_DEP_1)
	v_div_fmas_f32 v9, v9, v11, v13
	v_div_fixup_f32 v124, v9, v120, 1.0
	s_delay_alu instid0(VALU_DEP_1)
	v_xor_b32_e32 v122, 0x80000000, v124
	v_mul_f32_e64 v125, v7, -v124
.LBB121_6:
	s_or_b32 exec_lo, exec_lo, s0
	s_delay_alu instid0(VALU_DEP_1)
	v_xor_b32_e32 v123, 0x80000000, v125
	s_mov_b32 s0, 0
	scratch_store_b64 v1, v[124:125], off
	ds_store_b64 v58, v[122:123]
.LBB121_7:
	s_and_b32 vcc_lo, exec_lo, s0
	s_cbranch_vccz .LBB121_9
; %bb.8:
	s_mov_b64 s[0:1], 0xbf800000
	s_wait_xcnt 0x0
	v_mov_b64_e32 v[120:121], s[0:1]
	ds_store_b64 v58, v[120:121]
.LBB121_9:
	v_dual_ashrrev_i32 v7, 31, v6 :: v_dual_ashrrev_i32 v9, 31, v8
	v_dual_ashrrev_i32 v11, 31, v10 :: v_dual_ashrrev_i32 v13, 31, v12
	;; [unrolled: 1-line block ×28, first 2 shown]
	s_wait_xcnt 0x0
	v_add_nc_u32_e32 v1, 0x1d0, v58
	v_mov_b32_e32 v59, v58
	s_cmp_eq_u32 s4, 0x79
	s_cbranch_scc1 .LBB121_13
; %bb.10:
	scratch_load_b64 v[120:121], off, off offset:448
	v_cmp_eq_u32_e64 s0, 57, v0
	s_movk_i32 s1, 0x48
	s_movk_i32 s14, 0x50
	;; [unrolled: 1-line block ×47, first 2 shown]
	s_wait_loadcnt 0x0
	ds_store_b64 v1, v[120:121]
	s_wait_storecnt_dscnt 0x0
	s_barrier_signal -1
	s_barrier_wait -1
	s_wait_xcnt 0x0
	s_and_saveexec_b32 s2, s0
	s_cbranch_execz .LBB121_17
; %bb.11:
	s_and_b32 vcc_lo, exec_lo, s3
	s_cbranch_vccz .LBB121_14
; %bb.12:
	scratch_load_b64 v[120:121], v59, off
	ds_load_b64 v[122:123], v1
	s_wait_loadcnt_dscnt 0x0
	v_pk_mul_f32 v[124:125], v[122:123], v[120:121] op_sel:[1,1] op_sel_hi:[0,1]
	v_pk_mul_f32 v[126:127], v[122:123], v[120:121] op_sel_hi:[1,0]
	s_delay_alu instid0(VALU_DEP_2) | instskip(NEXT) | instid1(VALU_DEP_2)
	v_pk_fma_f32 v[120:121], v[122:123], v[120:121], v[124:125] op_sel_hi:[1,0,1]
	v_sub_f32_e32 v120, v126, v124
	s_cbranch_execz .LBB121_15
	s_branch .LBB121_16
.LBB121_13:
	s_mov_b32 s1, 0
                                        ; implicit-def: $vgpr174
                                        ; implicit-def: $sgpr5
	s_cbranch_execnz .LBB121_576
	s_branch .LBB121_1141
.LBB121_14:
                                        ; implicit-def: $vgpr121
.LBB121_15:
	ds_load_b64 v[120:121], v1
.LBB121_16:
	s_wait_dscnt 0x0
	v_dual_mov_b32 v122, 0 :: v_dual_mov_b32 v124, v121
	v_mov_b32_e32 v125, v120
	ds_load_b64 v[122:123], v122 offset:448
	s_wait_dscnt 0x0
	v_pk_mul_f32 v[124:125], v[124:125], v[122:123] op_sel:[0,1]
	s_delay_alu instid0(VALU_DEP_1) | instskip(SKIP_1) | instid1(VALU_DEP_2)
	v_pk_fma_f32 v[126:127], v[120:121], v[122:123], v[124:125] op_sel_hi:[1,0,1]
	v_pk_fma_f32 v[120:121], v[120:121], v[122:123], v[124:125] neg_lo:[0,0,1] neg_hi:[0,0,1]
	v_mov_b32_e32 v121, v127
	scratch_store_b64 off, v[120:121], off offset:448
.LBB121_17:
	s_wait_xcnt 0x0
	s_or_b32 exec_lo, exec_lo, s2
	scratch_load_b64 v[120:121], off, off offset:440
	s_mov_b32 s13, s1
	v_cmp_lt_u32_e64 s1, 55, v0
	s_or_b32 s4, 0, 8
	s_mov_b32 s5, 16
	s_mov_b32 s8, 24
	;; [unrolled: 1-line block ×7, first 2 shown]
	s_wait_loadcnt 0x0
	ds_store_b64 v1, v[120:121]
	s_wait_storecnt_dscnt 0x0
	s_barrier_signal -1
	s_barrier_wait -1
	s_wait_xcnt 0x0
	s_and_saveexec_b32 s61, s1
	s_cbranch_execz .LBB121_25
; %bb.18:
	s_and_not1_b32 vcc_lo, exec_lo, s3
	s_cbranch_vccnz .LBB121_20
; %bb.19:
	scratch_load_b64 v[120:121], v59, off
	ds_load_b64 v[122:123], v1
	s_wait_loadcnt_dscnt 0x0
	v_pk_mul_f32 v[124:125], v[122:123], v[120:121] op_sel:[1,1] op_sel_hi:[0,1]
	s_delay_alu instid0(VALU_DEP_1) | instskip(SKIP_1) | instid1(VALU_DEP_2)
	v_pk_fma_f32 v[126:127], v[122:123], v[120:121], v[124:125] op_sel_hi:[1,0,1]
	v_pk_fma_f32 v[120:121], v[122:123], v[120:121], v[124:125] neg_lo:[0,0,1] neg_hi:[0,0,1]
	v_mov_b32_e32 v121, v127
	s_cbranch_execz .LBB121_21
	s_branch .LBB121_22
.LBB121_20:
                                        ; implicit-def: $vgpr120_vgpr121
.LBB121_21:
	ds_load_b64 v[120:121], v1
.LBB121_22:
	s_and_saveexec_b32 s62, s0
	s_cbranch_execz .LBB121_24
; %bb.23:
	scratch_load_b64 v[122:123], off, off offset:448
	v_mov_b32_e32 v124, 0
	ds_load_b64 v[124:125], v124 offset:912
	s_wait_loadcnt_dscnt 0x0
	v_pk_mul_f32 v[126:127], v[124:125], v[122:123] op_sel:[1,1] op_sel_hi:[0,1]
	s_delay_alu instid0(VALU_DEP_1) | instskip(SKIP_1) | instid1(VALU_DEP_2)
	v_pk_fma_f32 v[128:129], v[124:125], v[122:123], v[126:127] op_sel_hi:[1,0,1]
	v_pk_fma_f32 v[122:123], v[124:125], v[122:123], v[126:127] neg_lo:[0,0,1] neg_hi:[0,0,1]
	v_mov_b32_e32 v123, v129
	s_delay_alu instid0(VALU_DEP_1)
	v_pk_add_f32 v[120:121], v[120:121], v[122:123]
.LBB121_24:
	s_or_b32 exec_lo, exec_lo, s62
	v_mov_b32_e32 v122, 0
	ds_load_b64 v[122:123], v122 offset:440
	s_wait_dscnt 0x0
	v_pk_mul_f32 v[124:125], v[120:121], v[122:123] op_sel:[1,1] op_sel_hi:[0,1]
	s_delay_alu instid0(VALU_DEP_1) | instskip(SKIP_1) | instid1(VALU_DEP_2)
	v_pk_fma_f32 v[126:127], v[120:121], v[122:123], v[124:125] op_sel_hi:[1,0,1]
	v_pk_fma_f32 v[120:121], v[120:121], v[122:123], v[124:125] neg_lo:[0,0,1] neg_hi:[0,0,1]
	v_mov_b32_e32 v121, v127
	scratch_store_b64 off, v[120:121], off offset:440
.LBB121_25:
	s_wait_xcnt 0x0
	s_or_b32 exec_lo, exec_lo, s61
	scratch_load_b64 v[120:121], off, off offset:432
	v_cmp_lt_u32_e64 s0, 54, v0
	s_wait_loadcnt 0x0
	ds_store_b64 v1, v[120:121]
	s_wait_storecnt_dscnt 0x0
	s_barrier_signal -1
	s_barrier_wait -1
	s_wait_xcnt 0x0
	s_and_saveexec_b32 s61, s0
	s_cbranch_execz .LBB121_35
; %bb.26:
	s_and_not1_b32 vcc_lo, exec_lo, s3
	s_cbranch_vccnz .LBB121_28
; %bb.27:
	scratch_load_b64 v[120:121], v59, off
	ds_load_b64 v[122:123], v1
	s_wait_loadcnt_dscnt 0x0
	v_pk_mul_f32 v[124:125], v[122:123], v[120:121] op_sel:[1,1] op_sel_hi:[0,1]
	s_delay_alu instid0(VALU_DEP_1) | instskip(SKIP_1) | instid1(VALU_DEP_2)
	v_pk_fma_f32 v[126:127], v[122:123], v[120:121], v[124:125] op_sel_hi:[1,0,1]
	v_pk_fma_f32 v[120:121], v[122:123], v[120:121], v[124:125] neg_lo:[0,0,1] neg_hi:[0,0,1]
	v_mov_b32_e32 v121, v127
	s_cbranch_execz .LBB121_29
	s_branch .LBB121_30
.LBB121_28:
                                        ; implicit-def: $vgpr120_vgpr121
.LBB121_29:
	ds_load_b64 v[120:121], v1
.LBB121_30:
	s_and_saveexec_b32 s62, s1
	s_cbranch_execz .LBB121_34
; %bb.31:
	v_subrev_nc_u32_e32 v122, 55, v0
	s_movk_i32 s63, 0x388
	s_mov_b32 s1, 0
.LBB121_32:                             ; =>This Inner Loop Header: Depth=1
	scratch_load_b64 v[124:125], off, s60
	v_dual_mov_b32 v123, s63 :: v_dual_add_nc_u32 v122, -1, v122
	s_add_co_i32 s63, s63, 8
	s_wait_xcnt 0x0
	s_add_co_i32 s60, s60, 8
	ds_load_b64 v[126:127], v123
	v_cmp_eq_u32_e32 vcc_lo, 0, v122
	s_or_b32 s1, vcc_lo, s1
	s_wait_loadcnt_dscnt 0x0
	v_pk_mul_f32 v[128:129], v[126:127], v[124:125] op_sel:[1,1] op_sel_hi:[0,1]
	s_delay_alu instid0(VALU_DEP_1) | instskip(SKIP_1) | instid1(VALU_DEP_2)
	v_pk_fma_f32 v[130:131], v[126:127], v[124:125], v[128:129] op_sel_hi:[1,0,1]
	v_pk_fma_f32 v[124:125], v[126:127], v[124:125], v[128:129] neg_lo:[0,0,1] neg_hi:[0,0,1]
	v_mov_b32_e32 v125, v131
	s_delay_alu instid0(VALU_DEP_1)
	v_pk_add_f32 v[120:121], v[120:121], v[124:125]
	s_and_not1_b32 exec_lo, exec_lo, s1
	s_cbranch_execnz .LBB121_32
; %bb.33:
	s_or_b32 exec_lo, exec_lo, s1
.LBB121_34:
	s_delay_alu instid0(SALU_CYCLE_1) | instskip(SKIP_4) | instid1(VALU_DEP_1)
	s_or_b32 exec_lo, exec_lo, s62
	v_mov_b32_e32 v122, 0
	ds_load_b64 v[122:123], v122 offset:432
	s_wait_dscnt 0x0
	v_pk_mul_f32 v[124:125], v[120:121], v[122:123] op_sel:[1,1] op_sel_hi:[0,1]
	v_pk_fma_f32 v[126:127], v[120:121], v[122:123], v[124:125] op_sel_hi:[1,0,1]
	v_pk_fma_f32 v[120:121], v[120:121], v[122:123], v[124:125] neg_lo:[0,0,1] neg_hi:[0,0,1]
	s_delay_alu instid0(VALU_DEP_2)
	v_mov_b32_e32 v121, v127
	scratch_store_b64 off, v[120:121], off offset:432
.LBB121_35:
	s_wait_xcnt 0x0
	s_or_b32 exec_lo, exec_lo, s61
	scratch_load_b64 v[120:121], off, off offset:424
	v_cmp_lt_u32_e64 s1, 53, v0
	s_wait_loadcnt 0x0
	ds_store_b64 v1, v[120:121]
	s_wait_storecnt_dscnt 0x0
	s_barrier_signal -1
	s_barrier_wait -1
	s_wait_xcnt 0x0
	s_and_saveexec_b32 s60, s1
	s_cbranch_execz .LBB121_45
; %bb.36:
	s_and_not1_b32 vcc_lo, exec_lo, s3
	s_cbranch_vccnz .LBB121_38
; %bb.37:
	scratch_load_b64 v[120:121], v59, off
	ds_load_b64 v[122:123], v1
	s_wait_loadcnt_dscnt 0x0
	v_pk_mul_f32 v[124:125], v[122:123], v[120:121] op_sel:[1,1] op_sel_hi:[0,1]
	s_delay_alu instid0(VALU_DEP_1) | instskip(SKIP_1) | instid1(VALU_DEP_2)
	v_pk_fma_f32 v[126:127], v[122:123], v[120:121], v[124:125] op_sel_hi:[1,0,1]
	v_pk_fma_f32 v[120:121], v[122:123], v[120:121], v[124:125] neg_lo:[0,0,1] neg_hi:[0,0,1]
	v_mov_b32_e32 v121, v127
	s_cbranch_execz .LBB121_39
	s_branch .LBB121_40
.LBB121_38:
                                        ; implicit-def: $vgpr120_vgpr121
.LBB121_39:
	ds_load_b64 v[120:121], v1
.LBB121_40:
	s_and_saveexec_b32 s61, s0
	s_cbranch_execz .LBB121_44
; %bb.41:
	v_subrev_nc_u32_e32 v122, 54, v0
	s_movk_i32 s62, 0x380
	s_mov_b32 s0, 0
.LBB121_42:                             ; =>This Inner Loop Header: Depth=1
	scratch_load_b64 v[124:125], off, s59
	v_dual_mov_b32 v123, s62 :: v_dual_add_nc_u32 v122, -1, v122
	s_add_co_i32 s62, s62, 8
	s_wait_xcnt 0x0
	s_add_co_i32 s59, s59, 8
	ds_load_b64 v[126:127], v123
	v_cmp_eq_u32_e32 vcc_lo, 0, v122
	s_or_b32 s0, vcc_lo, s0
	s_wait_loadcnt_dscnt 0x0
	v_pk_mul_f32 v[128:129], v[126:127], v[124:125] op_sel:[1,1] op_sel_hi:[0,1]
	s_delay_alu instid0(VALU_DEP_1) | instskip(SKIP_1) | instid1(VALU_DEP_2)
	v_pk_fma_f32 v[130:131], v[126:127], v[124:125], v[128:129] op_sel_hi:[1,0,1]
	v_pk_fma_f32 v[124:125], v[126:127], v[124:125], v[128:129] neg_lo:[0,0,1] neg_hi:[0,0,1]
	v_mov_b32_e32 v125, v131
	s_delay_alu instid0(VALU_DEP_1)
	v_pk_add_f32 v[120:121], v[120:121], v[124:125]
	s_and_not1_b32 exec_lo, exec_lo, s0
	s_cbranch_execnz .LBB121_42
; %bb.43:
	s_or_b32 exec_lo, exec_lo, s0
.LBB121_44:
	s_delay_alu instid0(SALU_CYCLE_1) | instskip(SKIP_4) | instid1(VALU_DEP_1)
	s_or_b32 exec_lo, exec_lo, s61
	v_mov_b32_e32 v122, 0
	ds_load_b64 v[122:123], v122 offset:424
	s_wait_dscnt 0x0
	v_pk_mul_f32 v[124:125], v[120:121], v[122:123] op_sel:[1,1] op_sel_hi:[0,1]
	v_pk_fma_f32 v[126:127], v[120:121], v[122:123], v[124:125] op_sel_hi:[1,0,1]
	v_pk_fma_f32 v[120:121], v[120:121], v[122:123], v[124:125] neg_lo:[0,0,1] neg_hi:[0,0,1]
	s_delay_alu instid0(VALU_DEP_2)
	v_mov_b32_e32 v121, v127
	scratch_store_b64 off, v[120:121], off offset:424
.LBB121_45:
	s_wait_xcnt 0x0
	s_or_b32 exec_lo, exec_lo, s60
	scratch_load_b64 v[120:121], off, off offset:416
	v_cmp_lt_u32_e64 s0, 52, v0
	s_wait_loadcnt 0x0
	ds_store_b64 v1, v[120:121]
	s_wait_storecnt_dscnt 0x0
	s_barrier_signal -1
	s_barrier_wait -1
	s_wait_xcnt 0x0
	s_and_saveexec_b32 s59, s0
	s_cbranch_execz .LBB121_55
; %bb.46:
	s_and_not1_b32 vcc_lo, exec_lo, s3
	s_cbranch_vccnz .LBB121_48
; %bb.47:
	scratch_load_b64 v[120:121], v59, off
	ds_load_b64 v[122:123], v1
	s_wait_loadcnt_dscnt 0x0
	v_pk_mul_f32 v[124:125], v[122:123], v[120:121] op_sel:[1,1] op_sel_hi:[0,1]
	s_delay_alu instid0(VALU_DEP_1) | instskip(SKIP_1) | instid1(VALU_DEP_2)
	v_pk_fma_f32 v[126:127], v[122:123], v[120:121], v[124:125] op_sel_hi:[1,0,1]
	v_pk_fma_f32 v[120:121], v[122:123], v[120:121], v[124:125] neg_lo:[0,0,1] neg_hi:[0,0,1]
	v_mov_b32_e32 v121, v127
	s_cbranch_execz .LBB121_49
	s_branch .LBB121_50
.LBB121_48:
                                        ; implicit-def: $vgpr120_vgpr121
.LBB121_49:
	ds_load_b64 v[120:121], v1
.LBB121_50:
	s_and_saveexec_b32 s60, s1
	s_cbranch_execz .LBB121_54
; %bb.51:
	v_subrev_nc_u32_e32 v122, 53, v0
	s_movk_i32 s61, 0x378
	s_mov_b32 s1, 0
.LBB121_52:                             ; =>This Inner Loop Header: Depth=1
	scratch_load_b64 v[124:125], off, s58
	v_dual_mov_b32 v123, s61 :: v_dual_add_nc_u32 v122, -1, v122
	s_add_co_i32 s61, s61, 8
	s_wait_xcnt 0x0
	s_add_co_i32 s58, s58, 8
	ds_load_b64 v[126:127], v123
	v_cmp_eq_u32_e32 vcc_lo, 0, v122
	s_or_b32 s1, vcc_lo, s1
	s_wait_loadcnt_dscnt 0x0
	v_pk_mul_f32 v[128:129], v[126:127], v[124:125] op_sel:[1,1] op_sel_hi:[0,1]
	s_delay_alu instid0(VALU_DEP_1) | instskip(SKIP_1) | instid1(VALU_DEP_2)
	v_pk_fma_f32 v[130:131], v[126:127], v[124:125], v[128:129] op_sel_hi:[1,0,1]
	v_pk_fma_f32 v[124:125], v[126:127], v[124:125], v[128:129] neg_lo:[0,0,1] neg_hi:[0,0,1]
	v_mov_b32_e32 v125, v131
	s_delay_alu instid0(VALU_DEP_1)
	v_pk_add_f32 v[120:121], v[120:121], v[124:125]
	s_and_not1_b32 exec_lo, exec_lo, s1
	s_cbranch_execnz .LBB121_52
; %bb.53:
	s_or_b32 exec_lo, exec_lo, s1
.LBB121_54:
	s_delay_alu instid0(SALU_CYCLE_1) | instskip(SKIP_4) | instid1(VALU_DEP_1)
	s_or_b32 exec_lo, exec_lo, s60
	v_mov_b32_e32 v122, 0
	ds_load_b64 v[122:123], v122 offset:416
	s_wait_dscnt 0x0
	v_pk_mul_f32 v[124:125], v[120:121], v[122:123] op_sel:[1,1] op_sel_hi:[0,1]
	v_pk_fma_f32 v[126:127], v[120:121], v[122:123], v[124:125] op_sel_hi:[1,0,1]
	v_pk_fma_f32 v[120:121], v[120:121], v[122:123], v[124:125] neg_lo:[0,0,1] neg_hi:[0,0,1]
	s_delay_alu instid0(VALU_DEP_2)
	v_mov_b32_e32 v121, v127
	scratch_store_b64 off, v[120:121], off offset:416
.LBB121_55:
	s_wait_xcnt 0x0
	s_or_b32 exec_lo, exec_lo, s59
	scratch_load_b64 v[120:121], off, off offset:408
	v_cmp_lt_u32_e64 s1, 51, v0
	s_wait_loadcnt 0x0
	ds_store_b64 v1, v[120:121]
	s_wait_storecnt_dscnt 0x0
	s_barrier_signal -1
	s_barrier_wait -1
	s_wait_xcnt 0x0
	s_and_saveexec_b32 s58, s1
	s_cbranch_execz .LBB121_65
; %bb.56:
	s_and_not1_b32 vcc_lo, exec_lo, s3
	s_cbranch_vccnz .LBB121_58
; %bb.57:
	scratch_load_b64 v[120:121], v59, off
	ds_load_b64 v[122:123], v1
	s_wait_loadcnt_dscnt 0x0
	v_pk_mul_f32 v[124:125], v[122:123], v[120:121] op_sel:[1,1] op_sel_hi:[0,1]
	s_delay_alu instid0(VALU_DEP_1) | instskip(SKIP_1) | instid1(VALU_DEP_2)
	v_pk_fma_f32 v[126:127], v[122:123], v[120:121], v[124:125] op_sel_hi:[1,0,1]
	v_pk_fma_f32 v[120:121], v[122:123], v[120:121], v[124:125] neg_lo:[0,0,1] neg_hi:[0,0,1]
	v_mov_b32_e32 v121, v127
	s_cbranch_execz .LBB121_59
	s_branch .LBB121_60
.LBB121_58:
                                        ; implicit-def: $vgpr120_vgpr121
.LBB121_59:
	ds_load_b64 v[120:121], v1
.LBB121_60:
	s_and_saveexec_b32 s59, s0
	s_cbranch_execz .LBB121_64
; %bb.61:
	v_subrev_nc_u32_e32 v122, 52, v0
	s_movk_i32 s60, 0x370
	s_mov_b32 s0, 0
.LBB121_62:                             ; =>This Inner Loop Header: Depth=1
	scratch_load_b64 v[124:125], off, s57
	v_dual_mov_b32 v123, s60 :: v_dual_add_nc_u32 v122, -1, v122
	s_add_co_i32 s60, s60, 8
	s_wait_xcnt 0x0
	s_add_co_i32 s57, s57, 8
	ds_load_b64 v[126:127], v123
	v_cmp_eq_u32_e32 vcc_lo, 0, v122
	s_or_b32 s0, vcc_lo, s0
	s_wait_loadcnt_dscnt 0x0
	v_pk_mul_f32 v[128:129], v[126:127], v[124:125] op_sel:[1,1] op_sel_hi:[0,1]
	s_delay_alu instid0(VALU_DEP_1) | instskip(SKIP_1) | instid1(VALU_DEP_2)
	v_pk_fma_f32 v[130:131], v[126:127], v[124:125], v[128:129] op_sel_hi:[1,0,1]
	v_pk_fma_f32 v[124:125], v[126:127], v[124:125], v[128:129] neg_lo:[0,0,1] neg_hi:[0,0,1]
	v_mov_b32_e32 v125, v131
	s_delay_alu instid0(VALU_DEP_1)
	v_pk_add_f32 v[120:121], v[120:121], v[124:125]
	s_and_not1_b32 exec_lo, exec_lo, s0
	s_cbranch_execnz .LBB121_62
; %bb.63:
	s_or_b32 exec_lo, exec_lo, s0
.LBB121_64:
	s_delay_alu instid0(SALU_CYCLE_1) | instskip(SKIP_4) | instid1(VALU_DEP_1)
	s_or_b32 exec_lo, exec_lo, s59
	v_mov_b32_e32 v122, 0
	ds_load_b64 v[122:123], v122 offset:408
	s_wait_dscnt 0x0
	v_pk_mul_f32 v[124:125], v[120:121], v[122:123] op_sel:[1,1] op_sel_hi:[0,1]
	v_pk_fma_f32 v[126:127], v[120:121], v[122:123], v[124:125] op_sel_hi:[1,0,1]
	v_pk_fma_f32 v[120:121], v[120:121], v[122:123], v[124:125] neg_lo:[0,0,1] neg_hi:[0,0,1]
	s_delay_alu instid0(VALU_DEP_2)
	v_mov_b32_e32 v121, v127
	scratch_store_b64 off, v[120:121], off offset:408
.LBB121_65:
	s_wait_xcnt 0x0
	s_or_b32 exec_lo, exec_lo, s58
	scratch_load_b64 v[120:121], off, off offset:400
	v_cmp_lt_u32_e64 s0, 50, v0
	s_wait_loadcnt 0x0
	ds_store_b64 v1, v[120:121]
	s_wait_storecnt_dscnt 0x0
	s_barrier_signal -1
	s_barrier_wait -1
	s_wait_xcnt 0x0
	s_and_saveexec_b32 s57, s0
	s_cbranch_execz .LBB121_75
; %bb.66:
	s_and_not1_b32 vcc_lo, exec_lo, s3
	s_cbranch_vccnz .LBB121_68
; %bb.67:
	scratch_load_b64 v[120:121], v59, off
	ds_load_b64 v[122:123], v1
	s_wait_loadcnt_dscnt 0x0
	v_pk_mul_f32 v[124:125], v[122:123], v[120:121] op_sel:[1,1] op_sel_hi:[0,1]
	s_delay_alu instid0(VALU_DEP_1) | instskip(SKIP_1) | instid1(VALU_DEP_2)
	v_pk_fma_f32 v[126:127], v[122:123], v[120:121], v[124:125] op_sel_hi:[1,0,1]
	v_pk_fma_f32 v[120:121], v[122:123], v[120:121], v[124:125] neg_lo:[0,0,1] neg_hi:[0,0,1]
	v_mov_b32_e32 v121, v127
	s_cbranch_execz .LBB121_69
	s_branch .LBB121_70
.LBB121_68:
                                        ; implicit-def: $vgpr120_vgpr121
.LBB121_69:
	ds_load_b64 v[120:121], v1
.LBB121_70:
	s_and_saveexec_b32 s58, s1
	s_cbranch_execz .LBB121_74
; %bb.71:
	v_subrev_nc_u32_e32 v122, 51, v0
	s_movk_i32 s59, 0x368
	s_mov_b32 s1, 0
.LBB121_72:                             ; =>This Inner Loop Header: Depth=1
	scratch_load_b64 v[124:125], off, s56
	v_dual_mov_b32 v123, s59 :: v_dual_add_nc_u32 v122, -1, v122
	s_add_co_i32 s59, s59, 8
	s_wait_xcnt 0x0
	s_add_co_i32 s56, s56, 8
	ds_load_b64 v[126:127], v123
	v_cmp_eq_u32_e32 vcc_lo, 0, v122
	s_or_b32 s1, vcc_lo, s1
	s_wait_loadcnt_dscnt 0x0
	v_pk_mul_f32 v[128:129], v[126:127], v[124:125] op_sel:[1,1] op_sel_hi:[0,1]
	s_delay_alu instid0(VALU_DEP_1) | instskip(SKIP_1) | instid1(VALU_DEP_2)
	v_pk_fma_f32 v[130:131], v[126:127], v[124:125], v[128:129] op_sel_hi:[1,0,1]
	v_pk_fma_f32 v[124:125], v[126:127], v[124:125], v[128:129] neg_lo:[0,0,1] neg_hi:[0,0,1]
	v_mov_b32_e32 v125, v131
	s_delay_alu instid0(VALU_DEP_1)
	v_pk_add_f32 v[120:121], v[120:121], v[124:125]
	s_and_not1_b32 exec_lo, exec_lo, s1
	s_cbranch_execnz .LBB121_72
; %bb.73:
	s_or_b32 exec_lo, exec_lo, s1
.LBB121_74:
	s_delay_alu instid0(SALU_CYCLE_1) | instskip(SKIP_4) | instid1(VALU_DEP_1)
	s_or_b32 exec_lo, exec_lo, s58
	v_mov_b32_e32 v122, 0
	ds_load_b64 v[122:123], v122 offset:400
	s_wait_dscnt 0x0
	v_pk_mul_f32 v[124:125], v[120:121], v[122:123] op_sel:[1,1] op_sel_hi:[0,1]
	v_pk_fma_f32 v[126:127], v[120:121], v[122:123], v[124:125] op_sel_hi:[1,0,1]
	v_pk_fma_f32 v[120:121], v[120:121], v[122:123], v[124:125] neg_lo:[0,0,1] neg_hi:[0,0,1]
	s_delay_alu instid0(VALU_DEP_2)
	v_mov_b32_e32 v121, v127
	scratch_store_b64 off, v[120:121], off offset:400
.LBB121_75:
	s_wait_xcnt 0x0
	s_or_b32 exec_lo, exec_lo, s57
	scratch_load_b64 v[120:121], off, off offset:392
	v_cmp_lt_u32_e64 s1, 49, v0
	s_wait_loadcnt 0x0
	ds_store_b64 v1, v[120:121]
	s_wait_storecnt_dscnt 0x0
	s_barrier_signal -1
	s_barrier_wait -1
	s_wait_xcnt 0x0
	s_and_saveexec_b32 s56, s1
	s_cbranch_execz .LBB121_85
; %bb.76:
	s_and_not1_b32 vcc_lo, exec_lo, s3
	s_cbranch_vccnz .LBB121_78
; %bb.77:
	scratch_load_b64 v[120:121], v59, off
	ds_load_b64 v[122:123], v1
	s_wait_loadcnt_dscnt 0x0
	v_pk_mul_f32 v[124:125], v[122:123], v[120:121] op_sel:[1,1] op_sel_hi:[0,1]
	s_delay_alu instid0(VALU_DEP_1) | instskip(SKIP_1) | instid1(VALU_DEP_2)
	v_pk_fma_f32 v[126:127], v[122:123], v[120:121], v[124:125] op_sel_hi:[1,0,1]
	v_pk_fma_f32 v[120:121], v[122:123], v[120:121], v[124:125] neg_lo:[0,0,1] neg_hi:[0,0,1]
	v_mov_b32_e32 v121, v127
	s_cbranch_execz .LBB121_79
	s_branch .LBB121_80
.LBB121_78:
                                        ; implicit-def: $vgpr120_vgpr121
.LBB121_79:
	ds_load_b64 v[120:121], v1
.LBB121_80:
	s_and_saveexec_b32 s57, s0
	s_cbranch_execz .LBB121_84
; %bb.81:
	v_subrev_nc_u32_e32 v122, 50, v0
	s_movk_i32 s58, 0x360
	s_mov_b32 s0, 0
.LBB121_82:                             ; =>This Inner Loop Header: Depth=1
	scratch_load_b64 v[124:125], off, s55
	v_dual_mov_b32 v123, s58 :: v_dual_add_nc_u32 v122, -1, v122
	s_add_co_i32 s58, s58, 8
	s_wait_xcnt 0x0
	s_add_co_i32 s55, s55, 8
	ds_load_b64 v[126:127], v123
	v_cmp_eq_u32_e32 vcc_lo, 0, v122
	s_or_b32 s0, vcc_lo, s0
	s_wait_loadcnt_dscnt 0x0
	v_pk_mul_f32 v[128:129], v[126:127], v[124:125] op_sel:[1,1] op_sel_hi:[0,1]
	s_delay_alu instid0(VALU_DEP_1) | instskip(SKIP_1) | instid1(VALU_DEP_2)
	v_pk_fma_f32 v[130:131], v[126:127], v[124:125], v[128:129] op_sel_hi:[1,0,1]
	v_pk_fma_f32 v[124:125], v[126:127], v[124:125], v[128:129] neg_lo:[0,0,1] neg_hi:[0,0,1]
	v_mov_b32_e32 v125, v131
	s_delay_alu instid0(VALU_DEP_1)
	v_pk_add_f32 v[120:121], v[120:121], v[124:125]
	s_and_not1_b32 exec_lo, exec_lo, s0
	s_cbranch_execnz .LBB121_82
; %bb.83:
	s_or_b32 exec_lo, exec_lo, s0
.LBB121_84:
	s_delay_alu instid0(SALU_CYCLE_1) | instskip(SKIP_4) | instid1(VALU_DEP_1)
	s_or_b32 exec_lo, exec_lo, s57
	v_mov_b32_e32 v122, 0
	ds_load_b64 v[122:123], v122 offset:392
	s_wait_dscnt 0x0
	v_pk_mul_f32 v[124:125], v[120:121], v[122:123] op_sel:[1,1] op_sel_hi:[0,1]
	v_pk_fma_f32 v[126:127], v[120:121], v[122:123], v[124:125] op_sel_hi:[1,0,1]
	v_pk_fma_f32 v[120:121], v[120:121], v[122:123], v[124:125] neg_lo:[0,0,1] neg_hi:[0,0,1]
	s_delay_alu instid0(VALU_DEP_2)
	v_mov_b32_e32 v121, v127
	scratch_store_b64 off, v[120:121], off offset:392
.LBB121_85:
	s_wait_xcnt 0x0
	s_or_b32 exec_lo, exec_lo, s56
	scratch_load_b64 v[120:121], off, off offset:384
	v_cmp_lt_u32_e64 s0, 48, v0
	s_wait_loadcnt 0x0
	ds_store_b64 v1, v[120:121]
	s_wait_storecnt_dscnt 0x0
	s_barrier_signal -1
	s_barrier_wait -1
	s_wait_xcnt 0x0
	s_and_saveexec_b32 s55, s0
	s_cbranch_execz .LBB121_95
; %bb.86:
	s_and_not1_b32 vcc_lo, exec_lo, s3
	s_cbranch_vccnz .LBB121_88
; %bb.87:
	scratch_load_b64 v[120:121], v59, off
	ds_load_b64 v[122:123], v1
	s_wait_loadcnt_dscnt 0x0
	v_pk_mul_f32 v[124:125], v[122:123], v[120:121] op_sel:[1,1] op_sel_hi:[0,1]
	s_delay_alu instid0(VALU_DEP_1) | instskip(SKIP_1) | instid1(VALU_DEP_2)
	v_pk_fma_f32 v[126:127], v[122:123], v[120:121], v[124:125] op_sel_hi:[1,0,1]
	v_pk_fma_f32 v[120:121], v[122:123], v[120:121], v[124:125] neg_lo:[0,0,1] neg_hi:[0,0,1]
	v_mov_b32_e32 v121, v127
	s_cbranch_execz .LBB121_89
	s_branch .LBB121_90
.LBB121_88:
                                        ; implicit-def: $vgpr120_vgpr121
.LBB121_89:
	ds_load_b64 v[120:121], v1
.LBB121_90:
	s_and_saveexec_b32 s56, s1
	s_cbranch_execz .LBB121_94
; %bb.91:
	v_subrev_nc_u32_e32 v122, 49, v0
	s_movk_i32 s57, 0x358
	s_mov_b32 s1, 0
.LBB121_92:                             ; =>This Inner Loop Header: Depth=1
	scratch_load_b64 v[124:125], off, s54
	v_dual_mov_b32 v123, s57 :: v_dual_add_nc_u32 v122, -1, v122
	s_add_co_i32 s57, s57, 8
	s_wait_xcnt 0x0
	s_add_co_i32 s54, s54, 8
	ds_load_b64 v[126:127], v123
	v_cmp_eq_u32_e32 vcc_lo, 0, v122
	s_or_b32 s1, vcc_lo, s1
	s_wait_loadcnt_dscnt 0x0
	v_pk_mul_f32 v[128:129], v[126:127], v[124:125] op_sel:[1,1] op_sel_hi:[0,1]
	s_delay_alu instid0(VALU_DEP_1) | instskip(SKIP_1) | instid1(VALU_DEP_2)
	v_pk_fma_f32 v[130:131], v[126:127], v[124:125], v[128:129] op_sel_hi:[1,0,1]
	v_pk_fma_f32 v[124:125], v[126:127], v[124:125], v[128:129] neg_lo:[0,0,1] neg_hi:[0,0,1]
	v_mov_b32_e32 v125, v131
	s_delay_alu instid0(VALU_DEP_1)
	v_pk_add_f32 v[120:121], v[120:121], v[124:125]
	s_and_not1_b32 exec_lo, exec_lo, s1
	s_cbranch_execnz .LBB121_92
; %bb.93:
	s_or_b32 exec_lo, exec_lo, s1
.LBB121_94:
	s_delay_alu instid0(SALU_CYCLE_1) | instskip(SKIP_4) | instid1(VALU_DEP_1)
	s_or_b32 exec_lo, exec_lo, s56
	v_mov_b32_e32 v122, 0
	ds_load_b64 v[122:123], v122 offset:384
	s_wait_dscnt 0x0
	v_pk_mul_f32 v[124:125], v[120:121], v[122:123] op_sel:[1,1] op_sel_hi:[0,1]
	v_pk_fma_f32 v[126:127], v[120:121], v[122:123], v[124:125] op_sel_hi:[1,0,1]
	v_pk_fma_f32 v[120:121], v[120:121], v[122:123], v[124:125] neg_lo:[0,0,1] neg_hi:[0,0,1]
	s_delay_alu instid0(VALU_DEP_2)
	v_mov_b32_e32 v121, v127
	scratch_store_b64 off, v[120:121], off offset:384
.LBB121_95:
	s_wait_xcnt 0x0
	s_or_b32 exec_lo, exec_lo, s55
	scratch_load_b64 v[120:121], off, off offset:376
	v_cmp_lt_u32_e64 s1, 47, v0
	s_wait_loadcnt 0x0
	ds_store_b64 v1, v[120:121]
	s_wait_storecnt_dscnt 0x0
	s_barrier_signal -1
	s_barrier_wait -1
	s_wait_xcnt 0x0
	s_and_saveexec_b32 s54, s1
	s_cbranch_execz .LBB121_105
; %bb.96:
	s_and_not1_b32 vcc_lo, exec_lo, s3
	s_cbranch_vccnz .LBB121_98
; %bb.97:
	scratch_load_b64 v[120:121], v59, off
	ds_load_b64 v[122:123], v1
	s_wait_loadcnt_dscnt 0x0
	v_pk_mul_f32 v[124:125], v[122:123], v[120:121] op_sel:[1,1] op_sel_hi:[0,1]
	s_delay_alu instid0(VALU_DEP_1) | instskip(SKIP_1) | instid1(VALU_DEP_2)
	v_pk_fma_f32 v[126:127], v[122:123], v[120:121], v[124:125] op_sel_hi:[1,0,1]
	v_pk_fma_f32 v[120:121], v[122:123], v[120:121], v[124:125] neg_lo:[0,0,1] neg_hi:[0,0,1]
	v_mov_b32_e32 v121, v127
	s_cbranch_execz .LBB121_99
	s_branch .LBB121_100
.LBB121_98:
                                        ; implicit-def: $vgpr120_vgpr121
.LBB121_99:
	ds_load_b64 v[120:121], v1
.LBB121_100:
	s_and_saveexec_b32 s55, s0
	s_cbranch_execz .LBB121_104
; %bb.101:
	v_subrev_nc_u32_e32 v122, 48, v0
	s_movk_i32 s56, 0x350
	s_mov_b32 s0, 0
.LBB121_102:                            ; =>This Inner Loop Header: Depth=1
	scratch_load_b64 v[124:125], off, s53
	v_dual_mov_b32 v123, s56 :: v_dual_add_nc_u32 v122, -1, v122
	s_add_co_i32 s56, s56, 8
	s_wait_xcnt 0x0
	s_add_co_i32 s53, s53, 8
	ds_load_b64 v[126:127], v123
	v_cmp_eq_u32_e32 vcc_lo, 0, v122
	s_or_b32 s0, vcc_lo, s0
	s_wait_loadcnt_dscnt 0x0
	v_pk_mul_f32 v[128:129], v[126:127], v[124:125] op_sel:[1,1] op_sel_hi:[0,1]
	s_delay_alu instid0(VALU_DEP_1) | instskip(SKIP_1) | instid1(VALU_DEP_2)
	v_pk_fma_f32 v[130:131], v[126:127], v[124:125], v[128:129] op_sel_hi:[1,0,1]
	v_pk_fma_f32 v[124:125], v[126:127], v[124:125], v[128:129] neg_lo:[0,0,1] neg_hi:[0,0,1]
	v_mov_b32_e32 v125, v131
	s_delay_alu instid0(VALU_DEP_1)
	v_pk_add_f32 v[120:121], v[120:121], v[124:125]
	s_and_not1_b32 exec_lo, exec_lo, s0
	s_cbranch_execnz .LBB121_102
; %bb.103:
	s_or_b32 exec_lo, exec_lo, s0
.LBB121_104:
	s_delay_alu instid0(SALU_CYCLE_1) | instskip(SKIP_4) | instid1(VALU_DEP_1)
	s_or_b32 exec_lo, exec_lo, s55
	v_mov_b32_e32 v122, 0
	ds_load_b64 v[122:123], v122 offset:376
	s_wait_dscnt 0x0
	v_pk_mul_f32 v[124:125], v[120:121], v[122:123] op_sel:[1,1] op_sel_hi:[0,1]
	v_pk_fma_f32 v[126:127], v[120:121], v[122:123], v[124:125] op_sel_hi:[1,0,1]
	v_pk_fma_f32 v[120:121], v[120:121], v[122:123], v[124:125] neg_lo:[0,0,1] neg_hi:[0,0,1]
	s_delay_alu instid0(VALU_DEP_2)
	v_mov_b32_e32 v121, v127
	scratch_store_b64 off, v[120:121], off offset:376
.LBB121_105:
	s_wait_xcnt 0x0
	s_or_b32 exec_lo, exec_lo, s54
	scratch_load_b64 v[120:121], off, off offset:368
	v_cmp_lt_u32_e64 s0, 46, v0
	s_wait_loadcnt 0x0
	ds_store_b64 v1, v[120:121]
	s_wait_storecnt_dscnt 0x0
	s_barrier_signal -1
	s_barrier_wait -1
	s_wait_xcnt 0x0
	s_and_saveexec_b32 s53, s0
	s_cbranch_execz .LBB121_115
; %bb.106:
	s_and_not1_b32 vcc_lo, exec_lo, s3
	s_cbranch_vccnz .LBB121_108
; %bb.107:
	scratch_load_b64 v[120:121], v59, off
	ds_load_b64 v[122:123], v1
	s_wait_loadcnt_dscnt 0x0
	v_pk_mul_f32 v[124:125], v[122:123], v[120:121] op_sel:[1,1] op_sel_hi:[0,1]
	s_delay_alu instid0(VALU_DEP_1) | instskip(SKIP_1) | instid1(VALU_DEP_2)
	v_pk_fma_f32 v[126:127], v[122:123], v[120:121], v[124:125] op_sel_hi:[1,0,1]
	v_pk_fma_f32 v[120:121], v[122:123], v[120:121], v[124:125] neg_lo:[0,0,1] neg_hi:[0,0,1]
	v_mov_b32_e32 v121, v127
	s_cbranch_execz .LBB121_109
	s_branch .LBB121_110
.LBB121_108:
                                        ; implicit-def: $vgpr120_vgpr121
.LBB121_109:
	ds_load_b64 v[120:121], v1
.LBB121_110:
	s_and_saveexec_b32 s54, s1
	s_cbranch_execz .LBB121_114
; %bb.111:
	v_subrev_nc_u32_e32 v122, 47, v0
	s_movk_i32 s55, 0x348
	s_mov_b32 s1, 0
.LBB121_112:                            ; =>This Inner Loop Header: Depth=1
	scratch_load_b64 v[124:125], off, s52
	v_dual_mov_b32 v123, s55 :: v_dual_add_nc_u32 v122, -1, v122
	s_add_co_i32 s55, s55, 8
	s_wait_xcnt 0x0
	s_add_co_i32 s52, s52, 8
	ds_load_b64 v[126:127], v123
	v_cmp_eq_u32_e32 vcc_lo, 0, v122
	s_or_b32 s1, vcc_lo, s1
	s_wait_loadcnt_dscnt 0x0
	v_pk_mul_f32 v[128:129], v[126:127], v[124:125] op_sel:[1,1] op_sel_hi:[0,1]
	s_delay_alu instid0(VALU_DEP_1) | instskip(SKIP_1) | instid1(VALU_DEP_2)
	v_pk_fma_f32 v[130:131], v[126:127], v[124:125], v[128:129] op_sel_hi:[1,0,1]
	v_pk_fma_f32 v[124:125], v[126:127], v[124:125], v[128:129] neg_lo:[0,0,1] neg_hi:[0,0,1]
	v_mov_b32_e32 v125, v131
	s_delay_alu instid0(VALU_DEP_1)
	v_pk_add_f32 v[120:121], v[120:121], v[124:125]
	s_and_not1_b32 exec_lo, exec_lo, s1
	s_cbranch_execnz .LBB121_112
; %bb.113:
	s_or_b32 exec_lo, exec_lo, s1
.LBB121_114:
	s_delay_alu instid0(SALU_CYCLE_1) | instskip(SKIP_4) | instid1(VALU_DEP_1)
	s_or_b32 exec_lo, exec_lo, s54
	v_mov_b32_e32 v122, 0
	ds_load_b64 v[122:123], v122 offset:368
	s_wait_dscnt 0x0
	v_pk_mul_f32 v[124:125], v[120:121], v[122:123] op_sel:[1,1] op_sel_hi:[0,1]
	v_pk_fma_f32 v[126:127], v[120:121], v[122:123], v[124:125] op_sel_hi:[1,0,1]
	v_pk_fma_f32 v[120:121], v[120:121], v[122:123], v[124:125] neg_lo:[0,0,1] neg_hi:[0,0,1]
	s_delay_alu instid0(VALU_DEP_2)
	v_mov_b32_e32 v121, v127
	scratch_store_b64 off, v[120:121], off offset:368
.LBB121_115:
	s_wait_xcnt 0x0
	s_or_b32 exec_lo, exec_lo, s53
	scratch_load_b64 v[120:121], off, off offset:360
	v_cmp_lt_u32_e64 s1, 45, v0
	s_wait_loadcnt 0x0
	ds_store_b64 v1, v[120:121]
	s_wait_storecnt_dscnt 0x0
	s_barrier_signal -1
	s_barrier_wait -1
	s_wait_xcnt 0x0
	s_and_saveexec_b32 s52, s1
	s_cbranch_execz .LBB121_125
; %bb.116:
	s_and_not1_b32 vcc_lo, exec_lo, s3
	s_cbranch_vccnz .LBB121_118
; %bb.117:
	scratch_load_b64 v[120:121], v59, off
	ds_load_b64 v[122:123], v1
	s_wait_loadcnt_dscnt 0x0
	v_pk_mul_f32 v[124:125], v[122:123], v[120:121] op_sel:[1,1] op_sel_hi:[0,1]
	s_delay_alu instid0(VALU_DEP_1) | instskip(SKIP_1) | instid1(VALU_DEP_2)
	v_pk_fma_f32 v[126:127], v[122:123], v[120:121], v[124:125] op_sel_hi:[1,0,1]
	v_pk_fma_f32 v[120:121], v[122:123], v[120:121], v[124:125] neg_lo:[0,0,1] neg_hi:[0,0,1]
	v_mov_b32_e32 v121, v127
	s_cbranch_execz .LBB121_119
	s_branch .LBB121_120
.LBB121_118:
                                        ; implicit-def: $vgpr120_vgpr121
.LBB121_119:
	ds_load_b64 v[120:121], v1
.LBB121_120:
	s_and_saveexec_b32 s53, s0
	s_cbranch_execz .LBB121_124
; %bb.121:
	v_subrev_nc_u32_e32 v122, 46, v0
	s_movk_i32 s54, 0x340
	s_mov_b32 s0, 0
.LBB121_122:                            ; =>This Inner Loop Header: Depth=1
	scratch_load_b64 v[124:125], off, s51
	v_dual_mov_b32 v123, s54 :: v_dual_add_nc_u32 v122, -1, v122
	s_add_co_i32 s54, s54, 8
	s_wait_xcnt 0x0
	s_add_co_i32 s51, s51, 8
	ds_load_b64 v[126:127], v123
	v_cmp_eq_u32_e32 vcc_lo, 0, v122
	s_or_b32 s0, vcc_lo, s0
	s_wait_loadcnt_dscnt 0x0
	v_pk_mul_f32 v[128:129], v[126:127], v[124:125] op_sel:[1,1] op_sel_hi:[0,1]
	s_delay_alu instid0(VALU_DEP_1) | instskip(SKIP_1) | instid1(VALU_DEP_2)
	v_pk_fma_f32 v[130:131], v[126:127], v[124:125], v[128:129] op_sel_hi:[1,0,1]
	v_pk_fma_f32 v[124:125], v[126:127], v[124:125], v[128:129] neg_lo:[0,0,1] neg_hi:[0,0,1]
	v_mov_b32_e32 v125, v131
	s_delay_alu instid0(VALU_DEP_1)
	v_pk_add_f32 v[120:121], v[120:121], v[124:125]
	s_and_not1_b32 exec_lo, exec_lo, s0
	s_cbranch_execnz .LBB121_122
; %bb.123:
	s_or_b32 exec_lo, exec_lo, s0
.LBB121_124:
	s_delay_alu instid0(SALU_CYCLE_1) | instskip(SKIP_4) | instid1(VALU_DEP_1)
	s_or_b32 exec_lo, exec_lo, s53
	v_mov_b32_e32 v122, 0
	ds_load_b64 v[122:123], v122 offset:360
	s_wait_dscnt 0x0
	v_pk_mul_f32 v[124:125], v[120:121], v[122:123] op_sel:[1,1] op_sel_hi:[0,1]
	v_pk_fma_f32 v[126:127], v[120:121], v[122:123], v[124:125] op_sel_hi:[1,0,1]
	v_pk_fma_f32 v[120:121], v[120:121], v[122:123], v[124:125] neg_lo:[0,0,1] neg_hi:[0,0,1]
	s_delay_alu instid0(VALU_DEP_2)
	v_mov_b32_e32 v121, v127
	scratch_store_b64 off, v[120:121], off offset:360
.LBB121_125:
	s_wait_xcnt 0x0
	s_or_b32 exec_lo, exec_lo, s52
	scratch_load_b64 v[120:121], off, off offset:352
	v_cmp_lt_u32_e64 s0, 44, v0
	s_wait_loadcnt 0x0
	ds_store_b64 v1, v[120:121]
	s_wait_storecnt_dscnt 0x0
	s_barrier_signal -1
	s_barrier_wait -1
	s_wait_xcnt 0x0
	s_and_saveexec_b32 s51, s0
	s_cbranch_execz .LBB121_135
; %bb.126:
	s_and_not1_b32 vcc_lo, exec_lo, s3
	s_cbranch_vccnz .LBB121_128
; %bb.127:
	scratch_load_b64 v[120:121], v59, off
	ds_load_b64 v[122:123], v1
	s_wait_loadcnt_dscnt 0x0
	v_pk_mul_f32 v[124:125], v[122:123], v[120:121] op_sel:[1,1] op_sel_hi:[0,1]
	s_delay_alu instid0(VALU_DEP_1) | instskip(SKIP_1) | instid1(VALU_DEP_2)
	v_pk_fma_f32 v[126:127], v[122:123], v[120:121], v[124:125] op_sel_hi:[1,0,1]
	v_pk_fma_f32 v[120:121], v[122:123], v[120:121], v[124:125] neg_lo:[0,0,1] neg_hi:[0,0,1]
	v_mov_b32_e32 v121, v127
	s_cbranch_execz .LBB121_129
	s_branch .LBB121_130
.LBB121_128:
                                        ; implicit-def: $vgpr120_vgpr121
.LBB121_129:
	ds_load_b64 v[120:121], v1
.LBB121_130:
	s_and_saveexec_b32 s52, s1
	s_cbranch_execz .LBB121_134
; %bb.131:
	v_subrev_nc_u32_e32 v122, 45, v0
	s_movk_i32 s53, 0x338
	s_mov_b32 s1, 0
.LBB121_132:                            ; =>This Inner Loop Header: Depth=1
	scratch_load_b64 v[124:125], off, s50
	v_dual_mov_b32 v123, s53 :: v_dual_add_nc_u32 v122, -1, v122
	s_add_co_i32 s53, s53, 8
	s_wait_xcnt 0x0
	s_add_co_i32 s50, s50, 8
	ds_load_b64 v[126:127], v123
	v_cmp_eq_u32_e32 vcc_lo, 0, v122
	s_or_b32 s1, vcc_lo, s1
	s_wait_loadcnt_dscnt 0x0
	v_pk_mul_f32 v[128:129], v[126:127], v[124:125] op_sel:[1,1] op_sel_hi:[0,1]
	s_delay_alu instid0(VALU_DEP_1) | instskip(SKIP_1) | instid1(VALU_DEP_2)
	v_pk_fma_f32 v[130:131], v[126:127], v[124:125], v[128:129] op_sel_hi:[1,0,1]
	v_pk_fma_f32 v[124:125], v[126:127], v[124:125], v[128:129] neg_lo:[0,0,1] neg_hi:[0,0,1]
	v_mov_b32_e32 v125, v131
	s_delay_alu instid0(VALU_DEP_1)
	v_pk_add_f32 v[120:121], v[120:121], v[124:125]
	s_and_not1_b32 exec_lo, exec_lo, s1
	s_cbranch_execnz .LBB121_132
; %bb.133:
	s_or_b32 exec_lo, exec_lo, s1
.LBB121_134:
	s_delay_alu instid0(SALU_CYCLE_1) | instskip(SKIP_4) | instid1(VALU_DEP_1)
	s_or_b32 exec_lo, exec_lo, s52
	v_mov_b32_e32 v122, 0
	ds_load_b64 v[122:123], v122 offset:352
	s_wait_dscnt 0x0
	v_pk_mul_f32 v[124:125], v[120:121], v[122:123] op_sel:[1,1] op_sel_hi:[0,1]
	v_pk_fma_f32 v[126:127], v[120:121], v[122:123], v[124:125] op_sel_hi:[1,0,1]
	v_pk_fma_f32 v[120:121], v[120:121], v[122:123], v[124:125] neg_lo:[0,0,1] neg_hi:[0,0,1]
	s_delay_alu instid0(VALU_DEP_2)
	v_mov_b32_e32 v121, v127
	scratch_store_b64 off, v[120:121], off offset:352
.LBB121_135:
	s_wait_xcnt 0x0
	s_or_b32 exec_lo, exec_lo, s51
	scratch_load_b64 v[120:121], off, off offset:344
	v_cmp_lt_u32_e64 s1, 43, v0
	s_wait_loadcnt 0x0
	ds_store_b64 v1, v[120:121]
	s_wait_storecnt_dscnt 0x0
	s_barrier_signal -1
	s_barrier_wait -1
	s_wait_xcnt 0x0
	s_and_saveexec_b32 s50, s1
	s_cbranch_execz .LBB121_145
; %bb.136:
	s_and_not1_b32 vcc_lo, exec_lo, s3
	s_cbranch_vccnz .LBB121_138
; %bb.137:
	scratch_load_b64 v[120:121], v59, off
	ds_load_b64 v[122:123], v1
	s_wait_loadcnt_dscnt 0x0
	v_pk_mul_f32 v[124:125], v[122:123], v[120:121] op_sel:[1,1] op_sel_hi:[0,1]
	s_delay_alu instid0(VALU_DEP_1) | instskip(SKIP_1) | instid1(VALU_DEP_2)
	v_pk_fma_f32 v[126:127], v[122:123], v[120:121], v[124:125] op_sel_hi:[1,0,1]
	v_pk_fma_f32 v[120:121], v[122:123], v[120:121], v[124:125] neg_lo:[0,0,1] neg_hi:[0,0,1]
	v_mov_b32_e32 v121, v127
	s_cbranch_execz .LBB121_139
	s_branch .LBB121_140
.LBB121_138:
                                        ; implicit-def: $vgpr120_vgpr121
.LBB121_139:
	ds_load_b64 v[120:121], v1
.LBB121_140:
	s_and_saveexec_b32 s51, s0
	s_cbranch_execz .LBB121_144
; %bb.141:
	v_subrev_nc_u32_e32 v122, 44, v0
	s_movk_i32 s52, 0x330
	s_mov_b32 s0, 0
.LBB121_142:                            ; =>This Inner Loop Header: Depth=1
	scratch_load_b64 v[124:125], off, s49
	v_dual_mov_b32 v123, s52 :: v_dual_add_nc_u32 v122, -1, v122
	s_add_co_i32 s52, s52, 8
	s_wait_xcnt 0x0
	s_add_co_i32 s49, s49, 8
	ds_load_b64 v[126:127], v123
	v_cmp_eq_u32_e32 vcc_lo, 0, v122
	s_or_b32 s0, vcc_lo, s0
	s_wait_loadcnt_dscnt 0x0
	v_pk_mul_f32 v[128:129], v[126:127], v[124:125] op_sel:[1,1] op_sel_hi:[0,1]
	s_delay_alu instid0(VALU_DEP_1) | instskip(SKIP_1) | instid1(VALU_DEP_2)
	v_pk_fma_f32 v[130:131], v[126:127], v[124:125], v[128:129] op_sel_hi:[1,0,1]
	v_pk_fma_f32 v[124:125], v[126:127], v[124:125], v[128:129] neg_lo:[0,0,1] neg_hi:[0,0,1]
	v_mov_b32_e32 v125, v131
	s_delay_alu instid0(VALU_DEP_1)
	v_pk_add_f32 v[120:121], v[120:121], v[124:125]
	s_and_not1_b32 exec_lo, exec_lo, s0
	s_cbranch_execnz .LBB121_142
; %bb.143:
	s_or_b32 exec_lo, exec_lo, s0
.LBB121_144:
	s_delay_alu instid0(SALU_CYCLE_1) | instskip(SKIP_4) | instid1(VALU_DEP_1)
	s_or_b32 exec_lo, exec_lo, s51
	v_mov_b32_e32 v122, 0
	ds_load_b64 v[122:123], v122 offset:344
	s_wait_dscnt 0x0
	v_pk_mul_f32 v[124:125], v[120:121], v[122:123] op_sel:[1,1] op_sel_hi:[0,1]
	v_pk_fma_f32 v[126:127], v[120:121], v[122:123], v[124:125] op_sel_hi:[1,0,1]
	v_pk_fma_f32 v[120:121], v[120:121], v[122:123], v[124:125] neg_lo:[0,0,1] neg_hi:[0,0,1]
	s_delay_alu instid0(VALU_DEP_2)
	v_mov_b32_e32 v121, v127
	scratch_store_b64 off, v[120:121], off offset:344
.LBB121_145:
	s_wait_xcnt 0x0
	s_or_b32 exec_lo, exec_lo, s50
	scratch_load_b64 v[120:121], off, off offset:336
	v_cmp_lt_u32_e64 s0, 42, v0
	s_wait_loadcnt 0x0
	ds_store_b64 v1, v[120:121]
	s_wait_storecnt_dscnt 0x0
	s_barrier_signal -1
	s_barrier_wait -1
	s_wait_xcnt 0x0
	s_and_saveexec_b32 s49, s0
	s_cbranch_execz .LBB121_155
; %bb.146:
	s_and_not1_b32 vcc_lo, exec_lo, s3
	s_cbranch_vccnz .LBB121_148
; %bb.147:
	scratch_load_b64 v[120:121], v59, off
	ds_load_b64 v[122:123], v1
	s_wait_loadcnt_dscnt 0x0
	v_pk_mul_f32 v[124:125], v[122:123], v[120:121] op_sel:[1,1] op_sel_hi:[0,1]
	s_delay_alu instid0(VALU_DEP_1) | instskip(SKIP_1) | instid1(VALU_DEP_2)
	v_pk_fma_f32 v[126:127], v[122:123], v[120:121], v[124:125] op_sel_hi:[1,0,1]
	v_pk_fma_f32 v[120:121], v[122:123], v[120:121], v[124:125] neg_lo:[0,0,1] neg_hi:[0,0,1]
	v_mov_b32_e32 v121, v127
	s_cbranch_execz .LBB121_149
	s_branch .LBB121_150
.LBB121_148:
                                        ; implicit-def: $vgpr120_vgpr121
.LBB121_149:
	ds_load_b64 v[120:121], v1
.LBB121_150:
	s_and_saveexec_b32 s50, s1
	s_cbranch_execz .LBB121_154
; %bb.151:
	v_subrev_nc_u32_e32 v122, 43, v0
	s_movk_i32 s51, 0x328
	s_mov_b32 s1, 0
.LBB121_152:                            ; =>This Inner Loop Header: Depth=1
	scratch_load_b64 v[124:125], off, s48
	v_dual_mov_b32 v123, s51 :: v_dual_add_nc_u32 v122, -1, v122
	s_add_co_i32 s51, s51, 8
	s_wait_xcnt 0x0
	s_add_co_i32 s48, s48, 8
	ds_load_b64 v[126:127], v123
	v_cmp_eq_u32_e32 vcc_lo, 0, v122
	s_or_b32 s1, vcc_lo, s1
	s_wait_loadcnt_dscnt 0x0
	v_pk_mul_f32 v[128:129], v[126:127], v[124:125] op_sel:[1,1] op_sel_hi:[0,1]
	s_delay_alu instid0(VALU_DEP_1) | instskip(SKIP_1) | instid1(VALU_DEP_2)
	v_pk_fma_f32 v[130:131], v[126:127], v[124:125], v[128:129] op_sel_hi:[1,0,1]
	v_pk_fma_f32 v[124:125], v[126:127], v[124:125], v[128:129] neg_lo:[0,0,1] neg_hi:[0,0,1]
	v_mov_b32_e32 v125, v131
	s_delay_alu instid0(VALU_DEP_1)
	v_pk_add_f32 v[120:121], v[120:121], v[124:125]
	s_and_not1_b32 exec_lo, exec_lo, s1
	s_cbranch_execnz .LBB121_152
; %bb.153:
	s_or_b32 exec_lo, exec_lo, s1
.LBB121_154:
	s_delay_alu instid0(SALU_CYCLE_1) | instskip(SKIP_4) | instid1(VALU_DEP_1)
	s_or_b32 exec_lo, exec_lo, s50
	v_mov_b32_e32 v122, 0
	ds_load_b64 v[122:123], v122 offset:336
	s_wait_dscnt 0x0
	v_pk_mul_f32 v[124:125], v[120:121], v[122:123] op_sel:[1,1] op_sel_hi:[0,1]
	v_pk_fma_f32 v[126:127], v[120:121], v[122:123], v[124:125] op_sel_hi:[1,0,1]
	v_pk_fma_f32 v[120:121], v[120:121], v[122:123], v[124:125] neg_lo:[0,0,1] neg_hi:[0,0,1]
	s_delay_alu instid0(VALU_DEP_2)
	v_mov_b32_e32 v121, v127
	scratch_store_b64 off, v[120:121], off offset:336
.LBB121_155:
	s_wait_xcnt 0x0
	s_or_b32 exec_lo, exec_lo, s49
	scratch_load_b64 v[120:121], off, off offset:328
	v_cmp_lt_u32_e64 s1, 41, v0
	s_wait_loadcnt 0x0
	ds_store_b64 v1, v[120:121]
	s_wait_storecnt_dscnt 0x0
	s_barrier_signal -1
	s_barrier_wait -1
	s_wait_xcnt 0x0
	s_and_saveexec_b32 s48, s1
	s_cbranch_execz .LBB121_165
; %bb.156:
	s_and_not1_b32 vcc_lo, exec_lo, s3
	s_cbranch_vccnz .LBB121_158
; %bb.157:
	scratch_load_b64 v[120:121], v59, off
	ds_load_b64 v[122:123], v1
	s_wait_loadcnt_dscnt 0x0
	v_pk_mul_f32 v[124:125], v[122:123], v[120:121] op_sel:[1,1] op_sel_hi:[0,1]
	s_delay_alu instid0(VALU_DEP_1) | instskip(SKIP_1) | instid1(VALU_DEP_2)
	v_pk_fma_f32 v[126:127], v[122:123], v[120:121], v[124:125] op_sel_hi:[1,0,1]
	v_pk_fma_f32 v[120:121], v[122:123], v[120:121], v[124:125] neg_lo:[0,0,1] neg_hi:[0,0,1]
	v_mov_b32_e32 v121, v127
	s_cbranch_execz .LBB121_159
	s_branch .LBB121_160
.LBB121_158:
                                        ; implicit-def: $vgpr120_vgpr121
.LBB121_159:
	ds_load_b64 v[120:121], v1
.LBB121_160:
	s_and_saveexec_b32 s49, s0
	s_cbranch_execz .LBB121_164
; %bb.161:
	v_subrev_nc_u32_e32 v122, 42, v0
	s_movk_i32 s50, 0x320
	s_mov_b32 s0, 0
.LBB121_162:                            ; =>This Inner Loop Header: Depth=1
	scratch_load_b64 v[124:125], off, s47
	v_dual_mov_b32 v123, s50 :: v_dual_add_nc_u32 v122, -1, v122
	s_add_co_i32 s50, s50, 8
	s_wait_xcnt 0x0
	s_add_co_i32 s47, s47, 8
	ds_load_b64 v[126:127], v123
	v_cmp_eq_u32_e32 vcc_lo, 0, v122
	s_or_b32 s0, vcc_lo, s0
	s_wait_loadcnt_dscnt 0x0
	v_pk_mul_f32 v[128:129], v[126:127], v[124:125] op_sel:[1,1] op_sel_hi:[0,1]
	s_delay_alu instid0(VALU_DEP_1) | instskip(SKIP_1) | instid1(VALU_DEP_2)
	v_pk_fma_f32 v[130:131], v[126:127], v[124:125], v[128:129] op_sel_hi:[1,0,1]
	v_pk_fma_f32 v[124:125], v[126:127], v[124:125], v[128:129] neg_lo:[0,0,1] neg_hi:[0,0,1]
	v_mov_b32_e32 v125, v131
	s_delay_alu instid0(VALU_DEP_1)
	v_pk_add_f32 v[120:121], v[120:121], v[124:125]
	s_and_not1_b32 exec_lo, exec_lo, s0
	s_cbranch_execnz .LBB121_162
; %bb.163:
	s_or_b32 exec_lo, exec_lo, s0
.LBB121_164:
	s_delay_alu instid0(SALU_CYCLE_1) | instskip(SKIP_4) | instid1(VALU_DEP_1)
	s_or_b32 exec_lo, exec_lo, s49
	v_mov_b32_e32 v122, 0
	ds_load_b64 v[122:123], v122 offset:328
	s_wait_dscnt 0x0
	v_pk_mul_f32 v[124:125], v[120:121], v[122:123] op_sel:[1,1] op_sel_hi:[0,1]
	v_pk_fma_f32 v[126:127], v[120:121], v[122:123], v[124:125] op_sel_hi:[1,0,1]
	v_pk_fma_f32 v[120:121], v[120:121], v[122:123], v[124:125] neg_lo:[0,0,1] neg_hi:[0,0,1]
	s_delay_alu instid0(VALU_DEP_2)
	v_mov_b32_e32 v121, v127
	scratch_store_b64 off, v[120:121], off offset:328
.LBB121_165:
	s_wait_xcnt 0x0
	s_or_b32 exec_lo, exec_lo, s48
	scratch_load_b64 v[120:121], off, off offset:320
	v_cmp_lt_u32_e64 s0, 40, v0
	s_wait_loadcnt 0x0
	ds_store_b64 v1, v[120:121]
	s_wait_storecnt_dscnt 0x0
	s_barrier_signal -1
	s_barrier_wait -1
	s_wait_xcnt 0x0
	s_and_saveexec_b32 s47, s0
	s_cbranch_execz .LBB121_175
; %bb.166:
	s_and_not1_b32 vcc_lo, exec_lo, s3
	s_cbranch_vccnz .LBB121_168
; %bb.167:
	scratch_load_b64 v[120:121], v59, off
	ds_load_b64 v[122:123], v1
	s_wait_loadcnt_dscnt 0x0
	v_pk_mul_f32 v[124:125], v[122:123], v[120:121] op_sel:[1,1] op_sel_hi:[0,1]
	s_delay_alu instid0(VALU_DEP_1) | instskip(SKIP_1) | instid1(VALU_DEP_2)
	v_pk_fma_f32 v[126:127], v[122:123], v[120:121], v[124:125] op_sel_hi:[1,0,1]
	v_pk_fma_f32 v[120:121], v[122:123], v[120:121], v[124:125] neg_lo:[0,0,1] neg_hi:[0,0,1]
	v_mov_b32_e32 v121, v127
	s_cbranch_execz .LBB121_169
	s_branch .LBB121_170
.LBB121_168:
                                        ; implicit-def: $vgpr120_vgpr121
.LBB121_169:
	ds_load_b64 v[120:121], v1
.LBB121_170:
	s_and_saveexec_b32 s48, s1
	s_cbranch_execz .LBB121_174
; %bb.171:
	v_subrev_nc_u32_e32 v122, 41, v0
	s_movk_i32 s49, 0x318
	s_mov_b32 s1, 0
.LBB121_172:                            ; =>This Inner Loop Header: Depth=1
	scratch_load_b64 v[124:125], off, s46
	v_dual_mov_b32 v123, s49 :: v_dual_add_nc_u32 v122, -1, v122
	s_add_co_i32 s49, s49, 8
	s_wait_xcnt 0x0
	s_add_co_i32 s46, s46, 8
	ds_load_b64 v[126:127], v123
	v_cmp_eq_u32_e32 vcc_lo, 0, v122
	s_or_b32 s1, vcc_lo, s1
	s_wait_loadcnt_dscnt 0x0
	v_pk_mul_f32 v[128:129], v[126:127], v[124:125] op_sel:[1,1] op_sel_hi:[0,1]
	s_delay_alu instid0(VALU_DEP_1) | instskip(SKIP_1) | instid1(VALU_DEP_2)
	v_pk_fma_f32 v[130:131], v[126:127], v[124:125], v[128:129] op_sel_hi:[1,0,1]
	v_pk_fma_f32 v[124:125], v[126:127], v[124:125], v[128:129] neg_lo:[0,0,1] neg_hi:[0,0,1]
	v_mov_b32_e32 v125, v131
	s_delay_alu instid0(VALU_DEP_1)
	v_pk_add_f32 v[120:121], v[120:121], v[124:125]
	s_and_not1_b32 exec_lo, exec_lo, s1
	s_cbranch_execnz .LBB121_172
; %bb.173:
	s_or_b32 exec_lo, exec_lo, s1
.LBB121_174:
	s_delay_alu instid0(SALU_CYCLE_1) | instskip(SKIP_4) | instid1(VALU_DEP_1)
	s_or_b32 exec_lo, exec_lo, s48
	v_mov_b32_e32 v122, 0
	ds_load_b64 v[122:123], v122 offset:320
	s_wait_dscnt 0x0
	v_pk_mul_f32 v[124:125], v[120:121], v[122:123] op_sel:[1,1] op_sel_hi:[0,1]
	v_pk_fma_f32 v[126:127], v[120:121], v[122:123], v[124:125] op_sel_hi:[1,0,1]
	v_pk_fma_f32 v[120:121], v[120:121], v[122:123], v[124:125] neg_lo:[0,0,1] neg_hi:[0,0,1]
	s_delay_alu instid0(VALU_DEP_2)
	v_mov_b32_e32 v121, v127
	scratch_store_b64 off, v[120:121], off offset:320
.LBB121_175:
	s_wait_xcnt 0x0
	s_or_b32 exec_lo, exec_lo, s47
	scratch_load_b64 v[120:121], off, off offset:312
	v_cmp_lt_u32_e64 s1, 39, v0
	s_wait_loadcnt 0x0
	ds_store_b64 v1, v[120:121]
	s_wait_storecnt_dscnt 0x0
	s_barrier_signal -1
	s_barrier_wait -1
	s_wait_xcnt 0x0
	s_and_saveexec_b32 s46, s1
	s_cbranch_execz .LBB121_185
; %bb.176:
	s_and_not1_b32 vcc_lo, exec_lo, s3
	s_cbranch_vccnz .LBB121_178
; %bb.177:
	scratch_load_b64 v[120:121], v59, off
	ds_load_b64 v[122:123], v1
	s_wait_loadcnt_dscnt 0x0
	v_pk_mul_f32 v[124:125], v[122:123], v[120:121] op_sel:[1,1] op_sel_hi:[0,1]
	s_delay_alu instid0(VALU_DEP_1) | instskip(SKIP_1) | instid1(VALU_DEP_2)
	v_pk_fma_f32 v[126:127], v[122:123], v[120:121], v[124:125] op_sel_hi:[1,0,1]
	v_pk_fma_f32 v[120:121], v[122:123], v[120:121], v[124:125] neg_lo:[0,0,1] neg_hi:[0,0,1]
	v_mov_b32_e32 v121, v127
	s_cbranch_execz .LBB121_179
	s_branch .LBB121_180
.LBB121_178:
                                        ; implicit-def: $vgpr120_vgpr121
.LBB121_179:
	ds_load_b64 v[120:121], v1
.LBB121_180:
	s_and_saveexec_b32 s47, s0
	s_cbranch_execz .LBB121_184
; %bb.181:
	v_subrev_nc_u32_e32 v122, 40, v0
	s_movk_i32 s48, 0x310
	s_mov_b32 s0, 0
.LBB121_182:                            ; =>This Inner Loop Header: Depth=1
	scratch_load_b64 v[124:125], off, s45
	v_dual_mov_b32 v123, s48 :: v_dual_add_nc_u32 v122, -1, v122
	s_add_co_i32 s48, s48, 8
	s_wait_xcnt 0x0
	s_add_co_i32 s45, s45, 8
	ds_load_b64 v[126:127], v123
	v_cmp_eq_u32_e32 vcc_lo, 0, v122
	s_or_b32 s0, vcc_lo, s0
	s_wait_loadcnt_dscnt 0x0
	v_pk_mul_f32 v[128:129], v[126:127], v[124:125] op_sel:[1,1] op_sel_hi:[0,1]
	s_delay_alu instid0(VALU_DEP_1) | instskip(SKIP_1) | instid1(VALU_DEP_2)
	v_pk_fma_f32 v[130:131], v[126:127], v[124:125], v[128:129] op_sel_hi:[1,0,1]
	v_pk_fma_f32 v[124:125], v[126:127], v[124:125], v[128:129] neg_lo:[0,0,1] neg_hi:[0,0,1]
	v_mov_b32_e32 v125, v131
	s_delay_alu instid0(VALU_DEP_1)
	v_pk_add_f32 v[120:121], v[120:121], v[124:125]
	s_and_not1_b32 exec_lo, exec_lo, s0
	s_cbranch_execnz .LBB121_182
; %bb.183:
	s_or_b32 exec_lo, exec_lo, s0
.LBB121_184:
	s_delay_alu instid0(SALU_CYCLE_1) | instskip(SKIP_4) | instid1(VALU_DEP_1)
	s_or_b32 exec_lo, exec_lo, s47
	v_mov_b32_e32 v122, 0
	ds_load_b64 v[122:123], v122 offset:312
	s_wait_dscnt 0x0
	v_pk_mul_f32 v[124:125], v[120:121], v[122:123] op_sel:[1,1] op_sel_hi:[0,1]
	v_pk_fma_f32 v[126:127], v[120:121], v[122:123], v[124:125] op_sel_hi:[1,0,1]
	v_pk_fma_f32 v[120:121], v[120:121], v[122:123], v[124:125] neg_lo:[0,0,1] neg_hi:[0,0,1]
	s_delay_alu instid0(VALU_DEP_2)
	v_mov_b32_e32 v121, v127
	scratch_store_b64 off, v[120:121], off offset:312
.LBB121_185:
	s_wait_xcnt 0x0
	s_or_b32 exec_lo, exec_lo, s46
	scratch_load_b64 v[120:121], off, off offset:304
	v_cmp_lt_u32_e64 s0, 38, v0
	s_wait_loadcnt 0x0
	ds_store_b64 v1, v[120:121]
	s_wait_storecnt_dscnt 0x0
	s_barrier_signal -1
	s_barrier_wait -1
	s_wait_xcnt 0x0
	s_and_saveexec_b32 s45, s0
	s_cbranch_execz .LBB121_195
; %bb.186:
	s_and_not1_b32 vcc_lo, exec_lo, s3
	s_cbranch_vccnz .LBB121_188
; %bb.187:
	scratch_load_b64 v[120:121], v59, off
	ds_load_b64 v[122:123], v1
	s_wait_loadcnt_dscnt 0x0
	v_pk_mul_f32 v[124:125], v[122:123], v[120:121] op_sel:[1,1] op_sel_hi:[0,1]
	s_delay_alu instid0(VALU_DEP_1) | instskip(SKIP_1) | instid1(VALU_DEP_2)
	v_pk_fma_f32 v[126:127], v[122:123], v[120:121], v[124:125] op_sel_hi:[1,0,1]
	v_pk_fma_f32 v[120:121], v[122:123], v[120:121], v[124:125] neg_lo:[0,0,1] neg_hi:[0,0,1]
	v_mov_b32_e32 v121, v127
	s_cbranch_execz .LBB121_189
	s_branch .LBB121_190
.LBB121_188:
                                        ; implicit-def: $vgpr120_vgpr121
.LBB121_189:
	ds_load_b64 v[120:121], v1
.LBB121_190:
	s_and_saveexec_b32 s46, s1
	s_cbranch_execz .LBB121_194
; %bb.191:
	v_subrev_nc_u32_e32 v122, 39, v0
	s_movk_i32 s47, 0x308
	s_mov_b32 s1, 0
.LBB121_192:                            ; =>This Inner Loop Header: Depth=1
	scratch_load_b64 v[124:125], off, s44
	v_dual_mov_b32 v123, s47 :: v_dual_add_nc_u32 v122, -1, v122
	s_add_co_i32 s47, s47, 8
	s_wait_xcnt 0x0
	s_add_co_i32 s44, s44, 8
	ds_load_b64 v[126:127], v123
	v_cmp_eq_u32_e32 vcc_lo, 0, v122
	s_or_b32 s1, vcc_lo, s1
	s_wait_loadcnt_dscnt 0x0
	v_pk_mul_f32 v[128:129], v[126:127], v[124:125] op_sel:[1,1] op_sel_hi:[0,1]
	s_delay_alu instid0(VALU_DEP_1) | instskip(SKIP_1) | instid1(VALU_DEP_2)
	v_pk_fma_f32 v[130:131], v[126:127], v[124:125], v[128:129] op_sel_hi:[1,0,1]
	v_pk_fma_f32 v[124:125], v[126:127], v[124:125], v[128:129] neg_lo:[0,0,1] neg_hi:[0,0,1]
	v_mov_b32_e32 v125, v131
	s_delay_alu instid0(VALU_DEP_1)
	v_pk_add_f32 v[120:121], v[120:121], v[124:125]
	s_and_not1_b32 exec_lo, exec_lo, s1
	s_cbranch_execnz .LBB121_192
; %bb.193:
	s_or_b32 exec_lo, exec_lo, s1
.LBB121_194:
	s_delay_alu instid0(SALU_CYCLE_1) | instskip(SKIP_4) | instid1(VALU_DEP_1)
	s_or_b32 exec_lo, exec_lo, s46
	v_mov_b32_e32 v122, 0
	ds_load_b64 v[122:123], v122 offset:304
	s_wait_dscnt 0x0
	v_pk_mul_f32 v[124:125], v[120:121], v[122:123] op_sel:[1,1] op_sel_hi:[0,1]
	v_pk_fma_f32 v[126:127], v[120:121], v[122:123], v[124:125] op_sel_hi:[1,0,1]
	v_pk_fma_f32 v[120:121], v[120:121], v[122:123], v[124:125] neg_lo:[0,0,1] neg_hi:[0,0,1]
	s_delay_alu instid0(VALU_DEP_2)
	v_mov_b32_e32 v121, v127
	scratch_store_b64 off, v[120:121], off offset:304
.LBB121_195:
	s_wait_xcnt 0x0
	s_or_b32 exec_lo, exec_lo, s45
	scratch_load_b64 v[120:121], off, off offset:296
	v_cmp_lt_u32_e64 s1, 37, v0
	s_wait_loadcnt 0x0
	ds_store_b64 v1, v[120:121]
	s_wait_storecnt_dscnt 0x0
	s_barrier_signal -1
	s_barrier_wait -1
	s_wait_xcnt 0x0
	s_and_saveexec_b32 s44, s1
	s_cbranch_execz .LBB121_205
; %bb.196:
	s_and_not1_b32 vcc_lo, exec_lo, s3
	s_cbranch_vccnz .LBB121_198
; %bb.197:
	scratch_load_b64 v[120:121], v59, off
	ds_load_b64 v[122:123], v1
	s_wait_loadcnt_dscnt 0x0
	v_pk_mul_f32 v[124:125], v[122:123], v[120:121] op_sel:[1,1] op_sel_hi:[0,1]
	s_delay_alu instid0(VALU_DEP_1) | instskip(SKIP_1) | instid1(VALU_DEP_2)
	v_pk_fma_f32 v[126:127], v[122:123], v[120:121], v[124:125] op_sel_hi:[1,0,1]
	v_pk_fma_f32 v[120:121], v[122:123], v[120:121], v[124:125] neg_lo:[0,0,1] neg_hi:[0,0,1]
	v_mov_b32_e32 v121, v127
	s_cbranch_execz .LBB121_199
	s_branch .LBB121_200
.LBB121_198:
                                        ; implicit-def: $vgpr120_vgpr121
.LBB121_199:
	ds_load_b64 v[120:121], v1
.LBB121_200:
	s_and_saveexec_b32 s45, s0
	s_cbranch_execz .LBB121_204
; %bb.201:
	v_subrev_nc_u32_e32 v122, 38, v0
	s_movk_i32 s46, 0x300
	s_mov_b32 s0, 0
.LBB121_202:                            ; =>This Inner Loop Header: Depth=1
	scratch_load_b64 v[124:125], off, s43
	v_dual_mov_b32 v123, s46 :: v_dual_add_nc_u32 v122, -1, v122
	s_add_co_i32 s46, s46, 8
	s_wait_xcnt 0x0
	s_add_co_i32 s43, s43, 8
	ds_load_b64 v[126:127], v123
	v_cmp_eq_u32_e32 vcc_lo, 0, v122
	s_or_b32 s0, vcc_lo, s0
	s_wait_loadcnt_dscnt 0x0
	v_pk_mul_f32 v[128:129], v[126:127], v[124:125] op_sel:[1,1] op_sel_hi:[0,1]
	s_delay_alu instid0(VALU_DEP_1) | instskip(SKIP_1) | instid1(VALU_DEP_2)
	v_pk_fma_f32 v[130:131], v[126:127], v[124:125], v[128:129] op_sel_hi:[1,0,1]
	v_pk_fma_f32 v[124:125], v[126:127], v[124:125], v[128:129] neg_lo:[0,0,1] neg_hi:[0,0,1]
	v_mov_b32_e32 v125, v131
	s_delay_alu instid0(VALU_DEP_1)
	v_pk_add_f32 v[120:121], v[120:121], v[124:125]
	s_and_not1_b32 exec_lo, exec_lo, s0
	s_cbranch_execnz .LBB121_202
; %bb.203:
	s_or_b32 exec_lo, exec_lo, s0
.LBB121_204:
	s_delay_alu instid0(SALU_CYCLE_1) | instskip(SKIP_4) | instid1(VALU_DEP_1)
	s_or_b32 exec_lo, exec_lo, s45
	v_mov_b32_e32 v122, 0
	ds_load_b64 v[122:123], v122 offset:296
	s_wait_dscnt 0x0
	v_pk_mul_f32 v[124:125], v[120:121], v[122:123] op_sel:[1,1] op_sel_hi:[0,1]
	v_pk_fma_f32 v[126:127], v[120:121], v[122:123], v[124:125] op_sel_hi:[1,0,1]
	v_pk_fma_f32 v[120:121], v[120:121], v[122:123], v[124:125] neg_lo:[0,0,1] neg_hi:[0,0,1]
	s_delay_alu instid0(VALU_DEP_2)
	v_mov_b32_e32 v121, v127
	scratch_store_b64 off, v[120:121], off offset:296
.LBB121_205:
	s_wait_xcnt 0x0
	s_or_b32 exec_lo, exec_lo, s44
	scratch_load_b64 v[120:121], off, off offset:288
	v_cmp_lt_u32_e64 s0, 36, v0
	s_wait_loadcnt 0x0
	ds_store_b64 v1, v[120:121]
	s_wait_storecnt_dscnt 0x0
	s_barrier_signal -1
	s_barrier_wait -1
	s_wait_xcnt 0x0
	s_and_saveexec_b32 s43, s0
	s_cbranch_execz .LBB121_215
; %bb.206:
	s_and_not1_b32 vcc_lo, exec_lo, s3
	s_cbranch_vccnz .LBB121_208
; %bb.207:
	scratch_load_b64 v[120:121], v59, off
	ds_load_b64 v[122:123], v1
	s_wait_loadcnt_dscnt 0x0
	v_pk_mul_f32 v[124:125], v[122:123], v[120:121] op_sel:[1,1] op_sel_hi:[0,1]
	s_delay_alu instid0(VALU_DEP_1) | instskip(SKIP_1) | instid1(VALU_DEP_2)
	v_pk_fma_f32 v[126:127], v[122:123], v[120:121], v[124:125] op_sel_hi:[1,0,1]
	v_pk_fma_f32 v[120:121], v[122:123], v[120:121], v[124:125] neg_lo:[0,0,1] neg_hi:[0,0,1]
	v_mov_b32_e32 v121, v127
	s_cbranch_execz .LBB121_209
	s_branch .LBB121_210
.LBB121_208:
                                        ; implicit-def: $vgpr120_vgpr121
.LBB121_209:
	ds_load_b64 v[120:121], v1
.LBB121_210:
	s_and_saveexec_b32 s44, s1
	s_cbranch_execz .LBB121_214
; %bb.211:
	v_subrev_nc_u32_e32 v122, 37, v0
	s_movk_i32 s45, 0x2f8
	s_mov_b32 s1, 0
.LBB121_212:                            ; =>This Inner Loop Header: Depth=1
	scratch_load_b64 v[124:125], off, s42
	v_dual_mov_b32 v123, s45 :: v_dual_add_nc_u32 v122, -1, v122
	s_add_co_i32 s45, s45, 8
	s_wait_xcnt 0x0
	s_add_co_i32 s42, s42, 8
	ds_load_b64 v[126:127], v123
	v_cmp_eq_u32_e32 vcc_lo, 0, v122
	s_or_b32 s1, vcc_lo, s1
	s_wait_loadcnt_dscnt 0x0
	v_pk_mul_f32 v[128:129], v[126:127], v[124:125] op_sel:[1,1] op_sel_hi:[0,1]
	s_delay_alu instid0(VALU_DEP_1) | instskip(SKIP_1) | instid1(VALU_DEP_2)
	v_pk_fma_f32 v[130:131], v[126:127], v[124:125], v[128:129] op_sel_hi:[1,0,1]
	v_pk_fma_f32 v[124:125], v[126:127], v[124:125], v[128:129] neg_lo:[0,0,1] neg_hi:[0,0,1]
	v_mov_b32_e32 v125, v131
	s_delay_alu instid0(VALU_DEP_1)
	v_pk_add_f32 v[120:121], v[120:121], v[124:125]
	s_and_not1_b32 exec_lo, exec_lo, s1
	s_cbranch_execnz .LBB121_212
; %bb.213:
	s_or_b32 exec_lo, exec_lo, s1
.LBB121_214:
	s_delay_alu instid0(SALU_CYCLE_1) | instskip(SKIP_4) | instid1(VALU_DEP_1)
	s_or_b32 exec_lo, exec_lo, s44
	v_mov_b32_e32 v122, 0
	ds_load_b64 v[122:123], v122 offset:288
	s_wait_dscnt 0x0
	v_pk_mul_f32 v[124:125], v[120:121], v[122:123] op_sel:[1,1] op_sel_hi:[0,1]
	v_pk_fma_f32 v[126:127], v[120:121], v[122:123], v[124:125] op_sel_hi:[1,0,1]
	v_pk_fma_f32 v[120:121], v[120:121], v[122:123], v[124:125] neg_lo:[0,0,1] neg_hi:[0,0,1]
	s_delay_alu instid0(VALU_DEP_2)
	v_mov_b32_e32 v121, v127
	scratch_store_b64 off, v[120:121], off offset:288
.LBB121_215:
	s_wait_xcnt 0x0
	s_or_b32 exec_lo, exec_lo, s43
	scratch_load_b64 v[120:121], off, off offset:280
	v_cmp_lt_u32_e64 s1, 35, v0
	s_wait_loadcnt 0x0
	ds_store_b64 v1, v[120:121]
	s_wait_storecnt_dscnt 0x0
	s_barrier_signal -1
	s_barrier_wait -1
	s_wait_xcnt 0x0
	s_and_saveexec_b32 s42, s1
	s_cbranch_execz .LBB121_225
; %bb.216:
	s_and_not1_b32 vcc_lo, exec_lo, s3
	s_cbranch_vccnz .LBB121_218
; %bb.217:
	scratch_load_b64 v[120:121], v59, off
	ds_load_b64 v[122:123], v1
	s_wait_loadcnt_dscnt 0x0
	v_pk_mul_f32 v[124:125], v[122:123], v[120:121] op_sel:[1,1] op_sel_hi:[0,1]
	s_delay_alu instid0(VALU_DEP_1) | instskip(SKIP_1) | instid1(VALU_DEP_2)
	v_pk_fma_f32 v[126:127], v[122:123], v[120:121], v[124:125] op_sel_hi:[1,0,1]
	v_pk_fma_f32 v[120:121], v[122:123], v[120:121], v[124:125] neg_lo:[0,0,1] neg_hi:[0,0,1]
	v_mov_b32_e32 v121, v127
	s_cbranch_execz .LBB121_219
	s_branch .LBB121_220
.LBB121_218:
                                        ; implicit-def: $vgpr120_vgpr121
.LBB121_219:
	ds_load_b64 v[120:121], v1
.LBB121_220:
	s_and_saveexec_b32 s43, s0
	s_cbranch_execz .LBB121_224
; %bb.221:
	v_subrev_nc_u32_e32 v122, 36, v0
	s_movk_i32 s44, 0x2f0
	s_mov_b32 s0, 0
.LBB121_222:                            ; =>This Inner Loop Header: Depth=1
	scratch_load_b64 v[124:125], off, s41
	v_dual_mov_b32 v123, s44 :: v_dual_add_nc_u32 v122, -1, v122
	s_add_co_i32 s44, s44, 8
	s_wait_xcnt 0x0
	s_add_co_i32 s41, s41, 8
	ds_load_b64 v[126:127], v123
	v_cmp_eq_u32_e32 vcc_lo, 0, v122
	s_or_b32 s0, vcc_lo, s0
	s_wait_loadcnt_dscnt 0x0
	v_pk_mul_f32 v[128:129], v[126:127], v[124:125] op_sel:[1,1] op_sel_hi:[0,1]
	s_delay_alu instid0(VALU_DEP_1) | instskip(SKIP_1) | instid1(VALU_DEP_2)
	v_pk_fma_f32 v[130:131], v[126:127], v[124:125], v[128:129] op_sel_hi:[1,0,1]
	v_pk_fma_f32 v[124:125], v[126:127], v[124:125], v[128:129] neg_lo:[0,0,1] neg_hi:[0,0,1]
	v_mov_b32_e32 v125, v131
	s_delay_alu instid0(VALU_DEP_1)
	v_pk_add_f32 v[120:121], v[120:121], v[124:125]
	s_and_not1_b32 exec_lo, exec_lo, s0
	s_cbranch_execnz .LBB121_222
; %bb.223:
	s_or_b32 exec_lo, exec_lo, s0
.LBB121_224:
	s_delay_alu instid0(SALU_CYCLE_1) | instskip(SKIP_4) | instid1(VALU_DEP_1)
	s_or_b32 exec_lo, exec_lo, s43
	v_mov_b32_e32 v122, 0
	ds_load_b64 v[122:123], v122 offset:280
	s_wait_dscnt 0x0
	v_pk_mul_f32 v[124:125], v[120:121], v[122:123] op_sel:[1,1] op_sel_hi:[0,1]
	v_pk_fma_f32 v[126:127], v[120:121], v[122:123], v[124:125] op_sel_hi:[1,0,1]
	v_pk_fma_f32 v[120:121], v[120:121], v[122:123], v[124:125] neg_lo:[0,0,1] neg_hi:[0,0,1]
	s_delay_alu instid0(VALU_DEP_2)
	v_mov_b32_e32 v121, v127
	scratch_store_b64 off, v[120:121], off offset:280
.LBB121_225:
	s_wait_xcnt 0x0
	s_or_b32 exec_lo, exec_lo, s42
	scratch_load_b64 v[120:121], off, off offset:272
	v_cmp_lt_u32_e64 s0, 34, v0
	s_wait_loadcnt 0x0
	ds_store_b64 v1, v[120:121]
	s_wait_storecnt_dscnt 0x0
	s_barrier_signal -1
	s_barrier_wait -1
	s_wait_xcnt 0x0
	s_and_saveexec_b32 s41, s0
	s_cbranch_execz .LBB121_235
; %bb.226:
	s_and_not1_b32 vcc_lo, exec_lo, s3
	s_cbranch_vccnz .LBB121_228
; %bb.227:
	scratch_load_b64 v[120:121], v59, off
	ds_load_b64 v[122:123], v1
	s_wait_loadcnt_dscnt 0x0
	v_pk_mul_f32 v[124:125], v[122:123], v[120:121] op_sel:[1,1] op_sel_hi:[0,1]
	s_delay_alu instid0(VALU_DEP_1) | instskip(SKIP_1) | instid1(VALU_DEP_2)
	v_pk_fma_f32 v[126:127], v[122:123], v[120:121], v[124:125] op_sel_hi:[1,0,1]
	v_pk_fma_f32 v[120:121], v[122:123], v[120:121], v[124:125] neg_lo:[0,0,1] neg_hi:[0,0,1]
	v_mov_b32_e32 v121, v127
	s_cbranch_execz .LBB121_229
	s_branch .LBB121_230
.LBB121_228:
                                        ; implicit-def: $vgpr120_vgpr121
.LBB121_229:
	ds_load_b64 v[120:121], v1
.LBB121_230:
	s_and_saveexec_b32 s42, s1
	s_cbranch_execz .LBB121_234
; %bb.231:
	v_subrev_nc_u32_e32 v122, 35, v0
	s_movk_i32 s43, 0x2e8
	s_mov_b32 s1, 0
.LBB121_232:                            ; =>This Inner Loop Header: Depth=1
	scratch_load_b64 v[124:125], off, s40
	v_dual_mov_b32 v123, s43 :: v_dual_add_nc_u32 v122, -1, v122
	s_add_co_i32 s43, s43, 8
	s_wait_xcnt 0x0
	s_add_co_i32 s40, s40, 8
	ds_load_b64 v[126:127], v123
	v_cmp_eq_u32_e32 vcc_lo, 0, v122
	s_or_b32 s1, vcc_lo, s1
	s_wait_loadcnt_dscnt 0x0
	v_pk_mul_f32 v[128:129], v[126:127], v[124:125] op_sel:[1,1] op_sel_hi:[0,1]
	s_delay_alu instid0(VALU_DEP_1) | instskip(SKIP_1) | instid1(VALU_DEP_2)
	v_pk_fma_f32 v[130:131], v[126:127], v[124:125], v[128:129] op_sel_hi:[1,0,1]
	v_pk_fma_f32 v[124:125], v[126:127], v[124:125], v[128:129] neg_lo:[0,0,1] neg_hi:[0,0,1]
	v_mov_b32_e32 v125, v131
	s_delay_alu instid0(VALU_DEP_1)
	v_pk_add_f32 v[120:121], v[120:121], v[124:125]
	s_and_not1_b32 exec_lo, exec_lo, s1
	s_cbranch_execnz .LBB121_232
; %bb.233:
	s_or_b32 exec_lo, exec_lo, s1
.LBB121_234:
	s_delay_alu instid0(SALU_CYCLE_1) | instskip(SKIP_4) | instid1(VALU_DEP_1)
	s_or_b32 exec_lo, exec_lo, s42
	v_mov_b32_e32 v122, 0
	ds_load_b64 v[122:123], v122 offset:272
	s_wait_dscnt 0x0
	v_pk_mul_f32 v[124:125], v[120:121], v[122:123] op_sel:[1,1] op_sel_hi:[0,1]
	v_pk_fma_f32 v[126:127], v[120:121], v[122:123], v[124:125] op_sel_hi:[1,0,1]
	v_pk_fma_f32 v[120:121], v[120:121], v[122:123], v[124:125] neg_lo:[0,0,1] neg_hi:[0,0,1]
	s_delay_alu instid0(VALU_DEP_2)
	v_mov_b32_e32 v121, v127
	scratch_store_b64 off, v[120:121], off offset:272
.LBB121_235:
	s_wait_xcnt 0x0
	s_or_b32 exec_lo, exec_lo, s41
	scratch_load_b64 v[120:121], off, off offset:264
	v_cmp_lt_u32_e64 s1, 33, v0
	s_wait_loadcnt 0x0
	ds_store_b64 v1, v[120:121]
	s_wait_storecnt_dscnt 0x0
	s_barrier_signal -1
	s_barrier_wait -1
	s_wait_xcnt 0x0
	s_and_saveexec_b32 s40, s1
	s_cbranch_execz .LBB121_245
; %bb.236:
	s_and_not1_b32 vcc_lo, exec_lo, s3
	s_cbranch_vccnz .LBB121_238
; %bb.237:
	scratch_load_b64 v[120:121], v59, off
	ds_load_b64 v[122:123], v1
	s_wait_loadcnt_dscnt 0x0
	v_pk_mul_f32 v[124:125], v[122:123], v[120:121] op_sel:[1,1] op_sel_hi:[0,1]
	s_delay_alu instid0(VALU_DEP_1) | instskip(SKIP_1) | instid1(VALU_DEP_2)
	v_pk_fma_f32 v[126:127], v[122:123], v[120:121], v[124:125] op_sel_hi:[1,0,1]
	v_pk_fma_f32 v[120:121], v[122:123], v[120:121], v[124:125] neg_lo:[0,0,1] neg_hi:[0,0,1]
	v_mov_b32_e32 v121, v127
	s_cbranch_execz .LBB121_239
	s_branch .LBB121_240
.LBB121_238:
                                        ; implicit-def: $vgpr120_vgpr121
.LBB121_239:
	ds_load_b64 v[120:121], v1
.LBB121_240:
	s_and_saveexec_b32 s41, s0
	s_cbranch_execz .LBB121_244
; %bb.241:
	v_subrev_nc_u32_e32 v122, 34, v0
	s_movk_i32 s42, 0x2e0
	s_mov_b32 s0, 0
.LBB121_242:                            ; =>This Inner Loop Header: Depth=1
	scratch_load_b64 v[124:125], off, s39
	v_dual_mov_b32 v123, s42 :: v_dual_add_nc_u32 v122, -1, v122
	s_add_co_i32 s42, s42, 8
	s_wait_xcnt 0x0
	s_add_co_i32 s39, s39, 8
	ds_load_b64 v[126:127], v123
	v_cmp_eq_u32_e32 vcc_lo, 0, v122
	s_or_b32 s0, vcc_lo, s0
	s_wait_loadcnt_dscnt 0x0
	v_pk_mul_f32 v[128:129], v[126:127], v[124:125] op_sel:[1,1] op_sel_hi:[0,1]
	s_delay_alu instid0(VALU_DEP_1) | instskip(SKIP_1) | instid1(VALU_DEP_2)
	v_pk_fma_f32 v[130:131], v[126:127], v[124:125], v[128:129] op_sel_hi:[1,0,1]
	v_pk_fma_f32 v[124:125], v[126:127], v[124:125], v[128:129] neg_lo:[0,0,1] neg_hi:[0,0,1]
	v_mov_b32_e32 v125, v131
	s_delay_alu instid0(VALU_DEP_1)
	v_pk_add_f32 v[120:121], v[120:121], v[124:125]
	s_and_not1_b32 exec_lo, exec_lo, s0
	s_cbranch_execnz .LBB121_242
; %bb.243:
	s_or_b32 exec_lo, exec_lo, s0
.LBB121_244:
	s_delay_alu instid0(SALU_CYCLE_1) | instskip(SKIP_4) | instid1(VALU_DEP_1)
	s_or_b32 exec_lo, exec_lo, s41
	v_mov_b32_e32 v122, 0
	ds_load_b64 v[122:123], v122 offset:264
	s_wait_dscnt 0x0
	v_pk_mul_f32 v[124:125], v[120:121], v[122:123] op_sel:[1,1] op_sel_hi:[0,1]
	v_pk_fma_f32 v[126:127], v[120:121], v[122:123], v[124:125] op_sel_hi:[1,0,1]
	v_pk_fma_f32 v[120:121], v[120:121], v[122:123], v[124:125] neg_lo:[0,0,1] neg_hi:[0,0,1]
	s_delay_alu instid0(VALU_DEP_2)
	v_mov_b32_e32 v121, v127
	scratch_store_b64 off, v[120:121], off offset:264
.LBB121_245:
	s_wait_xcnt 0x0
	s_or_b32 exec_lo, exec_lo, s40
	scratch_load_b64 v[120:121], off, off offset:256
	v_cmp_lt_u32_e64 s0, 32, v0
	s_wait_loadcnt 0x0
	ds_store_b64 v1, v[120:121]
	s_wait_storecnt_dscnt 0x0
	s_barrier_signal -1
	s_barrier_wait -1
	s_wait_xcnt 0x0
	s_and_saveexec_b32 s39, s0
	s_cbranch_execz .LBB121_255
; %bb.246:
	s_and_not1_b32 vcc_lo, exec_lo, s3
	s_cbranch_vccnz .LBB121_248
; %bb.247:
	scratch_load_b64 v[120:121], v59, off
	ds_load_b64 v[122:123], v1
	s_wait_loadcnt_dscnt 0x0
	v_pk_mul_f32 v[124:125], v[122:123], v[120:121] op_sel:[1,1] op_sel_hi:[0,1]
	s_delay_alu instid0(VALU_DEP_1) | instskip(SKIP_1) | instid1(VALU_DEP_2)
	v_pk_fma_f32 v[126:127], v[122:123], v[120:121], v[124:125] op_sel_hi:[1,0,1]
	v_pk_fma_f32 v[120:121], v[122:123], v[120:121], v[124:125] neg_lo:[0,0,1] neg_hi:[0,0,1]
	v_mov_b32_e32 v121, v127
	s_cbranch_execz .LBB121_249
	s_branch .LBB121_250
.LBB121_248:
                                        ; implicit-def: $vgpr120_vgpr121
.LBB121_249:
	ds_load_b64 v[120:121], v1
.LBB121_250:
	s_and_saveexec_b32 s40, s1
	s_cbranch_execz .LBB121_254
; %bb.251:
	v_subrev_nc_u32_e32 v122, 33, v0
	s_movk_i32 s41, 0x2d8
	s_mov_b32 s1, 0
.LBB121_252:                            ; =>This Inner Loop Header: Depth=1
	scratch_load_b64 v[124:125], off, s38
	v_dual_mov_b32 v123, s41 :: v_dual_add_nc_u32 v122, -1, v122
	s_add_co_i32 s41, s41, 8
	s_wait_xcnt 0x0
	s_add_co_i32 s38, s38, 8
	ds_load_b64 v[126:127], v123
	v_cmp_eq_u32_e32 vcc_lo, 0, v122
	s_or_b32 s1, vcc_lo, s1
	s_wait_loadcnt_dscnt 0x0
	v_pk_mul_f32 v[128:129], v[126:127], v[124:125] op_sel:[1,1] op_sel_hi:[0,1]
	s_delay_alu instid0(VALU_DEP_1) | instskip(SKIP_1) | instid1(VALU_DEP_2)
	v_pk_fma_f32 v[130:131], v[126:127], v[124:125], v[128:129] op_sel_hi:[1,0,1]
	v_pk_fma_f32 v[124:125], v[126:127], v[124:125], v[128:129] neg_lo:[0,0,1] neg_hi:[0,0,1]
	v_mov_b32_e32 v125, v131
	s_delay_alu instid0(VALU_DEP_1)
	v_pk_add_f32 v[120:121], v[120:121], v[124:125]
	s_and_not1_b32 exec_lo, exec_lo, s1
	s_cbranch_execnz .LBB121_252
; %bb.253:
	s_or_b32 exec_lo, exec_lo, s1
.LBB121_254:
	s_delay_alu instid0(SALU_CYCLE_1) | instskip(SKIP_4) | instid1(VALU_DEP_1)
	s_or_b32 exec_lo, exec_lo, s40
	v_mov_b32_e32 v122, 0
	ds_load_b64 v[122:123], v122 offset:256
	s_wait_dscnt 0x0
	v_pk_mul_f32 v[124:125], v[120:121], v[122:123] op_sel:[1,1] op_sel_hi:[0,1]
	v_pk_fma_f32 v[126:127], v[120:121], v[122:123], v[124:125] op_sel_hi:[1,0,1]
	v_pk_fma_f32 v[120:121], v[120:121], v[122:123], v[124:125] neg_lo:[0,0,1] neg_hi:[0,0,1]
	s_delay_alu instid0(VALU_DEP_2)
	v_mov_b32_e32 v121, v127
	scratch_store_b64 off, v[120:121], off offset:256
.LBB121_255:
	s_wait_xcnt 0x0
	s_or_b32 exec_lo, exec_lo, s39
	scratch_load_b64 v[120:121], off, off offset:248
	v_cmp_lt_u32_e64 s1, 31, v0
	s_wait_loadcnt 0x0
	ds_store_b64 v1, v[120:121]
	s_wait_storecnt_dscnt 0x0
	s_barrier_signal -1
	s_barrier_wait -1
	s_wait_xcnt 0x0
	s_and_saveexec_b32 s38, s1
	s_cbranch_execz .LBB121_265
; %bb.256:
	s_and_not1_b32 vcc_lo, exec_lo, s3
	s_cbranch_vccnz .LBB121_258
; %bb.257:
	scratch_load_b64 v[120:121], v59, off
	ds_load_b64 v[122:123], v1
	s_wait_loadcnt_dscnt 0x0
	v_pk_mul_f32 v[124:125], v[122:123], v[120:121] op_sel:[1,1] op_sel_hi:[0,1]
	s_delay_alu instid0(VALU_DEP_1) | instskip(SKIP_1) | instid1(VALU_DEP_2)
	v_pk_fma_f32 v[126:127], v[122:123], v[120:121], v[124:125] op_sel_hi:[1,0,1]
	v_pk_fma_f32 v[120:121], v[122:123], v[120:121], v[124:125] neg_lo:[0,0,1] neg_hi:[0,0,1]
	v_mov_b32_e32 v121, v127
	s_cbranch_execz .LBB121_259
	s_branch .LBB121_260
.LBB121_258:
                                        ; implicit-def: $vgpr120_vgpr121
.LBB121_259:
	ds_load_b64 v[120:121], v1
.LBB121_260:
	s_and_saveexec_b32 s39, s0
	s_cbranch_execz .LBB121_264
; %bb.261:
	v_subrev_nc_u32_e32 v122, 32, v0
	s_movk_i32 s40, 0x2d0
	s_mov_b32 s0, 0
.LBB121_262:                            ; =>This Inner Loop Header: Depth=1
	scratch_load_b64 v[124:125], off, s37
	v_dual_mov_b32 v123, s40 :: v_dual_add_nc_u32 v122, -1, v122
	s_add_co_i32 s40, s40, 8
	s_wait_xcnt 0x0
	s_add_co_i32 s37, s37, 8
	ds_load_b64 v[126:127], v123
	v_cmp_eq_u32_e32 vcc_lo, 0, v122
	s_or_b32 s0, vcc_lo, s0
	s_wait_loadcnt_dscnt 0x0
	v_pk_mul_f32 v[128:129], v[126:127], v[124:125] op_sel:[1,1] op_sel_hi:[0,1]
	s_delay_alu instid0(VALU_DEP_1) | instskip(SKIP_1) | instid1(VALU_DEP_2)
	v_pk_fma_f32 v[130:131], v[126:127], v[124:125], v[128:129] op_sel_hi:[1,0,1]
	v_pk_fma_f32 v[124:125], v[126:127], v[124:125], v[128:129] neg_lo:[0,0,1] neg_hi:[0,0,1]
	v_mov_b32_e32 v125, v131
	s_delay_alu instid0(VALU_DEP_1)
	v_pk_add_f32 v[120:121], v[120:121], v[124:125]
	s_and_not1_b32 exec_lo, exec_lo, s0
	s_cbranch_execnz .LBB121_262
; %bb.263:
	s_or_b32 exec_lo, exec_lo, s0
.LBB121_264:
	s_delay_alu instid0(SALU_CYCLE_1) | instskip(SKIP_4) | instid1(VALU_DEP_1)
	s_or_b32 exec_lo, exec_lo, s39
	v_mov_b32_e32 v122, 0
	ds_load_b64 v[122:123], v122 offset:248
	s_wait_dscnt 0x0
	v_pk_mul_f32 v[124:125], v[120:121], v[122:123] op_sel:[1,1] op_sel_hi:[0,1]
	v_pk_fma_f32 v[126:127], v[120:121], v[122:123], v[124:125] op_sel_hi:[1,0,1]
	v_pk_fma_f32 v[120:121], v[120:121], v[122:123], v[124:125] neg_lo:[0,0,1] neg_hi:[0,0,1]
	s_delay_alu instid0(VALU_DEP_2)
	v_mov_b32_e32 v121, v127
	scratch_store_b64 off, v[120:121], off offset:248
.LBB121_265:
	s_wait_xcnt 0x0
	s_or_b32 exec_lo, exec_lo, s38
	scratch_load_b64 v[120:121], off, off offset:240
	v_cmp_lt_u32_e64 s0, 30, v0
	s_wait_loadcnt 0x0
	ds_store_b64 v1, v[120:121]
	s_wait_storecnt_dscnt 0x0
	s_barrier_signal -1
	s_barrier_wait -1
	s_wait_xcnt 0x0
	s_and_saveexec_b32 s37, s0
	s_cbranch_execz .LBB121_275
; %bb.266:
	s_and_not1_b32 vcc_lo, exec_lo, s3
	s_cbranch_vccnz .LBB121_268
; %bb.267:
	scratch_load_b64 v[120:121], v59, off
	ds_load_b64 v[122:123], v1
	s_wait_loadcnt_dscnt 0x0
	v_pk_mul_f32 v[124:125], v[122:123], v[120:121] op_sel:[1,1] op_sel_hi:[0,1]
	s_delay_alu instid0(VALU_DEP_1) | instskip(SKIP_1) | instid1(VALU_DEP_2)
	v_pk_fma_f32 v[126:127], v[122:123], v[120:121], v[124:125] op_sel_hi:[1,0,1]
	v_pk_fma_f32 v[120:121], v[122:123], v[120:121], v[124:125] neg_lo:[0,0,1] neg_hi:[0,0,1]
	v_mov_b32_e32 v121, v127
	s_cbranch_execz .LBB121_269
	s_branch .LBB121_270
.LBB121_268:
                                        ; implicit-def: $vgpr120_vgpr121
.LBB121_269:
	ds_load_b64 v[120:121], v1
.LBB121_270:
	s_and_saveexec_b32 s38, s1
	s_cbranch_execz .LBB121_274
; %bb.271:
	v_subrev_nc_u32_e32 v122, 31, v0
	s_movk_i32 s39, 0x2c8
	s_mov_b32 s1, 0
.LBB121_272:                            ; =>This Inner Loop Header: Depth=1
	scratch_load_b64 v[124:125], off, s36
	v_dual_mov_b32 v123, s39 :: v_dual_add_nc_u32 v122, -1, v122
	s_add_co_i32 s39, s39, 8
	s_wait_xcnt 0x0
	s_add_co_i32 s36, s36, 8
	ds_load_b64 v[126:127], v123
	v_cmp_eq_u32_e32 vcc_lo, 0, v122
	s_or_b32 s1, vcc_lo, s1
	s_wait_loadcnt_dscnt 0x0
	v_pk_mul_f32 v[128:129], v[126:127], v[124:125] op_sel:[1,1] op_sel_hi:[0,1]
	s_delay_alu instid0(VALU_DEP_1) | instskip(SKIP_1) | instid1(VALU_DEP_2)
	v_pk_fma_f32 v[130:131], v[126:127], v[124:125], v[128:129] op_sel_hi:[1,0,1]
	v_pk_fma_f32 v[124:125], v[126:127], v[124:125], v[128:129] neg_lo:[0,0,1] neg_hi:[0,0,1]
	v_mov_b32_e32 v125, v131
	s_delay_alu instid0(VALU_DEP_1)
	v_pk_add_f32 v[120:121], v[120:121], v[124:125]
	s_and_not1_b32 exec_lo, exec_lo, s1
	s_cbranch_execnz .LBB121_272
; %bb.273:
	s_or_b32 exec_lo, exec_lo, s1
.LBB121_274:
	s_delay_alu instid0(SALU_CYCLE_1) | instskip(SKIP_4) | instid1(VALU_DEP_1)
	s_or_b32 exec_lo, exec_lo, s38
	v_mov_b32_e32 v122, 0
	ds_load_b64 v[122:123], v122 offset:240
	s_wait_dscnt 0x0
	v_pk_mul_f32 v[124:125], v[120:121], v[122:123] op_sel:[1,1] op_sel_hi:[0,1]
	v_pk_fma_f32 v[126:127], v[120:121], v[122:123], v[124:125] op_sel_hi:[1,0,1]
	v_pk_fma_f32 v[120:121], v[120:121], v[122:123], v[124:125] neg_lo:[0,0,1] neg_hi:[0,0,1]
	s_delay_alu instid0(VALU_DEP_2)
	v_mov_b32_e32 v121, v127
	scratch_store_b64 off, v[120:121], off offset:240
.LBB121_275:
	s_wait_xcnt 0x0
	s_or_b32 exec_lo, exec_lo, s37
	scratch_load_b64 v[120:121], off, off offset:232
	v_cmp_lt_u32_e64 s1, 29, v0
	s_wait_loadcnt 0x0
	ds_store_b64 v1, v[120:121]
	s_wait_storecnt_dscnt 0x0
	s_barrier_signal -1
	s_barrier_wait -1
	s_wait_xcnt 0x0
	s_and_saveexec_b32 s36, s1
	s_cbranch_execz .LBB121_285
; %bb.276:
	s_and_not1_b32 vcc_lo, exec_lo, s3
	s_cbranch_vccnz .LBB121_278
; %bb.277:
	scratch_load_b64 v[120:121], v59, off
	ds_load_b64 v[122:123], v1
	s_wait_loadcnt_dscnt 0x0
	v_pk_mul_f32 v[124:125], v[122:123], v[120:121] op_sel:[1,1] op_sel_hi:[0,1]
	s_delay_alu instid0(VALU_DEP_1) | instskip(SKIP_1) | instid1(VALU_DEP_2)
	v_pk_fma_f32 v[126:127], v[122:123], v[120:121], v[124:125] op_sel_hi:[1,0,1]
	v_pk_fma_f32 v[120:121], v[122:123], v[120:121], v[124:125] neg_lo:[0,0,1] neg_hi:[0,0,1]
	v_mov_b32_e32 v121, v127
	s_cbranch_execz .LBB121_279
	s_branch .LBB121_280
.LBB121_278:
                                        ; implicit-def: $vgpr120_vgpr121
.LBB121_279:
	ds_load_b64 v[120:121], v1
.LBB121_280:
	s_and_saveexec_b32 s37, s0
	s_cbranch_execz .LBB121_284
; %bb.281:
	v_subrev_nc_u32_e32 v122, 30, v0
	s_movk_i32 s38, 0x2c0
	s_mov_b32 s0, 0
.LBB121_282:                            ; =>This Inner Loop Header: Depth=1
	scratch_load_b64 v[124:125], off, s35
	v_dual_mov_b32 v123, s38 :: v_dual_add_nc_u32 v122, -1, v122
	s_add_co_i32 s38, s38, 8
	s_wait_xcnt 0x0
	s_add_co_i32 s35, s35, 8
	ds_load_b64 v[126:127], v123
	v_cmp_eq_u32_e32 vcc_lo, 0, v122
	s_or_b32 s0, vcc_lo, s0
	s_wait_loadcnt_dscnt 0x0
	v_pk_mul_f32 v[128:129], v[126:127], v[124:125] op_sel:[1,1] op_sel_hi:[0,1]
	s_delay_alu instid0(VALU_DEP_1) | instskip(SKIP_1) | instid1(VALU_DEP_2)
	v_pk_fma_f32 v[130:131], v[126:127], v[124:125], v[128:129] op_sel_hi:[1,0,1]
	v_pk_fma_f32 v[124:125], v[126:127], v[124:125], v[128:129] neg_lo:[0,0,1] neg_hi:[0,0,1]
	v_mov_b32_e32 v125, v131
	s_delay_alu instid0(VALU_DEP_1)
	v_pk_add_f32 v[120:121], v[120:121], v[124:125]
	s_and_not1_b32 exec_lo, exec_lo, s0
	s_cbranch_execnz .LBB121_282
; %bb.283:
	s_or_b32 exec_lo, exec_lo, s0
.LBB121_284:
	s_delay_alu instid0(SALU_CYCLE_1) | instskip(SKIP_4) | instid1(VALU_DEP_1)
	s_or_b32 exec_lo, exec_lo, s37
	v_mov_b32_e32 v122, 0
	ds_load_b64 v[122:123], v122 offset:232
	s_wait_dscnt 0x0
	v_pk_mul_f32 v[124:125], v[120:121], v[122:123] op_sel:[1,1] op_sel_hi:[0,1]
	v_pk_fma_f32 v[126:127], v[120:121], v[122:123], v[124:125] op_sel_hi:[1,0,1]
	v_pk_fma_f32 v[120:121], v[120:121], v[122:123], v[124:125] neg_lo:[0,0,1] neg_hi:[0,0,1]
	s_delay_alu instid0(VALU_DEP_2)
	v_mov_b32_e32 v121, v127
	scratch_store_b64 off, v[120:121], off offset:232
.LBB121_285:
	s_wait_xcnt 0x0
	s_or_b32 exec_lo, exec_lo, s36
	scratch_load_b64 v[120:121], off, off offset:224
	v_cmp_lt_u32_e64 s0, 28, v0
	s_wait_loadcnt 0x0
	ds_store_b64 v1, v[120:121]
	s_wait_storecnt_dscnt 0x0
	s_barrier_signal -1
	s_barrier_wait -1
	s_wait_xcnt 0x0
	s_and_saveexec_b32 s35, s0
	s_cbranch_execz .LBB121_295
; %bb.286:
	s_and_not1_b32 vcc_lo, exec_lo, s3
	s_cbranch_vccnz .LBB121_288
; %bb.287:
	scratch_load_b64 v[120:121], v59, off
	ds_load_b64 v[122:123], v1
	s_wait_loadcnt_dscnt 0x0
	v_pk_mul_f32 v[124:125], v[122:123], v[120:121] op_sel:[1,1] op_sel_hi:[0,1]
	s_delay_alu instid0(VALU_DEP_1) | instskip(SKIP_1) | instid1(VALU_DEP_2)
	v_pk_fma_f32 v[126:127], v[122:123], v[120:121], v[124:125] op_sel_hi:[1,0,1]
	v_pk_fma_f32 v[120:121], v[122:123], v[120:121], v[124:125] neg_lo:[0,0,1] neg_hi:[0,0,1]
	v_mov_b32_e32 v121, v127
	s_cbranch_execz .LBB121_289
	s_branch .LBB121_290
.LBB121_288:
                                        ; implicit-def: $vgpr120_vgpr121
.LBB121_289:
	ds_load_b64 v[120:121], v1
.LBB121_290:
	s_and_saveexec_b32 s36, s1
	s_cbranch_execz .LBB121_294
; %bb.291:
	v_subrev_nc_u32_e32 v122, 29, v0
	s_movk_i32 s37, 0x2b8
	s_mov_b32 s1, 0
.LBB121_292:                            ; =>This Inner Loop Header: Depth=1
	scratch_load_b64 v[124:125], off, s34
	v_dual_mov_b32 v123, s37 :: v_dual_add_nc_u32 v122, -1, v122
	s_add_co_i32 s37, s37, 8
	s_wait_xcnt 0x0
	s_add_co_i32 s34, s34, 8
	ds_load_b64 v[126:127], v123
	v_cmp_eq_u32_e32 vcc_lo, 0, v122
	s_or_b32 s1, vcc_lo, s1
	s_wait_loadcnt_dscnt 0x0
	v_pk_mul_f32 v[128:129], v[126:127], v[124:125] op_sel:[1,1] op_sel_hi:[0,1]
	s_delay_alu instid0(VALU_DEP_1) | instskip(SKIP_1) | instid1(VALU_DEP_2)
	v_pk_fma_f32 v[130:131], v[126:127], v[124:125], v[128:129] op_sel_hi:[1,0,1]
	v_pk_fma_f32 v[124:125], v[126:127], v[124:125], v[128:129] neg_lo:[0,0,1] neg_hi:[0,0,1]
	v_mov_b32_e32 v125, v131
	s_delay_alu instid0(VALU_DEP_1)
	v_pk_add_f32 v[120:121], v[120:121], v[124:125]
	s_and_not1_b32 exec_lo, exec_lo, s1
	s_cbranch_execnz .LBB121_292
; %bb.293:
	s_or_b32 exec_lo, exec_lo, s1
.LBB121_294:
	s_delay_alu instid0(SALU_CYCLE_1) | instskip(SKIP_4) | instid1(VALU_DEP_1)
	s_or_b32 exec_lo, exec_lo, s36
	v_mov_b32_e32 v122, 0
	ds_load_b64 v[122:123], v122 offset:224
	s_wait_dscnt 0x0
	v_pk_mul_f32 v[124:125], v[120:121], v[122:123] op_sel:[1,1] op_sel_hi:[0,1]
	v_pk_fma_f32 v[126:127], v[120:121], v[122:123], v[124:125] op_sel_hi:[1,0,1]
	v_pk_fma_f32 v[120:121], v[120:121], v[122:123], v[124:125] neg_lo:[0,0,1] neg_hi:[0,0,1]
	s_delay_alu instid0(VALU_DEP_2)
	v_mov_b32_e32 v121, v127
	scratch_store_b64 off, v[120:121], off offset:224
.LBB121_295:
	s_wait_xcnt 0x0
	s_or_b32 exec_lo, exec_lo, s35
	scratch_load_b64 v[120:121], off, off offset:216
	v_cmp_lt_u32_e64 s1, 27, v0
	s_wait_loadcnt 0x0
	ds_store_b64 v1, v[120:121]
	s_wait_storecnt_dscnt 0x0
	s_barrier_signal -1
	s_barrier_wait -1
	s_wait_xcnt 0x0
	s_and_saveexec_b32 s34, s1
	s_cbranch_execz .LBB121_305
; %bb.296:
	s_and_not1_b32 vcc_lo, exec_lo, s3
	s_cbranch_vccnz .LBB121_298
; %bb.297:
	scratch_load_b64 v[120:121], v59, off
	ds_load_b64 v[122:123], v1
	s_wait_loadcnt_dscnt 0x0
	v_pk_mul_f32 v[124:125], v[122:123], v[120:121] op_sel:[1,1] op_sel_hi:[0,1]
	s_delay_alu instid0(VALU_DEP_1) | instskip(SKIP_1) | instid1(VALU_DEP_2)
	v_pk_fma_f32 v[126:127], v[122:123], v[120:121], v[124:125] op_sel_hi:[1,0,1]
	v_pk_fma_f32 v[120:121], v[122:123], v[120:121], v[124:125] neg_lo:[0,0,1] neg_hi:[0,0,1]
	v_mov_b32_e32 v121, v127
	s_cbranch_execz .LBB121_299
	s_branch .LBB121_300
.LBB121_298:
                                        ; implicit-def: $vgpr120_vgpr121
.LBB121_299:
	ds_load_b64 v[120:121], v1
.LBB121_300:
	s_and_saveexec_b32 s35, s0
	s_cbranch_execz .LBB121_304
; %bb.301:
	v_subrev_nc_u32_e32 v122, 28, v0
	s_movk_i32 s36, 0x2b0
	s_mov_b32 s0, 0
.LBB121_302:                            ; =>This Inner Loop Header: Depth=1
	scratch_load_b64 v[124:125], off, s33
	v_dual_mov_b32 v123, s36 :: v_dual_add_nc_u32 v122, -1, v122
	s_add_co_i32 s36, s36, 8
	s_wait_xcnt 0x0
	s_add_co_i32 s33, s33, 8
	ds_load_b64 v[126:127], v123
	v_cmp_eq_u32_e32 vcc_lo, 0, v122
	s_or_b32 s0, vcc_lo, s0
	s_wait_loadcnt_dscnt 0x0
	v_pk_mul_f32 v[128:129], v[126:127], v[124:125] op_sel:[1,1] op_sel_hi:[0,1]
	s_delay_alu instid0(VALU_DEP_1) | instskip(SKIP_1) | instid1(VALU_DEP_2)
	v_pk_fma_f32 v[130:131], v[126:127], v[124:125], v[128:129] op_sel_hi:[1,0,1]
	v_pk_fma_f32 v[124:125], v[126:127], v[124:125], v[128:129] neg_lo:[0,0,1] neg_hi:[0,0,1]
	v_mov_b32_e32 v125, v131
	s_delay_alu instid0(VALU_DEP_1)
	v_pk_add_f32 v[120:121], v[120:121], v[124:125]
	s_and_not1_b32 exec_lo, exec_lo, s0
	s_cbranch_execnz .LBB121_302
; %bb.303:
	s_or_b32 exec_lo, exec_lo, s0
.LBB121_304:
	s_delay_alu instid0(SALU_CYCLE_1) | instskip(SKIP_4) | instid1(VALU_DEP_1)
	s_or_b32 exec_lo, exec_lo, s35
	v_mov_b32_e32 v122, 0
	ds_load_b64 v[122:123], v122 offset:216
	s_wait_dscnt 0x0
	v_pk_mul_f32 v[124:125], v[120:121], v[122:123] op_sel:[1,1] op_sel_hi:[0,1]
	v_pk_fma_f32 v[126:127], v[120:121], v[122:123], v[124:125] op_sel_hi:[1,0,1]
	v_pk_fma_f32 v[120:121], v[120:121], v[122:123], v[124:125] neg_lo:[0,0,1] neg_hi:[0,0,1]
	s_delay_alu instid0(VALU_DEP_2)
	v_mov_b32_e32 v121, v127
	scratch_store_b64 off, v[120:121], off offset:216
.LBB121_305:
	s_wait_xcnt 0x0
	s_or_b32 exec_lo, exec_lo, s34
	scratch_load_b64 v[120:121], off, off offset:208
	v_cmp_lt_u32_e64 s0, 26, v0
	s_wait_loadcnt 0x0
	ds_store_b64 v1, v[120:121]
	s_wait_storecnt_dscnt 0x0
	s_barrier_signal -1
	s_barrier_wait -1
	s_wait_xcnt 0x0
	s_and_saveexec_b32 s33, s0
	s_cbranch_execz .LBB121_315
; %bb.306:
	s_and_not1_b32 vcc_lo, exec_lo, s3
	s_cbranch_vccnz .LBB121_308
; %bb.307:
	scratch_load_b64 v[120:121], v59, off
	ds_load_b64 v[122:123], v1
	s_wait_loadcnt_dscnt 0x0
	v_pk_mul_f32 v[124:125], v[122:123], v[120:121] op_sel:[1,1] op_sel_hi:[0,1]
	s_delay_alu instid0(VALU_DEP_1) | instskip(SKIP_1) | instid1(VALU_DEP_2)
	v_pk_fma_f32 v[126:127], v[122:123], v[120:121], v[124:125] op_sel_hi:[1,0,1]
	v_pk_fma_f32 v[120:121], v[122:123], v[120:121], v[124:125] neg_lo:[0,0,1] neg_hi:[0,0,1]
	v_mov_b32_e32 v121, v127
	s_cbranch_execz .LBB121_309
	s_branch .LBB121_310
.LBB121_308:
                                        ; implicit-def: $vgpr120_vgpr121
.LBB121_309:
	ds_load_b64 v[120:121], v1
.LBB121_310:
	s_and_saveexec_b32 s34, s1
	s_cbranch_execz .LBB121_314
; %bb.311:
	v_subrev_nc_u32_e32 v122, 27, v0
	s_movk_i32 s35, 0x2a8
	s_mov_b32 s1, 0
.LBB121_312:                            ; =>This Inner Loop Header: Depth=1
	scratch_load_b64 v[124:125], off, s31
	v_dual_mov_b32 v123, s35 :: v_dual_add_nc_u32 v122, -1, v122
	s_add_co_i32 s35, s35, 8
	s_wait_xcnt 0x0
	s_add_co_i32 s31, s31, 8
	ds_load_b64 v[126:127], v123
	v_cmp_eq_u32_e32 vcc_lo, 0, v122
	s_or_b32 s1, vcc_lo, s1
	s_wait_loadcnt_dscnt 0x0
	v_pk_mul_f32 v[128:129], v[126:127], v[124:125] op_sel:[1,1] op_sel_hi:[0,1]
	s_delay_alu instid0(VALU_DEP_1) | instskip(SKIP_1) | instid1(VALU_DEP_2)
	v_pk_fma_f32 v[130:131], v[126:127], v[124:125], v[128:129] op_sel_hi:[1,0,1]
	v_pk_fma_f32 v[124:125], v[126:127], v[124:125], v[128:129] neg_lo:[0,0,1] neg_hi:[0,0,1]
	v_mov_b32_e32 v125, v131
	s_delay_alu instid0(VALU_DEP_1)
	v_pk_add_f32 v[120:121], v[120:121], v[124:125]
	s_and_not1_b32 exec_lo, exec_lo, s1
	s_cbranch_execnz .LBB121_312
; %bb.313:
	s_or_b32 exec_lo, exec_lo, s1
.LBB121_314:
	s_delay_alu instid0(SALU_CYCLE_1) | instskip(SKIP_4) | instid1(VALU_DEP_1)
	s_or_b32 exec_lo, exec_lo, s34
	v_mov_b32_e32 v122, 0
	ds_load_b64 v[122:123], v122 offset:208
	s_wait_dscnt 0x0
	v_pk_mul_f32 v[124:125], v[120:121], v[122:123] op_sel:[1,1] op_sel_hi:[0,1]
	v_pk_fma_f32 v[126:127], v[120:121], v[122:123], v[124:125] op_sel_hi:[1,0,1]
	v_pk_fma_f32 v[120:121], v[120:121], v[122:123], v[124:125] neg_lo:[0,0,1] neg_hi:[0,0,1]
	s_delay_alu instid0(VALU_DEP_2)
	v_mov_b32_e32 v121, v127
	scratch_store_b64 off, v[120:121], off offset:208
.LBB121_315:
	s_wait_xcnt 0x0
	s_or_b32 exec_lo, exec_lo, s33
	scratch_load_b64 v[120:121], off, off offset:200
	v_cmp_lt_u32_e64 s1, 25, v0
	s_wait_loadcnt 0x0
	ds_store_b64 v1, v[120:121]
	s_wait_storecnt_dscnt 0x0
	s_barrier_signal -1
	s_barrier_wait -1
	s_wait_xcnt 0x0
	s_and_saveexec_b32 s31, s1
	s_cbranch_execz .LBB121_325
; %bb.316:
	s_and_not1_b32 vcc_lo, exec_lo, s3
	s_cbranch_vccnz .LBB121_318
; %bb.317:
	scratch_load_b64 v[120:121], v59, off
	ds_load_b64 v[122:123], v1
	s_wait_loadcnt_dscnt 0x0
	v_pk_mul_f32 v[124:125], v[122:123], v[120:121] op_sel:[1,1] op_sel_hi:[0,1]
	s_delay_alu instid0(VALU_DEP_1) | instskip(SKIP_1) | instid1(VALU_DEP_2)
	v_pk_fma_f32 v[126:127], v[122:123], v[120:121], v[124:125] op_sel_hi:[1,0,1]
	v_pk_fma_f32 v[120:121], v[122:123], v[120:121], v[124:125] neg_lo:[0,0,1] neg_hi:[0,0,1]
	v_mov_b32_e32 v121, v127
	s_cbranch_execz .LBB121_319
	s_branch .LBB121_320
.LBB121_318:
                                        ; implicit-def: $vgpr120_vgpr121
.LBB121_319:
	ds_load_b64 v[120:121], v1
.LBB121_320:
	s_and_saveexec_b32 s33, s0
	s_cbranch_execz .LBB121_324
; %bb.321:
	v_subrev_nc_u32_e32 v122, 26, v0
	s_movk_i32 s34, 0x2a0
	s_mov_b32 s0, 0
.LBB121_322:                            ; =>This Inner Loop Header: Depth=1
	scratch_load_b64 v[124:125], off, s30
	v_dual_mov_b32 v123, s34 :: v_dual_add_nc_u32 v122, -1, v122
	s_add_co_i32 s34, s34, 8
	s_wait_xcnt 0x0
	s_add_co_i32 s30, s30, 8
	ds_load_b64 v[126:127], v123
	v_cmp_eq_u32_e32 vcc_lo, 0, v122
	s_or_b32 s0, vcc_lo, s0
	s_wait_loadcnt_dscnt 0x0
	v_pk_mul_f32 v[128:129], v[126:127], v[124:125] op_sel:[1,1] op_sel_hi:[0,1]
	s_delay_alu instid0(VALU_DEP_1) | instskip(SKIP_1) | instid1(VALU_DEP_2)
	v_pk_fma_f32 v[130:131], v[126:127], v[124:125], v[128:129] op_sel_hi:[1,0,1]
	v_pk_fma_f32 v[124:125], v[126:127], v[124:125], v[128:129] neg_lo:[0,0,1] neg_hi:[0,0,1]
	v_mov_b32_e32 v125, v131
	s_delay_alu instid0(VALU_DEP_1)
	v_pk_add_f32 v[120:121], v[120:121], v[124:125]
	s_and_not1_b32 exec_lo, exec_lo, s0
	s_cbranch_execnz .LBB121_322
; %bb.323:
	s_or_b32 exec_lo, exec_lo, s0
.LBB121_324:
	s_delay_alu instid0(SALU_CYCLE_1) | instskip(SKIP_4) | instid1(VALU_DEP_1)
	s_or_b32 exec_lo, exec_lo, s33
	v_mov_b32_e32 v122, 0
	ds_load_b64 v[122:123], v122 offset:200
	s_wait_dscnt 0x0
	v_pk_mul_f32 v[124:125], v[120:121], v[122:123] op_sel:[1,1] op_sel_hi:[0,1]
	v_pk_fma_f32 v[126:127], v[120:121], v[122:123], v[124:125] op_sel_hi:[1,0,1]
	v_pk_fma_f32 v[120:121], v[120:121], v[122:123], v[124:125] neg_lo:[0,0,1] neg_hi:[0,0,1]
	s_delay_alu instid0(VALU_DEP_2)
	v_mov_b32_e32 v121, v127
	scratch_store_b64 off, v[120:121], off offset:200
.LBB121_325:
	s_wait_xcnt 0x0
	s_or_b32 exec_lo, exec_lo, s31
	scratch_load_b64 v[120:121], off, off offset:192
	v_cmp_lt_u32_e64 s0, 24, v0
	s_wait_loadcnt 0x0
	ds_store_b64 v1, v[120:121]
	s_wait_storecnt_dscnt 0x0
	s_barrier_signal -1
	s_barrier_wait -1
	s_wait_xcnt 0x0
	s_and_saveexec_b32 s30, s0
	s_cbranch_execz .LBB121_335
; %bb.326:
	s_and_not1_b32 vcc_lo, exec_lo, s3
	s_cbranch_vccnz .LBB121_328
; %bb.327:
	scratch_load_b64 v[120:121], v59, off
	ds_load_b64 v[122:123], v1
	s_wait_loadcnt_dscnt 0x0
	v_pk_mul_f32 v[124:125], v[122:123], v[120:121] op_sel:[1,1] op_sel_hi:[0,1]
	s_delay_alu instid0(VALU_DEP_1) | instskip(SKIP_1) | instid1(VALU_DEP_2)
	v_pk_fma_f32 v[126:127], v[122:123], v[120:121], v[124:125] op_sel_hi:[1,0,1]
	v_pk_fma_f32 v[120:121], v[122:123], v[120:121], v[124:125] neg_lo:[0,0,1] neg_hi:[0,0,1]
	v_mov_b32_e32 v121, v127
	s_cbranch_execz .LBB121_329
	s_branch .LBB121_330
.LBB121_328:
                                        ; implicit-def: $vgpr120_vgpr121
.LBB121_329:
	ds_load_b64 v[120:121], v1
.LBB121_330:
	s_and_saveexec_b32 s31, s1
	s_cbranch_execz .LBB121_334
; %bb.331:
	v_subrev_nc_u32_e32 v122, 25, v0
	s_movk_i32 s33, 0x298
	s_mov_b32 s1, 0
.LBB121_332:                            ; =>This Inner Loop Header: Depth=1
	scratch_load_b64 v[124:125], off, s29
	v_dual_mov_b32 v123, s33 :: v_dual_add_nc_u32 v122, -1, v122
	s_add_co_i32 s33, s33, 8
	s_wait_xcnt 0x0
	s_add_co_i32 s29, s29, 8
	ds_load_b64 v[126:127], v123
	v_cmp_eq_u32_e32 vcc_lo, 0, v122
	s_or_b32 s1, vcc_lo, s1
	s_wait_loadcnt_dscnt 0x0
	v_pk_mul_f32 v[128:129], v[126:127], v[124:125] op_sel:[1,1] op_sel_hi:[0,1]
	s_delay_alu instid0(VALU_DEP_1) | instskip(SKIP_1) | instid1(VALU_DEP_2)
	v_pk_fma_f32 v[130:131], v[126:127], v[124:125], v[128:129] op_sel_hi:[1,0,1]
	v_pk_fma_f32 v[124:125], v[126:127], v[124:125], v[128:129] neg_lo:[0,0,1] neg_hi:[0,0,1]
	v_mov_b32_e32 v125, v131
	s_delay_alu instid0(VALU_DEP_1)
	v_pk_add_f32 v[120:121], v[120:121], v[124:125]
	s_and_not1_b32 exec_lo, exec_lo, s1
	s_cbranch_execnz .LBB121_332
; %bb.333:
	s_or_b32 exec_lo, exec_lo, s1
.LBB121_334:
	s_delay_alu instid0(SALU_CYCLE_1) | instskip(SKIP_4) | instid1(VALU_DEP_1)
	s_or_b32 exec_lo, exec_lo, s31
	v_mov_b32_e32 v122, 0
	ds_load_b64 v[122:123], v122 offset:192
	s_wait_dscnt 0x0
	v_pk_mul_f32 v[124:125], v[120:121], v[122:123] op_sel:[1,1] op_sel_hi:[0,1]
	v_pk_fma_f32 v[126:127], v[120:121], v[122:123], v[124:125] op_sel_hi:[1,0,1]
	v_pk_fma_f32 v[120:121], v[120:121], v[122:123], v[124:125] neg_lo:[0,0,1] neg_hi:[0,0,1]
	s_delay_alu instid0(VALU_DEP_2)
	v_mov_b32_e32 v121, v127
	scratch_store_b64 off, v[120:121], off offset:192
.LBB121_335:
	s_wait_xcnt 0x0
	s_or_b32 exec_lo, exec_lo, s30
	scratch_load_b64 v[120:121], off, off offset:184
	v_cmp_lt_u32_e64 s1, 23, v0
	s_wait_loadcnt 0x0
	ds_store_b64 v1, v[120:121]
	s_wait_storecnt_dscnt 0x0
	s_barrier_signal -1
	s_barrier_wait -1
	s_wait_xcnt 0x0
	s_and_saveexec_b32 s29, s1
	s_cbranch_execz .LBB121_345
; %bb.336:
	s_and_not1_b32 vcc_lo, exec_lo, s3
	s_cbranch_vccnz .LBB121_338
; %bb.337:
	scratch_load_b64 v[120:121], v59, off
	ds_load_b64 v[122:123], v1
	s_wait_loadcnt_dscnt 0x0
	v_pk_mul_f32 v[124:125], v[122:123], v[120:121] op_sel:[1,1] op_sel_hi:[0,1]
	s_delay_alu instid0(VALU_DEP_1) | instskip(SKIP_1) | instid1(VALU_DEP_2)
	v_pk_fma_f32 v[126:127], v[122:123], v[120:121], v[124:125] op_sel_hi:[1,0,1]
	v_pk_fma_f32 v[120:121], v[122:123], v[120:121], v[124:125] neg_lo:[0,0,1] neg_hi:[0,0,1]
	v_mov_b32_e32 v121, v127
	s_cbranch_execz .LBB121_339
	s_branch .LBB121_340
.LBB121_338:
                                        ; implicit-def: $vgpr120_vgpr121
.LBB121_339:
	ds_load_b64 v[120:121], v1
.LBB121_340:
	s_and_saveexec_b32 s30, s0
	s_cbranch_execz .LBB121_344
; %bb.341:
	v_subrev_nc_u32_e32 v122, 24, v0
	s_movk_i32 s31, 0x290
	s_mov_b32 s0, 0
.LBB121_342:                            ; =>This Inner Loop Header: Depth=1
	scratch_load_b64 v[124:125], off, s28
	v_dual_mov_b32 v123, s31 :: v_dual_add_nc_u32 v122, -1, v122
	s_add_co_i32 s31, s31, 8
	s_wait_xcnt 0x0
	s_add_co_i32 s28, s28, 8
	ds_load_b64 v[126:127], v123
	v_cmp_eq_u32_e32 vcc_lo, 0, v122
	s_or_b32 s0, vcc_lo, s0
	s_wait_loadcnt_dscnt 0x0
	v_pk_mul_f32 v[128:129], v[126:127], v[124:125] op_sel:[1,1] op_sel_hi:[0,1]
	s_delay_alu instid0(VALU_DEP_1) | instskip(SKIP_1) | instid1(VALU_DEP_2)
	v_pk_fma_f32 v[130:131], v[126:127], v[124:125], v[128:129] op_sel_hi:[1,0,1]
	v_pk_fma_f32 v[124:125], v[126:127], v[124:125], v[128:129] neg_lo:[0,0,1] neg_hi:[0,0,1]
	v_mov_b32_e32 v125, v131
	s_delay_alu instid0(VALU_DEP_1)
	v_pk_add_f32 v[120:121], v[120:121], v[124:125]
	s_and_not1_b32 exec_lo, exec_lo, s0
	s_cbranch_execnz .LBB121_342
; %bb.343:
	s_or_b32 exec_lo, exec_lo, s0
.LBB121_344:
	s_delay_alu instid0(SALU_CYCLE_1) | instskip(SKIP_4) | instid1(VALU_DEP_1)
	s_or_b32 exec_lo, exec_lo, s30
	v_mov_b32_e32 v122, 0
	ds_load_b64 v[122:123], v122 offset:184
	s_wait_dscnt 0x0
	v_pk_mul_f32 v[124:125], v[120:121], v[122:123] op_sel:[1,1] op_sel_hi:[0,1]
	v_pk_fma_f32 v[126:127], v[120:121], v[122:123], v[124:125] op_sel_hi:[1,0,1]
	v_pk_fma_f32 v[120:121], v[120:121], v[122:123], v[124:125] neg_lo:[0,0,1] neg_hi:[0,0,1]
	s_delay_alu instid0(VALU_DEP_2)
	v_mov_b32_e32 v121, v127
	scratch_store_b64 off, v[120:121], off offset:184
.LBB121_345:
	s_wait_xcnt 0x0
	s_or_b32 exec_lo, exec_lo, s29
	scratch_load_b64 v[120:121], off, off offset:176
	v_cmp_lt_u32_e64 s0, 22, v0
	s_wait_loadcnt 0x0
	ds_store_b64 v1, v[120:121]
	s_wait_storecnt_dscnt 0x0
	s_barrier_signal -1
	s_barrier_wait -1
	s_wait_xcnt 0x0
	s_and_saveexec_b32 s28, s0
	s_cbranch_execz .LBB121_355
; %bb.346:
	s_and_not1_b32 vcc_lo, exec_lo, s3
	s_cbranch_vccnz .LBB121_348
; %bb.347:
	scratch_load_b64 v[120:121], v59, off
	ds_load_b64 v[122:123], v1
	s_wait_loadcnt_dscnt 0x0
	v_pk_mul_f32 v[124:125], v[122:123], v[120:121] op_sel:[1,1] op_sel_hi:[0,1]
	s_delay_alu instid0(VALU_DEP_1) | instskip(SKIP_1) | instid1(VALU_DEP_2)
	v_pk_fma_f32 v[126:127], v[122:123], v[120:121], v[124:125] op_sel_hi:[1,0,1]
	v_pk_fma_f32 v[120:121], v[122:123], v[120:121], v[124:125] neg_lo:[0,0,1] neg_hi:[0,0,1]
	v_mov_b32_e32 v121, v127
	s_cbranch_execz .LBB121_349
	s_branch .LBB121_350
.LBB121_348:
                                        ; implicit-def: $vgpr120_vgpr121
.LBB121_349:
	ds_load_b64 v[120:121], v1
.LBB121_350:
	s_and_saveexec_b32 s29, s1
	s_cbranch_execz .LBB121_354
; %bb.351:
	v_subrev_nc_u32_e32 v122, 23, v0
	s_movk_i32 s30, 0x288
	s_mov_b32 s1, 0
.LBB121_352:                            ; =>This Inner Loop Header: Depth=1
	scratch_load_b64 v[124:125], off, s27
	v_dual_mov_b32 v123, s30 :: v_dual_add_nc_u32 v122, -1, v122
	s_add_co_i32 s30, s30, 8
	s_wait_xcnt 0x0
	s_add_co_i32 s27, s27, 8
	ds_load_b64 v[126:127], v123
	v_cmp_eq_u32_e32 vcc_lo, 0, v122
	s_or_b32 s1, vcc_lo, s1
	s_wait_loadcnt_dscnt 0x0
	v_pk_mul_f32 v[128:129], v[126:127], v[124:125] op_sel:[1,1] op_sel_hi:[0,1]
	s_delay_alu instid0(VALU_DEP_1) | instskip(SKIP_1) | instid1(VALU_DEP_2)
	v_pk_fma_f32 v[130:131], v[126:127], v[124:125], v[128:129] op_sel_hi:[1,0,1]
	v_pk_fma_f32 v[124:125], v[126:127], v[124:125], v[128:129] neg_lo:[0,0,1] neg_hi:[0,0,1]
	v_mov_b32_e32 v125, v131
	s_delay_alu instid0(VALU_DEP_1)
	v_pk_add_f32 v[120:121], v[120:121], v[124:125]
	s_and_not1_b32 exec_lo, exec_lo, s1
	s_cbranch_execnz .LBB121_352
; %bb.353:
	s_or_b32 exec_lo, exec_lo, s1
.LBB121_354:
	s_delay_alu instid0(SALU_CYCLE_1) | instskip(SKIP_4) | instid1(VALU_DEP_1)
	s_or_b32 exec_lo, exec_lo, s29
	v_mov_b32_e32 v122, 0
	ds_load_b64 v[122:123], v122 offset:176
	s_wait_dscnt 0x0
	v_pk_mul_f32 v[124:125], v[120:121], v[122:123] op_sel:[1,1] op_sel_hi:[0,1]
	v_pk_fma_f32 v[126:127], v[120:121], v[122:123], v[124:125] op_sel_hi:[1,0,1]
	v_pk_fma_f32 v[120:121], v[120:121], v[122:123], v[124:125] neg_lo:[0,0,1] neg_hi:[0,0,1]
	s_delay_alu instid0(VALU_DEP_2)
	v_mov_b32_e32 v121, v127
	scratch_store_b64 off, v[120:121], off offset:176
.LBB121_355:
	s_wait_xcnt 0x0
	s_or_b32 exec_lo, exec_lo, s28
	scratch_load_b64 v[120:121], off, off offset:168
	v_cmp_lt_u32_e64 s1, 21, v0
	s_wait_loadcnt 0x0
	ds_store_b64 v1, v[120:121]
	s_wait_storecnt_dscnt 0x0
	s_barrier_signal -1
	s_barrier_wait -1
	s_wait_xcnt 0x0
	s_and_saveexec_b32 s27, s1
	s_cbranch_execz .LBB121_365
; %bb.356:
	s_and_not1_b32 vcc_lo, exec_lo, s3
	s_cbranch_vccnz .LBB121_358
; %bb.357:
	scratch_load_b64 v[120:121], v59, off
	ds_load_b64 v[122:123], v1
	s_wait_loadcnt_dscnt 0x0
	v_pk_mul_f32 v[124:125], v[122:123], v[120:121] op_sel:[1,1] op_sel_hi:[0,1]
	s_delay_alu instid0(VALU_DEP_1) | instskip(SKIP_1) | instid1(VALU_DEP_2)
	v_pk_fma_f32 v[126:127], v[122:123], v[120:121], v[124:125] op_sel_hi:[1,0,1]
	v_pk_fma_f32 v[120:121], v[122:123], v[120:121], v[124:125] neg_lo:[0,0,1] neg_hi:[0,0,1]
	v_mov_b32_e32 v121, v127
	s_cbranch_execz .LBB121_359
	s_branch .LBB121_360
.LBB121_358:
                                        ; implicit-def: $vgpr120_vgpr121
.LBB121_359:
	ds_load_b64 v[120:121], v1
.LBB121_360:
	s_and_saveexec_b32 s28, s0
	s_cbranch_execz .LBB121_364
; %bb.361:
	v_subrev_nc_u32_e32 v122, 22, v0
	s_movk_i32 s29, 0x280
	s_mov_b32 s0, 0
.LBB121_362:                            ; =>This Inner Loop Header: Depth=1
	scratch_load_b64 v[124:125], off, s26
	v_dual_mov_b32 v123, s29 :: v_dual_add_nc_u32 v122, -1, v122
	s_add_co_i32 s29, s29, 8
	s_wait_xcnt 0x0
	s_add_co_i32 s26, s26, 8
	ds_load_b64 v[126:127], v123
	v_cmp_eq_u32_e32 vcc_lo, 0, v122
	s_or_b32 s0, vcc_lo, s0
	s_wait_loadcnt_dscnt 0x0
	v_pk_mul_f32 v[128:129], v[126:127], v[124:125] op_sel:[1,1] op_sel_hi:[0,1]
	s_delay_alu instid0(VALU_DEP_1) | instskip(SKIP_1) | instid1(VALU_DEP_2)
	v_pk_fma_f32 v[130:131], v[126:127], v[124:125], v[128:129] op_sel_hi:[1,0,1]
	v_pk_fma_f32 v[124:125], v[126:127], v[124:125], v[128:129] neg_lo:[0,0,1] neg_hi:[0,0,1]
	v_mov_b32_e32 v125, v131
	s_delay_alu instid0(VALU_DEP_1)
	v_pk_add_f32 v[120:121], v[120:121], v[124:125]
	s_and_not1_b32 exec_lo, exec_lo, s0
	s_cbranch_execnz .LBB121_362
; %bb.363:
	s_or_b32 exec_lo, exec_lo, s0
.LBB121_364:
	s_delay_alu instid0(SALU_CYCLE_1) | instskip(SKIP_4) | instid1(VALU_DEP_1)
	s_or_b32 exec_lo, exec_lo, s28
	v_mov_b32_e32 v122, 0
	ds_load_b64 v[122:123], v122 offset:168
	s_wait_dscnt 0x0
	v_pk_mul_f32 v[124:125], v[120:121], v[122:123] op_sel:[1,1] op_sel_hi:[0,1]
	v_pk_fma_f32 v[126:127], v[120:121], v[122:123], v[124:125] op_sel_hi:[1,0,1]
	v_pk_fma_f32 v[120:121], v[120:121], v[122:123], v[124:125] neg_lo:[0,0,1] neg_hi:[0,0,1]
	s_delay_alu instid0(VALU_DEP_2)
	v_mov_b32_e32 v121, v127
	scratch_store_b64 off, v[120:121], off offset:168
.LBB121_365:
	s_wait_xcnt 0x0
	s_or_b32 exec_lo, exec_lo, s27
	scratch_load_b64 v[120:121], off, off offset:160
	v_cmp_lt_u32_e64 s0, 20, v0
	s_wait_loadcnt 0x0
	ds_store_b64 v1, v[120:121]
	s_wait_storecnt_dscnt 0x0
	s_barrier_signal -1
	s_barrier_wait -1
	s_wait_xcnt 0x0
	s_and_saveexec_b32 s26, s0
	s_cbranch_execz .LBB121_375
; %bb.366:
	s_and_not1_b32 vcc_lo, exec_lo, s3
	s_cbranch_vccnz .LBB121_368
; %bb.367:
	scratch_load_b64 v[120:121], v59, off
	ds_load_b64 v[122:123], v1
	s_wait_loadcnt_dscnt 0x0
	v_pk_mul_f32 v[124:125], v[122:123], v[120:121] op_sel:[1,1] op_sel_hi:[0,1]
	s_delay_alu instid0(VALU_DEP_1) | instskip(SKIP_1) | instid1(VALU_DEP_2)
	v_pk_fma_f32 v[126:127], v[122:123], v[120:121], v[124:125] op_sel_hi:[1,0,1]
	v_pk_fma_f32 v[120:121], v[122:123], v[120:121], v[124:125] neg_lo:[0,0,1] neg_hi:[0,0,1]
	v_mov_b32_e32 v121, v127
	s_cbranch_execz .LBB121_369
	s_branch .LBB121_370
.LBB121_368:
                                        ; implicit-def: $vgpr120_vgpr121
.LBB121_369:
	ds_load_b64 v[120:121], v1
.LBB121_370:
	s_and_saveexec_b32 s27, s1
	s_cbranch_execz .LBB121_374
; %bb.371:
	v_subrev_nc_u32_e32 v122, 21, v0
	s_movk_i32 s28, 0x278
	s_mov_b32 s1, 0
.LBB121_372:                            ; =>This Inner Loop Header: Depth=1
	scratch_load_b64 v[124:125], off, s25
	v_dual_mov_b32 v123, s28 :: v_dual_add_nc_u32 v122, -1, v122
	s_add_co_i32 s28, s28, 8
	s_wait_xcnt 0x0
	s_add_co_i32 s25, s25, 8
	ds_load_b64 v[126:127], v123
	v_cmp_eq_u32_e32 vcc_lo, 0, v122
	s_or_b32 s1, vcc_lo, s1
	s_wait_loadcnt_dscnt 0x0
	v_pk_mul_f32 v[128:129], v[126:127], v[124:125] op_sel:[1,1] op_sel_hi:[0,1]
	s_delay_alu instid0(VALU_DEP_1) | instskip(SKIP_1) | instid1(VALU_DEP_2)
	v_pk_fma_f32 v[130:131], v[126:127], v[124:125], v[128:129] op_sel_hi:[1,0,1]
	v_pk_fma_f32 v[124:125], v[126:127], v[124:125], v[128:129] neg_lo:[0,0,1] neg_hi:[0,0,1]
	v_mov_b32_e32 v125, v131
	s_delay_alu instid0(VALU_DEP_1)
	v_pk_add_f32 v[120:121], v[120:121], v[124:125]
	s_and_not1_b32 exec_lo, exec_lo, s1
	s_cbranch_execnz .LBB121_372
; %bb.373:
	s_or_b32 exec_lo, exec_lo, s1
.LBB121_374:
	s_delay_alu instid0(SALU_CYCLE_1) | instskip(SKIP_4) | instid1(VALU_DEP_1)
	s_or_b32 exec_lo, exec_lo, s27
	v_mov_b32_e32 v122, 0
	ds_load_b64 v[122:123], v122 offset:160
	s_wait_dscnt 0x0
	v_pk_mul_f32 v[124:125], v[120:121], v[122:123] op_sel:[1,1] op_sel_hi:[0,1]
	v_pk_fma_f32 v[126:127], v[120:121], v[122:123], v[124:125] op_sel_hi:[1,0,1]
	v_pk_fma_f32 v[120:121], v[120:121], v[122:123], v[124:125] neg_lo:[0,0,1] neg_hi:[0,0,1]
	s_delay_alu instid0(VALU_DEP_2)
	v_mov_b32_e32 v121, v127
	scratch_store_b64 off, v[120:121], off offset:160
.LBB121_375:
	s_wait_xcnt 0x0
	s_or_b32 exec_lo, exec_lo, s26
	scratch_load_b64 v[120:121], off, off offset:152
	v_cmp_lt_u32_e64 s1, 19, v0
	s_wait_loadcnt 0x0
	ds_store_b64 v1, v[120:121]
	s_wait_storecnt_dscnt 0x0
	s_barrier_signal -1
	s_barrier_wait -1
	s_wait_xcnt 0x0
	s_and_saveexec_b32 s25, s1
	s_cbranch_execz .LBB121_385
; %bb.376:
	s_and_not1_b32 vcc_lo, exec_lo, s3
	s_cbranch_vccnz .LBB121_378
; %bb.377:
	scratch_load_b64 v[120:121], v59, off
	ds_load_b64 v[122:123], v1
	s_wait_loadcnt_dscnt 0x0
	v_pk_mul_f32 v[124:125], v[122:123], v[120:121] op_sel:[1,1] op_sel_hi:[0,1]
	s_delay_alu instid0(VALU_DEP_1) | instskip(SKIP_1) | instid1(VALU_DEP_2)
	v_pk_fma_f32 v[126:127], v[122:123], v[120:121], v[124:125] op_sel_hi:[1,0,1]
	v_pk_fma_f32 v[120:121], v[122:123], v[120:121], v[124:125] neg_lo:[0,0,1] neg_hi:[0,0,1]
	v_mov_b32_e32 v121, v127
	s_cbranch_execz .LBB121_379
	s_branch .LBB121_380
.LBB121_378:
                                        ; implicit-def: $vgpr120_vgpr121
.LBB121_379:
	ds_load_b64 v[120:121], v1
.LBB121_380:
	s_and_saveexec_b32 s26, s0
	s_cbranch_execz .LBB121_384
; %bb.381:
	v_subrev_nc_u32_e32 v122, 20, v0
	s_movk_i32 s27, 0x270
	s_mov_b32 s0, 0
.LBB121_382:                            ; =>This Inner Loop Header: Depth=1
	scratch_load_b64 v[124:125], off, s24
	v_dual_mov_b32 v123, s27 :: v_dual_add_nc_u32 v122, -1, v122
	s_add_co_i32 s27, s27, 8
	s_wait_xcnt 0x0
	s_add_co_i32 s24, s24, 8
	ds_load_b64 v[126:127], v123
	v_cmp_eq_u32_e32 vcc_lo, 0, v122
	s_or_b32 s0, vcc_lo, s0
	s_wait_loadcnt_dscnt 0x0
	v_pk_mul_f32 v[128:129], v[126:127], v[124:125] op_sel:[1,1] op_sel_hi:[0,1]
	s_delay_alu instid0(VALU_DEP_1) | instskip(SKIP_1) | instid1(VALU_DEP_2)
	v_pk_fma_f32 v[130:131], v[126:127], v[124:125], v[128:129] op_sel_hi:[1,0,1]
	v_pk_fma_f32 v[124:125], v[126:127], v[124:125], v[128:129] neg_lo:[0,0,1] neg_hi:[0,0,1]
	v_mov_b32_e32 v125, v131
	s_delay_alu instid0(VALU_DEP_1)
	v_pk_add_f32 v[120:121], v[120:121], v[124:125]
	s_and_not1_b32 exec_lo, exec_lo, s0
	s_cbranch_execnz .LBB121_382
; %bb.383:
	s_or_b32 exec_lo, exec_lo, s0
.LBB121_384:
	s_delay_alu instid0(SALU_CYCLE_1) | instskip(SKIP_4) | instid1(VALU_DEP_1)
	s_or_b32 exec_lo, exec_lo, s26
	v_mov_b32_e32 v122, 0
	ds_load_b64 v[122:123], v122 offset:152
	s_wait_dscnt 0x0
	v_pk_mul_f32 v[124:125], v[120:121], v[122:123] op_sel:[1,1] op_sel_hi:[0,1]
	v_pk_fma_f32 v[126:127], v[120:121], v[122:123], v[124:125] op_sel_hi:[1,0,1]
	v_pk_fma_f32 v[120:121], v[120:121], v[122:123], v[124:125] neg_lo:[0,0,1] neg_hi:[0,0,1]
	s_delay_alu instid0(VALU_DEP_2)
	v_mov_b32_e32 v121, v127
	scratch_store_b64 off, v[120:121], off offset:152
.LBB121_385:
	s_wait_xcnt 0x0
	s_or_b32 exec_lo, exec_lo, s25
	scratch_load_b64 v[120:121], off, off offset:144
	v_cmp_lt_u32_e64 s0, 18, v0
	s_wait_loadcnt 0x0
	ds_store_b64 v1, v[120:121]
	s_wait_storecnt_dscnt 0x0
	s_barrier_signal -1
	s_barrier_wait -1
	s_wait_xcnt 0x0
	s_and_saveexec_b32 s24, s0
	s_cbranch_execz .LBB121_395
; %bb.386:
	s_and_not1_b32 vcc_lo, exec_lo, s3
	s_cbranch_vccnz .LBB121_388
; %bb.387:
	scratch_load_b64 v[120:121], v59, off
	ds_load_b64 v[122:123], v1
	s_wait_loadcnt_dscnt 0x0
	v_pk_mul_f32 v[124:125], v[122:123], v[120:121] op_sel:[1,1] op_sel_hi:[0,1]
	s_delay_alu instid0(VALU_DEP_1) | instskip(SKIP_1) | instid1(VALU_DEP_2)
	v_pk_fma_f32 v[126:127], v[122:123], v[120:121], v[124:125] op_sel_hi:[1,0,1]
	v_pk_fma_f32 v[120:121], v[122:123], v[120:121], v[124:125] neg_lo:[0,0,1] neg_hi:[0,0,1]
	v_mov_b32_e32 v121, v127
	s_cbranch_execz .LBB121_389
	s_branch .LBB121_390
.LBB121_388:
                                        ; implicit-def: $vgpr120_vgpr121
.LBB121_389:
	ds_load_b64 v[120:121], v1
.LBB121_390:
	s_and_saveexec_b32 s25, s1
	s_cbranch_execz .LBB121_394
; %bb.391:
	v_subrev_nc_u32_e32 v122, 19, v0
	s_movk_i32 s26, 0x268
	s_mov_b32 s1, 0
.LBB121_392:                            ; =>This Inner Loop Header: Depth=1
	scratch_load_b64 v[124:125], off, s23
	v_dual_mov_b32 v123, s26 :: v_dual_add_nc_u32 v122, -1, v122
	s_add_co_i32 s26, s26, 8
	s_wait_xcnt 0x0
	s_add_co_i32 s23, s23, 8
	ds_load_b64 v[126:127], v123
	v_cmp_eq_u32_e32 vcc_lo, 0, v122
	s_or_b32 s1, vcc_lo, s1
	s_wait_loadcnt_dscnt 0x0
	v_pk_mul_f32 v[128:129], v[126:127], v[124:125] op_sel:[1,1] op_sel_hi:[0,1]
	s_delay_alu instid0(VALU_DEP_1) | instskip(SKIP_1) | instid1(VALU_DEP_2)
	v_pk_fma_f32 v[130:131], v[126:127], v[124:125], v[128:129] op_sel_hi:[1,0,1]
	v_pk_fma_f32 v[124:125], v[126:127], v[124:125], v[128:129] neg_lo:[0,0,1] neg_hi:[0,0,1]
	v_mov_b32_e32 v125, v131
	s_delay_alu instid0(VALU_DEP_1)
	v_pk_add_f32 v[120:121], v[120:121], v[124:125]
	s_and_not1_b32 exec_lo, exec_lo, s1
	s_cbranch_execnz .LBB121_392
; %bb.393:
	s_or_b32 exec_lo, exec_lo, s1
.LBB121_394:
	s_delay_alu instid0(SALU_CYCLE_1) | instskip(SKIP_4) | instid1(VALU_DEP_1)
	s_or_b32 exec_lo, exec_lo, s25
	v_mov_b32_e32 v122, 0
	ds_load_b64 v[122:123], v122 offset:144
	s_wait_dscnt 0x0
	v_pk_mul_f32 v[124:125], v[120:121], v[122:123] op_sel:[1,1] op_sel_hi:[0,1]
	v_pk_fma_f32 v[126:127], v[120:121], v[122:123], v[124:125] op_sel_hi:[1,0,1]
	v_pk_fma_f32 v[120:121], v[120:121], v[122:123], v[124:125] neg_lo:[0,0,1] neg_hi:[0,0,1]
	s_delay_alu instid0(VALU_DEP_2)
	v_mov_b32_e32 v121, v127
	scratch_store_b64 off, v[120:121], off offset:144
.LBB121_395:
	s_wait_xcnt 0x0
	s_or_b32 exec_lo, exec_lo, s24
	scratch_load_b64 v[120:121], off, off offset:136
	v_cmp_lt_u32_e64 s1, 17, v0
	s_wait_loadcnt 0x0
	ds_store_b64 v1, v[120:121]
	s_wait_storecnt_dscnt 0x0
	s_barrier_signal -1
	s_barrier_wait -1
	s_wait_xcnt 0x0
	s_and_saveexec_b32 s23, s1
	s_cbranch_execz .LBB121_405
; %bb.396:
	s_and_not1_b32 vcc_lo, exec_lo, s3
	s_cbranch_vccnz .LBB121_398
; %bb.397:
	scratch_load_b64 v[120:121], v59, off
	ds_load_b64 v[122:123], v1
	s_wait_loadcnt_dscnt 0x0
	v_pk_mul_f32 v[124:125], v[122:123], v[120:121] op_sel:[1,1] op_sel_hi:[0,1]
	s_delay_alu instid0(VALU_DEP_1) | instskip(SKIP_1) | instid1(VALU_DEP_2)
	v_pk_fma_f32 v[126:127], v[122:123], v[120:121], v[124:125] op_sel_hi:[1,0,1]
	v_pk_fma_f32 v[120:121], v[122:123], v[120:121], v[124:125] neg_lo:[0,0,1] neg_hi:[0,0,1]
	v_mov_b32_e32 v121, v127
	s_cbranch_execz .LBB121_399
	s_branch .LBB121_400
.LBB121_398:
                                        ; implicit-def: $vgpr120_vgpr121
.LBB121_399:
	ds_load_b64 v[120:121], v1
.LBB121_400:
	s_and_saveexec_b32 s24, s0
	s_cbranch_execz .LBB121_404
; %bb.401:
	v_subrev_nc_u32_e32 v122, 18, v0
	s_movk_i32 s25, 0x260
	s_mov_b32 s0, 0
.LBB121_402:                            ; =>This Inner Loop Header: Depth=1
	scratch_load_b64 v[124:125], off, s22
	v_dual_mov_b32 v123, s25 :: v_dual_add_nc_u32 v122, -1, v122
	s_add_co_i32 s25, s25, 8
	s_wait_xcnt 0x0
	s_add_co_i32 s22, s22, 8
	ds_load_b64 v[126:127], v123
	v_cmp_eq_u32_e32 vcc_lo, 0, v122
	s_or_b32 s0, vcc_lo, s0
	s_wait_loadcnt_dscnt 0x0
	v_pk_mul_f32 v[128:129], v[126:127], v[124:125] op_sel:[1,1] op_sel_hi:[0,1]
	s_delay_alu instid0(VALU_DEP_1) | instskip(SKIP_1) | instid1(VALU_DEP_2)
	v_pk_fma_f32 v[130:131], v[126:127], v[124:125], v[128:129] op_sel_hi:[1,0,1]
	v_pk_fma_f32 v[124:125], v[126:127], v[124:125], v[128:129] neg_lo:[0,0,1] neg_hi:[0,0,1]
	v_mov_b32_e32 v125, v131
	s_delay_alu instid0(VALU_DEP_1)
	v_pk_add_f32 v[120:121], v[120:121], v[124:125]
	s_and_not1_b32 exec_lo, exec_lo, s0
	s_cbranch_execnz .LBB121_402
; %bb.403:
	s_or_b32 exec_lo, exec_lo, s0
.LBB121_404:
	s_delay_alu instid0(SALU_CYCLE_1) | instskip(SKIP_4) | instid1(VALU_DEP_1)
	s_or_b32 exec_lo, exec_lo, s24
	v_mov_b32_e32 v122, 0
	ds_load_b64 v[122:123], v122 offset:136
	s_wait_dscnt 0x0
	v_pk_mul_f32 v[124:125], v[120:121], v[122:123] op_sel:[1,1] op_sel_hi:[0,1]
	v_pk_fma_f32 v[126:127], v[120:121], v[122:123], v[124:125] op_sel_hi:[1,0,1]
	v_pk_fma_f32 v[120:121], v[120:121], v[122:123], v[124:125] neg_lo:[0,0,1] neg_hi:[0,0,1]
	s_delay_alu instid0(VALU_DEP_2)
	v_mov_b32_e32 v121, v127
	scratch_store_b64 off, v[120:121], off offset:136
.LBB121_405:
	s_wait_xcnt 0x0
	s_or_b32 exec_lo, exec_lo, s23
	scratch_load_b64 v[120:121], off, off offset:128
	v_cmp_lt_u32_e64 s0, 16, v0
	s_wait_loadcnt 0x0
	ds_store_b64 v1, v[120:121]
	s_wait_storecnt_dscnt 0x0
	s_barrier_signal -1
	s_barrier_wait -1
	s_wait_xcnt 0x0
	s_and_saveexec_b32 s22, s0
	s_cbranch_execz .LBB121_415
; %bb.406:
	s_and_not1_b32 vcc_lo, exec_lo, s3
	s_cbranch_vccnz .LBB121_408
; %bb.407:
	scratch_load_b64 v[120:121], v59, off
	ds_load_b64 v[122:123], v1
	s_wait_loadcnt_dscnt 0x0
	v_pk_mul_f32 v[124:125], v[122:123], v[120:121] op_sel:[1,1] op_sel_hi:[0,1]
	s_delay_alu instid0(VALU_DEP_1) | instskip(SKIP_1) | instid1(VALU_DEP_2)
	v_pk_fma_f32 v[126:127], v[122:123], v[120:121], v[124:125] op_sel_hi:[1,0,1]
	v_pk_fma_f32 v[120:121], v[122:123], v[120:121], v[124:125] neg_lo:[0,0,1] neg_hi:[0,0,1]
	v_mov_b32_e32 v121, v127
	s_cbranch_execz .LBB121_409
	s_branch .LBB121_410
.LBB121_408:
                                        ; implicit-def: $vgpr120_vgpr121
.LBB121_409:
	ds_load_b64 v[120:121], v1
.LBB121_410:
	s_and_saveexec_b32 s23, s1
	s_cbranch_execz .LBB121_414
; %bb.411:
	v_subrev_nc_u32_e32 v122, 17, v0
	s_movk_i32 s24, 0x258
	s_mov_b32 s1, 0
.LBB121_412:                            ; =>This Inner Loop Header: Depth=1
	scratch_load_b64 v[124:125], off, s21
	v_dual_mov_b32 v123, s24 :: v_dual_add_nc_u32 v122, -1, v122
	s_add_co_i32 s24, s24, 8
	s_wait_xcnt 0x0
	s_add_co_i32 s21, s21, 8
	ds_load_b64 v[126:127], v123
	v_cmp_eq_u32_e32 vcc_lo, 0, v122
	s_or_b32 s1, vcc_lo, s1
	s_wait_loadcnt_dscnt 0x0
	v_pk_mul_f32 v[128:129], v[126:127], v[124:125] op_sel:[1,1] op_sel_hi:[0,1]
	s_delay_alu instid0(VALU_DEP_1) | instskip(SKIP_1) | instid1(VALU_DEP_2)
	v_pk_fma_f32 v[130:131], v[126:127], v[124:125], v[128:129] op_sel_hi:[1,0,1]
	v_pk_fma_f32 v[124:125], v[126:127], v[124:125], v[128:129] neg_lo:[0,0,1] neg_hi:[0,0,1]
	v_mov_b32_e32 v125, v131
	s_delay_alu instid0(VALU_DEP_1)
	v_pk_add_f32 v[120:121], v[120:121], v[124:125]
	s_and_not1_b32 exec_lo, exec_lo, s1
	s_cbranch_execnz .LBB121_412
; %bb.413:
	s_or_b32 exec_lo, exec_lo, s1
.LBB121_414:
	s_delay_alu instid0(SALU_CYCLE_1) | instskip(SKIP_4) | instid1(VALU_DEP_1)
	s_or_b32 exec_lo, exec_lo, s23
	v_mov_b32_e32 v122, 0
	ds_load_b64 v[122:123], v122 offset:128
	s_wait_dscnt 0x0
	v_pk_mul_f32 v[124:125], v[120:121], v[122:123] op_sel:[1,1] op_sel_hi:[0,1]
	v_pk_fma_f32 v[126:127], v[120:121], v[122:123], v[124:125] op_sel_hi:[1,0,1]
	v_pk_fma_f32 v[120:121], v[120:121], v[122:123], v[124:125] neg_lo:[0,0,1] neg_hi:[0,0,1]
	s_delay_alu instid0(VALU_DEP_2)
	v_mov_b32_e32 v121, v127
	scratch_store_b64 off, v[120:121], off offset:128
.LBB121_415:
	s_wait_xcnt 0x0
	s_or_b32 exec_lo, exec_lo, s22
	scratch_load_b64 v[120:121], off, off offset:120
	v_cmp_lt_u32_e64 s1, 15, v0
	s_wait_loadcnt 0x0
	ds_store_b64 v1, v[120:121]
	s_wait_storecnt_dscnt 0x0
	s_barrier_signal -1
	s_barrier_wait -1
	s_wait_xcnt 0x0
	s_and_saveexec_b32 s21, s1
	s_cbranch_execz .LBB121_425
; %bb.416:
	s_and_not1_b32 vcc_lo, exec_lo, s3
	s_cbranch_vccnz .LBB121_418
; %bb.417:
	scratch_load_b64 v[120:121], v59, off
	ds_load_b64 v[122:123], v1
	s_wait_loadcnt_dscnt 0x0
	v_pk_mul_f32 v[124:125], v[122:123], v[120:121] op_sel:[1,1] op_sel_hi:[0,1]
	s_delay_alu instid0(VALU_DEP_1) | instskip(SKIP_1) | instid1(VALU_DEP_2)
	v_pk_fma_f32 v[126:127], v[122:123], v[120:121], v[124:125] op_sel_hi:[1,0,1]
	v_pk_fma_f32 v[120:121], v[122:123], v[120:121], v[124:125] neg_lo:[0,0,1] neg_hi:[0,0,1]
	v_mov_b32_e32 v121, v127
	s_cbranch_execz .LBB121_419
	s_branch .LBB121_420
.LBB121_418:
                                        ; implicit-def: $vgpr120_vgpr121
.LBB121_419:
	ds_load_b64 v[120:121], v1
.LBB121_420:
	s_and_saveexec_b32 s22, s0
	s_cbranch_execz .LBB121_424
; %bb.421:
	v_add_nc_u32_e32 v122, -16, v0
	s_movk_i32 s23, 0x250
	s_mov_b32 s0, 0
.LBB121_422:                            ; =>This Inner Loop Header: Depth=1
	scratch_load_b64 v[124:125], off, s20
	v_dual_mov_b32 v123, s23 :: v_dual_add_nc_u32 v122, -1, v122
	s_add_co_i32 s23, s23, 8
	s_wait_xcnt 0x0
	s_add_co_i32 s20, s20, 8
	ds_load_b64 v[126:127], v123
	v_cmp_eq_u32_e32 vcc_lo, 0, v122
	s_or_b32 s0, vcc_lo, s0
	s_wait_loadcnt_dscnt 0x0
	v_pk_mul_f32 v[128:129], v[126:127], v[124:125] op_sel:[1,1] op_sel_hi:[0,1]
	s_delay_alu instid0(VALU_DEP_1) | instskip(SKIP_1) | instid1(VALU_DEP_2)
	v_pk_fma_f32 v[130:131], v[126:127], v[124:125], v[128:129] op_sel_hi:[1,0,1]
	v_pk_fma_f32 v[124:125], v[126:127], v[124:125], v[128:129] neg_lo:[0,0,1] neg_hi:[0,0,1]
	v_mov_b32_e32 v125, v131
	s_delay_alu instid0(VALU_DEP_1)
	v_pk_add_f32 v[120:121], v[120:121], v[124:125]
	s_and_not1_b32 exec_lo, exec_lo, s0
	s_cbranch_execnz .LBB121_422
; %bb.423:
	s_or_b32 exec_lo, exec_lo, s0
.LBB121_424:
	s_delay_alu instid0(SALU_CYCLE_1) | instskip(SKIP_4) | instid1(VALU_DEP_1)
	s_or_b32 exec_lo, exec_lo, s22
	v_mov_b32_e32 v122, 0
	ds_load_b64 v[122:123], v122 offset:120
	s_wait_dscnt 0x0
	v_pk_mul_f32 v[124:125], v[120:121], v[122:123] op_sel:[1,1] op_sel_hi:[0,1]
	v_pk_fma_f32 v[126:127], v[120:121], v[122:123], v[124:125] op_sel_hi:[1,0,1]
	v_pk_fma_f32 v[120:121], v[120:121], v[122:123], v[124:125] neg_lo:[0,0,1] neg_hi:[0,0,1]
	s_delay_alu instid0(VALU_DEP_2)
	v_mov_b32_e32 v121, v127
	scratch_store_b64 off, v[120:121], off offset:120
.LBB121_425:
	s_wait_xcnt 0x0
	s_or_b32 exec_lo, exec_lo, s21
	scratch_load_b64 v[120:121], off, off offset:112
	v_cmp_lt_u32_e64 s0, 14, v0
	s_wait_loadcnt 0x0
	ds_store_b64 v1, v[120:121]
	s_wait_storecnt_dscnt 0x0
	s_barrier_signal -1
	s_barrier_wait -1
	s_wait_xcnt 0x0
	s_and_saveexec_b32 s20, s0
	s_cbranch_execz .LBB121_435
; %bb.426:
	s_and_not1_b32 vcc_lo, exec_lo, s3
	s_cbranch_vccnz .LBB121_428
; %bb.427:
	scratch_load_b64 v[120:121], v59, off
	ds_load_b64 v[122:123], v1
	s_wait_loadcnt_dscnt 0x0
	v_pk_mul_f32 v[124:125], v[122:123], v[120:121] op_sel:[1,1] op_sel_hi:[0,1]
	s_delay_alu instid0(VALU_DEP_1) | instskip(SKIP_1) | instid1(VALU_DEP_2)
	v_pk_fma_f32 v[126:127], v[122:123], v[120:121], v[124:125] op_sel_hi:[1,0,1]
	v_pk_fma_f32 v[120:121], v[122:123], v[120:121], v[124:125] neg_lo:[0,0,1] neg_hi:[0,0,1]
	v_mov_b32_e32 v121, v127
	s_cbranch_execz .LBB121_429
	s_branch .LBB121_430
.LBB121_428:
                                        ; implicit-def: $vgpr120_vgpr121
.LBB121_429:
	ds_load_b64 v[120:121], v1
.LBB121_430:
	s_and_saveexec_b32 s21, s1
	s_cbranch_execz .LBB121_434
; %bb.431:
	v_add_nc_u32_e32 v122, -15, v0
	s_movk_i32 s22, 0x248
	s_mov_b32 s1, 0
.LBB121_432:                            ; =>This Inner Loop Header: Depth=1
	scratch_load_b64 v[124:125], off, s19
	v_dual_mov_b32 v123, s22 :: v_dual_add_nc_u32 v122, -1, v122
	s_add_co_i32 s22, s22, 8
	s_wait_xcnt 0x0
	s_add_co_i32 s19, s19, 8
	ds_load_b64 v[126:127], v123
	v_cmp_eq_u32_e32 vcc_lo, 0, v122
	s_or_b32 s1, vcc_lo, s1
	s_wait_loadcnt_dscnt 0x0
	v_pk_mul_f32 v[128:129], v[126:127], v[124:125] op_sel:[1,1] op_sel_hi:[0,1]
	s_delay_alu instid0(VALU_DEP_1) | instskip(SKIP_1) | instid1(VALU_DEP_2)
	v_pk_fma_f32 v[130:131], v[126:127], v[124:125], v[128:129] op_sel_hi:[1,0,1]
	v_pk_fma_f32 v[124:125], v[126:127], v[124:125], v[128:129] neg_lo:[0,0,1] neg_hi:[0,0,1]
	v_mov_b32_e32 v125, v131
	s_delay_alu instid0(VALU_DEP_1)
	v_pk_add_f32 v[120:121], v[120:121], v[124:125]
	s_and_not1_b32 exec_lo, exec_lo, s1
	s_cbranch_execnz .LBB121_432
; %bb.433:
	s_or_b32 exec_lo, exec_lo, s1
.LBB121_434:
	s_delay_alu instid0(SALU_CYCLE_1) | instskip(SKIP_4) | instid1(VALU_DEP_1)
	s_or_b32 exec_lo, exec_lo, s21
	v_mov_b32_e32 v122, 0
	ds_load_b64 v[122:123], v122 offset:112
	s_wait_dscnt 0x0
	v_pk_mul_f32 v[124:125], v[120:121], v[122:123] op_sel:[1,1] op_sel_hi:[0,1]
	v_pk_fma_f32 v[126:127], v[120:121], v[122:123], v[124:125] op_sel_hi:[1,0,1]
	v_pk_fma_f32 v[120:121], v[120:121], v[122:123], v[124:125] neg_lo:[0,0,1] neg_hi:[0,0,1]
	s_delay_alu instid0(VALU_DEP_2)
	v_mov_b32_e32 v121, v127
	scratch_store_b64 off, v[120:121], off offset:112
.LBB121_435:
	s_wait_xcnt 0x0
	s_or_b32 exec_lo, exec_lo, s20
	scratch_load_b64 v[120:121], off, off offset:104
	v_cmp_lt_u32_e64 s1, 13, v0
	s_wait_loadcnt 0x0
	ds_store_b64 v1, v[120:121]
	s_wait_storecnt_dscnt 0x0
	s_barrier_signal -1
	s_barrier_wait -1
	s_wait_xcnt 0x0
	s_and_saveexec_b32 s19, s1
	s_cbranch_execz .LBB121_445
; %bb.436:
	s_and_not1_b32 vcc_lo, exec_lo, s3
	s_cbranch_vccnz .LBB121_438
; %bb.437:
	scratch_load_b64 v[120:121], v59, off
	ds_load_b64 v[122:123], v1
	s_wait_loadcnt_dscnt 0x0
	v_pk_mul_f32 v[124:125], v[122:123], v[120:121] op_sel:[1,1] op_sel_hi:[0,1]
	s_delay_alu instid0(VALU_DEP_1) | instskip(SKIP_1) | instid1(VALU_DEP_2)
	v_pk_fma_f32 v[126:127], v[122:123], v[120:121], v[124:125] op_sel_hi:[1,0,1]
	v_pk_fma_f32 v[120:121], v[122:123], v[120:121], v[124:125] neg_lo:[0,0,1] neg_hi:[0,0,1]
	v_mov_b32_e32 v121, v127
	s_cbranch_execz .LBB121_439
	s_branch .LBB121_440
.LBB121_438:
                                        ; implicit-def: $vgpr120_vgpr121
.LBB121_439:
	ds_load_b64 v[120:121], v1
.LBB121_440:
	s_and_saveexec_b32 s20, s0
	s_cbranch_execz .LBB121_444
; %bb.441:
	v_add_nc_u32_e32 v122, -14, v0
	s_movk_i32 s21, 0x240
	s_mov_b32 s0, 0
.LBB121_442:                            ; =>This Inner Loop Header: Depth=1
	scratch_load_b64 v[124:125], off, s18
	v_dual_mov_b32 v123, s21 :: v_dual_add_nc_u32 v122, -1, v122
	s_add_co_i32 s21, s21, 8
	s_wait_xcnt 0x0
	s_add_co_i32 s18, s18, 8
	ds_load_b64 v[126:127], v123
	v_cmp_eq_u32_e32 vcc_lo, 0, v122
	s_or_b32 s0, vcc_lo, s0
	s_wait_loadcnt_dscnt 0x0
	v_pk_mul_f32 v[128:129], v[126:127], v[124:125] op_sel:[1,1] op_sel_hi:[0,1]
	s_delay_alu instid0(VALU_DEP_1) | instskip(SKIP_1) | instid1(VALU_DEP_2)
	v_pk_fma_f32 v[130:131], v[126:127], v[124:125], v[128:129] op_sel_hi:[1,0,1]
	v_pk_fma_f32 v[124:125], v[126:127], v[124:125], v[128:129] neg_lo:[0,0,1] neg_hi:[0,0,1]
	v_mov_b32_e32 v125, v131
	s_delay_alu instid0(VALU_DEP_1)
	v_pk_add_f32 v[120:121], v[120:121], v[124:125]
	s_and_not1_b32 exec_lo, exec_lo, s0
	s_cbranch_execnz .LBB121_442
; %bb.443:
	s_or_b32 exec_lo, exec_lo, s0
.LBB121_444:
	s_delay_alu instid0(SALU_CYCLE_1) | instskip(SKIP_4) | instid1(VALU_DEP_1)
	s_or_b32 exec_lo, exec_lo, s20
	v_mov_b32_e32 v122, 0
	ds_load_b64 v[122:123], v122 offset:104
	s_wait_dscnt 0x0
	v_pk_mul_f32 v[124:125], v[120:121], v[122:123] op_sel:[1,1] op_sel_hi:[0,1]
	v_pk_fma_f32 v[126:127], v[120:121], v[122:123], v[124:125] op_sel_hi:[1,0,1]
	v_pk_fma_f32 v[120:121], v[120:121], v[122:123], v[124:125] neg_lo:[0,0,1] neg_hi:[0,0,1]
	s_delay_alu instid0(VALU_DEP_2)
	v_mov_b32_e32 v121, v127
	scratch_store_b64 off, v[120:121], off offset:104
.LBB121_445:
	s_wait_xcnt 0x0
	s_or_b32 exec_lo, exec_lo, s19
	scratch_load_b64 v[120:121], off, off offset:96
	v_cmp_lt_u32_e64 s0, 12, v0
	s_wait_loadcnt 0x0
	ds_store_b64 v1, v[120:121]
	s_wait_storecnt_dscnt 0x0
	s_barrier_signal -1
	s_barrier_wait -1
	s_wait_xcnt 0x0
	s_and_saveexec_b32 s18, s0
	s_cbranch_execz .LBB121_455
; %bb.446:
	s_and_not1_b32 vcc_lo, exec_lo, s3
	s_cbranch_vccnz .LBB121_448
; %bb.447:
	scratch_load_b64 v[120:121], v59, off
	ds_load_b64 v[122:123], v1
	s_wait_loadcnt_dscnt 0x0
	v_pk_mul_f32 v[124:125], v[122:123], v[120:121] op_sel:[1,1] op_sel_hi:[0,1]
	s_delay_alu instid0(VALU_DEP_1) | instskip(SKIP_1) | instid1(VALU_DEP_2)
	v_pk_fma_f32 v[126:127], v[122:123], v[120:121], v[124:125] op_sel_hi:[1,0,1]
	v_pk_fma_f32 v[120:121], v[122:123], v[120:121], v[124:125] neg_lo:[0,0,1] neg_hi:[0,0,1]
	v_mov_b32_e32 v121, v127
	s_cbranch_execz .LBB121_449
	s_branch .LBB121_450
.LBB121_448:
                                        ; implicit-def: $vgpr120_vgpr121
.LBB121_449:
	ds_load_b64 v[120:121], v1
.LBB121_450:
	s_and_saveexec_b32 s19, s1
	s_cbranch_execz .LBB121_454
; %bb.451:
	v_add_nc_u32_e32 v122, -13, v0
	s_movk_i32 s20, 0x238
	s_mov_b32 s1, 0
.LBB121_452:                            ; =>This Inner Loop Header: Depth=1
	scratch_load_b64 v[124:125], off, s17
	v_dual_mov_b32 v123, s20 :: v_dual_add_nc_u32 v122, -1, v122
	s_add_co_i32 s20, s20, 8
	s_wait_xcnt 0x0
	s_add_co_i32 s17, s17, 8
	ds_load_b64 v[126:127], v123
	v_cmp_eq_u32_e32 vcc_lo, 0, v122
	s_or_b32 s1, vcc_lo, s1
	s_wait_loadcnt_dscnt 0x0
	v_pk_mul_f32 v[128:129], v[126:127], v[124:125] op_sel:[1,1] op_sel_hi:[0,1]
	s_delay_alu instid0(VALU_DEP_1) | instskip(SKIP_1) | instid1(VALU_DEP_2)
	v_pk_fma_f32 v[130:131], v[126:127], v[124:125], v[128:129] op_sel_hi:[1,0,1]
	v_pk_fma_f32 v[124:125], v[126:127], v[124:125], v[128:129] neg_lo:[0,0,1] neg_hi:[0,0,1]
	v_mov_b32_e32 v125, v131
	s_delay_alu instid0(VALU_DEP_1)
	v_pk_add_f32 v[120:121], v[120:121], v[124:125]
	s_and_not1_b32 exec_lo, exec_lo, s1
	s_cbranch_execnz .LBB121_452
; %bb.453:
	s_or_b32 exec_lo, exec_lo, s1
.LBB121_454:
	s_delay_alu instid0(SALU_CYCLE_1) | instskip(SKIP_4) | instid1(VALU_DEP_1)
	s_or_b32 exec_lo, exec_lo, s19
	v_mov_b32_e32 v122, 0
	ds_load_b64 v[122:123], v122 offset:96
	s_wait_dscnt 0x0
	v_pk_mul_f32 v[124:125], v[120:121], v[122:123] op_sel:[1,1] op_sel_hi:[0,1]
	v_pk_fma_f32 v[126:127], v[120:121], v[122:123], v[124:125] op_sel_hi:[1,0,1]
	v_pk_fma_f32 v[120:121], v[120:121], v[122:123], v[124:125] neg_lo:[0,0,1] neg_hi:[0,0,1]
	s_delay_alu instid0(VALU_DEP_2)
	v_mov_b32_e32 v121, v127
	scratch_store_b64 off, v[120:121], off offset:96
.LBB121_455:
	s_wait_xcnt 0x0
	s_or_b32 exec_lo, exec_lo, s18
	scratch_load_b64 v[120:121], off, off offset:88
	v_cmp_lt_u32_e64 s1, 11, v0
	s_wait_loadcnt 0x0
	ds_store_b64 v1, v[120:121]
	s_wait_storecnt_dscnt 0x0
	s_barrier_signal -1
	s_barrier_wait -1
	s_wait_xcnt 0x0
	s_and_saveexec_b32 s17, s1
	s_cbranch_execz .LBB121_465
; %bb.456:
	s_and_not1_b32 vcc_lo, exec_lo, s3
	s_cbranch_vccnz .LBB121_458
; %bb.457:
	scratch_load_b64 v[120:121], v59, off
	ds_load_b64 v[122:123], v1
	s_wait_loadcnt_dscnt 0x0
	v_pk_mul_f32 v[124:125], v[122:123], v[120:121] op_sel:[1,1] op_sel_hi:[0,1]
	s_delay_alu instid0(VALU_DEP_1) | instskip(SKIP_1) | instid1(VALU_DEP_2)
	v_pk_fma_f32 v[126:127], v[122:123], v[120:121], v[124:125] op_sel_hi:[1,0,1]
	v_pk_fma_f32 v[120:121], v[122:123], v[120:121], v[124:125] neg_lo:[0,0,1] neg_hi:[0,0,1]
	v_mov_b32_e32 v121, v127
	s_cbranch_execz .LBB121_459
	s_branch .LBB121_460
.LBB121_458:
                                        ; implicit-def: $vgpr120_vgpr121
.LBB121_459:
	ds_load_b64 v[120:121], v1
.LBB121_460:
	s_and_saveexec_b32 s18, s0
	s_cbranch_execz .LBB121_464
; %bb.461:
	v_add_nc_u32_e32 v122, -12, v0
	s_movk_i32 s19, 0x230
	s_mov_b32 s0, 0
.LBB121_462:                            ; =>This Inner Loop Header: Depth=1
	scratch_load_b64 v[124:125], off, s16
	v_dual_mov_b32 v123, s19 :: v_dual_add_nc_u32 v122, -1, v122
	s_add_co_i32 s19, s19, 8
	s_wait_xcnt 0x0
	s_add_co_i32 s16, s16, 8
	ds_load_b64 v[126:127], v123
	v_cmp_eq_u32_e32 vcc_lo, 0, v122
	s_or_b32 s0, vcc_lo, s0
	s_wait_loadcnt_dscnt 0x0
	v_pk_mul_f32 v[128:129], v[126:127], v[124:125] op_sel:[1,1] op_sel_hi:[0,1]
	s_delay_alu instid0(VALU_DEP_1) | instskip(SKIP_1) | instid1(VALU_DEP_2)
	v_pk_fma_f32 v[130:131], v[126:127], v[124:125], v[128:129] op_sel_hi:[1,0,1]
	v_pk_fma_f32 v[124:125], v[126:127], v[124:125], v[128:129] neg_lo:[0,0,1] neg_hi:[0,0,1]
	v_mov_b32_e32 v125, v131
	s_delay_alu instid0(VALU_DEP_1)
	v_pk_add_f32 v[120:121], v[120:121], v[124:125]
	s_and_not1_b32 exec_lo, exec_lo, s0
	s_cbranch_execnz .LBB121_462
; %bb.463:
	s_or_b32 exec_lo, exec_lo, s0
.LBB121_464:
	s_delay_alu instid0(SALU_CYCLE_1) | instskip(SKIP_4) | instid1(VALU_DEP_1)
	s_or_b32 exec_lo, exec_lo, s18
	v_mov_b32_e32 v122, 0
	ds_load_b64 v[122:123], v122 offset:88
	s_wait_dscnt 0x0
	v_pk_mul_f32 v[124:125], v[120:121], v[122:123] op_sel:[1,1] op_sel_hi:[0,1]
	v_pk_fma_f32 v[126:127], v[120:121], v[122:123], v[124:125] op_sel_hi:[1,0,1]
	v_pk_fma_f32 v[120:121], v[120:121], v[122:123], v[124:125] neg_lo:[0,0,1] neg_hi:[0,0,1]
	s_delay_alu instid0(VALU_DEP_2)
	v_mov_b32_e32 v121, v127
	scratch_store_b64 off, v[120:121], off offset:88
.LBB121_465:
	s_wait_xcnt 0x0
	s_or_b32 exec_lo, exec_lo, s17
	scratch_load_b64 v[120:121], off, off offset:80
	v_cmp_lt_u32_e64 s0, 10, v0
	s_wait_loadcnt 0x0
	ds_store_b64 v1, v[120:121]
	s_wait_storecnt_dscnt 0x0
	s_barrier_signal -1
	s_barrier_wait -1
	s_wait_xcnt 0x0
	s_and_saveexec_b32 s16, s0
	s_cbranch_execz .LBB121_475
; %bb.466:
	s_and_not1_b32 vcc_lo, exec_lo, s3
	s_cbranch_vccnz .LBB121_468
; %bb.467:
	scratch_load_b64 v[120:121], v59, off
	ds_load_b64 v[122:123], v1
	s_wait_loadcnt_dscnt 0x0
	v_pk_mul_f32 v[124:125], v[122:123], v[120:121] op_sel:[1,1] op_sel_hi:[0,1]
	s_delay_alu instid0(VALU_DEP_1) | instskip(SKIP_1) | instid1(VALU_DEP_2)
	v_pk_fma_f32 v[126:127], v[122:123], v[120:121], v[124:125] op_sel_hi:[1,0,1]
	v_pk_fma_f32 v[120:121], v[122:123], v[120:121], v[124:125] neg_lo:[0,0,1] neg_hi:[0,0,1]
	v_mov_b32_e32 v121, v127
	s_cbranch_execz .LBB121_469
	s_branch .LBB121_470
.LBB121_468:
                                        ; implicit-def: $vgpr120_vgpr121
.LBB121_469:
	ds_load_b64 v[120:121], v1
.LBB121_470:
	s_and_saveexec_b32 s17, s1
	s_cbranch_execz .LBB121_474
; %bb.471:
	v_add_nc_u32_e32 v122, -11, v0
	s_movk_i32 s18, 0x228
	s_mov_b32 s1, 0
.LBB121_472:                            ; =>This Inner Loop Header: Depth=1
	scratch_load_b64 v[124:125], off, s15
	v_dual_mov_b32 v123, s18 :: v_dual_add_nc_u32 v122, -1, v122
	s_add_co_i32 s18, s18, 8
	s_wait_xcnt 0x0
	s_add_co_i32 s15, s15, 8
	ds_load_b64 v[126:127], v123
	v_cmp_eq_u32_e32 vcc_lo, 0, v122
	s_or_b32 s1, vcc_lo, s1
	s_wait_loadcnt_dscnt 0x0
	v_pk_mul_f32 v[128:129], v[126:127], v[124:125] op_sel:[1,1] op_sel_hi:[0,1]
	s_delay_alu instid0(VALU_DEP_1) | instskip(SKIP_1) | instid1(VALU_DEP_2)
	v_pk_fma_f32 v[130:131], v[126:127], v[124:125], v[128:129] op_sel_hi:[1,0,1]
	v_pk_fma_f32 v[124:125], v[126:127], v[124:125], v[128:129] neg_lo:[0,0,1] neg_hi:[0,0,1]
	v_mov_b32_e32 v125, v131
	s_delay_alu instid0(VALU_DEP_1)
	v_pk_add_f32 v[120:121], v[120:121], v[124:125]
	s_and_not1_b32 exec_lo, exec_lo, s1
	s_cbranch_execnz .LBB121_472
; %bb.473:
	s_or_b32 exec_lo, exec_lo, s1
.LBB121_474:
	s_delay_alu instid0(SALU_CYCLE_1) | instskip(SKIP_4) | instid1(VALU_DEP_1)
	s_or_b32 exec_lo, exec_lo, s17
	v_mov_b32_e32 v122, 0
	ds_load_b64 v[122:123], v122 offset:80
	s_wait_dscnt 0x0
	v_pk_mul_f32 v[124:125], v[120:121], v[122:123] op_sel:[1,1] op_sel_hi:[0,1]
	v_pk_fma_f32 v[126:127], v[120:121], v[122:123], v[124:125] op_sel_hi:[1,0,1]
	v_pk_fma_f32 v[120:121], v[120:121], v[122:123], v[124:125] neg_lo:[0,0,1] neg_hi:[0,0,1]
	s_delay_alu instid0(VALU_DEP_2)
	v_mov_b32_e32 v121, v127
	scratch_store_b64 off, v[120:121], off offset:80
.LBB121_475:
	s_wait_xcnt 0x0
	s_or_b32 exec_lo, exec_lo, s16
	scratch_load_b64 v[120:121], off, off offset:72
	v_cmp_lt_u32_e64 s1, 9, v0
	s_wait_loadcnt 0x0
	ds_store_b64 v1, v[120:121]
	s_wait_storecnt_dscnt 0x0
	s_barrier_signal -1
	s_barrier_wait -1
	s_wait_xcnt 0x0
	s_and_saveexec_b32 s15, s1
	s_cbranch_execz .LBB121_485
; %bb.476:
	s_and_not1_b32 vcc_lo, exec_lo, s3
	s_cbranch_vccnz .LBB121_478
; %bb.477:
	scratch_load_b64 v[120:121], v59, off
	ds_load_b64 v[122:123], v1
	s_wait_loadcnt_dscnt 0x0
	v_pk_mul_f32 v[124:125], v[122:123], v[120:121] op_sel:[1,1] op_sel_hi:[0,1]
	s_delay_alu instid0(VALU_DEP_1) | instskip(SKIP_1) | instid1(VALU_DEP_2)
	v_pk_fma_f32 v[126:127], v[122:123], v[120:121], v[124:125] op_sel_hi:[1,0,1]
	v_pk_fma_f32 v[120:121], v[122:123], v[120:121], v[124:125] neg_lo:[0,0,1] neg_hi:[0,0,1]
	v_mov_b32_e32 v121, v127
	s_cbranch_execz .LBB121_479
	s_branch .LBB121_480
.LBB121_478:
                                        ; implicit-def: $vgpr120_vgpr121
.LBB121_479:
	ds_load_b64 v[120:121], v1
.LBB121_480:
	s_and_saveexec_b32 s16, s0
	s_cbranch_execz .LBB121_484
; %bb.481:
	v_add_nc_u32_e32 v122, -10, v0
	s_movk_i32 s17, 0x220
	s_mov_b32 s0, 0
.LBB121_482:                            ; =>This Inner Loop Header: Depth=1
	scratch_load_b64 v[124:125], off, s14
	v_dual_mov_b32 v123, s17 :: v_dual_add_nc_u32 v122, -1, v122
	s_add_co_i32 s17, s17, 8
	s_wait_xcnt 0x0
	s_add_co_i32 s14, s14, 8
	ds_load_b64 v[126:127], v123
	v_cmp_eq_u32_e32 vcc_lo, 0, v122
	s_or_b32 s0, vcc_lo, s0
	s_wait_loadcnt_dscnt 0x0
	v_pk_mul_f32 v[128:129], v[126:127], v[124:125] op_sel:[1,1] op_sel_hi:[0,1]
	s_delay_alu instid0(VALU_DEP_1) | instskip(SKIP_1) | instid1(VALU_DEP_2)
	v_pk_fma_f32 v[130:131], v[126:127], v[124:125], v[128:129] op_sel_hi:[1,0,1]
	v_pk_fma_f32 v[124:125], v[126:127], v[124:125], v[128:129] neg_lo:[0,0,1] neg_hi:[0,0,1]
	v_mov_b32_e32 v125, v131
	s_delay_alu instid0(VALU_DEP_1)
	v_pk_add_f32 v[120:121], v[120:121], v[124:125]
	s_and_not1_b32 exec_lo, exec_lo, s0
	s_cbranch_execnz .LBB121_482
; %bb.483:
	s_or_b32 exec_lo, exec_lo, s0
.LBB121_484:
	s_delay_alu instid0(SALU_CYCLE_1) | instskip(SKIP_4) | instid1(VALU_DEP_1)
	s_or_b32 exec_lo, exec_lo, s16
	v_mov_b32_e32 v122, 0
	ds_load_b64 v[122:123], v122 offset:72
	s_wait_dscnt 0x0
	v_pk_mul_f32 v[124:125], v[120:121], v[122:123] op_sel:[1,1] op_sel_hi:[0,1]
	v_pk_fma_f32 v[126:127], v[120:121], v[122:123], v[124:125] op_sel_hi:[1,0,1]
	v_pk_fma_f32 v[120:121], v[120:121], v[122:123], v[124:125] neg_lo:[0,0,1] neg_hi:[0,0,1]
	s_delay_alu instid0(VALU_DEP_2)
	v_mov_b32_e32 v121, v127
	scratch_store_b64 off, v[120:121], off offset:72
.LBB121_485:
	s_wait_xcnt 0x0
	s_or_b32 exec_lo, exec_lo, s15
	scratch_load_b64 v[120:121], off, off offset:64
	v_cmp_lt_u32_e64 s0, 8, v0
	s_wait_loadcnt 0x0
	ds_store_b64 v1, v[120:121]
	s_wait_storecnt_dscnt 0x0
	s_barrier_signal -1
	s_barrier_wait -1
	s_wait_xcnt 0x0
	s_and_saveexec_b32 s14, s0
	s_cbranch_execz .LBB121_495
; %bb.486:
	s_and_not1_b32 vcc_lo, exec_lo, s3
	s_cbranch_vccnz .LBB121_488
; %bb.487:
	scratch_load_b64 v[120:121], v59, off
	ds_load_b64 v[122:123], v1
	s_wait_loadcnt_dscnt 0x0
	v_pk_mul_f32 v[124:125], v[122:123], v[120:121] op_sel:[1,1] op_sel_hi:[0,1]
	s_delay_alu instid0(VALU_DEP_1) | instskip(SKIP_1) | instid1(VALU_DEP_2)
	v_pk_fma_f32 v[126:127], v[122:123], v[120:121], v[124:125] op_sel_hi:[1,0,1]
	v_pk_fma_f32 v[120:121], v[122:123], v[120:121], v[124:125] neg_lo:[0,0,1] neg_hi:[0,0,1]
	v_mov_b32_e32 v121, v127
	s_cbranch_execz .LBB121_489
	s_branch .LBB121_490
.LBB121_488:
                                        ; implicit-def: $vgpr120_vgpr121
.LBB121_489:
	ds_load_b64 v[120:121], v1
.LBB121_490:
	s_and_saveexec_b32 s15, s1
	s_cbranch_execz .LBB121_494
; %bb.491:
	v_add_nc_u32_e32 v122, -9, v0
	s_movk_i32 s16, 0x218
	s_mov_b32 s1, 0
.LBB121_492:                            ; =>This Inner Loop Header: Depth=1
	scratch_load_b64 v[124:125], off, s13
	v_dual_mov_b32 v123, s16 :: v_dual_add_nc_u32 v122, -1, v122
	s_add_co_i32 s16, s16, 8
	s_wait_xcnt 0x0
	s_add_co_i32 s13, s13, 8
	ds_load_b64 v[126:127], v123
	v_cmp_eq_u32_e32 vcc_lo, 0, v122
	s_or_b32 s1, vcc_lo, s1
	s_wait_loadcnt_dscnt 0x0
	v_pk_mul_f32 v[128:129], v[126:127], v[124:125] op_sel:[1,1] op_sel_hi:[0,1]
	s_delay_alu instid0(VALU_DEP_1) | instskip(SKIP_1) | instid1(VALU_DEP_2)
	v_pk_fma_f32 v[130:131], v[126:127], v[124:125], v[128:129] op_sel_hi:[1,0,1]
	v_pk_fma_f32 v[124:125], v[126:127], v[124:125], v[128:129] neg_lo:[0,0,1] neg_hi:[0,0,1]
	v_mov_b32_e32 v125, v131
	s_delay_alu instid0(VALU_DEP_1)
	v_pk_add_f32 v[120:121], v[120:121], v[124:125]
	s_and_not1_b32 exec_lo, exec_lo, s1
	s_cbranch_execnz .LBB121_492
; %bb.493:
	s_or_b32 exec_lo, exec_lo, s1
.LBB121_494:
	s_delay_alu instid0(SALU_CYCLE_1) | instskip(SKIP_4) | instid1(VALU_DEP_1)
	s_or_b32 exec_lo, exec_lo, s15
	v_mov_b32_e32 v122, 0
	ds_load_b64 v[122:123], v122 offset:64
	s_wait_dscnt 0x0
	v_pk_mul_f32 v[124:125], v[120:121], v[122:123] op_sel:[1,1] op_sel_hi:[0,1]
	v_pk_fma_f32 v[126:127], v[120:121], v[122:123], v[124:125] op_sel_hi:[1,0,1]
	v_pk_fma_f32 v[120:121], v[120:121], v[122:123], v[124:125] neg_lo:[0,0,1] neg_hi:[0,0,1]
	s_delay_alu instid0(VALU_DEP_2)
	v_mov_b32_e32 v121, v127
	scratch_store_b64 off, v[120:121], off offset:64
.LBB121_495:
	s_wait_xcnt 0x0
	s_or_b32 exec_lo, exec_lo, s14
	scratch_load_b64 v[120:121], off, off offset:56
	v_cmp_lt_u32_e64 s1, 7, v0
	s_wait_loadcnt 0x0
	ds_store_b64 v1, v[120:121]
	s_wait_storecnt_dscnt 0x0
	s_barrier_signal -1
	s_barrier_wait -1
	s_wait_xcnt 0x0
	s_and_saveexec_b32 s13, s1
	s_cbranch_execz .LBB121_505
; %bb.496:
	s_and_not1_b32 vcc_lo, exec_lo, s3
	s_cbranch_vccnz .LBB121_498
; %bb.497:
	scratch_load_b64 v[120:121], v59, off
	ds_load_b64 v[122:123], v1
	s_wait_loadcnt_dscnt 0x0
	v_pk_mul_f32 v[124:125], v[122:123], v[120:121] op_sel:[1,1] op_sel_hi:[0,1]
	s_delay_alu instid0(VALU_DEP_1) | instskip(SKIP_1) | instid1(VALU_DEP_2)
	v_pk_fma_f32 v[126:127], v[122:123], v[120:121], v[124:125] op_sel_hi:[1,0,1]
	v_pk_fma_f32 v[120:121], v[122:123], v[120:121], v[124:125] neg_lo:[0,0,1] neg_hi:[0,0,1]
	v_mov_b32_e32 v121, v127
	s_cbranch_execz .LBB121_499
	s_branch .LBB121_500
.LBB121_498:
                                        ; implicit-def: $vgpr120_vgpr121
.LBB121_499:
	ds_load_b64 v[120:121], v1
.LBB121_500:
	s_and_saveexec_b32 s14, s0
	s_cbranch_execz .LBB121_504
; %bb.501:
	v_add_nc_u32_e32 v122, -8, v0
	s_movk_i32 s15, 0x210
	s_mov_b32 s0, 0
.LBB121_502:                            ; =>This Inner Loop Header: Depth=1
	scratch_load_b64 v[124:125], off, s12
	v_dual_mov_b32 v123, s15 :: v_dual_add_nc_u32 v122, -1, v122
	s_add_co_i32 s15, s15, 8
	s_wait_xcnt 0x0
	s_add_co_i32 s12, s12, 8
	ds_load_b64 v[126:127], v123
	v_cmp_eq_u32_e32 vcc_lo, 0, v122
	s_or_b32 s0, vcc_lo, s0
	s_wait_loadcnt_dscnt 0x0
	v_pk_mul_f32 v[128:129], v[126:127], v[124:125] op_sel:[1,1] op_sel_hi:[0,1]
	s_delay_alu instid0(VALU_DEP_1) | instskip(SKIP_1) | instid1(VALU_DEP_2)
	v_pk_fma_f32 v[130:131], v[126:127], v[124:125], v[128:129] op_sel_hi:[1,0,1]
	v_pk_fma_f32 v[124:125], v[126:127], v[124:125], v[128:129] neg_lo:[0,0,1] neg_hi:[0,0,1]
	v_mov_b32_e32 v125, v131
	s_delay_alu instid0(VALU_DEP_1)
	v_pk_add_f32 v[120:121], v[120:121], v[124:125]
	s_and_not1_b32 exec_lo, exec_lo, s0
	s_cbranch_execnz .LBB121_502
; %bb.503:
	s_or_b32 exec_lo, exec_lo, s0
.LBB121_504:
	s_delay_alu instid0(SALU_CYCLE_1) | instskip(SKIP_4) | instid1(VALU_DEP_1)
	s_or_b32 exec_lo, exec_lo, s14
	v_mov_b32_e32 v122, 0
	ds_load_b64 v[122:123], v122 offset:56
	s_wait_dscnt 0x0
	v_pk_mul_f32 v[124:125], v[120:121], v[122:123] op_sel:[1,1] op_sel_hi:[0,1]
	v_pk_fma_f32 v[126:127], v[120:121], v[122:123], v[124:125] op_sel_hi:[1,0,1]
	v_pk_fma_f32 v[120:121], v[120:121], v[122:123], v[124:125] neg_lo:[0,0,1] neg_hi:[0,0,1]
	s_delay_alu instid0(VALU_DEP_2)
	v_mov_b32_e32 v121, v127
	scratch_store_b64 off, v[120:121], off offset:56
.LBB121_505:
	s_wait_xcnt 0x0
	s_or_b32 exec_lo, exec_lo, s13
	scratch_load_b64 v[120:121], off, off offset:48
	v_cmp_lt_u32_e64 s0, 6, v0
	s_wait_loadcnt 0x0
	ds_store_b64 v1, v[120:121]
	s_wait_storecnt_dscnt 0x0
	s_barrier_signal -1
	s_barrier_wait -1
	s_wait_xcnt 0x0
	s_and_saveexec_b32 s12, s0
	s_cbranch_execz .LBB121_515
; %bb.506:
	s_and_not1_b32 vcc_lo, exec_lo, s3
	s_cbranch_vccnz .LBB121_508
; %bb.507:
	scratch_load_b64 v[120:121], v59, off
	ds_load_b64 v[122:123], v1
	s_wait_loadcnt_dscnt 0x0
	v_pk_mul_f32 v[124:125], v[122:123], v[120:121] op_sel:[1,1] op_sel_hi:[0,1]
	s_delay_alu instid0(VALU_DEP_1) | instskip(SKIP_1) | instid1(VALU_DEP_2)
	v_pk_fma_f32 v[126:127], v[122:123], v[120:121], v[124:125] op_sel_hi:[1,0,1]
	v_pk_fma_f32 v[120:121], v[122:123], v[120:121], v[124:125] neg_lo:[0,0,1] neg_hi:[0,0,1]
	v_mov_b32_e32 v121, v127
	s_cbranch_execz .LBB121_509
	s_branch .LBB121_510
.LBB121_508:
                                        ; implicit-def: $vgpr120_vgpr121
.LBB121_509:
	ds_load_b64 v[120:121], v1
.LBB121_510:
	s_and_saveexec_b32 s13, s1
	s_cbranch_execz .LBB121_514
; %bb.511:
	v_add_nc_u32_e32 v122, -7, v0
	s_movk_i32 s14, 0x208
	s_mov_b32 s1, 0
.LBB121_512:                            ; =>This Inner Loop Header: Depth=1
	scratch_load_b64 v[124:125], off, s11
	v_dual_mov_b32 v123, s14 :: v_dual_add_nc_u32 v122, -1, v122
	s_add_co_i32 s14, s14, 8
	s_wait_xcnt 0x0
	s_add_co_i32 s11, s11, 8
	ds_load_b64 v[126:127], v123
	v_cmp_eq_u32_e32 vcc_lo, 0, v122
	s_or_b32 s1, vcc_lo, s1
	s_wait_loadcnt_dscnt 0x0
	v_pk_mul_f32 v[128:129], v[126:127], v[124:125] op_sel:[1,1] op_sel_hi:[0,1]
	s_delay_alu instid0(VALU_DEP_1) | instskip(SKIP_1) | instid1(VALU_DEP_2)
	v_pk_fma_f32 v[130:131], v[126:127], v[124:125], v[128:129] op_sel_hi:[1,0,1]
	v_pk_fma_f32 v[124:125], v[126:127], v[124:125], v[128:129] neg_lo:[0,0,1] neg_hi:[0,0,1]
	v_mov_b32_e32 v125, v131
	s_delay_alu instid0(VALU_DEP_1)
	v_pk_add_f32 v[120:121], v[120:121], v[124:125]
	s_and_not1_b32 exec_lo, exec_lo, s1
	s_cbranch_execnz .LBB121_512
; %bb.513:
	s_or_b32 exec_lo, exec_lo, s1
.LBB121_514:
	s_delay_alu instid0(SALU_CYCLE_1) | instskip(SKIP_4) | instid1(VALU_DEP_1)
	s_or_b32 exec_lo, exec_lo, s13
	v_mov_b32_e32 v122, 0
	ds_load_b64 v[122:123], v122 offset:48
	s_wait_dscnt 0x0
	v_pk_mul_f32 v[124:125], v[120:121], v[122:123] op_sel:[1,1] op_sel_hi:[0,1]
	v_pk_fma_f32 v[126:127], v[120:121], v[122:123], v[124:125] op_sel_hi:[1,0,1]
	v_pk_fma_f32 v[120:121], v[120:121], v[122:123], v[124:125] neg_lo:[0,0,1] neg_hi:[0,0,1]
	s_delay_alu instid0(VALU_DEP_2)
	v_mov_b32_e32 v121, v127
	scratch_store_b64 off, v[120:121], off offset:48
.LBB121_515:
	s_wait_xcnt 0x0
	s_or_b32 exec_lo, exec_lo, s12
	scratch_load_b64 v[120:121], off, off offset:40
	v_cmp_lt_u32_e64 s1, 5, v0
	s_wait_loadcnt 0x0
	ds_store_b64 v1, v[120:121]
	s_wait_storecnt_dscnt 0x0
	s_barrier_signal -1
	s_barrier_wait -1
	s_wait_xcnt 0x0
	s_and_saveexec_b32 s11, s1
	s_cbranch_execz .LBB121_525
; %bb.516:
	s_and_not1_b32 vcc_lo, exec_lo, s3
	s_cbranch_vccnz .LBB121_518
; %bb.517:
	scratch_load_b64 v[120:121], v59, off
	ds_load_b64 v[122:123], v1
	s_wait_loadcnt_dscnt 0x0
	v_pk_mul_f32 v[124:125], v[122:123], v[120:121] op_sel:[1,1] op_sel_hi:[0,1]
	s_delay_alu instid0(VALU_DEP_1) | instskip(SKIP_1) | instid1(VALU_DEP_2)
	v_pk_fma_f32 v[126:127], v[122:123], v[120:121], v[124:125] op_sel_hi:[1,0,1]
	v_pk_fma_f32 v[120:121], v[122:123], v[120:121], v[124:125] neg_lo:[0,0,1] neg_hi:[0,0,1]
	v_mov_b32_e32 v121, v127
	s_cbranch_execz .LBB121_519
	s_branch .LBB121_520
.LBB121_518:
                                        ; implicit-def: $vgpr120_vgpr121
.LBB121_519:
	ds_load_b64 v[120:121], v1
.LBB121_520:
	s_and_saveexec_b32 s12, s0
	s_cbranch_execz .LBB121_524
; %bb.521:
	v_add_nc_u32_e32 v122, -6, v0
	s_movk_i32 s13, 0x200
	s_mov_b32 s0, 0
.LBB121_522:                            ; =>This Inner Loop Header: Depth=1
	scratch_load_b64 v[124:125], off, s10
	v_dual_mov_b32 v123, s13 :: v_dual_add_nc_u32 v122, -1, v122
	s_add_co_i32 s13, s13, 8
	s_wait_xcnt 0x0
	s_add_co_i32 s10, s10, 8
	ds_load_b64 v[126:127], v123
	v_cmp_eq_u32_e32 vcc_lo, 0, v122
	s_or_b32 s0, vcc_lo, s0
	s_wait_loadcnt_dscnt 0x0
	v_pk_mul_f32 v[128:129], v[126:127], v[124:125] op_sel:[1,1] op_sel_hi:[0,1]
	s_delay_alu instid0(VALU_DEP_1) | instskip(SKIP_1) | instid1(VALU_DEP_2)
	v_pk_fma_f32 v[130:131], v[126:127], v[124:125], v[128:129] op_sel_hi:[1,0,1]
	v_pk_fma_f32 v[124:125], v[126:127], v[124:125], v[128:129] neg_lo:[0,0,1] neg_hi:[0,0,1]
	v_mov_b32_e32 v125, v131
	s_delay_alu instid0(VALU_DEP_1)
	v_pk_add_f32 v[120:121], v[120:121], v[124:125]
	s_and_not1_b32 exec_lo, exec_lo, s0
	s_cbranch_execnz .LBB121_522
; %bb.523:
	s_or_b32 exec_lo, exec_lo, s0
.LBB121_524:
	s_delay_alu instid0(SALU_CYCLE_1) | instskip(SKIP_4) | instid1(VALU_DEP_1)
	s_or_b32 exec_lo, exec_lo, s12
	v_mov_b32_e32 v122, 0
	ds_load_b64 v[122:123], v122 offset:40
	s_wait_dscnt 0x0
	v_pk_mul_f32 v[124:125], v[120:121], v[122:123] op_sel:[1,1] op_sel_hi:[0,1]
	v_pk_fma_f32 v[126:127], v[120:121], v[122:123], v[124:125] op_sel_hi:[1,0,1]
	v_pk_fma_f32 v[120:121], v[120:121], v[122:123], v[124:125] neg_lo:[0,0,1] neg_hi:[0,0,1]
	s_delay_alu instid0(VALU_DEP_2)
	v_mov_b32_e32 v121, v127
	scratch_store_b64 off, v[120:121], off offset:40
.LBB121_525:
	s_wait_xcnt 0x0
	s_or_b32 exec_lo, exec_lo, s11
	scratch_load_b64 v[120:121], off, off offset:32
	v_cmp_lt_u32_e64 s0, 4, v0
	s_wait_loadcnt 0x0
	ds_store_b64 v1, v[120:121]
	s_wait_storecnt_dscnt 0x0
	s_barrier_signal -1
	s_barrier_wait -1
	s_wait_xcnt 0x0
	s_and_saveexec_b32 s10, s0
	s_cbranch_execz .LBB121_535
; %bb.526:
	s_and_not1_b32 vcc_lo, exec_lo, s3
	s_cbranch_vccnz .LBB121_528
; %bb.527:
	scratch_load_b64 v[120:121], v59, off
	ds_load_b64 v[122:123], v1
	s_wait_loadcnt_dscnt 0x0
	v_pk_mul_f32 v[124:125], v[122:123], v[120:121] op_sel:[1,1] op_sel_hi:[0,1]
	s_delay_alu instid0(VALU_DEP_1) | instskip(SKIP_1) | instid1(VALU_DEP_2)
	v_pk_fma_f32 v[126:127], v[122:123], v[120:121], v[124:125] op_sel_hi:[1,0,1]
	v_pk_fma_f32 v[120:121], v[122:123], v[120:121], v[124:125] neg_lo:[0,0,1] neg_hi:[0,0,1]
	v_mov_b32_e32 v121, v127
	s_cbranch_execz .LBB121_529
	s_branch .LBB121_530
.LBB121_528:
                                        ; implicit-def: $vgpr120_vgpr121
.LBB121_529:
	ds_load_b64 v[120:121], v1
.LBB121_530:
	s_and_saveexec_b32 s11, s1
	s_cbranch_execz .LBB121_534
; %bb.531:
	v_add_nc_u32_e32 v122, -5, v0
	s_movk_i32 s12, 0x1f8
	s_mov_b32 s1, 0
.LBB121_532:                            ; =>This Inner Loop Header: Depth=1
	scratch_load_b64 v[124:125], off, s9
	v_dual_mov_b32 v123, s12 :: v_dual_add_nc_u32 v122, -1, v122
	s_add_co_i32 s12, s12, 8
	s_wait_xcnt 0x0
	s_add_co_i32 s9, s9, 8
	ds_load_b64 v[126:127], v123
	v_cmp_eq_u32_e32 vcc_lo, 0, v122
	s_or_b32 s1, vcc_lo, s1
	s_wait_loadcnt_dscnt 0x0
	v_pk_mul_f32 v[128:129], v[126:127], v[124:125] op_sel:[1,1] op_sel_hi:[0,1]
	s_delay_alu instid0(VALU_DEP_1) | instskip(SKIP_1) | instid1(VALU_DEP_2)
	v_pk_fma_f32 v[130:131], v[126:127], v[124:125], v[128:129] op_sel_hi:[1,0,1]
	v_pk_fma_f32 v[124:125], v[126:127], v[124:125], v[128:129] neg_lo:[0,0,1] neg_hi:[0,0,1]
	v_mov_b32_e32 v125, v131
	s_delay_alu instid0(VALU_DEP_1)
	v_pk_add_f32 v[120:121], v[120:121], v[124:125]
	s_and_not1_b32 exec_lo, exec_lo, s1
	s_cbranch_execnz .LBB121_532
; %bb.533:
	s_or_b32 exec_lo, exec_lo, s1
.LBB121_534:
	s_delay_alu instid0(SALU_CYCLE_1) | instskip(SKIP_4) | instid1(VALU_DEP_1)
	s_or_b32 exec_lo, exec_lo, s11
	v_mov_b32_e32 v122, 0
	ds_load_b64 v[122:123], v122 offset:32
	s_wait_dscnt 0x0
	v_pk_mul_f32 v[124:125], v[120:121], v[122:123] op_sel:[1,1] op_sel_hi:[0,1]
	v_pk_fma_f32 v[126:127], v[120:121], v[122:123], v[124:125] op_sel_hi:[1,0,1]
	v_pk_fma_f32 v[120:121], v[120:121], v[122:123], v[124:125] neg_lo:[0,0,1] neg_hi:[0,0,1]
	s_delay_alu instid0(VALU_DEP_2)
	v_mov_b32_e32 v121, v127
	scratch_store_b64 off, v[120:121], off offset:32
.LBB121_535:
	s_wait_xcnt 0x0
	s_or_b32 exec_lo, exec_lo, s10
	scratch_load_b64 v[120:121], off, off offset:24
	v_cmp_lt_u32_e64 s1, 3, v0
	s_wait_loadcnt 0x0
	ds_store_b64 v1, v[120:121]
	s_wait_storecnt_dscnt 0x0
	s_barrier_signal -1
	s_barrier_wait -1
	s_wait_xcnt 0x0
	s_and_saveexec_b32 s9, s1
	s_cbranch_execz .LBB121_545
; %bb.536:
	s_and_not1_b32 vcc_lo, exec_lo, s3
	s_cbranch_vccnz .LBB121_538
; %bb.537:
	scratch_load_b64 v[120:121], v59, off
	ds_load_b64 v[122:123], v1
	s_wait_loadcnt_dscnt 0x0
	v_pk_mul_f32 v[124:125], v[122:123], v[120:121] op_sel:[1,1] op_sel_hi:[0,1]
	s_delay_alu instid0(VALU_DEP_1) | instskip(SKIP_1) | instid1(VALU_DEP_2)
	v_pk_fma_f32 v[126:127], v[122:123], v[120:121], v[124:125] op_sel_hi:[1,0,1]
	v_pk_fma_f32 v[120:121], v[122:123], v[120:121], v[124:125] neg_lo:[0,0,1] neg_hi:[0,0,1]
	v_mov_b32_e32 v121, v127
	s_cbranch_execz .LBB121_539
	s_branch .LBB121_540
.LBB121_538:
                                        ; implicit-def: $vgpr120_vgpr121
.LBB121_539:
	ds_load_b64 v[120:121], v1
.LBB121_540:
	s_and_saveexec_b32 s10, s0
	s_cbranch_execz .LBB121_544
; %bb.541:
	v_add_nc_u32_e32 v122, -4, v0
	s_movk_i32 s11, 0x1f0
	s_mov_b32 s0, 0
.LBB121_542:                            ; =>This Inner Loop Header: Depth=1
	scratch_load_b64 v[124:125], off, s2
	v_dual_mov_b32 v123, s11 :: v_dual_add_nc_u32 v122, -1, v122
	s_add_co_i32 s11, s11, 8
	s_wait_xcnt 0x0
	s_add_co_i32 s2, s2, 8
	ds_load_b64 v[126:127], v123
	v_cmp_eq_u32_e32 vcc_lo, 0, v122
	s_or_b32 s0, vcc_lo, s0
	s_wait_loadcnt_dscnt 0x0
	v_pk_mul_f32 v[128:129], v[126:127], v[124:125] op_sel:[1,1] op_sel_hi:[0,1]
	s_delay_alu instid0(VALU_DEP_1) | instskip(SKIP_1) | instid1(VALU_DEP_2)
	v_pk_fma_f32 v[130:131], v[126:127], v[124:125], v[128:129] op_sel_hi:[1,0,1]
	v_pk_fma_f32 v[124:125], v[126:127], v[124:125], v[128:129] neg_lo:[0,0,1] neg_hi:[0,0,1]
	v_mov_b32_e32 v125, v131
	s_delay_alu instid0(VALU_DEP_1)
	v_pk_add_f32 v[120:121], v[120:121], v[124:125]
	s_and_not1_b32 exec_lo, exec_lo, s0
	s_cbranch_execnz .LBB121_542
; %bb.543:
	s_or_b32 exec_lo, exec_lo, s0
.LBB121_544:
	s_delay_alu instid0(SALU_CYCLE_1) | instskip(SKIP_4) | instid1(VALU_DEP_1)
	s_or_b32 exec_lo, exec_lo, s10
	v_mov_b32_e32 v122, 0
	ds_load_b64 v[122:123], v122 offset:24
	s_wait_dscnt 0x0
	v_pk_mul_f32 v[124:125], v[120:121], v[122:123] op_sel:[1,1] op_sel_hi:[0,1]
	v_pk_fma_f32 v[126:127], v[120:121], v[122:123], v[124:125] op_sel_hi:[1,0,1]
	v_pk_fma_f32 v[120:121], v[120:121], v[122:123], v[124:125] neg_lo:[0,0,1] neg_hi:[0,0,1]
	s_delay_alu instid0(VALU_DEP_2)
	v_mov_b32_e32 v121, v127
	scratch_store_b64 off, v[120:121], off offset:24
.LBB121_545:
	s_wait_xcnt 0x0
	s_or_b32 exec_lo, exec_lo, s9
	scratch_load_b64 v[120:121], off, off offset:16
	v_cmp_lt_u32_e64 s2, 2, v0
	s_wait_loadcnt 0x0
	ds_store_b64 v1, v[120:121]
	s_wait_storecnt_dscnt 0x0
	s_barrier_signal -1
	s_barrier_wait -1
	s_wait_xcnt 0x0
	s_and_saveexec_b32 s0, s2
	s_cbranch_execz .LBB121_555
; %bb.546:
	s_and_not1_b32 vcc_lo, exec_lo, s3
	s_cbranch_vccnz .LBB121_548
; %bb.547:
	scratch_load_b64 v[120:121], v59, off
	ds_load_b64 v[122:123], v1
	s_wait_loadcnt_dscnt 0x0
	v_pk_mul_f32 v[124:125], v[122:123], v[120:121] op_sel:[1,1] op_sel_hi:[0,1]
	s_delay_alu instid0(VALU_DEP_1) | instskip(SKIP_1) | instid1(VALU_DEP_2)
	v_pk_fma_f32 v[126:127], v[122:123], v[120:121], v[124:125] op_sel_hi:[1,0,1]
	v_pk_fma_f32 v[120:121], v[122:123], v[120:121], v[124:125] neg_lo:[0,0,1] neg_hi:[0,0,1]
	v_mov_b32_e32 v121, v127
	s_cbranch_execz .LBB121_549
	s_branch .LBB121_550
.LBB121_548:
                                        ; implicit-def: $vgpr120_vgpr121
.LBB121_549:
	ds_load_b64 v[120:121], v1
.LBB121_550:
	s_and_saveexec_b32 s9, s1
	s_cbranch_execz .LBB121_554
; %bb.551:
	v_add_nc_u32_e32 v122, -3, v0
	s_movk_i32 s10, 0x1e8
	s_mov_b32 s1, 0
.LBB121_552:                            ; =>This Inner Loop Header: Depth=1
	scratch_load_b64 v[124:125], off, s8
	v_dual_mov_b32 v123, s10 :: v_dual_add_nc_u32 v122, -1, v122
	s_add_co_i32 s10, s10, 8
	s_wait_xcnt 0x0
	s_add_co_i32 s8, s8, 8
	ds_load_b64 v[126:127], v123
	v_cmp_eq_u32_e32 vcc_lo, 0, v122
	s_or_b32 s1, vcc_lo, s1
	s_wait_loadcnt_dscnt 0x0
	v_pk_mul_f32 v[128:129], v[126:127], v[124:125] op_sel:[1,1] op_sel_hi:[0,1]
	s_delay_alu instid0(VALU_DEP_1) | instskip(SKIP_1) | instid1(VALU_DEP_2)
	v_pk_fma_f32 v[130:131], v[126:127], v[124:125], v[128:129] op_sel_hi:[1,0,1]
	v_pk_fma_f32 v[124:125], v[126:127], v[124:125], v[128:129] neg_lo:[0,0,1] neg_hi:[0,0,1]
	v_mov_b32_e32 v125, v131
	s_delay_alu instid0(VALU_DEP_1)
	v_pk_add_f32 v[120:121], v[120:121], v[124:125]
	s_and_not1_b32 exec_lo, exec_lo, s1
	s_cbranch_execnz .LBB121_552
; %bb.553:
	s_or_b32 exec_lo, exec_lo, s1
.LBB121_554:
	s_delay_alu instid0(SALU_CYCLE_1) | instskip(SKIP_4) | instid1(VALU_DEP_1)
	s_or_b32 exec_lo, exec_lo, s9
	v_mov_b32_e32 v122, 0
	ds_load_b64 v[122:123], v122 offset:16
	s_wait_dscnt 0x0
	v_pk_mul_f32 v[124:125], v[120:121], v[122:123] op_sel:[1,1] op_sel_hi:[0,1]
	v_pk_fma_f32 v[126:127], v[120:121], v[122:123], v[124:125] op_sel_hi:[1,0,1]
	v_pk_fma_f32 v[120:121], v[120:121], v[122:123], v[124:125] neg_lo:[0,0,1] neg_hi:[0,0,1]
	s_delay_alu instid0(VALU_DEP_2)
	v_mov_b32_e32 v121, v127
	scratch_store_b64 off, v[120:121], off offset:16
.LBB121_555:
	s_wait_xcnt 0x0
	s_or_b32 exec_lo, exec_lo, s0
	scratch_load_b64 v[120:121], off, off offset:8
	v_cmp_lt_u32_e64 s0, 1, v0
	s_wait_loadcnt 0x0
	ds_store_b64 v1, v[120:121]
	s_wait_storecnt_dscnt 0x0
	s_barrier_signal -1
	s_barrier_wait -1
	s_wait_xcnt 0x0
	s_and_saveexec_b32 s1, s0
	s_cbranch_execz .LBB121_565
; %bb.556:
	s_and_not1_b32 vcc_lo, exec_lo, s3
	s_cbranch_vccnz .LBB121_558
; %bb.557:
	scratch_load_b64 v[120:121], v59, off
	ds_load_b64 v[122:123], v1
	s_wait_loadcnt_dscnt 0x0
	v_pk_mul_f32 v[124:125], v[122:123], v[120:121] op_sel:[1,1] op_sel_hi:[0,1]
	s_delay_alu instid0(VALU_DEP_1) | instskip(SKIP_1) | instid1(VALU_DEP_2)
	v_pk_fma_f32 v[126:127], v[122:123], v[120:121], v[124:125] op_sel_hi:[1,0,1]
	v_pk_fma_f32 v[120:121], v[122:123], v[120:121], v[124:125] neg_lo:[0,0,1] neg_hi:[0,0,1]
	v_mov_b32_e32 v121, v127
	s_cbranch_execz .LBB121_559
	s_branch .LBB121_560
.LBB121_558:
                                        ; implicit-def: $vgpr120_vgpr121
.LBB121_559:
	ds_load_b64 v[120:121], v1
.LBB121_560:
	s_and_saveexec_b32 s8, s2
	s_cbranch_execz .LBB121_564
; %bb.561:
	v_add_nc_u32_e32 v122, -2, v0
	s_movk_i32 s9, 0x1e0
	s_mov_b32 s2, 0
.LBB121_562:                            ; =>This Inner Loop Header: Depth=1
	scratch_load_b64 v[124:125], off, s5
	v_dual_mov_b32 v123, s9 :: v_dual_add_nc_u32 v122, -1, v122
	s_add_co_i32 s9, s9, 8
	s_wait_xcnt 0x0
	s_add_co_i32 s5, s5, 8
	ds_load_b64 v[126:127], v123
	v_cmp_eq_u32_e32 vcc_lo, 0, v122
	s_or_b32 s2, vcc_lo, s2
	s_wait_loadcnt_dscnt 0x0
	v_pk_mul_f32 v[128:129], v[126:127], v[124:125] op_sel:[1,1] op_sel_hi:[0,1]
	s_delay_alu instid0(VALU_DEP_1) | instskip(SKIP_1) | instid1(VALU_DEP_2)
	v_pk_fma_f32 v[130:131], v[126:127], v[124:125], v[128:129] op_sel_hi:[1,0,1]
	v_pk_fma_f32 v[124:125], v[126:127], v[124:125], v[128:129] neg_lo:[0,0,1] neg_hi:[0,0,1]
	v_mov_b32_e32 v125, v131
	s_delay_alu instid0(VALU_DEP_1)
	v_pk_add_f32 v[120:121], v[120:121], v[124:125]
	s_and_not1_b32 exec_lo, exec_lo, s2
	s_cbranch_execnz .LBB121_562
; %bb.563:
	s_or_b32 exec_lo, exec_lo, s2
.LBB121_564:
	s_delay_alu instid0(SALU_CYCLE_1) | instskip(SKIP_4) | instid1(VALU_DEP_1)
	s_or_b32 exec_lo, exec_lo, s8
	v_mov_b32_e32 v122, 0
	ds_load_b64 v[122:123], v122 offset:8
	s_wait_dscnt 0x0
	v_pk_mul_f32 v[124:125], v[120:121], v[122:123] op_sel:[1,1] op_sel_hi:[0,1]
	v_pk_fma_f32 v[126:127], v[120:121], v[122:123], v[124:125] op_sel_hi:[1,0,1]
	v_pk_fma_f32 v[120:121], v[120:121], v[122:123], v[124:125] neg_lo:[0,0,1] neg_hi:[0,0,1]
	s_delay_alu instid0(VALU_DEP_2)
	v_mov_b32_e32 v121, v127
	scratch_store_b64 off, v[120:121], off offset:8
.LBB121_565:
	s_wait_xcnt 0x0
	s_or_b32 exec_lo, exec_lo, s1
	scratch_load_b64 v[120:121], off, off
	s_mov_b32 s2, 0
	s_mov_b32 s1, 0
	s_mov_b32 s8, exec_lo
                                        ; implicit-def: $vgpr174
                                        ; implicit-def: $sgpr5
	s_wait_loadcnt 0x0
	ds_store_b64 v1, v[120:121]
	s_wait_storecnt_dscnt 0x0
	s_barrier_signal -1
	s_barrier_wait -1
	s_wait_xcnt 0x0
	v_cmpx_ne_u32_e32 0, v0
	s_cbranch_execz .LBB121_575
; %bb.566:
	s_and_not1_b32 vcc_lo, exec_lo, s3
	s_cbranch_vccnz .LBB121_568
; %bb.567:
	scratch_load_b64 v[122:123], v59, off
	ds_load_b64 v[124:125], v1
	s_wait_loadcnt_dscnt 0x0
	v_dual_mul_f32 v120, v125, v123 :: v_dual_mul_f32 v121, v124, v123
	s_delay_alu instid0(VALU_DEP_1)
	v_dual_fma_f32 v120, v124, v122, -v120 :: v_dual_fmac_f32 v121, v125, v122
	s_and_not1_b32 vcc_lo, exec_lo, s1
	s_cbranch_vccz .LBB121_569
	s_branch .LBB121_570
.LBB121_568:
                                        ; implicit-def: $vgpr120
.LBB121_569:
	ds_load_b64 v[120:121], v1
.LBB121_570:
	s_and_saveexec_b32 s1, s0
	s_cbranch_execz .LBB121_574
; %bb.571:
	v_add_nc_u32_e32 v122, -1, v0
	s_movk_i32 s5, 0x1d8
	s_mov_b32 s0, 0
.LBB121_572:                            ; =>This Inner Loop Header: Depth=1
	scratch_load_b64 v[124:125], off, s4
	v_mov_b32_e32 v123, s5
	s_add_co_i32 s5, s5, 8
	s_wait_xcnt 0x0
	s_add_co_i32 s4, s4, 8
	v_add_nc_u32_e32 v122, -1, v122
	ds_load_b64 v[126:127], v123
	v_cmp_eq_u32_e32 vcc_lo, 0, v122
	s_or_b32 s0, vcc_lo, s0
	s_wait_loadcnt_dscnt 0x0
	v_dual_mul_f32 v123, v127, v125 :: v_dual_mul_f32 v125, v126, v125
	s_delay_alu instid0(VALU_DEP_1) | instskip(NEXT) | instid1(VALU_DEP_1)
	v_dual_fma_f32 v123, v126, v124, -v123 :: v_dual_fmac_f32 v125, v127, v124
	v_dual_add_f32 v120, v120, v123 :: v_dual_add_f32 v121, v121, v125
	s_and_not1_b32 exec_lo, exec_lo, s0
	s_cbranch_execnz .LBB121_572
; %bb.573:
	s_or_b32 exec_lo, exec_lo, s0
.LBB121_574:
	s_delay_alu instid0(SALU_CYCLE_1)
	s_or_b32 exec_lo, exec_lo, s1
	v_mov_b32_e32 v122, 0
	s_mov_b32 s1, exec_lo
	s_or_b32 s5, 0, 4
	ds_load_b64 v[122:123], v122
	s_wait_dscnt 0x0
	v_dual_mul_f32 v124, v121, v123 :: v_dual_mul_f32 v174, v120, v123
	s_delay_alu instid0(VALU_DEP_1)
	v_dual_fma_f32 v120, v120, v122, -v124 :: v_dual_fmac_f32 v174, v121, v122
	scratch_store_b32 off, v120, off
.LBB121_575:
	s_wait_xcnt 0x0
	s_or_b32 exec_lo, exec_lo, s8
	s_delay_alu instid0(SALU_CYCLE_1)
	s_and_b32 vcc_lo, exec_lo, s2
	s_cbranch_vccz .LBB121_1141
.LBB121_576:
	scratch_load_b64 v[120:121], off, off offset:8
	v_cmp_eq_u32_e64 s0, 0, v0
	s_wait_loadcnt 0x0
	ds_store_b64 v1, v[120:121]
	s_wait_storecnt_dscnt 0x0
	s_barrier_signal -1
	s_barrier_wait -1
	s_wait_xcnt 0x0
	s_and_saveexec_b32 s2, s0
	s_cbranch_execz .LBB121_582
; %bb.577:
	s_and_b32 vcc_lo, exec_lo, s3
	s_cbranch_vccz .LBB121_579
; %bb.578:
	scratch_load_b64 v[120:121], v59, off
	ds_load_b64 v[122:123], v1
	s_wait_loadcnt_dscnt 0x0
	v_pk_mul_f32 v[124:125], v[122:123], v[120:121] op_sel:[1,1] op_sel_hi:[0,1]
	v_pk_mul_f32 v[126:127], v[122:123], v[120:121] op_sel_hi:[1,0]
	s_delay_alu instid0(VALU_DEP_2) | instskip(NEXT) | instid1(VALU_DEP_2)
	v_pk_fma_f32 v[120:121], v[122:123], v[120:121], v[124:125] op_sel_hi:[1,0,1]
	v_sub_f32_e32 v120, v126, v124
	s_cbranch_execz .LBB121_580
	s_branch .LBB121_581
.LBB121_579:
                                        ; implicit-def: $vgpr121
.LBB121_580:
	ds_load_b64 v[120:121], v1
.LBB121_581:
	s_wait_dscnt 0x0
	v_dual_mov_b32 v122, 0 :: v_dual_mov_b32 v124, v121
	v_mov_b32_e32 v125, v120
	ds_load_b64 v[122:123], v122 offset:8
	s_wait_dscnt 0x0
	v_pk_mul_f32 v[124:125], v[124:125], v[122:123] op_sel:[0,1]
	s_delay_alu instid0(VALU_DEP_1) | instskip(SKIP_1) | instid1(VALU_DEP_2)
	v_pk_fma_f32 v[126:127], v[120:121], v[122:123], v[124:125] op_sel_hi:[1,0,1]
	v_pk_fma_f32 v[120:121], v[120:121], v[122:123], v[124:125] neg_lo:[0,0,1] neg_hi:[0,0,1]
	v_mov_b32_e32 v121, v127
	scratch_store_b64 off, v[120:121], off offset:8
.LBB121_582:
	s_wait_xcnt 0x0
	s_or_b32 exec_lo, exec_lo, s2
	scratch_load_b64 v[120:121], off, off offset:16
	v_cndmask_b32_e64 v122, 0, 1, s3
	s_mov_b32 s2, exec_lo
	s_wait_loadcnt 0x0
	ds_store_b64 v1, v[120:121]
	s_wait_storecnt_dscnt 0x0
	s_barrier_signal -1
	s_barrier_wait -1
	s_wait_xcnt 0x0
	v_cmpx_gt_u32_e32 2, v0
	s_cbranch_execz .LBB121_590
; %bb.583:
	s_and_not1_b32 vcc_lo, exec_lo, s3
	s_cbranch_vccnz .LBB121_585
; %bb.584:
	scratch_load_b64 v[120:121], v59, off
	ds_load_b64 v[124:125], v1
	s_wait_loadcnt_dscnt 0x0
	v_pk_mul_f32 v[126:127], v[124:125], v[120:121] op_sel:[1,1] op_sel_hi:[0,1]
	s_delay_alu instid0(VALU_DEP_1) | instskip(SKIP_1) | instid1(VALU_DEP_2)
	v_pk_fma_f32 v[128:129], v[124:125], v[120:121], v[126:127] op_sel_hi:[1,0,1]
	v_pk_fma_f32 v[120:121], v[124:125], v[120:121], v[126:127] neg_lo:[0,0,1] neg_hi:[0,0,1]
	v_mov_b32_e32 v121, v129
	s_cbranch_execz .LBB121_586
	s_branch .LBB121_587
.LBB121_585:
                                        ; implicit-def: $vgpr120_vgpr121
.LBB121_586:
	ds_load_b64 v[120:121], v1
.LBB121_587:
	s_and_saveexec_b32 s3, s0
	s_cbranch_execz .LBB121_589
; %bb.588:
	scratch_load_b64 v[124:125], off, off offset:8
	v_mov_b32_e32 v123, 0
	ds_load_b64 v[126:127], v123 offset:472
	s_wait_loadcnt_dscnt 0x0
	v_pk_mul_f32 v[128:129], v[126:127], v[124:125] op_sel:[1,1] op_sel_hi:[0,1]
	s_delay_alu instid0(VALU_DEP_1) | instskip(SKIP_1) | instid1(VALU_DEP_2)
	v_pk_fma_f32 v[130:131], v[126:127], v[124:125], v[128:129] op_sel_hi:[1,0,1]
	v_pk_fma_f32 v[124:125], v[126:127], v[124:125], v[128:129] neg_lo:[0,0,1] neg_hi:[0,0,1]
	v_mov_b32_e32 v125, v131
	s_delay_alu instid0(VALU_DEP_1)
	v_pk_add_f32 v[120:121], v[120:121], v[124:125]
.LBB121_589:
	s_or_b32 exec_lo, exec_lo, s3
	v_mov_b32_e32 v123, 0
	ds_load_b64 v[124:125], v123 offset:16
	s_wait_dscnt 0x0
	v_pk_mul_f32 v[126:127], v[120:121], v[124:125] op_sel:[1,1] op_sel_hi:[0,1]
	s_delay_alu instid0(VALU_DEP_1) | instskip(SKIP_1) | instid1(VALU_DEP_2)
	v_pk_fma_f32 v[128:129], v[120:121], v[124:125], v[126:127] op_sel_hi:[1,0,1]
	v_pk_fma_f32 v[120:121], v[120:121], v[124:125], v[126:127] neg_lo:[0,0,1] neg_hi:[0,0,1]
	v_mov_b32_e32 v121, v129
	scratch_store_b64 off, v[120:121], off offset:16
.LBB121_590:
	s_wait_xcnt 0x0
	s_or_b32 exec_lo, exec_lo, s2
	scratch_load_b64 v[120:121], off, off offset:24
	s_mov_b32 s2, exec_lo
	s_wait_loadcnt 0x0
	ds_store_b64 v1, v[120:121]
	s_wait_storecnt_dscnt 0x0
	s_barrier_signal -1
	s_barrier_wait -1
	s_wait_xcnt 0x0
	v_cmpx_gt_u32_e32 3, v0
	s_cbranch_execz .LBB121_600
; %bb.591:
	v_cmp_ne_u32_e32 vcc_lo, 1, v122
	s_cbranch_vccnz .LBB121_593
; %bb.592:
	scratch_load_b64 v[120:121], v59, off
	ds_load_b64 v[124:125], v1
	s_wait_loadcnt_dscnt 0x0
	v_pk_mul_f32 v[126:127], v[124:125], v[120:121] op_sel:[1,1] op_sel_hi:[0,1]
	s_delay_alu instid0(VALU_DEP_1) | instskip(SKIP_1) | instid1(VALU_DEP_2)
	v_pk_fma_f32 v[128:129], v[124:125], v[120:121], v[126:127] op_sel_hi:[1,0,1]
	v_pk_fma_f32 v[120:121], v[124:125], v[120:121], v[126:127] neg_lo:[0,0,1] neg_hi:[0,0,1]
	v_mov_b32_e32 v121, v129
	s_cbranch_execz .LBB121_594
	s_branch .LBB121_595
.LBB121_593:
                                        ; implicit-def: $vgpr120_vgpr121
.LBB121_594:
	ds_load_b64 v[120:121], v1
.LBB121_595:
	s_mov_b32 s3, exec_lo
	v_cmpx_ne_u32_e32 2, v0
	s_cbranch_execz .LBB121_599
; %bb.596:
	scratch_load_b64 v[124:125], v59, off offset:8
	ds_load_b64 v[126:127], v1 offset:8
	s_wait_loadcnt_dscnt 0x0
	v_pk_mul_f32 v[128:129], v[126:127], v[124:125] op_sel:[1,1] op_sel_hi:[0,1]
	s_delay_alu instid0(VALU_DEP_1) | instskip(SKIP_1) | instid1(VALU_DEP_2)
	v_pk_fma_f32 v[130:131], v[126:127], v[124:125], v[128:129] op_sel_hi:[1,0,1]
	v_pk_fma_f32 v[124:125], v[126:127], v[124:125], v[128:129] neg_lo:[0,0,1] neg_hi:[0,0,1]
	v_mov_b32_e32 v125, v131
	s_delay_alu instid0(VALU_DEP_1)
	v_pk_add_f32 v[120:121], v[120:121], v[124:125]
	s_and_saveexec_b32 s4, s0
	s_cbranch_execz .LBB121_598
; %bb.597:
	scratch_load_b64 v[124:125], off, off offset:16
	v_mov_b32_e32 v123, 0
	ds_load_b64 v[126:127], v123 offset:480
	s_wait_loadcnt_dscnt 0x0
	v_pk_mul_f32 v[128:129], v[126:127], v[124:125] op_sel:[1,1] op_sel_hi:[0,1]
	s_delay_alu instid0(VALU_DEP_1) | instskip(SKIP_1) | instid1(VALU_DEP_2)
	v_pk_fma_f32 v[130:131], v[126:127], v[124:125], v[128:129] op_sel_hi:[1,0,1]
	v_pk_fma_f32 v[124:125], v[126:127], v[124:125], v[128:129] neg_lo:[0,0,1] neg_hi:[0,0,1]
	v_mov_b32_e32 v125, v131
	s_delay_alu instid0(VALU_DEP_1)
	v_pk_add_f32 v[120:121], v[120:121], v[124:125]
.LBB121_598:
	s_or_b32 exec_lo, exec_lo, s4
.LBB121_599:
	s_delay_alu instid0(SALU_CYCLE_1) | instskip(SKIP_4) | instid1(VALU_DEP_1)
	s_or_b32 exec_lo, exec_lo, s3
	v_mov_b32_e32 v123, 0
	ds_load_b64 v[124:125], v123 offset:24
	s_wait_dscnt 0x0
	v_pk_mul_f32 v[126:127], v[120:121], v[124:125] op_sel:[1,1] op_sel_hi:[0,1]
	v_pk_fma_f32 v[128:129], v[120:121], v[124:125], v[126:127] op_sel_hi:[1,0,1]
	v_pk_fma_f32 v[120:121], v[120:121], v[124:125], v[126:127] neg_lo:[0,0,1] neg_hi:[0,0,1]
	s_delay_alu instid0(VALU_DEP_2)
	v_mov_b32_e32 v121, v129
	scratch_store_b64 off, v[120:121], off offset:24
.LBB121_600:
	s_wait_xcnt 0x0
	s_or_b32 exec_lo, exec_lo, s2
	scratch_load_b64 v[120:121], off, off offset:32
	s_mov_b32 s0, exec_lo
	s_wait_loadcnt 0x0
	ds_store_b64 v1, v[120:121]
	s_wait_storecnt_dscnt 0x0
	s_barrier_signal -1
	s_barrier_wait -1
	s_wait_xcnt 0x0
	v_cmpx_gt_u32_e32 4, v0
	s_cbranch_execz .LBB121_610
; %bb.601:
	v_cmp_ne_u32_e32 vcc_lo, 1, v122
	s_cbranch_vccnz .LBB121_603
; %bb.602:
	scratch_load_b64 v[120:121], v59, off
	ds_load_b64 v[124:125], v1
	s_wait_loadcnt_dscnt 0x0
	v_pk_mul_f32 v[126:127], v[124:125], v[120:121] op_sel:[1,1] op_sel_hi:[0,1]
	s_delay_alu instid0(VALU_DEP_1) | instskip(SKIP_1) | instid1(VALU_DEP_2)
	v_pk_fma_f32 v[128:129], v[124:125], v[120:121], v[126:127] op_sel_hi:[1,0,1]
	v_pk_fma_f32 v[120:121], v[124:125], v[120:121], v[126:127] neg_lo:[0,0,1] neg_hi:[0,0,1]
	v_mov_b32_e32 v121, v129
	s_cbranch_execz .LBB121_604
	s_branch .LBB121_605
.LBB121_603:
                                        ; implicit-def: $vgpr120_vgpr121
.LBB121_604:
	ds_load_b64 v[120:121], v1
.LBB121_605:
	s_mov_b32 s2, exec_lo
	v_cmpx_ne_u32_e32 3, v0
	s_cbranch_execz .LBB121_609
; %bb.606:
	v_add_nc_u32_e32 v123, 0x1d8, v58
	v_add3_u32 v124, 0, v58, 8
	v_mov_b32_e32 v125, v0
	s_mov_b32 s3, 0
.LBB121_607:                            ; =>This Inner Loop Header: Depth=1
	scratch_load_b64 v[126:127], v124, off
	ds_load_b64 v[128:129], v123
	s_wait_xcnt 0x0
	v_dual_add_nc_u32 v123, 8, v123 :: v_dual_add_nc_u32 v124, 8, v124
	s_wait_loadcnt_dscnt 0x0
	v_pk_mul_f32 v[130:131], v[128:129], v[126:127] op_sel:[1,1] op_sel_hi:[0,1]
	s_delay_alu instid0(VALU_DEP_1) | instskip(SKIP_2) | instid1(VALU_DEP_3)
	v_pk_fma_f32 v[132:133], v[128:129], v[126:127], v[130:131] op_sel_hi:[1,0,1]
	v_add_nc_u32_e32 v125, 1, v125
	v_pk_fma_f32 v[126:127], v[128:129], v[126:127], v[130:131] neg_lo:[0,0,1] neg_hi:[0,0,1]
	v_mov_b32_e32 v127, v133
	s_delay_alu instid0(VALU_DEP_3) | instskip(NEXT) | instid1(VALU_DEP_2)
	v_cmp_lt_u32_e32 vcc_lo, 2, v125
	v_pk_add_f32 v[120:121], v[120:121], v[126:127]
	s_or_b32 s3, vcc_lo, s3
	s_delay_alu instid0(SALU_CYCLE_1)
	s_and_not1_b32 exec_lo, exec_lo, s3
	s_cbranch_execnz .LBB121_607
; %bb.608:
	s_or_b32 exec_lo, exec_lo, s3
.LBB121_609:
	s_delay_alu instid0(SALU_CYCLE_1) | instskip(SKIP_4) | instid1(VALU_DEP_1)
	s_or_b32 exec_lo, exec_lo, s2
	v_mov_b32_e32 v123, 0
	ds_load_b64 v[124:125], v123 offset:32
	s_wait_dscnt 0x0
	v_pk_mul_f32 v[126:127], v[120:121], v[124:125] op_sel:[1,1] op_sel_hi:[0,1]
	v_pk_fma_f32 v[128:129], v[120:121], v[124:125], v[126:127] op_sel_hi:[1,0,1]
	v_pk_fma_f32 v[120:121], v[120:121], v[124:125], v[126:127] neg_lo:[0,0,1] neg_hi:[0,0,1]
	s_delay_alu instid0(VALU_DEP_2)
	v_mov_b32_e32 v121, v129
	scratch_store_b64 off, v[120:121], off offset:32
.LBB121_610:
	s_wait_xcnt 0x0
	s_or_b32 exec_lo, exec_lo, s0
	scratch_load_b64 v[120:121], off, off offset:40
	s_mov_b32 s0, exec_lo
	s_wait_loadcnt 0x0
	ds_store_b64 v1, v[120:121]
	s_wait_storecnt_dscnt 0x0
	s_barrier_signal -1
	s_barrier_wait -1
	s_wait_xcnt 0x0
	v_cmpx_gt_u32_e32 5, v0
	s_cbranch_execz .LBB121_620
; %bb.611:
	v_cmp_ne_u32_e32 vcc_lo, 1, v122
	s_cbranch_vccnz .LBB121_613
; %bb.612:
	scratch_load_b64 v[120:121], v59, off
	ds_load_b64 v[124:125], v1
	s_wait_loadcnt_dscnt 0x0
	v_pk_mul_f32 v[126:127], v[124:125], v[120:121] op_sel:[1,1] op_sel_hi:[0,1]
	s_delay_alu instid0(VALU_DEP_1) | instskip(SKIP_1) | instid1(VALU_DEP_2)
	v_pk_fma_f32 v[128:129], v[124:125], v[120:121], v[126:127] op_sel_hi:[1,0,1]
	v_pk_fma_f32 v[120:121], v[124:125], v[120:121], v[126:127] neg_lo:[0,0,1] neg_hi:[0,0,1]
	v_mov_b32_e32 v121, v129
	s_cbranch_execz .LBB121_614
	s_branch .LBB121_615
.LBB121_613:
                                        ; implicit-def: $vgpr120_vgpr121
.LBB121_614:
	ds_load_b64 v[120:121], v1
.LBB121_615:
	s_mov_b32 s2, exec_lo
	v_cmpx_ne_u32_e32 4, v0
	s_cbranch_execz .LBB121_619
; %bb.616:
	v_add_nc_u32_e32 v123, 0x1d8, v58
	v_add3_u32 v124, 0, v58, 8
	v_mov_b32_e32 v125, v0
	s_mov_b32 s3, 0
.LBB121_617:                            ; =>This Inner Loop Header: Depth=1
	scratch_load_b64 v[126:127], v124, off
	ds_load_b64 v[128:129], v123
	s_wait_xcnt 0x0
	v_dual_add_nc_u32 v123, 8, v123 :: v_dual_add_nc_u32 v124, 8, v124
	s_wait_loadcnt_dscnt 0x0
	v_pk_mul_f32 v[130:131], v[128:129], v[126:127] op_sel:[1,1] op_sel_hi:[0,1]
	s_delay_alu instid0(VALU_DEP_1) | instskip(SKIP_2) | instid1(VALU_DEP_3)
	v_pk_fma_f32 v[132:133], v[128:129], v[126:127], v[130:131] op_sel_hi:[1,0,1]
	v_add_nc_u32_e32 v125, 1, v125
	v_pk_fma_f32 v[126:127], v[128:129], v[126:127], v[130:131] neg_lo:[0,0,1] neg_hi:[0,0,1]
	v_mov_b32_e32 v127, v133
	s_delay_alu instid0(VALU_DEP_3) | instskip(NEXT) | instid1(VALU_DEP_2)
	v_cmp_lt_u32_e32 vcc_lo, 3, v125
	v_pk_add_f32 v[120:121], v[120:121], v[126:127]
	s_or_b32 s3, vcc_lo, s3
	s_delay_alu instid0(SALU_CYCLE_1)
	s_and_not1_b32 exec_lo, exec_lo, s3
	s_cbranch_execnz .LBB121_617
; %bb.618:
	s_or_b32 exec_lo, exec_lo, s3
.LBB121_619:
	s_delay_alu instid0(SALU_CYCLE_1) | instskip(SKIP_4) | instid1(VALU_DEP_1)
	s_or_b32 exec_lo, exec_lo, s2
	v_mov_b32_e32 v123, 0
	ds_load_b64 v[124:125], v123 offset:40
	s_wait_dscnt 0x0
	v_pk_mul_f32 v[126:127], v[120:121], v[124:125] op_sel:[1,1] op_sel_hi:[0,1]
	v_pk_fma_f32 v[128:129], v[120:121], v[124:125], v[126:127] op_sel_hi:[1,0,1]
	v_pk_fma_f32 v[120:121], v[120:121], v[124:125], v[126:127] neg_lo:[0,0,1] neg_hi:[0,0,1]
	s_delay_alu instid0(VALU_DEP_2)
	v_mov_b32_e32 v121, v129
	scratch_store_b64 off, v[120:121], off offset:40
.LBB121_620:
	s_wait_xcnt 0x0
	s_or_b32 exec_lo, exec_lo, s0
	scratch_load_b64 v[120:121], off, off offset:48
	s_mov_b32 s0, exec_lo
	s_wait_loadcnt 0x0
	ds_store_b64 v1, v[120:121]
	s_wait_storecnt_dscnt 0x0
	s_barrier_signal -1
	s_barrier_wait -1
	s_wait_xcnt 0x0
	v_cmpx_gt_u32_e32 6, v0
	s_cbranch_execz .LBB121_630
; %bb.621:
	v_cmp_ne_u32_e32 vcc_lo, 1, v122
	s_cbranch_vccnz .LBB121_623
; %bb.622:
	scratch_load_b64 v[120:121], v59, off
	ds_load_b64 v[124:125], v1
	s_wait_loadcnt_dscnt 0x0
	v_pk_mul_f32 v[126:127], v[124:125], v[120:121] op_sel:[1,1] op_sel_hi:[0,1]
	s_delay_alu instid0(VALU_DEP_1) | instskip(SKIP_1) | instid1(VALU_DEP_2)
	v_pk_fma_f32 v[128:129], v[124:125], v[120:121], v[126:127] op_sel_hi:[1,0,1]
	v_pk_fma_f32 v[120:121], v[124:125], v[120:121], v[126:127] neg_lo:[0,0,1] neg_hi:[0,0,1]
	v_mov_b32_e32 v121, v129
	s_cbranch_execz .LBB121_624
	s_branch .LBB121_625
.LBB121_623:
                                        ; implicit-def: $vgpr120_vgpr121
.LBB121_624:
	ds_load_b64 v[120:121], v1
.LBB121_625:
	s_mov_b32 s2, exec_lo
	v_cmpx_ne_u32_e32 5, v0
	s_cbranch_execz .LBB121_629
; %bb.626:
	v_add_nc_u32_e32 v123, 0x1d8, v58
	v_add3_u32 v124, 0, v58, 8
	v_mov_b32_e32 v125, v0
	s_mov_b32 s3, 0
.LBB121_627:                            ; =>This Inner Loop Header: Depth=1
	scratch_load_b64 v[126:127], v124, off
	ds_load_b64 v[128:129], v123
	s_wait_xcnt 0x0
	v_dual_add_nc_u32 v123, 8, v123 :: v_dual_add_nc_u32 v124, 8, v124
	s_wait_loadcnt_dscnt 0x0
	v_pk_mul_f32 v[130:131], v[128:129], v[126:127] op_sel:[1,1] op_sel_hi:[0,1]
	s_delay_alu instid0(VALU_DEP_1) | instskip(SKIP_2) | instid1(VALU_DEP_3)
	v_pk_fma_f32 v[132:133], v[128:129], v[126:127], v[130:131] op_sel_hi:[1,0,1]
	v_add_nc_u32_e32 v125, 1, v125
	v_pk_fma_f32 v[126:127], v[128:129], v[126:127], v[130:131] neg_lo:[0,0,1] neg_hi:[0,0,1]
	v_mov_b32_e32 v127, v133
	s_delay_alu instid0(VALU_DEP_3) | instskip(NEXT) | instid1(VALU_DEP_2)
	v_cmp_lt_u32_e32 vcc_lo, 4, v125
	v_pk_add_f32 v[120:121], v[120:121], v[126:127]
	s_or_b32 s3, vcc_lo, s3
	s_delay_alu instid0(SALU_CYCLE_1)
	s_and_not1_b32 exec_lo, exec_lo, s3
	s_cbranch_execnz .LBB121_627
; %bb.628:
	s_or_b32 exec_lo, exec_lo, s3
.LBB121_629:
	s_delay_alu instid0(SALU_CYCLE_1) | instskip(SKIP_4) | instid1(VALU_DEP_1)
	s_or_b32 exec_lo, exec_lo, s2
	v_mov_b32_e32 v123, 0
	ds_load_b64 v[124:125], v123 offset:48
	s_wait_dscnt 0x0
	v_pk_mul_f32 v[126:127], v[120:121], v[124:125] op_sel:[1,1] op_sel_hi:[0,1]
	v_pk_fma_f32 v[128:129], v[120:121], v[124:125], v[126:127] op_sel_hi:[1,0,1]
	v_pk_fma_f32 v[120:121], v[120:121], v[124:125], v[126:127] neg_lo:[0,0,1] neg_hi:[0,0,1]
	s_delay_alu instid0(VALU_DEP_2)
	v_mov_b32_e32 v121, v129
	scratch_store_b64 off, v[120:121], off offset:48
.LBB121_630:
	s_wait_xcnt 0x0
	s_or_b32 exec_lo, exec_lo, s0
	scratch_load_b64 v[120:121], off, off offset:56
	s_mov_b32 s0, exec_lo
	s_wait_loadcnt 0x0
	ds_store_b64 v1, v[120:121]
	s_wait_storecnt_dscnt 0x0
	s_barrier_signal -1
	s_barrier_wait -1
	s_wait_xcnt 0x0
	v_cmpx_gt_u32_e32 7, v0
	s_cbranch_execz .LBB121_640
; %bb.631:
	v_cmp_ne_u32_e32 vcc_lo, 1, v122
	s_cbranch_vccnz .LBB121_633
; %bb.632:
	scratch_load_b64 v[120:121], v59, off
	ds_load_b64 v[124:125], v1
	s_wait_loadcnt_dscnt 0x0
	v_pk_mul_f32 v[126:127], v[124:125], v[120:121] op_sel:[1,1] op_sel_hi:[0,1]
	s_delay_alu instid0(VALU_DEP_1) | instskip(SKIP_1) | instid1(VALU_DEP_2)
	v_pk_fma_f32 v[128:129], v[124:125], v[120:121], v[126:127] op_sel_hi:[1,0,1]
	v_pk_fma_f32 v[120:121], v[124:125], v[120:121], v[126:127] neg_lo:[0,0,1] neg_hi:[0,0,1]
	v_mov_b32_e32 v121, v129
	s_cbranch_execz .LBB121_634
	s_branch .LBB121_635
.LBB121_633:
                                        ; implicit-def: $vgpr120_vgpr121
.LBB121_634:
	ds_load_b64 v[120:121], v1
.LBB121_635:
	s_mov_b32 s2, exec_lo
	v_cmpx_ne_u32_e32 6, v0
	s_cbranch_execz .LBB121_639
; %bb.636:
	v_add_nc_u32_e32 v123, 0x1d8, v58
	v_add3_u32 v124, 0, v58, 8
	v_mov_b32_e32 v125, v0
	s_mov_b32 s3, 0
.LBB121_637:                            ; =>This Inner Loop Header: Depth=1
	scratch_load_b64 v[126:127], v124, off
	ds_load_b64 v[128:129], v123
	s_wait_xcnt 0x0
	v_dual_add_nc_u32 v123, 8, v123 :: v_dual_add_nc_u32 v124, 8, v124
	s_wait_loadcnt_dscnt 0x0
	v_pk_mul_f32 v[130:131], v[128:129], v[126:127] op_sel:[1,1] op_sel_hi:[0,1]
	s_delay_alu instid0(VALU_DEP_1) | instskip(SKIP_2) | instid1(VALU_DEP_3)
	v_pk_fma_f32 v[132:133], v[128:129], v[126:127], v[130:131] op_sel_hi:[1,0,1]
	v_add_nc_u32_e32 v125, 1, v125
	v_pk_fma_f32 v[126:127], v[128:129], v[126:127], v[130:131] neg_lo:[0,0,1] neg_hi:[0,0,1]
	v_mov_b32_e32 v127, v133
	s_delay_alu instid0(VALU_DEP_3) | instskip(NEXT) | instid1(VALU_DEP_2)
	v_cmp_lt_u32_e32 vcc_lo, 5, v125
	v_pk_add_f32 v[120:121], v[120:121], v[126:127]
	s_or_b32 s3, vcc_lo, s3
	s_delay_alu instid0(SALU_CYCLE_1)
	s_and_not1_b32 exec_lo, exec_lo, s3
	s_cbranch_execnz .LBB121_637
; %bb.638:
	s_or_b32 exec_lo, exec_lo, s3
.LBB121_639:
	s_delay_alu instid0(SALU_CYCLE_1) | instskip(SKIP_4) | instid1(VALU_DEP_1)
	s_or_b32 exec_lo, exec_lo, s2
	v_mov_b32_e32 v123, 0
	ds_load_b64 v[124:125], v123 offset:56
	s_wait_dscnt 0x0
	v_pk_mul_f32 v[126:127], v[120:121], v[124:125] op_sel:[1,1] op_sel_hi:[0,1]
	v_pk_fma_f32 v[128:129], v[120:121], v[124:125], v[126:127] op_sel_hi:[1,0,1]
	v_pk_fma_f32 v[120:121], v[120:121], v[124:125], v[126:127] neg_lo:[0,0,1] neg_hi:[0,0,1]
	s_delay_alu instid0(VALU_DEP_2)
	v_mov_b32_e32 v121, v129
	scratch_store_b64 off, v[120:121], off offset:56
.LBB121_640:
	s_wait_xcnt 0x0
	s_or_b32 exec_lo, exec_lo, s0
	scratch_load_b64 v[120:121], off, off offset:64
	s_mov_b32 s0, exec_lo
	s_wait_loadcnt 0x0
	ds_store_b64 v1, v[120:121]
	s_wait_storecnt_dscnt 0x0
	s_barrier_signal -1
	s_barrier_wait -1
	s_wait_xcnt 0x0
	v_cmpx_gt_u32_e32 8, v0
	s_cbranch_execz .LBB121_650
; %bb.641:
	v_cmp_ne_u32_e32 vcc_lo, 1, v122
	s_cbranch_vccnz .LBB121_643
; %bb.642:
	scratch_load_b64 v[120:121], v59, off
	ds_load_b64 v[124:125], v1
	s_wait_loadcnt_dscnt 0x0
	v_pk_mul_f32 v[126:127], v[124:125], v[120:121] op_sel:[1,1] op_sel_hi:[0,1]
	s_delay_alu instid0(VALU_DEP_1) | instskip(SKIP_1) | instid1(VALU_DEP_2)
	v_pk_fma_f32 v[128:129], v[124:125], v[120:121], v[126:127] op_sel_hi:[1,0,1]
	v_pk_fma_f32 v[120:121], v[124:125], v[120:121], v[126:127] neg_lo:[0,0,1] neg_hi:[0,0,1]
	v_mov_b32_e32 v121, v129
	s_cbranch_execz .LBB121_644
	s_branch .LBB121_645
.LBB121_643:
                                        ; implicit-def: $vgpr120_vgpr121
.LBB121_644:
	ds_load_b64 v[120:121], v1
.LBB121_645:
	s_mov_b32 s2, exec_lo
	v_cmpx_ne_u32_e32 7, v0
	s_cbranch_execz .LBB121_649
; %bb.646:
	v_add_nc_u32_e32 v123, 0x1d8, v58
	v_add3_u32 v124, 0, v58, 8
	v_mov_b32_e32 v125, v0
	s_mov_b32 s3, 0
.LBB121_647:                            ; =>This Inner Loop Header: Depth=1
	scratch_load_b64 v[126:127], v124, off
	ds_load_b64 v[128:129], v123
	s_wait_xcnt 0x0
	v_dual_add_nc_u32 v123, 8, v123 :: v_dual_add_nc_u32 v124, 8, v124
	s_wait_loadcnt_dscnt 0x0
	v_pk_mul_f32 v[130:131], v[128:129], v[126:127] op_sel:[1,1] op_sel_hi:[0,1]
	s_delay_alu instid0(VALU_DEP_1) | instskip(SKIP_2) | instid1(VALU_DEP_3)
	v_pk_fma_f32 v[132:133], v[128:129], v[126:127], v[130:131] op_sel_hi:[1,0,1]
	v_add_nc_u32_e32 v125, 1, v125
	v_pk_fma_f32 v[126:127], v[128:129], v[126:127], v[130:131] neg_lo:[0,0,1] neg_hi:[0,0,1]
	v_mov_b32_e32 v127, v133
	s_delay_alu instid0(VALU_DEP_3) | instskip(NEXT) | instid1(VALU_DEP_2)
	v_cmp_lt_u32_e32 vcc_lo, 6, v125
	v_pk_add_f32 v[120:121], v[120:121], v[126:127]
	s_or_b32 s3, vcc_lo, s3
	s_delay_alu instid0(SALU_CYCLE_1)
	s_and_not1_b32 exec_lo, exec_lo, s3
	s_cbranch_execnz .LBB121_647
; %bb.648:
	s_or_b32 exec_lo, exec_lo, s3
.LBB121_649:
	s_delay_alu instid0(SALU_CYCLE_1) | instskip(SKIP_4) | instid1(VALU_DEP_1)
	s_or_b32 exec_lo, exec_lo, s2
	v_mov_b32_e32 v123, 0
	ds_load_b64 v[124:125], v123 offset:64
	s_wait_dscnt 0x0
	v_pk_mul_f32 v[126:127], v[120:121], v[124:125] op_sel:[1,1] op_sel_hi:[0,1]
	v_pk_fma_f32 v[128:129], v[120:121], v[124:125], v[126:127] op_sel_hi:[1,0,1]
	v_pk_fma_f32 v[120:121], v[120:121], v[124:125], v[126:127] neg_lo:[0,0,1] neg_hi:[0,0,1]
	s_delay_alu instid0(VALU_DEP_2)
	v_mov_b32_e32 v121, v129
	scratch_store_b64 off, v[120:121], off offset:64
.LBB121_650:
	s_wait_xcnt 0x0
	s_or_b32 exec_lo, exec_lo, s0
	scratch_load_b64 v[120:121], off, off offset:72
	s_mov_b32 s0, exec_lo
	s_wait_loadcnt 0x0
	ds_store_b64 v1, v[120:121]
	s_wait_storecnt_dscnt 0x0
	s_barrier_signal -1
	s_barrier_wait -1
	s_wait_xcnt 0x0
	v_cmpx_gt_u32_e32 9, v0
	s_cbranch_execz .LBB121_660
; %bb.651:
	v_cmp_ne_u32_e32 vcc_lo, 1, v122
	s_cbranch_vccnz .LBB121_653
; %bb.652:
	scratch_load_b64 v[120:121], v59, off
	ds_load_b64 v[124:125], v1
	s_wait_loadcnt_dscnt 0x0
	v_pk_mul_f32 v[126:127], v[124:125], v[120:121] op_sel:[1,1] op_sel_hi:[0,1]
	s_delay_alu instid0(VALU_DEP_1) | instskip(SKIP_1) | instid1(VALU_DEP_2)
	v_pk_fma_f32 v[128:129], v[124:125], v[120:121], v[126:127] op_sel_hi:[1,0,1]
	v_pk_fma_f32 v[120:121], v[124:125], v[120:121], v[126:127] neg_lo:[0,0,1] neg_hi:[0,0,1]
	v_mov_b32_e32 v121, v129
	s_cbranch_execz .LBB121_654
	s_branch .LBB121_655
.LBB121_653:
                                        ; implicit-def: $vgpr120_vgpr121
.LBB121_654:
	ds_load_b64 v[120:121], v1
.LBB121_655:
	s_mov_b32 s2, exec_lo
	v_cmpx_ne_u32_e32 8, v0
	s_cbranch_execz .LBB121_659
; %bb.656:
	v_add_nc_u32_e32 v123, 0x1d8, v58
	v_add3_u32 v124, 0, v58, 8
	v_mov_b32_e32 v125, v0
	s_mov_b32 s3, 0
.LBB121_657:                            ; =>This Inner Loop Header: Depth=1
	scratch_load_b64 v[126:127], v124, off
	ds_load_b64 v[128:129], v123
	s_wait_xcnt 0x0
	v_dual_add_nc_u32 v123, 8, v123 :: v_dual_add_nc_u32 v124, 8, v124
	s_wait_loadcnt_dscnt 0x0
	v_pk_mul_f32 v[130:131], v[128:129], v[126:127] op_sel:[1,1] op_sel_hi:[0,1]
	s_delay_alu instid0(VALU_DEP_1) | instskip(SKIP_2) | instid1(VALU_DEP_3)
	v_pk_fma_f32 v[132:133], v[128:129], v[126:127], v[130:131] op_sel_hi:[1,0,1]
	v_add_nc_u32_e32 v125, 1, v125
	v_pk_fma_f32 v[126:127], v[128:129], v[126:127], v[130:131] neg_lo:[0,0,1] neg_hi:[0,0,1]
	v_mov_b32_e32 v127, v133
	s_delay_alu instid0(VALU_DEP_3) | instskip(NEXT) | instid1(VALU_DEP_2)
	v_cmp_lt_u32_e32 vcc_lo, 7, v125
	v_pk_add_f32 v[120:121], v[120:121], v[126:127]
	s_or_b32 s3, vcc_lo, s3
	s_delay_alu instid0(SALU_CYCLE_1)
	s_and_not1_b32 exec_lo, exec_lo, s3
	s_cbranch_execnz .LBB121_657
; %bb.658:
	s_or_b32 exec_lo, exec_lo, s3
.LBB121_659:
	s_delay_alu instid0(SALU_CYCLE_1) | instskip(SKIP_4) | instid1(VALU_DEP_1)
	s_or_b32 exec_lo, exec_lo, s2
	v_mov_b32_e32 v123, 0
	ds_load_b64 v[124:125], v123 offset:72
	s_wait_dscnt 0x0
	v_pk_mul_f32 v[126:127], v[120:121], v[124:125] op_sel:[1,1] op_sel_hi:[0,1]
	v_pk_fma_f32 v[128:129], v[120:121], v[124:125], v[126:127] op_sel_hi:[1,0,1]
	v_pk_fma_f32 v[120:121], v[120:121], v[124:125], v[126:127] neg_lo:[0,0,1] neg_hi:[0,0,1]
	s_delay_alu instid0(VALU_DEP_2)
	v_mov_b32_e32 v121, v129
	scratch_store_b64 off, v[120:121], off offset:72
.LBB121_660:
	s_wait_xcnt 0x0
	s_or_b32 exec_lo, exec_lo, s0
	scratch_load_b64 v[120:121], off, off offset:80
	s_mov_b32 s0, exec_lo
	s_wait_loadcnt 0x0
	ds_store_b64 v1, v[120:121]
	s_wait_storecnt_dscnt 0x0
	s_barrier_signal -1
	s_barrier_wait -1
	s_wait_xcnt 0x0
	v_cmpx_gt_u32_e32 10, v0
	s_cbranch_execz .LBB121_670
; %bb.661:
	v_cmp_ne_u32_e32 vcc_lo, 1, v122
	s_cbranch_vccnz .LBB121_663
; %bb.662:
	scratch_load_b64 v[120:121], v59, off
	ds_load_b64 v[124:125], v1
	s_wait_loadcnt_dscnt 0x0
	v_pk_mul_f32 v[126:127], v[124:125], v[120:121] op_sel:[1,1] op_sel_hi:[0,1]
	s_delay_alu instid0(VALU_DEP_1) | instskip(SKIP_1) | instid1(VALU_DEP_2)
	v_pk_fma_f32 v[128:129], v[124:125], v[120:121], v[126:127] op_sel_hi:[1,0,1]
	v_pk_fma_f32 v[120:121], v[124:125], v[120:121], v[126:127] neg_lo:[0,0,1] neg_hi:[0,0,1]
	v_mov_b32_e32 v121, v129
	s_cbranch_execz .LBB121_664
	s_branch .LBB121_665
.LBB121_663:
                                        ; implicit-def: $vgpr120_vgpr121
.LBB121_664:
	ds_load_b64 v[120:121], v1
.LBB121_665:
	s_mov_b32 s2, exec_lo
	v_cmpx_ne_u32_e32 9, v0
	s_cbranch_execz .LBB121_669
; %bb.666:
	v_add_nc_u32_e32 v123, 0x1d8, v58
	v_add3_u32 v124, 0, v58, 8
	v_mov_b32_e32 v125, v0
	s_mov_b32 s3, 0
.LBB121_667:                            ; =>This Inner Loop Header: Depth=1
	scratch_load_b64 v[126:127], v124, off
	ds_load_b64 v[128:129], v123
	s_wait_xcnt 0x0
	v_dual_add_nc_u32 v123, 8, v123 :: v_dual_add_nc_u32 v124, 8, v124
	s_wait_loadcnt_dscnt 0x0
	v_pk_mul_f32 v[130:131], v[128:129], v[126:127] op_sel:[1,1] op_sel_hi:[0,1]
	s_delay_alu instid0(VALU_DEP_1) | instskip(SKIP_2) | instid1(VALU_DEP_3)
	v_pk_fma_f32 v[132:133], v[128:129], v[126:127], v[130:131] op_sel_hi:[1,0,1]
	v_add_nc_u32_e32 v125, 1, v125
	v_pk_fma_f32 v[126:127], v[128:129], v[126:127], v[130:131] neg_lo:[0,0,1] neg_hi:[0,0,1]
	v_mov_b32_e32 v127, v133
	s_delay_alu instid0(VALU_DEP_3) | instskip(NEXT) | instid1(VALU_DEP_2)
	v_cmp_lt_u32_e32 vcc_lo, 8, v125
	v_pk_add_f32 v[120:121], v[120:121], v[126:127]
	s_or_b32 s3, vcc_lo, s3
	s_delay_alu instid0(SALU_CYCLE_1)
	s_and_not1_b32 exec_lo, exec_lo, s3
	s_cbranch_execnz .LBB121_667
; %bb.668:
	s_or_b32 exec_lo, exec_lo, s3
.LBB121_669:
	s_delay_alu instid0(SALU_CYCLE_1) | instskip(SKIP_4) | instid1(VALU_DEP_1)
	s_or_b32 exec_lo, exec_lo, s2
	v_mov_b32_e32 v123, 0
	ds_load_b64 v[124:125], v123 offset:80
	s_wait_dscnt 0x0
	v_pk_mul_f32 v[126:127], v[120:121], v[124:125] op_sel:[1,1] op_sel_hi:[0,1]
	v_pk_fma_f32 v[128:129], v[120:121], v[124:125], v[126:127] op_sel_hi:[1,0,1]
	v_pk_fma_f32 v[120:121], v[120:121], v[124:125], v[126:127] neg_lo:[0,0,1] neg_hi:[0,0,1]
	s_delay_alu instid0(VALU_DEP_2)
	v_mov_b32_e32 v121, v129
	scratch_store_b64 off, v[120:121], off offset:80
.LBB121_670:
	s_wait_xcnt 0x0
	s_or_b32 exec_lo, exec_lo, s0
	scratch_load_b64 v[120:121], off, off offset:88
	s_mov_b32 s0, exec_lo
	s_wait_loadcnt 0x0
	ds_store_b64 v1, v[120:121]
	s_wait_storecnt_dscnt 0x0
	s_barrier_signal -1
	s_barrier_wait -1
	s_wait_xcnt 0x0
	v_cmpx_gt_u32_e32 11, v0
	s_cbranch_execz .LBB121_680
; %bb.671:
	v_cmp_ne_u32_e32 vcc_lo, 1, v122
	s_cbranch_vccnz .LBB121_673
; %bb.672:
	scratch_load_b64 v[120:121], v59, off
	ds_load_b64 v[124:125], v1
	s_wait_loadcnt_dscnt 0x0
	v_pk_mul_f32 v[126:127], v[124:125], v[120:121] op_sel:[1,1] op_sel_hi:[0,1]
	s_delay_alu instid0(VALU_DEP_1) | instskip(SKIP_1) | instid1(VALU_DEP_2)
	v_pk_fma_f32 v[128:129], v[124:125], v[120:121], v[126:127] op_sel_hi:[1,0,1]
	v_pk_fma_f32 v[120:121], v[124:125], v[120:121], v[126:127] neg_lo:[0,0,1] neg_hi:[0,0,1]
	v_mov_b32_e32 v121, v129
	s_cbranch_execz .LBB121_674
	s_branch .LBB121_675
.LBB121_673:
                                        ; implicit-def: $vgpr120_vgpr121
.LBB121_674:
	ds_load_b64 v[120:121], v1
.LBB121_675:
	s_mov_b32 s2, exec_lo
	v_cmpx_ne_u32_e32 10, v0
	s_cbranch_execz .LBB121_679
; %bb.676:
	v_add_nc_u32_e32 v123, 0x1d8, v58
	v_add3_u32 v124, 0, v58, 8
	v_mov_b32_e32 v125, v0
	s_mov_b32 s3, 0
.LBB121_677:                            ; =>This Inner Loop Header: Depth=1
	scratch_load_b64 v[126:127], v124, off
	ds_load_b64 v[128:129], v123
	s_wait_xcnt 0x0
	v_dual_add_nc_u32 v123, 8, v123 :: v_dual_add_nc_u32 v124, 8, v124
	s_wait_loadcnt_dscnt 0x0
	v_pk_mul_f32 v[130:131], v[128:129], v[126:127] op_sel:[1,1] op_sel_hi:[0,1]
	s_delay_alu instid0(VALU_DEP_1) | instskip(SKIP_2) | instid1(VALU_DEP_3)
	v_pk_fma_f32 v[132:133], v[128:129], v[126:127], v[130:131] op_sel_hi:[1,0,1]
	v_add_nc_u32_e32 v125, 1, v125
	v_pk_fma_f32 v[126:127], v[128:129], v[126:127], v[130:131] neg_lo:[0,0,1] neg_hi:[0,0,1]
	v_mov_b32_e32 v127, v133
	s_delay_alu instid0(VALU_DEP_3) | instskip(NEXT) | instid1(VALU_DEP_2)
	v_cmp_lt_u32_e32 vcc_lo, 9, v125
	v_pk_add_f32 v[120:121], v[120:121], v[126:127]
	s_or_b32 s3, vcc_lo, s3
	s_delay_alu instid0(SALU_CYCLE_1)
	s_and_not1_b32 exec_lo, exec_lo, s3
	s_cbranch_execnz .LBB121_677
; %bb.678:
	s_or_b32 exec_lo, exec_lo, s3
.LBB121_679:
	s_delay_alu instid0(SALU_CYCLE_1) | instskip(SKIP_4) | instid1(VALU_DEP_1)
	s_or_b32 exec_lo, exec_lo, s2
	v_mov_b32_e32 v123, 0
	ds_load_b64 v[124:125], v123 offset:88
	s_wait_dscnt 0x0
	v_pk_mul_f32 v[126:127], v[120:121], v[124:125] op_sel:[1,1] op_sel_hi:[0,1]
	v_pk_fma_f32 v[128:129], v[120:121], v[124:125], v[126:127] op_sel_hi:[1,0,1]
	v_pk_fma_f32 v[120:121], v[120:121], v[124:125], v[126:127] neg_lo:[0,0,1] neg_hi:[0,0,1]
	s_delay_alu instid0(VALU_DEP_2)
	v_mov_b32_e32 v121, v129
	scratch_store_b64 off, v[120:121], off offset:88
.LBB121_680:
	s_wait_xcnt 0x0
	s_or_b32 exec_lo, exec_lo, s0
	scratch_load_b64 v[120:121], off, off offset:96
	s_mov_b32 s0, exec_lo
	s_wait_loadcnt 0x0
	ds_store_b64 v1, v[120:121]
	s_wait_storecnt_dscnt 0x0
	s_barrier_signal -1
	s_barrier_wait -1
	s_wait_xcnt 0x0
	v_cmpx_gt_u32_e32 12, v0
	s_cbranch_execz .LBB121_690
; %bb.681:
	v_cmp_ne_u32_e32 vcc_lo, 1, v122
	s_cbranch_vccnz .LBB121_683
; %bb.682:
	scratch_load_b64 v[120:121], v59, off
	ds_load_b64 v[124:125], v1
	s_wait_loadcnt_dscnt 0x0
	v_pk_mul_f32 v[126:127], v[124:125], v[120:121] op_sel:[1,1] op_sel_hi:[0,1]
	s_delay_alu instid0(VALU_DEP_1) | instskip(SKIP_1) | instid1(VALU_DEP_2)
	v_pk_fma_f32 v[128:129], v[124:125], v[120:121], v[126:127] op_sel_hi:[1,0,1]
	v_pk_fma_f32 v[120:121], v[124:125], v[120:121], v[126:127] neg_lo:[0,0,1] neg_hi:[0,0,1]
	v_mov_b32_e32 v121, v129
	s_cbranch_execz .LBB121_684
	s_branch .LBB121_685
.LBB121_683:
                                        ; implicit-def: $vgpr120_vgpr121
.LBB121_684:
	ds_load_b64 v[120:121], v1
.LBB121_685:
	s_mov_b32 s2, exec_lo
	v_cmpx_ne_u32_e32 11, v0
	s_cbranch_execz .LBB121_689
; %bb.686:
	v_add_nc_u32_e32 v123, 0x1d8, v58
	v_add3_u32 v124, 0, v58, 8
	v_mov_b32_e32 v125, v0
	s_mov_b32 s3, 0
.LBB121_687:                            ; =>This Inner Loop Header: Depth=1
	scratch_load_b64 v[126:127], v124, off
	ds_load_b64 v[128:129], v123
	s_wait_xcnt 0x0
	v_dual_add_nc_u32 v123, 8, v123 :: v_dual_add_nc_u32 v124, 8, v124
	s_wait_loadcnt_dscnt 0x0
	v_pk_mul_f32 v[130:131], v[128:129], v[126:127] op_sel:[1,1] op_sel_hi:[0,1]
	s_delay_alu instid0(VALU_DEP_1) | instskip(SKIP_2) | instid1(VALU_DEP_3)
	v_pk_fma_f32 v[132:133], v[128:129], v[126:127], v[130:131] op_sel_hi:[1,0,1]
	v_add_nc_u32_e32 v125, 1, v125
	v_pk_fma_f32 v[126:127], v[128:129], v[126:127], v[130:131] neg_lo:[0,0,1] neg_hi:[0,0,1]
	v_mov_b32_e32 v127, v133
	s_delay_alu instid0(VALU_DEP_3) | instskip(NEXT) | instid1(VALU_DEP_2)
	v_cmp_lt_u32_e32 vcc_lo, 10, v125
	v_pk_add_f32 v[120:121], v[120:121], v[126:127]
	s_or_b32 s3, vcc_lo, s3
	s_delay_alu instid0(SALU_CYCLE_1)
	s_and_not1_b32 exec_lo, exec_lo, s3
	s_cbranch_execnz .LBB121_687
; %bb.688:
	s_or_b32 exec_lo, exec_lo, s3
.LBB121_689:
	s_delay_alu instid0(SALU_CYCLE_1) | instskip(SKIP_4) | instid1(VALU_DEP_1)
	s_or_b32 exec_lo, exec_lo, s2
	v_mov_b32_e32 v123, 0
	ds_load_b64 v[124:125], v123 offset:96
	s_wait_dscnt 0x0
	v_pk_mul_f32 v[126:127], v[120:121], v[124:125] op_sel:[1,1] op_sel_hi:[0,1]
	v_pk_fma_f32 v[128:129], v[120:121], v[124:125], v[126:127] op_sel_hi:[1,0,1]
	v_pk_fma_f32 v[120:121], v[120:121], v[124:125], v[126:127] neg_lo:[0,0,1] neg_hi:[0,0,1]
	s_delay_alu instid0(VALU_DEP_2)
	v_mov_b32_e32 v121, v129
	scratch_store_b64 off, v[120:121], off offset:96
.LBB121_690:
	s_wait_xcnt 0x0
	s_or_b32 exec_lo, exec_lo, s0
	scratch_load_b64 v[120:121], off, off offset:104
	s_mov_b32 s0, exec_lo
	s_wait_loadcnt 0x0
	ds_store_b64 v1, v[120:121]
	s_wait_storecnt_dscnt 0x0
	s_barrier_signal -1
	s_barrier_wait -1
	s_wait_xcnt 0x0
	v_cmpx_gt_u32_e32 13, v0
	s_cbranch_execz .LBB121_700
; %bb.691:
	v_cmp_ne_u32_e32 vcc_lo, 1, v122
	s_cbranch_vccnz .LBB121_693
; %bb.692:
	scratch_load_b64 v[120:121], v59, off
	ds_load_b64 v[124:125], v1
	s_wait_loadcnt_dscnt 0x0
	v_pk_mul_f32 v[126:127], v[124:125], v[120:121] op_sel:[1,1] op_sel_hi:[0,1]
	s_delay_alu instid0(VALU_DEP_1) | instskip(SKIP_1) | instid1(VALU_DEP_2)
	v_pk_fma_f32 v[128:129], v[124:125], v[120:121], v[126:127] op_sel_hi:[1,0,1]
	v_pk_fma_f32 v[120:121], v[124:125], v[120:121], v[126:127] neg_lo:[0,0,1] neg_hi:[0,0,1]
	v_mov_b32_e32 v121, v129
	s_cbranch_execz .LBB121_694
	s_branch .LBB121_695
.LBB121_693:
                                        ; implicit-def: $vgpr120_vgpr121
.LBB121_694:
	ds_load_b64 v[120:121], v1
.LBB121_695:
	s_mov_b32 s2, exec_lo
	v_cmpx_ne_u32_e32 12, v0
	s_cbranch_execz .LBB121_699
; %bb.696:
	v_add_nc_u32_e32 v123, 0x1d8, v58
	v_add3_u32 v124, 0, v58, 8
	v_mov_b32_e32 v125, v0
	s_mov_b32 s3, 0
.LBB121_697:                            ; =>This Inner Loop Header: Depth=1
	scratch_load_b64 v[126:127], v124, off
	ds_load_b64 v[128:129], v123
	s_wait_xcnt 0x0
	v_dual_add_nc_u32 v123, 8, v123 :: v_dual_add_nc_u32 v124, 8, v124
	s_wait_loadcnt_dscnt 0x0
	v_pk_mul_f32 v[130:131], v[128:129], v[126:127] op_sel:[1,1] op_sel_hi:[0,1]
	s_delay_alu instid0(VALU_DEP_1) | instskip(SKIP_2) | instid1(VALU_DEP_3)
	v_pk_fma_f32 v[132:133], v[128:129], v[126:127], v[130:131] op_sel_hi:[1,0,1]
	v_add_nc_u32_e32 v125, 1, v125
	v_pk_fma_f32 v[126:127], v[128:129], v[126:127], v[130:131] neg_lo:[0,0,1] neg_hi:[0,0,1]
	v_mov_b32_e32 v127, v133
	s_delay_alu instid0(VALU_DEP_3) | instskip(NEXT) | instid1(VALU_DEP_2)
	v_cmp_lt_u32_e32 vcc_lo, 11, v125
	v_pk_add_f32 v[120:121], v[120:121], v[126:127]
	s_or_b32 s3, vcc_lo, s3
	s_delay_alu instid0(SALU_CYCLE_1)
	s_and_not1_b32 exec_lo, exec_lo, s3
	s_cbranch_execnz .LBB121_697
; %bb.698:
	s_or_b32 exec_lo, exec_lo, s3
.LBB121_699:
	s_delay_alu instid0(SALU_CYCLE_1) | instskip(SKIP_4) | instid1(VALU_DEP_1)
	s_or_b32 exec_lo, exec_lo, s2
	v_mov_b32_e32 v123, 0
	ds_load_b64 v[124:125], v123 offset:104
	s_wait_dscnt 0x0
	v_pk_mul_f32 v[126:127], v[120:121], v[124:125] op_sel:[1,1] op_sel_hi:[0,1]
	v_pk_fma_f32 v[128:129], v[120:121], v[124:125], v[126:127] op_sel_hi:[1,0,1]
	v_pk_fma_f32 v[120:121], v[120:121], v[124:125], v[126:127] neg_lo:[0,0,1] neg_hi:[0,0,1]
	s_delay_alu instid0(VALU_DEP_2)
	v_mov_b32_e32 v121, v129
	scratch_store_b64 off, v[120:121], off offset:104
.LBB121_700:
	s_wait_xcnt 0x0
	s_or_b32 exec_lo, exec_lo, s0
	scratch_load_b64 v[120:121], off, off offset:112
	s_mov_b32 s0, exec_lo
	s_wait_loadcnt 0x0
	ds_store_b64 v1, v[120:121]
	s_wait_storecnt_dscnt 0x0
	s_barrier_signal -1
	s_barrier_wait -1
	s_wait_xcnt 0x0
	v_cmpx_gt_u32_e32 14, v0
	s_cbranch_execz .LBB121_710
; %bb.701:
	v_cmp_ne_u32_e32 vcc_lo, 1, v122
	s_cbranch_vccnz .LBB121_703
; %bb.702:
	scratch_load_b64 v[120:121], v59, off
	ds_load_b64 v[124:125], v1
	s_wait_loadcnt_dscnt 0x0
	v_pk_mul_f32 v[126:127], v[124:125], v[120:121] op_sel:[1,1] op_sel_hi:[0,1]
	s_delay_alu instid0(VALU_DEP_1) | instskip(SKIP_1) | instid1(VALU_DEP_2)
	v_pk_fma_f32 v[128:129], v[124:125], v[120:121], v[126:127] op_sel_hi:[1,0,1]
	v_pk_fma_f32 v[120:121], v[124:125], v[120:121], v[126:127] neg_lo:[0,0,1] neg_hi:[0,0,1]
	v_mov_b32_e32 v121, v129
	s_cbranch_execz .LBB121_704
	s_branch .LBB121_705
.LBB121_703:
                                        ; implicit-def: $vgpr120_vgpr121
.LBB121_704:
	ds_load_b64 v[120:121], v1
.LBB121_705:
	s_mov_b32 s2, exec_lo
	v_cmpx_ne_u32_e32 13, v0
	s_cbranch_execz .LBB121_709
; %bb.706:
	v_add_nc_u32_e32 v123, 0x1d8, v58
	v_add3_u32 v124, 0, v58, 8
	v_mov_b32_e32 v125, v0
	s_mov_b32 s3, 0
.LBB121_707:                            ; =>This Inner Loop Header: Depth=1
	scratch_load_b64 v[126:127], v124, off
	ds_load_b64 v[128:129], v123
	s_wait_xcnt 0x0
	v_dual_add_nc_u32 v123, 8, v123 :: v_dual_add_nc_u32 v124, 8, v124
	s_wait_loadcnt_dscnt 0x0
	v_pk_mul_f32 v[130:131], v[128:129], v[126:127] op_sel:[1,1] op_sel_hi:[0,1]
	s_delay_alu instid0(VALU_DEP_1) | instskip(SKIP_2) | instid1(VALU_DEP_3)
	v_pk_fma_f32 v[132:133], v[128:129], v[126:127], v[130:131] op_sel_hi:[1,0,1]
	v_add_nc_u32_e32 v125, 1, v125
	v_pk_fma_f32 v[126:127], v[128:129], v[126:127], v[130:131] neg_lo:[0,0,1] neg_hi:[0,0,1]
	v_mov_b32_e32 v127, v133
	s_delay_alu instid0(VALU_DEP_3) | instskip(NEXT) | instid1(VALU_DEP_2)
	v_cmp_lt_u32_e32 vcc_lo, 12, v125
	v_pk_add_f32 v[120:121], v[120:121], v[126:127]
	s_or_b32 s3, vcc_lo, s3
	s_delay_alu instid0(SALU_CYCLE_1)
	s_and_not1_b32 exec_lo, exec_lo, s3
	s_cbranch_execnz .LBB121_707
; %bb.708:
	s_or_b32 exec_lo, exec_lo, s3
.LBB121_709:
	s_delay_alu instid0(SALU_CYCLE_1) | instskip(SKIP_4) | instid1(VALU_DEP_1)
	s_or_b32 exec_lo, exec_lo, s2
	v_mov_b32_e32 v123, 0
	ds_load_b64 v[124:125], v123 offset:112
	s_wait_dscnt 0x0
	v_pk_mul_f32 v[126:127], v[120:121], v[124:125] op_sel:[1,1] op_sel_hi:[0,1]
	v_pk_fma_f32 v[128:129], v[120:121], v[124:125], v[126:127] op_sel_hi:[1,0,1]
	v_pk_fma_f32 v[120:121], v[120:121], v[124:125], v[126:127] neg_lo:[0,0,1] neg_hi:[0,0,1]
	s_delay_alu instid0(VALU_DEP_2)
	v_mov_b32_e32 v121, v129
	scratch_store_b64 off, v[120:121], off offset:112
.LBB121_710:
	s_wait_xcnt 0x0
	s_or_b32 exec_lo, exec_lo, s0
	scratch_load_b64 v[120:121], off, off offset:120
	s_mov_b32 s0, exec_lo
	s_wait_loadcnt 0x0
	ds_store_b64 v1, v[120:121]
	s_wait_storecnt_dscnt 0x0
	s_barrier_signal -1
	s_barrier_wait -1
	s_wait_xcnt 0x0
	v_cmpx_gt_u32_e32 15, v0
	s_cbranch_execz .LBB121_720
; %bb.711:
	v_cmp_ne_u32_e32 vcc_lo, 1, v122
	s_cbranch_vccnz .LBB121_713
; %bb.712:
	scratch_load_b64 v[120:121], v59, off
	ds_load_b64 v[124:125], v1
	s_wait_loadcnt_dscnt 0x0
	v_pk_mul_f32 v[126:127], v[124:125], v[120:121] op_sel:[1,1] op_sel_hi:[0,1]
	s_delay_alu instid0(VALU_DEP_1) | instskip(SKIP_1) | instid1(VALU_DEP_2)
	v_pk_fma_f32 v[128:129], v[124:125], v[120:121], v[126:127] op_sel_hi:[1,0,1]
	v_pk_fma_f32 v[120:121], v[124:125], v[120:121], v[126:127] neg_lo:[0,0,1] neg_hi:[0,0,1]
	v_mov_b32_e32 v121, v129
	s_cbranch_execz .LBB121_714
	s_branch .LBB121_715
.LBB121_713:
                                        ; implicit-def: $vgpr120_vgpr121
.LBB121_714:
	ds_load_b64 v[120:121], v1
.LBB121_715:
	s_mov_b32 s2, exec_lo
	v_cmpx_ne_u32_e32 14, v0
	s_cbranch_execz .LBB121_719
; %bb.716:
	v_add_nc_u32_e32 v123, 0x1d8, v58
	v_add3_u32 v124, 0, v58, 8
	v_mov_b32_e32 v125, v0
	s_mov_b32 s3, 0
.LBB121_717:                            ; =>This Inner Loop Header: Depth=1
	scratch_load_b64 v[126:127], v124, off
	ds_load_b64 v[128:129], v123
	s_wait_xcnt 0x0
	v_dual_add_nc_u32 v123, 8, v123 :: v_dual_add_nc_u32 v124, 8, v124
	s_wait_loadcnt_dscnt 0x0
	v_pk_mul_f32 v[130:131], v[128:129], v[126:127] op_sel:[1,1] op_sel_hi:[0,1]
	s_delay_alu instid0(VALU_DEP_1) | instskip(SKIP_2) | instid1(VALU_DEP_3)
	v_pk_fma_f32 v[132:133], v[128:129], v[126:127], v[130:131] op_sel_hi:[1,0,1]
	v_add_nc_u32_e32 v125, 1, v125
	v_pk_fma_f32 v[126:127], v[128:129], v[126:127], v[130:131] neg_lo:[0,0,1] neg_hi:[0,0,1]
	v_mov_b32_e32 v127, v133
	s_delay_alu instid0(VALU_DEP_3) | instskip(NEXT) | instid1(VALU_DEP_2)
	v_cmp_lt_u32_e32 vcc_lo, 13, v125
	v_pk_add_f32 v[120:121], v[120:121], v[126:127]
	s_or_b32 s3, vcc_lo, s3
	s_delay_alu instid0(SALU_CYCLE_1)
	s_and_not1_b32 exec_lo, exec_lo, s3
	s_cbranch_execnz .LBB121_717
; %bb.718:
	s_or_b32 exec_lo, exec_lo, s3
.LBB121_719:
	s_delay_alu instid0(SALU_CYCLE_1) | instskip(SKIP_4) | instid1(VALU_DEP_1)
	s_or_b32 exec_lo, exec_lo, s2
	v_mov_b32_e32 v123, 0
	ds_load_b64 v[124:125], v123 offset:120
	s_wait_dscnt 0x0
	v_pk_mul_f32 v[126:127], v[120:121], v[124:125] op_sel:[1,1] op_sel_hi:[0,1]
	v_pk_fma_f32 v[128:129], v[120:121], v[124:125], v[126:127] op_sel_hi:[1,0,1]
	v_pk_fma_f32 v[120:121], v[120:121], v[124:125], v[126:127] neg_lo:[0,0,1] neg_hi:[0,0,1]
	s_delay_alu instid0(VALU_DEP_2)
	v_mov_b32_e32 v121, v129
	scratch_store_b64 off, v[120:121], off offset:120
.LBB121_720:
	s_wait_xcnt 0x0
	s_or_b32 exec_lo, exec_lo, s0
	scratch_load_b64 v[120:121], off, off offset:128
	s_mov_b32 s0, exec_lo
	s_wait_loadcnt 0x0
	ds_store_b64 v1, v[120:121]
	s_wait_storecnt_dscnt 0x0
	s_barrier_signal -1
	s_barrier_wait -1
	s_wait_xcnt 0x0
	v_cmpx_gt_u32_e32 16, v0
	s_cbranch_execz .LBB121_730
; %bb.721:
	v_cmp_ne_u32_e32 vcc_lo, 1, v122
	s_cbranch_vccnz .LBB121_723
; %bb.722:
	scratch_load_b64 v[120:121], v59, off
	ds_load_b64 v[124:125], v1
	s_wait_loadcnt_dscnt 0x0
	v_pk_mul_f32 v[126:127], v[124:125], v[120:121] op_sel:[1,1] op_sel_hi:[0,1]
	s_delay_alu instid0(VALU_DEP_1) | instskip(SKIP_1) | instid1(VALU_DEP_2)
	v_pk_fma_f32 v[128:129], v[124:125], v[120:121], v[126:127] op_sel_hi:[1,0,1]
	v_pk_fma_f32 v[120:121], v[124:125], v[120:121], v[126:127] neg_lo:[0,0,1] neg_hi:[0,0,1]
	v_mov_b32_e32 v121, v129
	s_cbranch_execz .LBB121_724
	s_branch .LBB121_725
.LBB121_723:
                                        ; implicit-def: $vgpr120_vgpr121
.LBB121_724:
	ds_load_b64 v[120:121], v1
.LBB121_725:
	s_mov_b32 s2, exec_lo
	v_cmpx_ne_u32_e32 15, v0
	s_cbranch_execz .LBB121_729
; %bb.726:
	v_add_nc_u32_e32 v123, 0x1d8, v58
	v_add3_u32 v124, 0, v58, 8
	v_mov_b32_e32 v125, v0
	s_mov_b32 s3, 0
.LBB121_727:                            ; =>This Inner Loop Header: Depth=1
	scratch_load_b64 v[126:127], v124, off
	ds_load_b64 v[128:129], v123
	s_wait_xcnt 0x0
	v_dual_add_nc_u32 v123, 8, v123 :: v_dual_add_nc_u32 v124, 8, v124
	s_wait_loadcnt_dscnt 0x0
	v_pk_mul_f32 v[130:131], v[128:129], v[126:127] op_sel:[1,1] op_sel_hi:[0,1]
	s_delay_alu instid0(VALU_DEP_1) | instskip(SKIP_2) | instid1(VALU_DEP_3)
	v_pk_fma_f32 v[132:133], v[128:129], v[126:127], v[130:131] op_sel_hi:[1,0,1]
	v_add_nc_u32_e32 v125, 1, v125
	v_pk_fma_f32 v[126:127], v[128:129], v[126:127], v[130:131] neg_lo:[0,0,1] neg_hi:[0,0,1]
	v_mov_b32_e32 v127, v133
	s_delay_alu instid0(VALU_DEP_3) | instskip(NEXT) | instid1(VALU_DEP_2)
	v_cmp_lt_u32_e32 vcc_lo, 14, v125
	v_pk_add_f32 v[120:121], v[120:121], v[126:127]
	s_or_b32 s3, vcc_lo, s3
	s_delay_alu instid0(SALU_CYCLE_1)
	s_and_not1_b32 exec_lo, exec_lo, s3
	s_cbranch_execnz .LBB121_727
; %bb.728:
	s_or_b32 exec_lo, exec_lo, s3
.LBB121_729:
	s_delay_alu instid0(SALU_CYCLE_1) | instskip(SKIP_4) | instid1(VALU_DEP_1)
	s_or_b32 exec_lo, exec_lo, s2
	v_mov_b32_e32 v123, 0
	ds_load_b64 v[124:125], v123 offset:128
	s_wait_dscnt 0x0
	v_pk_mul_f32 v[126:127], v[120:121], v[124:125] op_sel:[1,1] op_sel_hi:[0,1]
	v_pk_fma_f32 v[128:129], v[120:121], v[124:125], v[126:127] op_sel_hi:[1,0,1]
	v_pk_fma_f32 v[120:121], v[120:121], v[124:125], v[126:127] neg_lo:[0,0,1] neg_hi:[0,0,1]
	s_delay_alu instid0(VALU_DEP_2)
	v_mov_b32_e32 v121, v129
	scratch_store_b64 off, v[120:121], off offset:128
.LBB121_730:
	s_wait_xcnt 0x0
	s_or_b32 exec_lo, exec_lo, s0
	scratch_load_b64 v[120:121], off, off offset:136
	s_mov_b32 s0, exec_lo
	s_wait_loadcnt 0x0
	ds_store_b64 v1, v[120:121]
	s_wait_storecnt_dscnt 0x0
	s_barrier_signal -1
	s_barrier_wait -1
	s_wait_xcnt 0x0
	v_cmpx_gt_u32_e32 17, v0
	s_cbranch_execz .LBB121_740
; %bb.731:
	v_cmp_ne_u32_e32 vcc_lo, 1, v122
	s_cbranch_vccnz .LBB121_733
; %bb.732:
	scratch_load_b64 v[120:121], v59, off
	ds_load_b64 v[124:125], v1
	s_wait_loadcnt_dscnt 0x0
	v_pk_mul_f32 v[126:127], v[124:125], v[120:121] op_sel:[1,1] op_sel_hi:[0,1]
	s_delay_alu instid0(VALU_DEP_1) | instskip(SKIP_1) | instid1(VALU_DEP_2)
	v_pk_fma_f32 v[128:129], v[124:125], v[120:121], v[126:127] op_sel_hi:[1,0,1]
	v_pk_fma_f32 v[120:121], v[124:125], v[120:121], v[126:127] neg_lo:[0,0,1] neg_hi:[0,0,1]
	v_mov_b32_e32 v121, v129
	s_cbranch_execz .LBB121_734
	s_branch .LBB121_735
.LBB121_733:
                                        ; implicit-def: $vgpr120_vgpr121
.LBB121_734:
	ds_load_b64 v[120:121], v1
.LBB121_735:
	s_mov_b32 s2, exec_lo
	v_cmpx_ne_u32_e32 16, v0
	s_cbranch_execz .LBB121_739
; %bb.736:
	v_add_nc_u32_e32 v123, 0x1d8, v58
	v_add3_u32 v124, 0, v58, 8
	v_mov_b32_e32 v125, v0
	s_mov_b32 s3, 0
.LBB121_737:                            ; =>This Inner Loop Header: Depth=1
	scratch_load_b64 v[126:127], v124, off
	ds_load_b64 v[128:129], v123
	s_wait_xcnt 0x0
	v_dual_add_nc_u32 v123, 8, v123 :: v_dual_add_nc_u32 v124, 8, v124
	s_wait_loadcnt_dscnt 0x0
	v_pk_mul_f32 v[130:131], v[128:129], v[126:127] op_sel:[1,1] op_sel_hi:[0,1]
	s_delay_alu instid0(VALU_DEP_1) | instskip(SKIP_2) | instid1(VALU_DEP_3)
	v_pk_fma_f32 v[132:133], v[128:129], v[126:127], v[130:131] op_sel_hi:[1,0,1]
	v_add_nc_u32_e32 v125, 1, v125
	v_pk_fma_f32 v[126:127], v[128:129], v[126:127], v[130:131] neg_lo:[0,0,1] neg_hi:[0,0,1]
	v_mov_b32_e32 v127, v133
	s_delay_alu instid0(VALU_DEP_3) | instskip(NEXT) | instid1(VALU_DEP_2)
	v_cmp_lt_u32_e32 vcc_lo, 15, v125
	v_pk_add_f32 v[120:121], v[120:121], v[126:127]
	s_or_b32 s3, vcc_lo, s3
	s_delay_alu instid0(SALU_CYCLE_1)
	s_and_not1_b32 exec_lo, exec_lo, s3
	s_cbranch_execnz .LBB121_737
; %bb.738:
	s_or_b32 exec_lo, exec_lo, s3
.LBB121_739:
	s_delay_alu instid0(SALU_CYCLE_1) | instskip(SKIP_4) | instid1(VALU_DEP_1)
	s_or_b32 exec_lo, exec_lo, s2
	v_mov_b32_e32 v123, 0
	ds_load_b64 v[124:125], v123 offset:136
	s_wait_dscnt 0x0
	v_pk_mul_f32 v[126:127], v[120:121], v[124:125] op_sel:[1,1] op_sel_hi:[0,1]
	v_pk_fma_f32 v[128:129], v[120:121], v[124:125], v[126:127] op_sel_hi:[1,0,1]
	v_pk_fma_f32 v[120:121], v[120:121], v[124:125], v[126:127] neg_lo:[0,0,1] neg_hi:[0,0,1]
	s_delay_alu instid0(VALU_DEP_2)
	v_mov_b32_e32 v121, v129
	scratch_store_b64 off, v[120:121], off offset:136
.LBB121_740:
	s_wait_xcnt 0x0
	s_or_b32 exec_lo, exec_lo, s0
	scratch_load_b64 v[120:121], off, off offset:144
	s_mov_b32 s0, exec_lo
	s_wait_loadcnt 0x0
	ds_store_b64 v1, v[120:121]
	s_wait_storecnt_dscnt 0x0
	s_barrier_signal -1
	s_barrier_wait -1
	s_wait_xcnt 0x0
	v_cmpx_gt_u32_e32 18, v0
	s_cbranch_execz .LBB121_750
; %bb.741:
	v_cmp_ne_u32_e32 vcc_lo, 1, v122
	s_cbranch_vccnz .LBB121_743
; %bb.742:
	scratch_load_b64 v[120:121], v59, off
	ds_load_b64 v[124:125], v1
	s_wait_loadcnt_dscnt 0x0
	v_pk_mul_f32 v[126:127], v[124:125], v[120:121] op_sel:[1,1] op_sel_hi:[0,1]
	s_delay_alu instid0(VALU_DEP_1) | instskip(SKIP_1) | instid1(VALU_DEP_2)
	v_pk_fma_f32 v[128:129], v[124:125], v[120:121], v[126:127] op_sel_hi:[1,0,1]
	v_pk_fma_f32 v[120:121], v[124:125], v[120:121], v[126:127] neg_lo:[0,0,1] neg_hi:[0,0,1]
	v_mov_b32_e32 v121, v129
	s_cbranch_execz .LBB121_744
	s_branch .LBB121_745
.LBB121_743:
                                        ; implicit-def: $vgpr120_vgpr121
.LBB121_744:
	ds_load_b64 v[120:121], v1
.LBB121_745:
	s_mov_b32 s2, exec_lo
	v_cmpx_ne_u32_e32 17, v0
	s_cbranch_execz .LBB121_749
; %bb.746:
	v_add_nc_u32_e32 v123, 0x1d8, v58
	v_add3_u32 v124, 0, v58, 8
	v_mov_b32_e32 v125, v0
	s_mov_b32 s3, 0
.LBB121_747:                            ; =>This Inner Loop Header: Depth=1
	scratch_load_b64 v[126:127], v124, off
	ds_load_b64 v[128:129], v123
	s_wait_xcnt 0x0
	v_dual_add_nc_u32 v123, 8, v123 :: v_dual_add_nc_u32 v124, 8, v124
	s_wait_loadcnt_dscnt 0x0
	v_pk_mul_f32 v[130:131], v[128:129], v[126:127] op_sel:[1,1] op_sel_hi:[0,1]
	s_delay_alu instid0(VALU_DEP_1) | instskip(SKIP_2) | instid1(VALU_DEP_3)
	v_pk_fma_f32 v[132:133], v[128:129], v[126:127], v[130:131] op_sel_hi:[1,0,1]
	v_add_nc_u32_e32 v125, 1, v125
	v_pk_fma_f32 v[126:127], v[128:129], v[126:127], v[130:131] neg_lo:[0,0,1] neg_hi:[0,0,1]
	v_mov_b32_e32 v127, v133
	s_delay_alu instid0(VALU_DEP_3) | instskip(NEXT) | instid1(VALU_DEP_2)
	v_cmp_lt_u32_e32 vcc_lo, 16, v125
	v_pk_add_f32 v[120:121], v[120:121], v[126:127]
	s_or_b32 s3, vcc_lo, s3
	s_delay_alu instid0(SALU_CYCLE_1)
	s_and_not1_b32 exec_lo, exec_lo, s3
	s_cbranch_execnz .LBB121_747
; %bb.748:
	s_or_b32 exec_lo, exec_lo, s3
.LBB121_749:
	s_delay_alu instid0(SALU_CYCLE_1) | instskip(SKIP_4) | instid1(VALU_DEP_1)
	s_or_b32 exec_lo, exec_lo, s2
	v_mov_b32_e32 v123, 0
	ds_load_b64 v[124:125], v123 offset:144
	s_wait_dscnt 0x0
	v_pk_mul_f32 v[126:127], v[120:121], v[124:125] op_sel:[1,1] op_sel_hi:[0,1]
	v_pk_fma_f32 v[128:129], v[120:121], v[124:125], v[126:127] op_sel_hi:[1,0,1]
	v_pk_fma_f32 v[120:121], v[120:121], v[124:125], v[126:127] neg_lo:[0,0,1] neg_hi:[0,0,1]
	s_delay_alu instid0(VALU_DEP_2)
	v_mov_b32_e32 v121, v129
	scratch_store_b64 off, v[120:121], off offset:144
.LBB121_750:
	s_wait_xcnt 0x0
	s_or_b32 exec_lo, exec_lo, s0
	scratch_load_b64 v[120:121], off, off offset:152
	s_mov_b32 s0, exec_lo
	s_wait_loadcnt 0x0
	ds_store_b64 v1, v[120:121]
	s_wait_storecnt_dscnt 0x0
	s_barrier_signal -1
	s_barrier_wait -1
	s_wait_xcnt 0x0
	v_cmpx_gt_u32_e32 19, v0
	s_cbranch_execz .LBB121_760
; %bb.751:
	v_cmp_ne_u32_e32 vcc_lo, 1, v122
	s_cbranch_vccnz .LBB121_753
; %bb.752:
	scratch_load_b64 v[120:121], v59, off
	ds_load_b64 v[124:125], v1
	s_wait_loadcnt_dscnt 0x0
	v_pk_mul_f32 v[126:127], v[124:125], v[120:121] op_sel:[1,1] op_sel_hi:[0,1]
	s_delay_alu instid0(VALU_DEP_1) | instskip(SKIP_1) | instid1(VALU_DEP_2)
	v_pk_fma_f32 v[128:129], v[124:125], v[120:121], v[126:127] op_sel_hi:[1,0,1]
	v_pk_fma_f32 v[120:121], v[124:125], v[120:121], v[126:127] neg_lo:[0,0,1] neg_hi:[0,0,1]
	v_mov_b32_e32 v121, v129
	s_cbranch_execz .LBB121_754
	s_branch .LBB121_755
.LBB121_753:
                                        ; implicit-def: $vgpr120_vgpr121
.LBB121_754:
	ds_load_b64 v[120:121], v1
.LBB121_755:
	s_mov_b32 s2, exec_lo
	v_cmpx_ne_u32_e32 18, v0
	s_cbranch_execz .LBB121_759
; %bb.756:
	v_add_nc_u32_e32 v123, 0x1d8, v58
	v_add3_u32 v124, 0, v58, 8
	v_mov_b32_e32 v125, v0
	s_mov_b32 s3, 0
.LBB121_757:                            ; =>This Inner Loop Header: Depth=1
	scratch_load_b64 v[126:127], v124, off
	ds_load_b64 v[128:129], v123
	s_wait_xcnt 0x0
	v_dual_add_nc_u32 v123, 8, v123 :: v_dual_add_nc_u32 v124, 8, v124
	s_wait_loadcnt_dscnt 0x0
	v_pk_mul_f32 v[130:131], v[128:129], v[126:127] op_sel:[1,1] op_sel_hi:[0,1]
	s_delay_alu instid0(VALU_DEP_1) | instskip(SKIP_2) | instid1(VALU_DEP_3)
	v_pk_fma_f32 v[132:133], v[128:129], v[126:127], v[130:131] op_sel_hi:[1,0,1]
	v_add_nc_u32_e32 v125, 1, v125
	v_pk_fma_f32 v[126:127], v[128:129], v[126:127], v[130:131] neg_lo:[0,0,1] neg_hi:[0,0,1]
	v_mov_b32_e32 v127, v133
	s_delay_alu instid0(VALU_DEP_3) | instskip(NEXT) | instid1(VALU_DEP_2)
	v_cmp_lt_u32_e32 vcc_lo, 17, v125
	v_pk_add_f32 v[120:121], v[120:121], v[126:127]
	s_or_b32 s3, vcc_lo, s3
	s_delay_alu instid0(SALU_CYCLE_1)
	s_and_not1_b32 exec_lo, exec_lo, s3
	s_cbranch_execnz .LBB121_757
; %bb.758:
	s_or_b32 exec_lo, exec_lo, s3
.LBB121_759:
	s_delay_alu instid0(SALU_CYCLE_1) | instskip(SKIP_4) | instid1(VALU_DEP_1)
	s_or_b32 exec_lo, exec_lo, s2
	v_mov_b32_e32 v123, 0
	ds_load_b64 v[124:125], v123 offset:152
	s_wait_dscnt 0x0
	v_pk_mul_f32 v[126:127], v[120:121], v[124:125] op_sel:[1,1] op_sel_hi:[0,1]
	v_pk_fma_f32 v[128:129], v[120:121], v[124:125], v[126:127] op_sel_hi:[1,0,1]
	v_pk_fma_f32 v[120:121], v[120:121], v[124:125], v[126:127] neg_lo:[0,0,1] neg_hi:[0,0,1]
	s_delay_alu instid0(VALU_DEP_2)
	v_mov_b32_e32 v121, v129
	scratch_store_b64 off, v[120:121], off offset:152
.LBB121_760:
	s_wait_xcnt 0x0
	s_or_b32 exec_lo, exec_lo, s0
	scratch_load_b64 v[120:121], off, off offset:160
	s_mov_b32 s0, exec_lo
	s_wait_loadcnt 0x0
	ds_store_b64 v1, v[120:121]
	s_wait_storecnt_dscnt 0x0
	s_barrier_signal -1
	s_barrier_wait -1
	s_wait_xcnt 0x0
	v_cmpx_gt_u32_e32 20, v0
	s_cbranch_execz .LBB121_770
; %bb.761:
	v_cmp_ne_u32_e32 vcc_lo, 1, v122
	s_cbranch_vccnz .LBB121_763
; %bb.762:
	scratch_load_b64 v[120:121], v59, off
	ds_load_b64 v[124:125], v1
	s_wait_loadcnt_dscnt 0x0
	v_pk_mul_f32 v[126:127], v[124:125], v[120:121] op_sel:[1,1] op_sel_hi:[0,1]
	s_delay_alu instid0(VALU_DEP_1) | instskip(SKIP_1) | instid1(VALU_DEP_2)
	v_pk_fma_f32 v[128:129], v[124:125], v[120:121], v[126:127] op_sel_hi:[1,0,1]
	v_pk_fma_f32 v[120:121], v[124:125], v[120:121], v[126:127] neg_lo:[0,0,1] neg_hi:[0,0,1]
	v_mov_b32_e32 v121, v129
	s_cbranch_execz .LBB121_764
	s_branch .LBB121_765
.LBB121_763:
                                        ; implicit-def: $vgpr120_vgpr121
.LBB121_764:
	ds_load_b64 v[120:121], v1
.LBB121_765:
	s_mov_b32 s2, exec_lo
	v_cmpx_ne_u32_e32 19, v0
	s_cbranch_execz .LBB121_769
; %bb.766:
	v_add_nc_u32_e32 v123, 0x1d8, v58
	v_add3_u32 v124, 0, v58, 8
	v_mov_b32_e32 v125, v0
	s_mov_b32 s3, 0
.LBB121_767:                            ; =>This Inner Loop Header: Depth=1
	scratch_load_b64 v[126:127], v124, off
	ds_load_b64 v[128:129], v123
	s_wait_xcnt 0x0
	v_dual_add_nc_u32 v123, 8, v123 :: v_dual_add_nc_u32 v124, 8, v124
	s_wait_loadcnt_dscnt 0x0
	v_pk_mul_f32 v[130:131], v[128:129], v[126:127] op_sel:[1,1] op_sel_hi:[0,1]
	s_delay_alu instid0(VALU_DEP_1) | instskip(SKIP_2) | instid1(VALU_DEP_3)
	v_pk_fma_f32 v[132:133], v[128:129], v[126:127], v[130:131] op_sel_hi:[1,0,1]
	v_add_nc_u32_e32 v125, 1, v125
	v_pk_fma_f32 v[126:127], v[128:129], v[126:127], v[130:131] neg_lo:[0,0,1] neg_hi:[0,0,1]
	v_mov_b32_e32 v127, v133
	s_delay_alu instid0(VALU_DEP_3) | instskip(NEXT) | instid1(VALU_DEP_2)
	v_cmp_lt_u32_e32 vcc_lo, 18, v125
	v_pk_add_f32 v[120:121], v[120:121], v[126:127]
	s_or_b32 s3, vcc_lo, s3
	s_delay_alu instid0(SALU_CYCLE_1)
	s_and_not1_b32 exec_lo, exec_lo, s3
	s_cbranch_execnz .LBB121_767
; %bb.768:
	s_or_b32 exec_lo, exec_lo, s3
.LBB121_769:
	s_delay_alu instid0(SALU_CYCLE_1) | instskip(SKIP_4) | instid1(VALU_DEP_1)
	s_or_b32 exec_lo, exec_lo, s2
	v_mov_b32_e32 v123, 0
	ds_load_b64 v[124:125], v123 offset:160
	s_wait_dscnt 0x0
	v_pk_mul_f32 v[126:127], v[120:121], v[124:125] op_sel:[1,1] op_sel_hi:[0,1]
	v_pk_fma_f32 v[128:129], v[120:121], v[124:125], v[126:127] op_sel_hi:[1,0,1]
	v_pk_fma_f32 v[120:121], v[120:121], v[124:125], v[126:127] neg_lo:[0,0,1] neg_hi:[0,0,1]
	s_delay_alu instid0(VALU_DEP_2)
	v_mov_b32_e32 v121, v129
	scratch_store_b64 off, v[120:121], off offset:160
.LBB121_770:
	s_wait_xcnt 0x0
	s_or_b32 exec_lo, exec_lo, s0
	scratch_load_b64 v[120:121], off, off offset:168
	s_mov_b32 s0, exec_lo
	s_wait_loadcnt 0x0
	ds_store_b64 v1, v[120:121]
	s_wait_storecnt_dscnt 0x0
	s_barrier_signal -1
	s_barrier_wait -1
	s_wait_xcnt 0x0
	v_cmpx_gt_u32_e32 21, v0
	s_cbranch_execz .LBB121_780
; %bb.771:
	v_cmp_ne_u32_e32 vcc_lo, 1, v122
	s_cbranch_vccnz .LBB121_773
; %bb.772:
	scratch_load_b64 v[120:121], v59, off
	ds_load_b64 v[124:125], v1
	s_wait_loadcnt_dscnt 0x0
	v_pk_mul_f32 v[126:127], v[124:125], v[120:121] op_sel:[1,1] op_sel_hi:[0,1]
	s_delay_alu instid0(VALU_DEP_1) | instskip(SKIP_1) | instid1(VALU_DEP_2)
	v_pk_fma_f32 v[128:129], v[124:125], v[120:121], v[126:127] op_sel_hi:[1,0,1]
	v_pk_fma_f32 v[120:121], v[124:125], v[120:121], v[126:127] neg_lo:[0,0,1] neg_hi:[0,0,1]
	v_mov_b32_e32 v121, v129
	s_cbranch_execz .LBB121_774
	s_branch .LBB121_775
.LBB121_773:
                                        ; implicit-def: $vgpr120_vgpr121
.LBB121_774:
	ds_load_b64 v[120:121], v1
.LBB121_775:
	s_mov_b32 s2, exec_lo
	v_cmpx_ne_u32_e32 20, v0
	s_cbranch_execz .LBB121_779
; %bb.776:
	v_add_nc_u32_e32 v123, 0x1d8, v58
	v_add3_u32 v124, 0, v58, 8
	v_mov_b32_e32 v125, v0
	s_mov_b32 s3, 0
.LBB121_777:                            ; =>This Inner Loop Header: Depth=1
	scratch_load_b64 v[126:127], v124, off
	ds_load_b64 v[128:129], v123
	s_wait_xcnt 0x0
	v_dual_add_nc_u32 v123, 8, v123 :: v_dual_add_nc_u32 v124, 8, v124
	s_wait_loadcnt_dscnt 0x0
	v_pk_mul_f32 v[130:131], v[128:129], v[126:127] op_sel:[1,1] op_sel_hi:[0,1]
	s_delay_alu instid0(VALU_DEP_1) | instskip(SKIP_2) | instid1(VALU_DEP_3)
	v_pk_fma_f32 v[132:133], v[128:129], v[126:127], v[130:131] op_sel_hi:[1,0,1]
	v_add_nc_u32_e32 v125, 1, v125
	v_pk_fma_f32 v[126:127], v[128:129], v[126:127], v[130:131] neg_lo:[0,0,1] neg_hi:[0,0,1]
	v_mov_b32_e32 v127, v133
	s_delay_alu instid0(VALU_DEP_3) | instskip(NEXT) | instid1(VALU_DEP_2)
	v_cmp_lt_u32_e32 vcc_lo, 19, v125
	v_pk_add_f32 v[120:121], v[120:121], v[126:127]
	s_or_b32 s3, vcc_lo, s3
	s_delay_alu instid0(SALU_CYCLE_1)
	s_and_not1_b32 exec_lo, exec_lo, s3
	s_cbranch_execnz .LBB121_777
; %bb.778:
	s_or_b32 exec_lo, exec_lo, s3
.LBB121_779:
	s_delay_alu instid0(SALU_CYCLE_1) | instskip(SKIP_4) | instid1(VALU_DEP_1)
	s_or_b32 exec_lo, exec_lo, s2
	v_mov_b32_e32 v123, 0
	ds_load_b64 v[124:125], v123 offset:168
	s_wait_dscnt 0x0
	v_pk_mul_f32 v[126:127], v[120:121], v[124:125] op_sel:[1,1] op_sel_hi:[0,1]
	v_pk_fma_f32 v[128:129], v[120:121], v[124:125], v[126:127] op_sel_hi:[1,0,1]
	v_pk_fma_f32 v[120:121], v[120:121], v[124:125], v[126:127] neg_lo:[0,0,1] neg_hi:[0,0,1]
	s_delay_alu instid0(VALU_DEP_2)
	v_mov_b32_e32 v121, v129
	scratch_store_b64 off, v[120:121], off offset:168
.LBB121_780:
	s_wait_xcnt 0x0
	s_or_b32 exec_lo, exec_lo, s0
	scratch_load_b64 v[120:121], off, off offset:176
	s_mov_b32 s0, exec_lo
	s_wait_loadcnt 0x0
	ds_store_b64 v1, v[120:121]
	s_wait_storecnt_dscnt 0x0
	s_barrier_signal -1
	s_barrier_wait -1
	s_wait_xcnt 0x0
	v_cmpx_gt_u32_e32 22, v0
	s_cbranch_execz .LBB121_790
; %bb.781:
	v_cmp_ne_u32_e32 vcc_lo, 1, v122
	s_cbranch_vccnz .LBB121_783
; %bb.782:
	scratch_load_b64 v[120:121], v59, off
	ds_load_b64 v[124:125], v1
	s_wait_loadcnt_dscnt 0x0
	v_pk_mul_f32 v[126:127], v[124:125], v[120:121] op_sel:[1,1] op_sel_hi:[0,1]
	s_delay_alu instid0(VALU_DEP_1) | instskip(SKIP_1) | instid1(VALU_DEP_2)
	v_pk_fma_f32 v[128:129], v[124:125], v[120:121], v[126:127] op_sel_hi:[1,0,1]
	v_pk_fma_f32 v[120:121], v[124:125], v[120:121], v[126:127] neg_lo:[0,0,1] neg_hi:[0,0,1]
	v_mov_b32_e32 v121, v129
	s_cbranch_execz .LBB121_784
	s_branch .LBB121_785
.LBB121_783:
                                        ; implicit-def: $vgpr120_vgpr121
.LBB121_784:
	ds_load_b64 v[120:121], v1
.LBB121_785:
	s_mov_b32 s2, exec_lo
	v_cmpx_ne_u32_e32 21, v0
	s_cbranch_execz .LBB121_789
; %bb.786:
	v_add_nc_u32_e32 v123, 0x1d8, v58
	v_add3_u32 v124, 0, v58, 8
	v_mov_b32_e32 v125, v0
	s_mov_b32 s3, 0
.LBB121_787:                            ; =>This Inner Loop Header: Depth=1
	scratch_load_b64 v[126:127], v124, off
	ds_load_b64 v[128:129], v123
	s_wait_xcnt 0x0
	v_dual_add_nc_u32 v123, 8, v123 :: v_dual_add_nc_u32 v124, 8, v124
	s_wait_loadcnt_dscnt 0x0
	v_pk_mul_f32 v[130:131], v[128:129], v[126:127] op_sel:[1,1] op_sel_hi:[0,1]
	s_delay_alu instid0(VALU_DEP_1) | instskip(SKIP_2) | instid1(VALU_DEP_3)
	v_pk_fma_f32 v[132:133], v[128:129], v[126:127], v[130:131] op_sel_hi:[1,0,1]
	v_add_nc_u32_e32 v125, 1, v125
	v_pk_fma_f32 v[126:127], v[128:129], v[126:127], v[130:131] neg_lo:[0,0,1] neg_hi:[0,0,1]
	v_mov_b32_e32 v127, v133
	s_delay_alu instid0(VALU_DEP_3) | instskip(NEXT) | instid1(VALU_DEP_2)
	v_cmp_lt_u32_e32 vcc_lo, 20, v125
	v_pk_add_f32 v[120:121], v[120:121], v[126:127]
	s_or_b32 s3, vcc_lo, s3
	s_delay_alu instid0(SALU_CYCLE_1)
	s_and_not1_b32 exec_lo, exec_lo, s3
	s_cbranch_execnz .LBB121_787
; %bb.788:
	s_or_b32 exec_lo, exec_lo, s3
.LBB121_789:
	s_delay_alu instid0(SALU_CYCLE_1) | instskip(SKIP_4) | instid1(VALU_DEP_1)
	s_or_b32 exec_lo, exec_lo, s2
	v_mov_b32_e32 v123, 0
	ds_load_b64 v[124:125], v123 offset:176
	s_wait_dscnt 0x0
	v_pk_mul_f32 v[126:127], v[120:121], v[124:125] op_sel:[1,1] op_sel_hi:[0,1]
	v_pk_fma_f32 v[128:129], v[120:121], v[124:125], v[126:127] op_sel_hi:[1,0,1]
	v_pk_fma_f32 v[120:121], v[120:121], v[124:125], v[126:127] neg_lo:[0,0,1] neg_hi:[0,0,1]
	s_delay_alu instid0(VALU_DEP_2)
	v_mov_b32_e32 v121, v129
	scratch_store_b64 off, v[120:121], off offset:176
.LBB121_790:
	s_wait_xcnt 0x0
	s_or_b32 exec_lo, exec_lo, s0
	scratch_load_b64 v[120:121], off, off offset:184
	s_mov_b32 s0, exec_lo
	s_wait_loadcnt 0x0
	ds_store_b64 v1, v[120:121]
	s_wait_storecnt_dscnt 0x0
	s_barrier_signal -1
	s_barrier_wait -1
	s_wait_xcnt 0x0
	v_cmpx_gt_u32_e32 23, v0
	s_cbranch_execz .LBB121_800
; %bb.791:
	v_cmp_ne_u32_e32 vcc_lo, 1, v122
	s_cbranch_vccnz .LBB121_793
; %bb.792:
	scratch_load_b64 v[120:121], v59, off
	ds_load_b64 v[124:125], v1
	s_wait_loadcnt_dscnt 0x0
	v_pk_mul_f32 v[126:127], v[124:125], v[120:121] op_sel:[1,1] op_sel_hi:[0,1]
	s_delay_alu instid0(VALU_DEP_1) | instskip(SKIP_1) | instid1(VALU_DEP_2)
	v_pk_fma_f32 v[128:129], v[124:125], v[120:121], v[126:127] op_sel_hi:[1,0,1]
	v_pk_fma_f32 v[120:121], v[124:125], v[120:121], v[126:127] neg_lo:[0,0,1] neg_hi:[0,0,1]
	v_mov_b32_e32 v121, v129
	s_cbranch_execz .LBB121_794
	s_branch .LBB121_795
.LBB121_793:
                                        ; implicit-def: $vgpr120_vgpr121
.LBB121_794:
	ds_load_b64 v[120:121], v1
.LBB121_795:
	s_mov_b32 s2, exec_lo
	v_cmpx_ne_u32_e32 22, v0
	s_cbranch_execz .LBB121_799
; %bb.796:
	v_add_nc_u32_e32 v123, 0x1d8, v58
	v_add3_u32 v124, 0, v58, 8
	v_mov_b32_e32 v125, v0
	s_mov_b32 s3, 0
.LBB121_797:                            ; =>This Inner Loop Header: Depth=1
	scratch_load_b64 v[126:127], v124, off
	ds_load_b64 v[128:129], v123
	s_wait_xcnt 0x0
	v_dual_add_nc_u32 v123, 8, v123 :: v_dual_add_nc_u32 v124, 8, v124
	s_wait_loadcnt_dscnt 0x0
	v_pk_mul_f32 v[130:131], v[128:129], v[126:127] op_sel:[1,1] op_sel_hi:[0,1]
	s_delay_alu instid0(VALU_DEP_1) | instskip(SKIP_2) | instid1(VALU_DEP_3)
	v_pk_fma_f32 v[132:133], v[128:129], v[126:127], v[130:131] op_sel_hi:[1,0,1]
	v_add_nc_u32_e32 v125, 1, v125
	v_pk_fma_f32 v[126:127], v[128:129], v[126:127], v[130:131] neg_lo:[0,0,1] neg_hi:[0,0,1]
	v_mov_b32_e32 v127, v133
	s_delay_alu instid0(VALU_DEP_3) | instskip(NEXT) | instid1(VALU_DEP_2)
	v_cmp_lt_u32_e32 vcc_lo, 21, v125
	v_pk_add_f32 v[120:121], v[120:121], v[126:127]
	s_or_b32 s3, vcc_lo, s3
	s_delay_alu instid0(SALU_CYCLE_1)
	s_and_not1_b32 exec_lo, exec_lo, s3
	s_cbranch_execnz .LBB121_797
; %bb.798:
	s_or_b32 exec_lo, exec_lo, s3
.LBB121_799:
	s_delay_alu instid0(SALU_CYCLE_1) | instskip(SKIP_4) | instid1(VALU_DEP_1)
	s_or_b32 exec_lo, exec_lo, s2
	v_mov_b32_e32 v123, 0
	ds_load_b64 v[124:125], v123 offset:184
	s_wait_dscnt 0x0
	v_pk_mul_f32 v[126:127], v[120:121], v[124:125] op_sel:[1,1] op_sel_hi:[0,1]
	v_pk_fma_f32 v[128:129], v[120:121], v[124:125], v[126:127] op_sel_hi:[1,0,1]
	v_pk_fma_f32 v[120:121], v[120:121], v[124:125], v[126:127] neg_lo:[0,0,1] neg_hi:[0,0,1]
	s_delay_alu instid0(VALU_DEP_2)
	v_mov_b32_e32 v121, v129
	scratch_store_b64 off, v[120:121], off offset:184
.LBB121_800:
	s_wait_xcnt 0x0
	s_or_b32 exec_lo, exec_lo, s0
	scratch_load_b64 v[120:121], off, off offset:192
	s_mov_b32 s0, exec_lo
	s_wait_loadcnt 0x0
	ds_store_b64 v1, v[120:121]
	s_wait_storecnt_dscnt 0x0
	s_barrier_signal -1
	s_barrier_wait -1
	s_wait_xcnt 0x0
	v_cmpx_gt_u32_e32 24, v0
	s_cbranch_execz .LBB121_810
; %bb.801:
	v_cmp_ne_u32_e32 vcc_lo, 1, v122
	s_cbranch_vccnz .LBB121_803
; %bb.802:
	scratch_load_b64 v[120:121], v59, off
	ds_load_b64 v[124:125], v1
	s_wait_loadcnt_dscnt 0x0
	v_pk_mul_f32 v[126:127], v[124:125], v[120:121] op_sel:[1,1] op_sel_hi:[0,1]
	s_delay_alu instid0(VALU_DEP_1) | instskip(SKIP_1) | instid1(VALU_DEP_2)
	v_pk_fma_f32 v[128:129], v[124:125], v[120:121], v[126:127] op_sel_hi:[1,0,1]
	v_pk_fma_f32 v[120:121], v[124:125], v[120:121], v[126:127] neg_lo:[0,0,1] neg_hi:[0,0,1]
	v_mov_b32_e32 v121, v129
	s_cbranch_execz .LBB121_804
	s_branch .LBB121_805
.LBB121_803:
                                        ; implicit-def: $vgpr120_vgpr121
.LBB121_804:
	ds_load_b64 v[120:121], v1
.LBB121_805:
	s_mov_b32 s2, exec_lo
	v_cmpx_ne_u32_e32 23, v0
	s_cbranch_execz .LBB121_809
; %bb.806:
	v_add_nc_u32_e32 v123, 0x1d8, v58
	v_add3_u32 v124, 0, v58, 8
	v_mov_b32_e32 v125, v0
	s_mov_b32 s3, 0
.LBB121_807:                            ; =>This Inner Loop Header: Depth=1
	scratch_load_b64 v[126:127], v124, off
	ds_load_b64 v[128:129], v123
	s_wait_xcnt 0x0
	v_dual_add_nc_u32 v123, 8, v123 :: v_dual_add_nc_u32 v124, 8, v124
	s_wait_loadcnt_dscnt 0x0
	v_pk_mul_f32 v[130:131], v[128:129], v[126:127] op_sel:[1,1] op_sel_hi:[0,1]
	s_delay_alu instid0(VALU_DEP_1) | instskip(SKIP_2) | instid1(VALU_DEP_3)
	v_pk_fma_f32 v[132:133], v[128:129], v[126:127], v[130:131] op_sel_hi:[1,0,1]
	v_add_nc_u32_e32 v125, 1, v125
	v_pk_fma_f32 v[126:127], v[128:129], v[126:127], v[130:131] neg_lo:[0,0,1] neg_hi:[0,0,1]
	v_mov_b32_e32 v127, v133
	s_delay_alu instid0(VALU_DEP_3) | instskip(NEXT) | instid1(VALU_DEP_2)
	v_cmp_lt_u32_e32 vcc_lo, 22, v125
	v_pk_add_f32 v[120:121], v[120:121], v[126:127]
	s_or_b32 s3, vcc_lo, s3
	s_delay_alu instid0(SALU_CYCLE_1)
	s_and_not1_b32 exec_lo, exec_lo, s3
	s_cbranch_execnz .LBB121_807
; %bb.808:
	s_or_b32 exec_lo, exec_lo, s3
.LBB121_809:
	s_delay_alu instid0(SALU_CYCLE_1) | instskip(SKIP_4) | instid1(VALU_DEP_1)
	s_or_b32 exec_lo, exec_lo, s2
	v_mov_b32_e32 v123, 0
	ds_load_b64 v[124:125], v123 offset:192
	s_wait_dscnt 0x0
	v_pk_mul_f32 v[126:127], v[120:121], v[124:125] op_sel:[1,1] op_sel_hi:[0,1]
	v_pk_fma_f32 v[128:129], v[120:121], v[124:125], v[126:127] op_sel_hi:[1,0,1]
	v_pk_fma_f32 v[120:121], v[120:121], v[124:125], v[126:127] neg_lo:[0,0,1] neg_hi:[0,0,1]
	s_delay_alu instid0(VALU_DEP_2)
	v_mov_b32_e32 v121, v129
	scratch_store_b64 off, v[120:121], off offset:192
.LBB121_810:
	s_wait_xcnt 0x0
	s_or_b32 exec_lo, exec_lo, s0
	scratch_load_b64 v[120:121], off, off offset:200
	s_mov_b32 s0, exec_lo
	s_wait_loadcnt 0x0
	ds_store_b64 v1, v[120:121]
	s_wait_storecnt_dscnt 0x0
	s_barrier_signal -1
	s_barrier_wait -1
	s_wait_xcnt 0x0
	v_cmpx_gt_u32_e32 25, v0
	s_cbranch_execz .LBB121_820
; %bb.811:
	v_cmp_ne_u32_e32 vcc_lo, 1, v122
	s_cbranch_vccnz .LBB121_813
; %bb.812:
	scratch_load_b64 v[120:121], v59, off
	ds_load_b64 v[124:125], v1
	s_wait_loadcnt_dscnt 0x0
	v_pk_mul_f32 v[126:127], v[124:125], v[120:121] op_sel:[1,1] op_sel_hi:[0,1]
	s_delay_alu instid0(VALU_DEP_1) | instskip(SKIP_1) | instid1(VALU_DEP_2)
	v_pk_fma_f32 v[128:129], v[124:125], v[120:121], v[126:127] op_sel_hi:[1,0,1]
	v_pk_fma_f32 v[120:121], v[124:125], v[120:121], v[126:127] neg_lo:[0,0,1] neg_hi:[0,0,1]
	v_mov_b32_e32 v121, v129
	s_cbranch_execz .LBB121_814
	s_branch .LBB121_815
.LBB121_813:
                                        ; implicit-def: $vgpr120_vgpr121
.LBB121_814:
	ds_load_b64 v[120:121], v1
.LBB121_815:
	s_mov_b32 s2, exec_lo
	v_cmpx_ne_u32_e32 24, v0
	s_cbranch_execz .LBB121_819
; %bb.816:
	v_add_nc_u32_e32 v123, 0x1d8, v58
	v_add3_u32 v124, 0, v58, 8
	v_mov_b32_e32 v125, v0
	s_mov_b32 s3, 0
.LBB121_817:                            ; =>This Inner Loop Header: Depth=1
	scratch_load_b64 v[126:127], v124, off
	ds_load_b64 v[128:129], v123
	s_wait_xcnt 0x0
	v_dual_add_nc_u32 v123, 8, v123 :: v_dual_add_nc_u32 v124, 8, v124
	s_wait_loadcnt_dscnt 0x0
	v_pk_mul_f32 v[130:131], v[128:129], v[126:127] op_sel:[1,1] op_sel_hi:[0,1]
	s_delay_alu instid0(VALU_DEP_1) | instskip(SKIP_2) | instid1(VALU_DEP_3)
	v_pk_fma_f32 v[132:133], v[128:129], v[126:127], v[130:131] op_sel_hi:[1,0,1]
	v_add_nc_u32_e32 v125, 1, v125
	v_pk_fma_f32 v[126:127], v[128:129], v[126:127], v[130:131] neg_lo:[0,0,1] neg_hi:[0,0,1]
	v_mov_b32_e32 v127, v133
	s_delay_alu instid0(VALU_DEP_3) | instskip(NEXT) | instid1(VALU_DEP_2)
	v_cmp_lt_u32_e32 vcc_lo, 23, v125
	v_pk_add_f32 v[120:121], v[120:121], v[126:127]
	s_or_b32 s3, vcc_lo, s3
	s_delay_alu instid0(SALU_CYCLE_1)
	s_and_not1_b32 exec_lo, exec_lo, s3
	s_cbranch_execnz .LBB121_817
; %bb.818:
	s_or_b32 exec_lo, exec_lo, s3
.LBB121_819:
	s_delay_alu instid0(SALU_CYCLE_1) | instskip(SKIP_4) | instid1(VALU_DEP_1)
	s_or_b32 exec_lo, exec_lo, s2
	v_mov_b32_e32 v123, 0
	ds_load_b64 v[124:125], v123 offset:200
	s_wait_dscnt 0x0
	v_pk_mul_f32 v[126:127], v[120:121], v[124:125] op_sel:[1,1] op_sel_hi:[0,1]
	v_pk_fma_f32 v[128:129], v[120:121], v[124:125], v[126:127] op_sel_hi:[1,0,1]
	v_pk_fma_f32 v[120:121], v[120:121], v[124:125], v[126:127] neg_lo:[0,0,1] neg_hi:[0,0,1]
	s_delay_alu instid0(VALU_DEP_2)
	v_mov_b32_e32 v121, v129
	scratch_store_b64 off, v[120:121], off offset:200
.LBB121_820:
	s_wait_xcnt 0x0
	s_or_b32 exec_lo, exec_lo, s0
	scratch_load_b64 v[120:121], off, off offset:208
	s_mov_b32 s0, exec_lo
	s_wait_loadcnt 0x0
	ds_store_b64 v1, v[120:121]
	s_wait_storecnt_dscnt 0x0
	s_barrier_signal -1
	s_barrier_wait -1
	s_wait_xcnt 0x0
	v_cmpx_gt_u32_e32 26, v0
	s_cbranch_execz .LBB121_830
; %bb.821:
	v_cmp_ne_u32_e32 vcc_lo, 1, v122
	s_cbranch_vccnz .LBB121_823
; %bb.822:
	scratch_load_b64 v[120:121], v59, off
	ds_load_b64 v[124:125], v1
	s_wait_loadcnt_dscnt 0x0
	v_pk_mul_f32 v[126:127], v[124:125], v[120:121] op_sel:[1,1] op_sel_hi:[0,1]
	s_delay_alu instid0(VALU_DEP_1) | instskip(SKIP_1) | instid1(VALU_DEP_2)
	v_pk_fma_f32 v[128:129], v[124:125], v[120:121], v[126:127] op_sel_hi:[1,0,1]
	v_pk_fma_f32 v[120:121], v[124:125], v[120:121], v[126:127] neg_lo:[0,0,1] neg_hi:[0,0,1]
	v_mov_b32_e32 v121, v129
	s_cbranch_execz .LBB121_824
	s_branch .LBB121_825
.LBB121_823:
                                        ; implicit-def: $vgpr120_vgpr121
.LBB121_824:
	ds_load_b64 v[120:121], v1
.LBB121_825:
	s_mov_b32 s2, exec_lo
	v_cmpx_ne_u32_e32 25, v0
	s_cbranch_execz .LBB121_829
; %bb.826:
	v_add_nc_u32_e32 v123, 0x1d8, v58
	v_add3_u32 v124, 0, v58, 8
	v_mov_b32_e32 v125, v0
	s_mov_b32 s3, 0
.LBB121_827:                            ; =>This Inner Loop Header: Depth=1
	scratch_load_b64 v[126:127], v124, off
	ds_load_b64 v[128:129], v123
	s_wait_xcnt 0x0
	v_dual_add_nc_u32 v123, 8, v123 :: v_dual_add_nc_u32 v124, 8, v124
	s_wait_loadcnt_dscnt 0x0
	v_pk_mul_f32 v[130:131], v[128:129], v[126:127] op_sel:[1,1] op_sel_hi:[0,1]
	s_delay_alu instid0(VALU_DEP_1) | instskip(SKIP_2) | instid1(VALU_DEP_3)
	v_pk_fma_f32 v[132:133], v[128:129], v[126:127], v[130:131] op_sel_hi:[1,0,1]
	v_add_nc_u32_e32 v125, 1, v125
	v_pk_fma_f32 v[126:127], v[128:129], v[126:127], v[130:131] neg_lo:[0,0,1] neg_hi:[0,0,1]
	v_mov_b32_e32 v127, v133
	s_delay_alu instid0(VALU_DEP_3) | instskip(NEXT) | instid1(VALU_DEP_2)
	v_cmp_lt_u32_e32 vcc_lo, 24, v125
	v_pk_add_f32 v[120:121], v[120:121], v[126:127]
	s_or_b32 s3, vcc_lo, s3
	s_delay_alu instid0(SALU_CYCLE_1)
	s_and_not1_b32 exec_lo, exec_lo, s3
	s_cbranch_execnz .LBB121_827
; %bb.828:
	s_or_b32 exec_lo, exec_lo, s3
.LBB121_829:
	s_delay_alu instid0(SALU_CYCLE_1) | instskip(SKIP_4) | instid1(VALU_DEP_1)
	s_or_b32 exec_lo, exec_lo, s2
	v_mov_b32_e32 v123, 0
	ds_load_b64 v[124:125], v123 offset:208
	s_wait_dscnt 0x0
	v_pk_mul_f32 v[126:127], v[120:121], v[124:125] op_sel:[1,1] op_sel_hi:[0,1]
	v_pk_fma_f32 v[128:129], v[120:121], v[124:125], v[126:127] op_sel_hi:[1,0,1]
	v_pk_fma_f32 v[120:121], v[120:121], v[124:125], v[126:127] neg_lo:[0,0,1] neg_hi:[0,0,1]
	s_delay_alu instid0(VALU_DEP_2)
	v_mov_b32_e32 v121, v129
	scratch_store_b64 off, v[120:121], off offset:208
.LBB121_830:
	s_wait_xcnt 0x0
	s_or_b32 exec_lo, exec_lo, s0
	scratch_load_b64 v[120:121], off, off offset:216
	s_mov_b32 s0, exec_lo
	s_wait_loadcnt 0x0
	ds_store_b64 v1, v[120:121]
	s_wait_storecnt_dscnt 0x0
	s_barrier_signal -1
	s_barrier_wait -1
	s_wait_xcnt 0x0
	v_cmpx_gt_u32_e32 27, v0
	s_cbranch_execz .LBB121_840
; %bb.831:
	v_cmp_ne_u32_e32 vcc_lo, 1, v122
	s_cbranch_vccnz .LBB121_833
; %bb.832:
	scratch_load_b64 v[120:121], v59, off
	ds_load_b64 v[124:125], v1
	s_wait_loadcnt_dscnt 0x0
	v_pk_mul_f32 v[126:127], v[124:125], v[120:121] op_sel:[1,1] op_sel_hi:[0,1]
	s_delay_alu instid0(VALU_DEP_1) | instskip(SKIP_1) | instid1(VALU_DEP_2)
	v_pk_fma_f32 v[128:129], v[124:125], v[120:121], v[126:127] op_sel_hi:[1,0,1]
	v_pk_fma_f32 v[120:121], v[124:125], v[120:121], v[126:127] neg_lo:[0,0,1] neg_hi:[0,0,1]
	v_mov_b32_e32 v121, v129
	s_cbranch_execz .LBB121_834
	s_branch .LBB121_835
.LBB121_833:
                                        ; implicit-def: $vgpr120_vgpr121
.LBB121_834:
	ds_load_b64 v[120:121], v1
.LBB121_835:
	s_mov_b32 s2, exec_lo
	v_cmpx_ne_u32_e32 26, v0
	s_cbranch_execz .LBB121_839
; %bb.836:
	v_add_nc_u32_e32 v123, 0x1d8, v58
	v_add3_u32 v124, 0, v58, 8
	v_mov_b32_e32 v125, v0
	s_mov_b32 s3, 0
.LBB121_837:                            ; =>This Inner Loop Header: Depth=1
	scratch_load_b64 v[126:127], v124, off
	ds_load_b64 v[128:129], v123
	s_wait_xcnt 0x0
	v_dual_add_nc_u32 v123, 8, v123 :: v_dual_add_nc_u32 v124, 8, v124
	s_wait_loadcnt_dscnt 0x0
	v_pk_mul_f32 v[130:131], v[128:129], v[126:127] op_sel:[1,1] op_sel_hi:[0,1]
	s_delay_alu instid0(VALU_DEP_1) | instskip(SKIP_2) | instid1(VALU_DEP_3)
	v_pk_fma_f32 v[132:133], v[128:129], v[126:127], v[130:131] op_sel_hi:[1,0,1]
	v_add_nc_u32_e32 v125, 1, v125
	v_pk_fma_f32 v[126:127], v[128:129], v[126:127], v[130:131] neg_lo:[0,0,1] neg_hi:[0,0,1]
	v_mov_b32_e32 v127, v133
	s_delay_alu instid0(VALU_DEP_3) | instskip(NEXT) | instid1(VALU_DEP_2)
	v_cmp_lt_u32_e32 vcc_lo, 25, v125
	v_pk_add_f32 v[120:121], v[120:121], v[126:127]
	s_or_b32 s3, vcc_lo, s3
	s_delay_alu instid0(SALU_CYCLE_1)
	s_and_not1_b32 exec_lo, exec_lo, s3
	s_cbranch_execnz .LBB121_837
; %bb.838:
	s_or_b32 exec_lo, exec_lo, s3
.LBB121_839:
	s_delay_alu instid0(SALU_CYCLE_1) | instskip(SKIP_4) | instid1(VALU_DEP_1)
	s_or_b32 exec_lo, exec_lo, s2
	v_mov_b32_e32 v123, 0
	ds_load_b64 v[124:125], v123 offset:216
	s_wait_dscnt 0x0
	v_pk_mul_f32 v[126:127], v[120:121], v[124:125] op_sel:[1,1] op_sel_hi:[0,1]
	v_pk_fma_f32 v[128:129], v[120:121], v[124:125], v[126:127] op_sel_hi:[1,0,1]
	v_pk_fma_f32 v[120:121], v[120:121], v[124:125], v[126:127] neg_lo:[0,0,1] neg_hi:[0,0,1]
	s_delay_alu instid0(VALU_DEP_2)
	v_mov_b32_e32 v121, v129
	scratch_store_b64 off, v[120:121], off offset:216
.LBB121_840:
	s_wait_xcnt 0x0
	s_or_b32 exec_lo, exec_lo, s0
	scratch_load_b64 v[120:121], off, off offset:224
	s_mov_b32 s0, exec_lo
	s_wait_loadcnt 0x0
	ds_store_b64 v1, v[120:121]
	s_wait_storecnt_dscnt 0x0
	s_barrier_signal -1
	s_barrier_wait -1
	s_wait_xcnt 0x0
	v_cmpx_gt_u32_e32 28, v0
	s_cbranch_execz .LBB121_850
; %bb.841:
	v_cmp_ne_u32_e32 vcc_lo, 1, v122
	s_cbranch_vccnz .LBB121_843
; %bb.842:
	scratch_load_b64 v[120:121], v59, off
	ds_load_b64 v[124:125], v1
	s_wait_loadcnt_dscnt 0x0
	v_pk_mul_f32 v[126:127], v[124:125], v[120:121] op_sel:[1,1] op_sel_hi:[0,1]
	s_delay_alu instid0(VALU_DEP_1) | instskip(SKIP_1) | instid1(VALU_DEP_2)
	v_pk_fma_f32 v[128:129], v[124:125], v[120:121], v[126:127] op_sel_hi:[1,0,1]
	v_pk_fma_f32 v[120:121], v[124:125], v[120:121], v[126:127] neg_lo:[0,0,1] neg_hi:[0,0,1]
	v_mov_b32_e32 v121, v129
	s_cbranch_execz .LBB121_844
	s_branch .LBB121_845
.LBB121_843:
                                        ; implicit-def: $vgpr120_vgpr121
.LBB121_844:
	ds_load_b64 v[120:121], v1
.LBB121_845:
	s_mov_b32 s2, exec_lo
	v_cmpx_ne_u32_e32 27, v0
	s_cbranch_execz .LBB121_849
; %bb.846:
	v_add_nc_u32_e32 v123, 0x1d8, v58
	v_add3_u32 v124, 0, v58, 8
	v_mov_b32_e32 v125, v0
	s_mov_b32 s3, 0
.LBB121_847:                            ; =>This Inner Loop Header: Depth=1
	scratch_load_b64 v[126:127], v124, off
	ds_load_b64 v[128:129], v123
	s_wait_xcnt 0x0
	v_dual_add_nc_u32 v123, 8, v123 :: v_dual_add_nc_u32 v124, 8, v124
	s_wait_loadcnt_dscnt 0x0
	v_pk_mul_f32 v[130:131], v[128:129], v[126:127] op_sel:[1,1] op_sel_hi:[0,1]
	s_delay_alu instid0(VALU_DEP_1) | instskip(SKIP_2) | instid1(VALU_DEP_3)
	v_pk_fma_f32 v[132:133], v[128:129], v[126:127], v[130:131] op_sel_hi:[1,0,1]
	v_add_nc_u32_e32 v125, 1, v125
	v_pk_fma_f32 v[126:127], v[128:129], v[126:127], v[130:131] neg_lo:[0,0,1] neg_hi:[0,0,1]
	v_mov_b32_e32 v127, v133
	s_delay_alu instid0(VALU_DEP_3) | instskip(NEXT) | instid1(VALU_DEP_2)
	v_cmp_lt_u32_e32 vcc_lo, 26, v125
	v_pk_add_f32 v[120:121], v[120:121], v[126:127]
	s_or_b32 s3, vcc_lo, s3
	s_delay_alu instid0(SALU_CYCLE_1)
	s_and_not1_b32 exec_lo, exec_lo, s3
	s_cbranch_execnz .LBB121_847
; %bb.848:
	s_or_b32 exec_lo, exec_lo, s3
.LBB121_849:
	s_delay_alu instid0(SALU_CYCLE_1) | instskip(SKIP_4) | instid1(VALU_DEP_1)
	s_or_b32 exec_lo, exec_lo, s2
	v_mov_b32_e32 v123, 0
	ds_load_b64 v[124:125], v123 offset:224
	s_wait_dscnt 0x0
	v_pk_mul_f32 v[126:127], v[120:121], v[124:125] op_sel:[1,1] op_sel_hi:[0,1]
	v_pk_fma_f32 v[128:129], v[120:121], v[124:125], v[126:127] op_sel_hi:[1,0,1]
	v_pk_fma_f32 v[120:121], v[120:121], v[124:125], v[126:127] neg_lo:[0,0,1] neg_hi:[0,0,1]
	s_delay_alu instid0(VALU_DEP_2)
	v_mov_b32_e32 v121, v129
	scratch_store_b64 off, v[120:121], off offset:224
.LBB121_850:
	s_wait_xcnt 0x0
	s_or_b32 exec_lo, exec_lo, s0
	scratch_load_b64 v[120:121], off, off offset:232
	s_mov_b32 s0, exec_lo
	s_wait_loadcnt 0x0
	ds_store_b64 v1, v[120:121]
	s_wait_storecnt_dscnt 0x0
	s_barrier_signal -1
	s_barrier_wait -1
	s_wait_xcnt 0x0
	v_cmpx_gt_u32_e32 29, v0
	s_cbranch_execz .LBB121_860
; %bb.851:
	v_cmp_ne_u32_e32 vcc_lo, 1, v122
	s_cbranch_vccnz .LBB121_853
; %bb.852:
	scratch_load_b64 v[120:121], v59, off
	ds_load_b64 v[124:125], v1
	s_wait_loadcnt_dscnt 0x0
	v_pk_mul_f32 v[126:127], v[124:125], v[120:121] op_sel:[1,1] op_sel_hi:[0,1]
	s_delay_alu instid0(VALU_DEP_1) | instskip(SKIP_1) | instid1(VALU_DEP_2)
	v_pk_fma_f32 v[128:129], v[124:125], v[120:121], v[126:127] op_sel_hi:[1,0,1]
	v_pk_fma_f32 v[120:121], v[124:125], v[120:121], v[126:127] neg_lo:[0,0,1] neg_hi:[0,0,1]
	v_mov_b32_e32 v121, v129
	s_cbranch_execz .LBB121_854
	s_branch .LBB121_855
.LBB121_853:
                                        ; implicit-def: $vgpr120_vgpr121
.LBB121_854:
	ds_load_b64 v[120:121], v1
.LBB121_855:
	s_mov_b32 s2, exec_lo
	v_cmpx_ne_u32_e32 28, v0
	s_cbranch_execz .LBB121_859
; %bb.856:
	v_add_nc_u32_e32 v123, 0x1d8, v58
	v_add3_u32 v124, 0, v58, 8
	v_mov_b32_e32 v125, v0
	s_mov_b32 s3, 0
.LBB121_857:                            ; =>This Inner Loop Header: Depth=1
	scratch_load_b64 v[126:127], v124, off
	ds_load_b64 v[128:129], v123
	s_wait_xcnt 0x0
	v_dual_add_nc_u32 v123, 8, v123 :: v_dual_add_nc_u32 v124, 8, v124
	s_wait_loadcnt_dscnt 0x0
	v_pk_mul_f32 v[130:131], v[128:129], v[126:127] op_sel:[1,1] op_sel_hi:[0,1]
	s_delay_alu instid0(VALU_DEP_1) | instskip(SKIP_2) | instid1(VALU_DEP_3)
	v_pk_fma_f32 v[132:133], v[128:129], v[126:127], v[130:131] op_sel_hi:[1,0,1]
	v_add_nc_u32_e32 v125, 1, v125
	v_pk_fma_f32 v[126:127], v[128:129], v[126:127], v[130:131] neg_lo:[0,0,1] neg_hi:[0,0,1]
	v_mov_b32_e32 v127, v133
	s_delay_alu instid0(VALU_DEP_3) | instskip(NEXT) | instid1(VALU_DEP_2)
	v_cmp_lt_u32_e32 vcc_lo, 27, v125
	v_pk_add_f32 v[120:121], v[120:121], v[126:127]
	s_or_b32 s3, vcc_lo, s3
	s_delay_alu instid0(SALU_CYCLE_1)
	s_and_not1_b32 exec_lo, exec_lo, s3
	s_cbranch_execnz .LBB121_857
; %bb.858:
	s_or_b32 exec_lo, exec_lo, s3
.LBB121_859:
	s_delay_alu instid0(SALU_CYCLE_1) | instskip(SKIP_4) | instid1(VALU_DEP_1)
	s_or_b32 exec_lo, exec_lo, s2
	v_mov_b32_e32 v123, 0
	ds_load_b64 v[124:125], v123 offset:232
	s_wait_dscnt 0x0
	v_pk_mul_f32 v[126:127], v[120:121], v[124:125] op_sel:[1,1] op_sel_hi:[0,1]
	v_pk_fma_f32 v[128:129], v[120:121], v[124:125], v[126:127] op_sel_hi:[1,0,1]
	v_pk_fma_f32 v[120:121], v[120:121], v[124:125], v[126:127] neg_lo:[0,0,1] neg_hi:[0,0,1]
	s_delay_alu instid0(VALU_DEP_2)
	v_mov_b32_e32 v121, v129
	scratch_store_b64 off, v[120:121], off offset:232
.LBB121_860:
	s_wait_xcnt 0x0
	s_or_b32 exec_lo, exec_lo, s0
	scratch_load_b64 v[120:121], off, off offset:240
	s_mov_b32 s0, exec_lo
	s_wait_loadcnt 0x0
	ds_store_b64 v1, v[120:121]
	s_wait_storecnt_dscnt 0x0
	s_barrier_signal -1
	s_barrier_wait -1
	s_wait_xcnt 0x0
	v_cmpx_gt_u32_e32 30, v0
	s_cbranch_execz .LBB121_870
; %bb.861:
	v_cmp_ne_u32_e32 vcc_lo, 1, v122
	s_cbranch_vccnz .LBB121_863
; %bb.862:
	scratch_load_b64 v[120:121], v59, off
	ds_load_b64 v[124:125], v1
	s_wait_loadcnt_dscnt 0x0
	v_pk_mul_f32 v[126:127], v[124:125], v[120:121] op_sel:[1,1] op_sel_hi:[0,1]
	s_delay_alu instid0(VALU_DEP_1) | instskip(SKIP_1) | instid1(VALU_DEP_2)
	v_pk_fma_f32 v[128:129], v[124:125], v[120:121], v[126:127] op_sel_hi:[1,0,1]
	v_pk_fma_f32 v[120:121], v[124:125], v[120:121], v[126:127] neg_lo:[0,0,1] neg_hi:[0,0,1]
	v_mov_b32_e32 v121, v129
	s_cbranch_execz .LBB121_864
	s_branch .LBB121_865
.LBB121_863:
                                        ; implicit-def: $vgpr120_vgpr121
.LBB121_864:
	ds_load_b64 v[120:121], v1
.LBB121_865:
	s_mov_b32 s2, exec_lo
	v_cmpx_ne_u32_e32 29, v0
	s_cbranch_execz .LBB121_869
; %bb.866:
	v_add_nc_u32_e32 v123, 0x1d8, v58
	v_add3_u32 v124, 0, v58, 8
	v_mov_b32_e32 v125, v0
	s_mov_b32 s3, 0
.LBB121_867:                            ; =>This Inner Loop Header: Depth=1
	scratch_load_b64 v[126:127], v124, off
	ds_load_b64 v[128:129], v123
	s_wait_xcnt 0x0
	v_dual_add_nc_u32 v123, 8, v123 :: v_dual_add_nc_u32 v124, 8, v124
	s_wait_loadcnt_dscnt 0x0
	v_pk_mul_f32 v[130:131], v[128:129], v[126:127] op_sel:[1,1] op_sel_hi:[0,1]
	s_delay_alu instid0(VALU_DEP_1) | instskip(SKIP_2) | instid1(VALU_DEP_3)
	v_pk_fma_f32 v[132:133], v[128:129], v[126:127], v[130:131] op_sel_hi:[1,0,1]
	v_add_nc_u32_e32 v125, 1, v125
	v_pk_fma_f32 v[126:127], v[128:129], v[126:127], v[130:131] neg_lo:[0,0,1] neg_hi:[0,0,1]
	v_mov_b32_e32 v127, v133
	s_delay_alu instid0(VALU_DEP_3) | instskip(NEXT) | instid1(VALU_DEP_2)
	v_cmp_lt_u32_e32 vcc_lo, 28, v125
	v_pk_add_f32 v[120:121], v[120:121], v[126:127]
	s_or_b32 s3, vcc_lo, s3
	s_delay_alu instid0(SALU_CYCLE_1)
	s_and_not1_b32 exec_lo, exec_lo, s3
	s_cbranch_execnz .LBB121_867
; %bb.868:
	s_or_b32 exec_lo, exec_lo, s3
.LBB121_869:
	s_delay_alu instid0(SALU_CYCLE_1) | instskip(SKIP_4) | instid1(VALU_DEP_1)
	s_or_b32 exec_lo, exec_lo, s2
	v_mov_b32_e32 v123, 0
	ds_load_b64 v[124:125], v123 offset:240
	s_wait_dscnt 0x0
	v_pk_mul_f32 v[126:127], v[120:121], v[124:125] op_sel:[1,1] op_sel_hi:[0,1]
	v_pk_fma_f32 v[128:129], v[120:121], v[124:125], v[126:127] op_sel_hi:[1,0,1]
	v_pk_fma_f32 v[120:121], v[120:121], v[124:125], v[126:127] neg_lo:[0,0,1] neg_hi:[0,0,1]
	s_delay_alu instid0(VALU_DEP_2)
	v_mov_b32_e32 v121, v129
	scratch_store_b64 off, v[120:121], off offset:240
.LBB121_870:
	s_wait_xcnt 0x0
	s_or_b32 exec_lo, exec_lo, s0
	scratch_load_b64 v[120:121], off, off offset:248
	s_mov_b32 s0, exec_lo
	s_wait_loadcnt 0x0
	ds_store_b64 v1, v[120:121]
	s_wait_storecnt_dscnt 0x0
	s_barrier_signal -1
	s_barrier_wait -1
	s_wait_xcnt 0x0
	v_cmpx_gt_u32_e32 31, v0
	s_cbranch_execz .LBB121_880
; %bb.871:
	v_cmp_ne_u32_e32 vcc_lo, 1, v122
	s_cbranch_vccnz .LBB121_873
; %bb.872:
	scratch_load_b64 v[120:121], v59, off
	ds_load_b64 v[124:125], v1
	s_wait_loadcnt_dscnt 0x0
	v_pk_mul_f32 v[126:127], v[124:125], v[120:121] op_sel:[1,1] op_sel_hi:[0,1]
	s_delay_alu instid0(VALU_DEP_1) | instskip(SKIP_1) | instid1(VALU_DEP_2)
	v_pk_fma_f32 v[128:129], v[124:125], v[120:121], v[126:127] op_sel_hi:[1,0,1]
	v_pk_fma_f32 v[120:121], v[124:125], v[120:121], v[126:127] neg_lo:[0,0,1] neg_hi:[0,0,1]
	v_mov_b32_e32 v121, v129
	s_cbranch_execz .LBB121_874
	s_branch .LBB121_875
.LBB121_873:
                                        ; implicit-def: $vgpr120_vgpr121
.LBB121_874:
	ds_load_b64 v[120:121], v1
.LBB121_875:
	s_mov_b32 s2, exec_lo
	v_cmpx_ne_u32_e32 30, v0
	s_cbranch_execz .LBB121_879
; %bb.876:
	v_add_nc_u32_e32 v123, 0x1d8, v58
	v_add3_u32 v124, 0, v58, 8
	v_mov_b32_e32 v125, v0
	s_mov_b32 s3, 0
.LBB121_877:                            ; =>This Inner Loop Header: Depth=1
	scratch_load_b64 v[126:127], v124, off
	ds_load_b64 v[128:129], v123
	s_wait_xcnt 0x0
	v_dual_add_nc_u32 v123, 8, v123 :: v_dual_add_nc_u32 v124, 8, v124
	s_wait_loadcnt_dscnt 0x0
	v_pk_mul_f32 v[130:131], v[128:129], v[126:127] op_sel:[1,1] op_sel_hi:[0,1]
	s_delay_alu instid0(VALU_DEP_1) | instskip(SKIP_2) | instid1(VALU_DEP_3)
	v_pk_fma_f32 v[132:133], v[128:129], v[126:127], v[130:131] op_sel_hi:[1,0,1]
	v_add_nc_u32_e32 v125, 1, v125
	v_pk_fma_f32 v[126:127], v[128:129], v[126:127], v[130:131] neg_lo:[0,0,1] neg_hi:[0,0,1]
	v_mov_b32_e32 v127, v133
	s_delay_alu instid0(VALU_DEP_3) | instskip(NEXT) | instid1(VALU_DEP_2)
	v_cmp_lt_u32_e32 vcc_lo, 29, v125
	v_pk_add_f32 v[120:121], v[120:121], v[126:127]
	s_or_b32 s3, vcc_lo, s3
	s_delay_alu instid0(SALU_CYCLE_1)
	s_and_not1_b32 exec_lo, exec_lo, s3
	s_cbranch_execnz .LBB121_877
; %bb.878:
	s_or_b32 exec_lo, exec_lo, s3
.LBB121_879:
	s_delay_alu instid0(SALU_CYCLE_1) | instskip(SKIP_4) | instid1(VALU_DEP_1)
	s_or_b32 exec_lo, exec_lo, s2
	v_mov_b32_e32 v123, 0
	ds_load_b64 v[124:125], v123 offset:248
	s_wait_dscnt 0x0
	v_pk_mul_f32 v[126:127], v[120:121], v[124:125] op_sel:[1,1] op_sel_hi:[0,1]
	v_pk_fma_f32 v[128:129], v[120:121], v[124:125], v[126:127] op_sel_hi:[1,0,1]
	v_pk_fma_f32 v[120:121], v[120:121], v[124:125], v[126:127] neg_lo:[0,0,1] neg_hi:[0,0,1]
	s_delay_alu instid0(VALU_DEP_2)
	v_mov_b32_e32 v121, v129
	scratch_store_b64 off, v[120:121], off offset:248
.LBB121_880:
	s_wait_xcnt 0x0
	s_or_b32 exec_lo, exec_lo, s0
	scratch_load_b64 v[120:121], off, off offset:256
	s_mov_b32 s0, exec_lo
	s_wait_loadcnt 0x0
	ds_store_b64 v1, v[120:121]
	s_wait_storecnt_dscnt 0x0
	s_barrier_signal -1
	s_barrier_wait -1
	s_wait_xcnt 0x0
	v_cmpx_gt_u32_e32 32, v0
	s_cbranch_execz .LBB121_890
; %bb.881:
	v_cmp_ne_u32_e32 vcc_lo, 1, v122
	s_cbranch_vccnz .LBB121_883
; %bb.882:
	scratch_load_b64 v[120:121], v59, off
	ds_load_b64 v[124:125], v1
	s_wait_loadcnt_dscnt 0x0
	v_pk_mul_f32 v[126:127], v[124:125], v[120:121] op_sel:[1,1] op_sel_hi:[0,1]
	s_delay_alu instid0(VALU_DEP_1) | instskip(SKIP_1) | instid1(VALU_DEP_2)
	v_pk_fma_f32 v[128:129], v[124:125], v[120:121], v[126:127] op_sel_hi:[1,0,1]
	v_pk_fma_f32 v[120:121], v[124:125], v[120:121], v[126:127] neg_lo:[0,0,1] neg_hi:[0,0,1]
	v_mov_b32_e32 v121, v129
	s_cbranch_execz .LBB121_884
	s_branch .LBB121_885
.LBB121_883:
                                        ; implicit-def: $vgpr120_vgpr121
.LBB121_884:
	ds_load_b64 v[120:121], v1
.LBB121_885:
	s_mov_b32 s2, exec_lo
	v_cmpx_ne_u32_e32 31, v0
	s_cbranch_execz .LBB121_889
; %bb.886:
	v_add_nc_u32_e32 v123, 0x1d8, v58
	v_add3_u32 v124, 0, v58, 8
	v_mov_b32_e32 v125, v0
	s_mov_b32 s3, 0
.LBB121_887:                            ; =>This Inner Loop Header: Depth=1
	scratch_load_b64 v[126:127], v124, off
	ds_load_b64 v[128:129], v123
	s_wait_xcnt 0x0
	v_dual_add_nc_u32 v123, 8, v123 :: v_dual_add_nc_u32 v124, 8, v124
	s_wait_loadcnt_dscnt 0x0
	v_pk_mul_f32 v[130:131], v[128:129], v[126:127] op_sel:[1,1] op_sel_hi:[0,1]
	s_delay_alu instid0(VALU_DEP_1) | instskip(SKIP_2) | instid1(VALU_DEP_3)
	v_pk_fma_f32 v[132:133], v[128:129], v[126:127], v[130:131] op_sel_hi:[1,0,1]
	v_add_nc_u32_e32 v125, 1, v125
	v_pk_fma_f32 v[126:127], v[128:129], v[126:127], v[130:131] neg_lo:[0,0,1] neg_hi:[0,0,1]
	v_mov_b32_e32 v127, v133
	s_delay_alu instid0(VALU_DEP_3) | instskip(NEXT) | instid1(VALU_DEP_2)
	v_cmp_lt_u32_e32 vcc_lo, 30, v125
	v_pk_add_f32 v[120:121], v[120:121], v[126:127]
	s_or_b32 s3, vcc_lo, s3
	s_delay_alu instid0(SALU_CYCLE_1)
	s_and_not1_b32 exec_lo, exec_lo, s3
	s_cbranch_execnz .LBB121_887
; %bb.888:
	s_or_b32 exec_lo, exec_lo, s3
.LBB121_889:
	s_delay_alu instid0(SALU_CYCLE_1) | instskip(SKIP_4) | instid1(VALU_DEP_1)
	s_or_b32 exec_lo, exec_lo, s2
	v_mov_b32_e32 v123, 0
	ds_load_b64 v[124:125], v123 offset:256
	s_wait_dscnt 0x0
	v_pk_mul_f32 v[126:127], v[120:121], v[124:125] op_sel:[1,1] op_sel_hi:[0,1]
	v_pk_fma_f32 v[128:129], v[120:121], v[124:125], v[126:127] op_sel_hi:[1,0,1]
	v_pk_fma_f32 v[120:121], v[120:121], v[124:125], v[126:127] neg_lo:[0,0,1] neg_hi:[0,0,1]
	s_delay_alu instid0(VALU_DEP_2)
	v_mov_b32_e32 v121, v129
	scratch_store_b64 off, v[120:121], off offset:256
.LBB121_890:
	s_wait_xcnt 0x0
	s_or_b32 exec_lo, exec_lo, s0
	scratch_load_b64 v[120:121], off, off offset:264
	s_mov_b32 s0, exec_lo
	s_wait_loadcnt 0x0
	ds_store_b64 v1, v[120:121]
	s_wait_storecnt_dscnt 0x0
	s_barrier_signal -1
	s_barrier_wait -1
	s_wait_xcnt 0x0
	v_cmpx_gt_u32_e32 33, v0
	s_cbranch_execz .LBB121_900
; %bb.891:
	v_cmp_ne_u32_e32 vcc_lo, 1, v122
	s_cbranch_vccnz .LBB121_893
; %bb.892:
	scratch_load_b64 v[120:121], v59, off
	ds_load_b64 v[124:125], v1
	s_wait_loadcnt_dscnt 0x0
	v_pk_mul_f32 v[126:127], v[124:125], v[120:121] op_sel:[1,1] op_sel_hi:[0,1]
	s_delay_alu instid0(VALU_DEP_1) | instskip(SKIP_1) | instid1(VALU_DEP_2)
	v_pk_fma_f32 v[128:129], v[124:125], v[120:121], v[126:127] op_sel_hi:[1,0,1]
	v_pk_fma_f32 v[120:121], v[124:125], v[120:121], v[126:127] neg_lo:[0,0,1] neg_hi:[0,0,1]
	v_mov_b32_e32 v121, v129
	s_cbranch_execz .LBB121_894
	s_branch .LBB121_895
.LBB121_893:
                                        ; implicit-def: $vgpr120_vgpr121
.LBB121_894:
	ds_load_b64 v[120:121], v1
.LBB121_895:
	s_mov_b32 s2, exec_lo
	v_cmpx_ne_u32_e32 32, v0
	s_cbranch_execz .LBB121_899
; %bb.896:
	v_add_nc_u32_e32 v123, 0x1d8, v58
	v_add3_u32 v124, 0, v58, 8
	v_mov_b32_e32 v125, v0
	s_mov_b32 s3, 0
.LBB121_897:                            ; =>This Inner Loop Header: Depth=1
	scratch_load_b64 v[126:127], v124, off
	ds_load_b64 v[128:129], v123
	s_wait_xcnt 0x0
	v_dual_add_nc_u32 v123, 8, v123 :: v_dual_add_nc_u32 v124, 8, v124
	s_wait_loadcnt_dscnt 0x0
	v_pk_mul_f32 v[130:131], v[128:129], v[126:127] op_sel:[1,1] op_sel_hi:[0,1]
	s_delay_alu instid0(VALU_DEP_1) | instskip(SKIP_2) | instid1(VALU_DEP_3)
	v_pk_fma_f32 v[132:133], v[128:129], v[126:127], v[130:131] op_sel_hi:[1,0,1]
	v_add_nc_u32_e32 v125, 1, v125
	v_pk_fma_f32 v[126:127], v[128:129], v[126:127], v[130:131] neg_lo:[0,0,1] neg_hi:[0,0,1]
	v_mov_b32_e32 v127, v133
	s_delay_alu instid0(VALU_DEP_3) | instskip(NEXT) | instid1(VALU_DEP_2)
	v_cmp_lt_u32_e32 vcc_lo, 31, v125
	v_pk_add_f32 v[120:121], v[120:121], v[126:127]
	s_or_b32 s3, vcc_lo, s3
	s_delay_alu instid0(SALU_CYCLE_1)
	s_and_not1_b32 exec_lo, exec_lo, s3
	s_cbranch_execnz .LBB121_897
; %bb.898:
	s_or_b32 exec_lo, exec_lo, s3
.LBB121_899:
	s_delay_alu instid0(SALU_CYCLE_1) | instskip(SKIP_4) | instid1(VALU_DEP_1)
	s_or_b32 exec_lo, exec_lo, s2
	v_mov_b32_e32 v123, 0
	ds_load_b64 v[124:125], v123 offset:264
	s_wait_dscnt 0x0
	v_pk_mul_f32 v[126:127], v[120:121], v[124:125] op_sel:[1,1] op_sel_hi:[0,1]
	v_pk_fma_f32 v[128:129], v[120:121], v[124:125], v[126:127] op_sel_hi:[1,0,1]
	v_pk_fma_f32 v[120:121], v[120:121], v[124:125], v[126:127] neg_lo:[0,0,1] neg_hi:[0,0,1]
	s_delay_alu instid0(VALU_DEP_2)
	v_mov_b32_e32 v121, v129
	scratch_store_b64 off, v[120:121], off offset:264
.LBB121_900:
	s_wait_xcnt 0x0
	s_or_b32 exec_lo, exec_lo, s0
	scratch_load_b64 v[120:121], off, off offset:272
	s_mov_b32 s0, exec_lo
	s_wait_loadcnt 0x0
	ds_store_b64 v1, v[120:121]
	s_wait_storecnt_dscnt 0x0
	s_barrier_signal -1
	s_barrier_wait -1
	s_wait_xcnt 0x0
	v_cmpx_gt_u32_e32 34, v0
	s_cbranch_execz .LBB121_910
; %bb.901:
	v_cmp_ne_u32_e32 vcc_lo, 1, v122
	s_cbranch_vccnz .LBB121_903
; %bb.902:
	scratch_load_b64 v[120:121], v59, off
	ds_load_b64 v[124:125], v1
	s_wait_loadcnt_dscnt 0x0
	v_pk_mul_f32 v[126:127], v[124:125], v[120:121] op_sel:[1,1] op_sel_hi:[0,1]
	s_delay_alu instid0(VALU_DEP_1) | instskip(SKIP_1) | instid1(VALU_DEP_2)
	v_pk_fma_f32 v[128:129], v[124:125], v[120:121], v[126:127] op_sel_hi:[1,0,1]
	v_pk_fma_f32 v[120:121], v[124:125], v[120:121], v[126:127] neg_lo:[0,0,1] neg_hi:[0,0,1]
	v_mov_b32_e32 v121, v129
	s_cbranch_execz .LBB121_904
	s_branch .LBB121_905
.LBB121_903:
                                        ; implicit-def: $vgpr120_vgpr121
.LBB121_904:
	ds_load_b64 v[120:121], v1
.LBB121_905:
	s_mov_b32 s2, exec_lo
	v_cmpx_ne_u32_e32 33, v0
	s_cbranch_execz .LBB121_909
; %bb.906:
	v_add_nc_u32_e32 v123, 0x1d8, v58
	v_add3_u32 v124, 0, v58, 8
	v_mov_b32_e32 v125, v0
	s_mov_b32 s3, 0
.LBB121_907:                            ; =>This Inner Loop Header: Depth=1
	scratch_load_b64 v[126:127], v124, off
	ds_load_b64 v[128:129], v123
	s_wait_xcnt 0x0
	v_dual_add_nc_u32 v123, 8, v123 :: v_dual_add_nc_u32 v124, 8, v124
	s_wait_loadcnt_dscnt 0x0
	v_pk_mul_f32 v[130:131], v[128:129], v[126:127] op_sel:[1,1] op_sel_hi:[0,1]
	s_delay_alu instid0(VALU_DEP_1) | instskip(SKIP_2) | instid1(VALU_DEP_3)
	v_pk_fma_f32 v[132:133], v[128:129], v[126:127], v[130:131] op_sel_hi:[1,0,1]
	v_add_nc_u32_e32 v125, 1, v125
	v_pk_fma_f32 v[126:127], v[128:129], v[126:127], v[130:131] neg_lo:[0,0,1] neg_hi:[0,0,1]
	v_mov_b32_e32 v127, v133
	s_delay_alu instid0(VALU_DEP_3) | instskip(NEXT) | instid1(VALU_DEP_2)
	v_cmp_lt_u32_e32 vcc_lo, 32, v125
	v_pk_add_f32 v[120:121], v[120:121], v[126:127]
	s_or_b32 s3, vcc_lo, s3
	s_delay_alu instid0(SALU_CYCLE_1)
	s_and_not1_b32 exec_lo, exec_lo, s3
	s_cbranch_execnz .LBB121_907
; %bb.908:
	s_or_b32 exec_lo, exec_lo, s3
.LBB121_909:
	s_delay_alu instid0(SALU_CYCLE_1) | instskip(SKIP_4) | instid1(VALU_DEP_1)
	s_or_b32 exec_lo, exec_lo, s2
	v_mov_b32_e32 v123, 0
	ds_load_b64 v[124:125], v123 offset:272
	s_wait_dscnt 0x0
	v_pk_mul_f32 v[126:127], v[120:121], v[124:125] op_sel:[1,1] op_sel_hi:[0,1]
	v_pk_fma_f32 v[128:129], v[120:121], v[124:125], v[126:127] op_sel_hi:[1,0,1]
	v_pk_fma_f32 v[120:121], v[120:121], v[124:125], v[126:127] neg_lo:[0,0,1] neg_hi:[0,0,1]
	s_delay_alu instid0(VALU_DEP_2)
	v_mov_b32_e32 v121, v129
	scratch_store_b64 off, v[120:121], off offset:272
.LBB121_910:
	s_wait_xcnt 0x0
	s_or_b32 exec_lo, exec_lo, s0
	scratch_load_b64 v[120:121], off, off offset:280
	s_mov_b32 s0, exec_lo
	s_wait_loadcnt 0x0
	ds_store_b64 v1, v[120:121]
	s_wait_storecnt_dscnt 0x0
	s_barrier_signal -1
	s_barrier_wait -1
	s_wait_xcnt 0x0
	v_cmpx_gt_u32_e32 35, v0
	s_cbranch_execz .LBB121_920
; %bb.911:
	v_cmp_ne_u32_e32 vcc_lo, 1, v122
	s_cbranch_vccnz .LBB121_913
; %bb.912:
	scratch_load_b64 v[120:121], v59, off
	ds_load_b64 v[124:125], v1
	s_wait_loadcnt_dscnt 0x0
	v_pk_mul_f32 v[126:127], v[124:125], v[120:121] op_sel:[1,1] op_sel_hi:[0,1]
	s_delay_alu instid0(VALU_DEP_1) | instskip(SKIP_1) | instid1(VALU_DEP_2)
	v_pk_fma_f32 v[128:129], v[124:125], v[120:121], v[126:127] op_sel_hi:[1,0,1]
	v_pk_fma_f32 v[120:121], v[124:125], v[120:121], v[126:127] neg_lo:[0,0,1] neg_hi:[0,0,1]
	v_mov_b32_e32 v121, v129
	s_cbranch_execz .LBB121_914
	s_branch .LBB121_915
.LBB121_913:
                                        ; implicit-def: $vgpr120_vgpr121
.LBB121_914:
	ds_load_b64 v[120:121], v1
.LBB121_915:
	s_mov_b32 s2, exec_lo
	v_cmpx_ne_u32_e32 34, v0
	s_cbranch_execz .LBB121_919
; %bb.916:
	v_add_nc_u32_e32 v123, 0x1d8, v58
	v_add3_u32 v124, 0, v58, 8
	v_mov_b32_e32 v125, v0
	s_mov_b32 s3, 0
.LBB121_917:                            ; =>This Inner Loop Header: Depth=1
	scratch_load_b64 v[126:127], v124, off
	ds_load_b64 v[128:129], v123
	s_wait_xcnt 0x0
	v_dual_add_nc_u32 v123, 8, v123 :: v_dual_add_nc_u32 v124, 8, v124
	s_wait_loadcnt_dscnt 0x0
	v_pk_mul_f32 v[130:131], v[128:129], v[126:127] op_sel:[1,1] op_sel_hi:[0,1]
	s_delay_alu instid0(VALU_DEP_1) | instskip(SKIP_2) | instid1(VALU_DEP_3)
	v_pk_fma_f32 v[132:133], v[128:129], v[126:127], v[130:131] op_sel_hi:[1,0,1]
	v_add_nc_u32_e32 v125, 1, v125
	v_pk_fma_f32 v[126:127], v[128:129], v[126:127], v[130:131] neg_lo:[0,0,1] neg_hi:[0,0,1]
	v_mov_b32_e32 v127, v133
	s_delay_alu instid0(VALU_DEP_3) | instskip(NEXT) | instid1(VALU_DEP_2)
	v_cmp_lt_u32_e32 vcc_lo, 33, v125
	v_pk_add_f32 v[120:121], v[120:121], v[126:127]
	s_or_b32 s3, vcc_lo, s3
	s_delay_alu instid0(SALU_CYCLE_1)
	s_and_not1_b32 exec_lo, exec_lo, s3
	s_cbranch_execnz .LBB121_917
; %bb.918:
	s_or_b32 exec_lo, exec_lo, s3
.LBB121_919:
	s_delay_alu instid0(SALU_CYCLE_1) | instskip(SKIP_4) | instid1(VALU_DEP_1)
	s_or_b32 exec_lo, exec_lo, s2
	v_mov_b32_e32 v123, 0
	ds_load_b64 v[124:125], v123 offset:280
	s_wait_dscnt 0x0
	v_pk_mul_f32 v[126:127], v[120:121], v[124:125] op_sel:[1,1] op_sel_hi:[0,1]
	v_pk_fma_f32 v[128:129], v[120:121], v[124:125], v[126:127] op_sel_hi:[1,0,1]
	v_pk_fma_f32 v[120:121], v[120:121], v[124:125], v[126:127] neg_lo:[0,0,1] neg_hi:[0,0,1]
	s_delay_alu instid0(VALU_DEP_2)
	v_mov_b32_e32 v121, v129
	scratch_store_b64 off, v[120:121], off offset:280
.LBB121_920:
	s_wait_xcnt 0x0
	s_or_b32 exec_lo, exec_lo, s0
	scratch_load_b64 v[120:121], off, off offset:288
	s_mov_b32 s0, exec_lo
	s_wait_loadcnt 0x0
	ds_store_b64 v1, v[120:121]
	s_wait_storecnt_dscnt 0x0
	s_barrier_signal -1
	s_barrier_wait -1
	s_wait_xcnt 0x0
	v_cmpx_gt_u32_e32 36, v0
	s_cbranch_execz .LBB121_930
; %bb.921:
	v_cmp_ne_u32_e32 vcc_lo, 1, v122
	s_cbranch_vccnz .LBB121_923
; %bb.922:
	scratch_load_b64 v[120:121], v59, off
	ds_load_b64 v[124:125], v1
	s_wait_loadcnt_dscnt 0x0
	v_pk_mul_f32 v[126:127], v[124:125], v[120:121] op_sel:[1,1] op_sel_hi:[0,1]
	s_delay_alu instid0(VALU_DEP_1) | instskip(SKIP_1) | instid1(VALU_DEP_2)
	v_pk_fma_f32 v[128:129], v[124:125], v[120:121], v[126:127] op_sel_hi:[1,0,1]
	v_pk_fma_f32 v[120:121], v[124:125], v[120:121], v[126:127] neg_lo:[0,0,1] neg_hi:[0,0,1]
	v_mov_b32_e32 v121, v129
	s_cbranch_execz .LBB121_924
	s_branch .LBB121_925
.LBB121_923:
                                        ; implicit-def: $vgpr120_vgpr121
.LBB121_924:
	ds_load_b64 v[120:121], v1
.LBB121_925:
	s_mov_b32 s2, exec_lo
	v_cmpx_ne_u32_e32 35, v0
	s_cbranch_execz .LBB121_929
; %bb.926:
	v_add_nc_u32_e32 v123, 0x1d8, v58
	v_add3_u32 v124, 0, v58, 8
	v_mov_b32_e32 v125, v0
	s_mov_b32 s3, 0
.LBB121_927:                            ; =>This Inner Loop Header: Depth=1
	scratch_load_b64 v[126:127], v124, off
	ds_load_b64 v[128:129], v123
	s_wait_xcnt 0x0
	v_dual_add_nc_u32 v123, 8, v123 :: v_dual_add_nc_u32 v124, 8, v124
	s_wait_loadcnt_dscnt 0x0
	v_pk_mul_f32 v[130:131], v[128:129], v[126:127] op_sel:[1,1] op_sel_hi:[0,1]
	s_delay_alu instid0(VALU_DEP_1) | instskip(SKIP_2) | instid1(VALU_DEP_3)
	v_pk_fma_f32 v[132:133], v[128:129], v[126:127], v[130:131] op_sel_hi:[1,0,1]
	v_add_nc_u32_e32 v125, 1, v125
	v_pk_fma_f32 v[126:127], v[128:129], v[126:127], v[130:131] neg_lo:[0,0,1] neg_hi:[0,0,1]
	v_mov_b32_e32 v127, v133
	s_delay_alu instid0(VALU_DEP_3) | instskip(NEXT) | instid1(VALU_DEP_2)
	v_cmp_lt_u32_e32 vcc_lo, 34, v125
	v_pk_add_f32 v[120:121], v[120:121], v[126:127]
	s_or_b32 s3, vcc_lo, s3
	s_delay_alu instid0(SALU_CYCLE_1)
	s_and_not1_b32 exec_lo, exec_lo, s3
	s_cbranch_execnz .LBB121_927
; %bb.928:
	s_or_b32 exec_lo, exec_lo, s3
.LBB121_929:
	s_delay_alu instid0(SALU_CYCLE_1) | instskip(SKIP_4) | instid1(VALU_DEP_1)
	s_or_b32 exec_lo, exec_lo, s2
	v_mov_b32_e32 v123, 0
	ds_load_b64 v[124:125], v123 offset:288
	s_wait_dscnt 0x0
	v_pk_mul_f32 v[126:127], v[120:121], v[124:125] op_sel:[1,1] op_sel_hi:[0,1]
	v_pk_fma_f32 v[128:129], v[120:121], v[124:125], v[126:127] op_sel_hi:[1,0,1]
	v_pk_fma_f32 v[120:121], v[120:121], v[124:125], v[126:127] neg_lo:[0,0,1] neg_hi:[0,0,1]
	s_delay_alu instid0(VALU_DEP_2)
	v_mov_b32_e32 v121, v129
	scratch_store_b64 off, v[120:121], off offset:288
.LBB121_930:
	s_wait_xcnt 0x0
	s_or_b32 exec_lo, exec_lo, s0
	scratch_load_b64 v[120:121], off, off offset:296
	s_mov_b32 s0, exec_lo
	s_wait_loadcnt 0x0
	ds_store_b64 v1, v[120:121]
	s_wait_storecnt_dscnt 0x0
	s_barrier_signal -1
	s_barrier_wait -1
	s_wait_xcnt 0x0
	v_cmpx_gt_u32_e32 37, v0
	s_cbranch_execz .LBB121_940
; %bb.931:
	v_cmp_ne_u32_e32 vcc_lo, 1, v122
	s_cbranch_vccnz .LBB121_933
; %bb.932:
	scratch_load_b64 v[120:121], v59, off
	ds_load_b64 v[124:125], v1
	s_wait_loadcnt_dscnt 0x0
	v_pk_mul_f32 v[126:127], v[124:125], v[120:121] op_sel:[1,1] op_sel_hi:[0,1]
	s_delay_alu instid0(VALU_DEP_1) | instskip(SKIP_1) | instid1(VALU_DEP_2)
	v_pk_fma_f32 v[128:129], v[124:125], v[120:121], v[126:127] op_sel_hi:[1,0,1]
	v_pk_fma_f32 v[120:121], v[124:125], v[120:121], v[126:127] neg_lo:[0,0,1] neg_hi:[0,0,1]
	v_mov_b32_e32 v121, v129
	s_cbranch_execz .LBB121_934
	s_branch .LBB121_935
.LBB121_933:
                                        ; implicit-def: $vgpr120_vgpr121
.LBB121_934:
	ds_load_b64 v[120:121], v1
.LBB121_935:
	s_mov_b32 s2, exec_lo
	v_cmpx_ne_u32_e32 36, v0
	s_cbranch_execz .LBB121_939
; %bb.936:
	v_add_nc_u32_e32 v123, 0x1d8, v58
	v_add3_u32 v124, 0, v58, 8
	v_mov_b32_e32 v125, v0
	s_mov_b32 s3, 0
.LBB121_937:                            ; =>This Inner Loop Header: Depth=1
	scratch_load_b64 v[126:127], v124, off
	ds_load_b64 v[128:129], v123
	s_wait_xcnt 0x0
	v_dual_add_nc_u32 v123, 8, v123 :: v_dual_add_nc_u32 v124, 8, v124
	s_wait_loadcnt_dscnt 0x0
	v_pk_mul_f32 v[130:131], v[128:129], v[126:127] op_sel:[1,1] op_sel_hi:[0,1]
	s_delay_alu instid0(VALU_DEP_1) | instskip(SKIP_2) | instid1(VALU_DEP_3)
	v_pk_fma_f32 v[132:133], v[128:129], v[126:127], v[130:131] op_sel_hi:[1,0,1]
	v_add_nc_u32_e32 v125, 1, v125
	v_pk_fma_f32 v[126:127], v[128:129], v[126:127], v[130:131] neg_lo:[0,0,1] neg_hi:[0,0,1]
	v_mov_b32_e32 v127, v133
	s_delay_alu instid0(VALU_DEP_3) | instskip(NEXT) | instid1(VALU_DEP_2)
	v_cmp_lt_u32_e32 vcc_lo, 35, v125
	v_pk_add_f32 v[120:121], v[120:121], v[126:127]
	s_or_b32 s3, vcc_lo, s3
	s_delay_alu instid0(SALU_CYCLE_1)
	s_and_not1_b32 exec_lo, exec_lo, s3
	s_cbranch_execnz .LBB121_937
; %bb.938:
	s_or_b32 exec_lo, exec_lo, s3
.LBB121_939:
	s_delay_alu instid0(SALU_CYCLE_1) | instskip(SKIP_4) | instid1(VALU_DEP_1)
	s_or_b32 exec_lo, exec_lo, s2
	v_mov_b32_e32 v123, 0
	ds_load_b64 v[124:125], v123 offset:296
	s_wait_dscnt 0x0
	v_pk_mul_f32 v[126:127], v[120:121], v[124:125] op_sel:[1,1] op_sel_hi:[0,1]
	v_pk_fma_f32 v[128:129], v[120:121], v[124:125], v[126:127] op_sel_hi:[1,0,1]
	v_pk_fma_f32 v[120:121], v[120:121], v[124:125], v[126:127] neg_lo:[0,0,1] neg_hi:[0,0,1]
	s_delay_alu instid0(VALU_DEP_2)
	v_mov_b32_e32 v121, v129
	scratch_store_b64 off, v[120:121], off offset:296
.LBB121_940:
	s_wait_xcnt 0x0
	s_or_b32 exec_lo, exec_lo, s0
	scratch_load_b64 v[120:121], off, off offset:304
	s_mov_b32 s0, exec_lo
	s_wait_loadcnt 0x0
	ds_store_b64 v1, v[120:121]
	s_wait_storecnt_dscnt 0x0
	s_barrier_signal -1
	s_barrier_wait -1
	s_wait_xcnt 0x0
	v_cmpx_gt_u32_e32 38, v0
	s_cbranch_execz .LBB121_950
; %bb.941:
	v_cmp_ne_u32_e32 vcc_lo, 1, v122
	s_cbranch_vccnz .LBB121_943
; %bb.942:
	scratch_load_b64 v[120:121], v59, off
	ds_load_b64 v[124:125], v1
	s_wait_loadcnt_dscnt 0x0
	v_pk_mul_f32 v[126:127], v[124:125], v[120:121] op_sel:[1,1] op_sel_hi:[0,1]
	s_delay_alu instid0(VALU_DEP_1) | instskip(SKIP_1) | instid1(VALU_DEP_2)
	v_pk_fma_f32 v[128:129], v[124:125], v[120:121], v[126:127] op_sel_hi:[1,0,1]
	v_pk_fma_f32 v[120:121], v[124:125], v[120:121], v[126:127] neg_lo:[0,0,1] neg_hi:[0,0,1]
	v_mov_b32_e32 v121, v129
	s_cbranch_execz .LBB121_944
	s_branch .LBB121_945
.LBB121_943:
                                        ; implicit-def: $vgpr120_vgpr121
.LBB121_944:
	ds_load_b64 v[120:121], v1
.LBB121_945:
	s_mov_b32 s2, exec_lo
	v_cmpx_ne_u32_e32 37, v0
	s_cbranch_execz .LBB121_949
; %bb.946:
	v_add_nc_u32_e32 v123, 0x1d8, v58
	v_add3_u32 v124, 0, v58, 8
	v_mov_b32_e32 v125, v0
	s_mov_b32 s3, 0
.LBB121_947:                            ; =>This Inner Loop Header: Depth=1
	scratch_load_b64 v[126:127], v124, off
	ds_load_b64 v[128:129], v123
	s_wait_xcnt 0x0
	v_dual_add_nc_u32 v123, 8, v123 :: v_dual_add_nc_u32 v124, 8, v124
	s_wait_loadcnt_dscnt 0x0
	v_pk_mul_f32 v[130:131], v[128:129], v[126:127] op_sel:[1,1] op_sel_hi:[0,1]
	s_delay_alu instid0(VALU_DEP_1) | instskip(SKIP_2) | instid1(VALU_DEP_3)
	v_pk_fma_f32 v[132:133], v[128:129], v[126:127], v[130:131] op_sel_hi:[1,0,1]
	v_add_nc_u32_e32 v125, 1, v125
	v_pk_fma_f32 v[126:127], v[128:129], v[126:127], v[130:131] neg_lo:[0,0,1] neg_hi:[0,0,1]
	v_mov_b32_e32 v127, v133
	s_delay_alu instid0(VALU_DEP_3) | instskip(NEXT) | instid1(VALU_DEP_2)
	v_cmp_lt_u32_e32 vcc_lo, 36, v125
	v_pk_add_f32 v[120:121], v[120:121], v[126:127]
	s_or_b32 s3, vcc_lo, s3
	s_delay_alu instid0(SALU_CYCLE_1)
	s_and_not1_b32 exec_lo, exec_lo, s3
	s_cbranch_execnz .LBB121_947
; %bb.948:
	s_or_b32 exec_lo, exec_lo, s3
.LBB121_949:
	s_delay_alu instid0(SALU_CYCLE_1) | instskip(SKIP_4) | instid1(VALU_DEP_1)
	s_or_b32 exec_lo, exec_lo, s2
	v_mov_b32_e32 v123, 0
	ds_load_b64 v[124:125], v123 offset:304
	s_wait_dscnt 0x0
	v_pk_mul_f32 v[126:127], v[120:121], v[124:125] op_sel:[1,1] op_sel_hi:[0,1]
	v_pk_fma_f32 v[128:129], v[120:121], v[124:125], v[126:127] op_sel_hi:[1,0,1]
	v_pk_fma_f32 v[120:121], v[120:121], v[124:125], v[126:127] neg_lo:[0,0,1] neg_hi:[0,0,1]
	s_delay_alu instid0(VALU_DEP_2)
	v_mov_b32_e32 v121, v129
	scratch_store_b64 off, v[120:121], off offset:304
.LBB121_950:
	s_wait_xcnt 0x0
	s_or_b32 exec_lo, exec_lo, s0
	scratch_load_b64 v[120:121], off, off offset:312
	s_mov_b32 s0, exec_lo
	s_wait_loadcnt 0x0
	ds_store_b64 v1, v[120:121]
	s_wait_storecnt_dscnt 0x0
	s_barrier_signal -1
	s_barrier_wait -1
	s_wait_xcnt 0x0
	v_cmpx_gt_u32_e32 39, v0
	s_cbranch_execz .LBB121_960
; %bb.951:
	v_cmp_ne_u32_e32 vcc_lo, 1, v122
	s_cbranch_vccnz .LBB121_953
; %bb.952:
	scratch_load_b64 v[120:121], v59, off
	ds_load_b64 v[124:125], v1
	s_wait_loadcnt_dscnt 0x0
	v_pk_mul_f32 v[126:127], v[124:125], v[120:121] op_sel:[1,1] op_sel_hi:[0,1]
	s_delay_alu instid0(VALU_DEP_1) | instskip(SKIP_1) | instid1(VALU_DEP_2)
	v_pk_fma_f32 v[128:129], v[124:125], v[120:121], v[126:127] op_sel_hi:[1,0,1]
	v_pk_fma_f32 v[120:121], v[124:125], v[120:121], v[126:127] neg_lo:[0,0,1] neg_hi:[0,0,1]
	v_mov_b32_e32 v121, v129
	s_cbranch_execz .LBB121_954
	s_branch .LBB121_955
.LBB121_953:
                                        ; implicit-def: $vgpr120_vgpr121
.LBB121_954:
	ds_load_b64 v[120:121], v1
.LBB121_955:
	s_mov_b32 s2, exec_lo
	v_cmpx_ne_u32_e32 38, v0
	s_cbranch_execz .LBB121_959
; %bb.956:
	v_add_nc_u32_e32 v123, 0x1d8, v58
	v_add3_u32 v124, 0, v58, 8
	v_mov_b32_e32 v125, v0
	s_mov_b32 s3, 0
.LBB121_957:                            ; =>This Inner Loop Header: Depth=1
	scratch_load_b64 v[126:127], v124, off
	ds_load_b64 v[128:129], v123
	s_wait_xcnt 0x0
	v_dual_add_nc_u32 v123, 8, v123 :: v_dual_add_nc_u32 v124, 8, v124
	s_wait_loadcnt_dscnt 0x0
	v_pk_mul_f32 v[130:131], v[128:129], v[126:127] op_sel:[1,1] op_sel_hi:[0,1]
	s_delay_alu instid0(VALU_DEP_1) | instskip(SKIP_2) | instid1(VALU_DEP_3)
	v_pk_fma_f32 v[132:133], v[128:129], v[126:127], v[130:131] op_sel_hi:[1,0,1]
	v_add_nc_u32_e32 v125, 1, v125
	v_pk_fma_f32 v[126:127], v[128:129], v[126:127], v[130:131] neg_lo:[0,0,1] neg_hi:[0,0,1]
	v_mov_b32_e32 v127, v133
	s_delay_alu instid0(VALU_DEP_3) | instskip(NEXT) | instid1(VALU_DEP_2)
	v_cmp_lt_u32_e32 vcc_lo, 37, v125
	v_pk_add_f32 v[120:121], v[120:121], v[126:127]
	s_or_b32 s3, vcc_lo, s3
	s_delay_alu instid0(SALU_CYCLE_1)
	s_and_not1_b32 exec_lo, exec_lo, s3
	s_cbranch_execnz .LBB121_957
; %bb.958:
	s_or_b32 exec_lo, exec_lo, s3
.LBB121_959:
	s_delay_alu instid0(SALU_CYCLE_1) | instskip(SKIP_4) | instid1(VALU_DEP_1)
	s_or_b32 exec_lo, exec_lo, s2
	v_mov_b32_e32 v123, 0
	ds_load_b64 v[124:125], v123 offset:312
	s_wait_dscnt 0x0
	v_pk_mul_f32 v[126:127], v[120:121], v[124:125] op_sel:[1,1] op_sel_hi:[0,1]
	v_pk_fma_f32 v[128:129], v[120:121], v[124:125], v[126:127] op_sel_hi:[1,0,1]
	v_pk_fma_f32 v[120:121], v[120:121], v[124:125], v[126:127] neg_lo:[0,0,1] neg_hi:[0,0,1]
	s_delay_alu instid0(VALU_DEP_2)
	v_mov_b32_e32 v121, v129
	scratch_store_b64 off, v[120:121], off offset:312
.LBB121_960:
	s_wait_xcnt 0x0
	s_or_b32 exec_lo, exec_lo, s0
	scratch_load_b64 v[120:121], off, off offset:320
	s_mov_b32 s0, exec_lo
	s_wait_loadcnt 0x0
	ds_store_b64 v1, v[120:121]
	s_wait_storecnt_dscnt 0x0
	s_barrier_signal -1
	s_barrier_wait -1
	s_wait_xcnt 0x0
	v_cmpx_gt_u32_e32 40, v0
	s_cbranch_execz .LBB121_970
; %bb.961:
	v_cmp_ne_u32_e32 vcc_lo, 1, v122
	s_cbranch_vccnz .LBB121_963
; %bb.962:
	scratch_load_b64 v[120:121], v59, off
	ds_load_b64 v[124:125], v1
	s_wait_loadcnt_dscnt 0x0
	v_pk_mul_f32 v[126:127], v[124:125], v[120:121] op_sel:[1,1] op_sel_hi:[0,1]
	s_delay_alu instid0(VALU_DEP_1) | instskip(SKIP_1) | instid1(VALU_DEP_2)
	v_pk_fma_f32 v[128:129], v[124:125], v[120:121], v[126:127] op_sel_hi:[1,0,1]
	v_pk_fma_f32 v[120:121], v[124:125], v[120:121], v[126:127] neg_lo:[0,0,1] neg_hi:[0,0,1]
	v_mov_b32_e32 v121, v129
	s_cbranch_execz .LBB121_964
	s_branch .LBB121_965
.LBB121_963:
                                        ; implicit-def: $vgpr120_vgpr121
.LBB121_964:
	ds_load_b64 v[120:121], v1
.LBB121_965:
	s_mov_b32 s2, exec_lo
	v_cmpx_ne_u32_e32 39, v0
	s_cbranch_execz .LBB121_969
; %bb.966:
	v_add_nc_u32_e32 v123, 0x1d8, v58
	v_add3_u32 v124, 0, v58, 8
	v_mov_b32_e32 v125, v0
	s_mov_b32 s3, 0
.LBB121_967:                            ; =>This Inner Loop Header: Depth=1
	scratch_load_b64 v[126:127], v124, off
	ds_load_b64 v[128:129], v123
	s_wait_xcnt 0x0
	v_dual_add_nc_u32 v123, 8, v123 :: v_dual_add_nc_u32 v124, 8, v124
	s_wait_loadcnt_dscnt 0x0
	v_pk_mul_f32 v[130:131], v[128:129], v[126:127] op_sel:[1,1] op_sel_hi:[0,1]
	s_delay_alu instid0(VALU_DEP_1) | instskip(SKIP_2) | instid1(VALU_DEP_3)
	v_pk_fma_f32 v[132:133], v[128:129], v[126:127], v[130:131] op_sel_hi:[1,0,1]
	v_add_nc_u32_e32 v125, 1, v125
	v_pk_fma_f32 v[126:127], v[128:129], v[126:127], v[130:131] neg_lo:[0,0,1] neg_hi:[0,0,1]
	v_mov_b32_e32 v127, v133
	s_delay_alu instid0(VALU_DEP_3) | instskip(NEXT) | instid1(VALU_DEP_2)
	v_cmp_lt_u32_e32 vcc_lo, 38, v125
	v_pk_add_f32 v[120:121], v[120:121], v[126:127]
	s_or_b32 s3, vcc_lo, s3
	s_delay_alu instid0(SALU_CYCLE_1)
	s_and_not1_b32 exec_lo, exec_lo, s3
	s_cbranch_execnz .LBB121_967
; %bb.968:
	s_or_b32 exec_lo, exec_lo, s3
.LBB121_969:
	s_delay_alu instid0(SALU_CYCLE_1) | instskip(SKIP_4) | instid1(VALU_DEP_1)
	s_or_b32 exec_lo, exec_lo, s2
	v_mov_b32_e32 v123, 0
	ds_load_b64 v[124:125], v123 offset:320
	s_wait_dscnt 0x0
	v_pk_mul_f32 v[126:127], v[120:121], v[124:125] op_sel:[1,1] op_sel_hi:[0,1]
	v_pk_fma_f32 v[128:129], v[120:121], v[124:125], v[126:127] op_sel_hi:[1,0,1]
	v_pk_fma_f32 v[120:121], v[120:121], v[124:125], v[126:127] neg_lo:[0,0,1] neg_hi:[0,0,1]
	s_delay_alu instid0(VALU_DEP_2)
	v_mov_b32_e32 v121, v129
	scratch_store_b64 off, v[120:121], off offset:320
.LBB121_970:
	s_wait_xcnt 0x0
	s_or_b32 exec_lo, exec_lo, s0
	scratch_load_b64 v[120:121], off, off offset:328
	s_mov_b32 s0, exec_lo
	s_wait_loadcnt 0x0
	ds_store_b64 v1, v[120:121]
	s_wait_storecnt_dscnt 0x0
	s_barrier_signal -1
	s_barrier_wait -1
	s_wait_xcnt 0x0
	v_cmpx_gt_u32_e32 41, v0
	s_cbranch_execz .LBB121_980
; %bb.971:
	v_cmp_ne_u32_e32 vcc_lo, 1, v122
	s_cbranch_vccnz .LBB121_973
; %bb.972:
	scratch_load_b64 v[120:121], v59, off
	ds_load_b64 v[124:125], v1
	s_wait_loadcnt_dscnt 0x0
	v_pk_mul_f32 v[126:127], v[124:125], v[120:121] op_sel:[1,1] op_sel_hi:[0,1]
	s_delay_alu instid0(VALU_DEP_1) | instskip(SKIP_1) | instid1(VALU_DEP_2)
	v_pk_fma_f32 v[128:129], v[124:125], v[120:121], v[126:127] op_sel_hi:[1,0,1]
	v_pk_fma_f32 v[120:121], v[124:125], v[120:121], v[126:127] neg_lo:[0,0,1] neg_hi:[0,0,1]
	v_mov_b32_e32 v121, v129
	s_cbranch_execz .LBB121_974
	s_branch .LBB121_975
.LBB121_973:
                                        ; implicit-def: $vgpr120_vgpr121
.LBB121_974:
	ds_load_b64 v[120:121], v1
.LBB121_975:
	s_mov_b32 s2, exec_lo
	v_cmpx_ne_u32_e32 40, v0
	s_cbranch_execz .LBB121_979
; %bb.976:
	v_add_nc_u32_e32 v123, 0x1d8, v58
	v_add3_u32 v124, 0, v58, 8
	v_mov_b32_e32 v125, v0
	s_mov_b32 s3, 0
.LBB121_977:                            ; =>This Inner Loop Header: Depth=1
	scratch_load_b64 v[126:127], v124, off
	ds_load_b64 v[128:129], v123
	s_wait_xcnt 0x0
	v_dual_add_nc_u32 v123, 8, v123 :: v_dual_add_nc_u32 v124, 8, v124
	s_wait_loadcnt_dscnt 0x0
	v_pk_mul_f32 v[130:131], v[128:129], v[126:127] op_sel:[1,1] op_sel_hi:[0,1]
	s_delay_alu instid0(VALU_DEP_1) | instskip(SKIP_2) | instid1(VALU_DEP_3)
	v_pk_fma_f32 v[132:133], v[128:129], v[126:127], v[130:131] op_sel_hi:[1,0,1]
	v_add_nc_u32_e32 v125, 1, v125
	v_pk_fma_f32 v[126:127], v[128:129], v[126:127], v[130:131] neg_lo:[0,0,1] neg_hi:[0,0,1]
	v_mov_b32_e32 v127, v133
	s_delay_alu instid0(VALU_DEP_3) | instskip(NEXT) | instid1(VALU_DEP_2)
	v_cmp_lt_u32_e32 vcc_lo, 39, v125
	v_pk_add_f32 v[120:121], v[120:121], v[126:127]
	s_or_b32 s3, vcc_lo, s3
	s_delay_alu instid0(SALU_CYCLE_1)
	s_and_not1_b32 exec_lo, exec_lo, s3
	s_cbranch_execnz .LBB121_977
; %bb.978:
	s_or_b32 exec_lo, exec_lo, s3
.LBB121_979:
	s_delay_alu instid0(SALU_CYCLE_1) | instskip(SKIP_4) | instid1(VALU_DEP_1)
	s_or_b32 exec_lo, exec_lo, s2
	v_mov_b32_e32 v123, 0
	ds_load_b64 v[124:125], v123 offset:328
	s_wait_dscnt 0x0
	v_pk_mul_f32 v[126:127], v[120:121], v[124:125] op_sel:[1,1] op_sel_hi:[0,1]
	v_pk_fma_f32 v[128:129], v[120:121], v[124:125], v[126:127] op_sel_hi:[1,0,1]
	v_pk_fma_f32 v[120:121], v[120:121], v[124:125], v[126:127] neg_lo:[0,0,1] neg_hi:[0,0,1]
	s_delay_alu instid0(VALU_DEP_2)
	v_mov_b32_e32 v121, v129
	scratch_store_b64 off, v[120:121], off offset:328
.LBB121_980:
	s_wait_xcnt 0x0
	s_or_b32 exec_lo, exec_lo, s0
	scratch_load_b64 v[120:121], off, off offset:336
	s_mov_b32 s0, exec_lo
	s_wait_loadcnt 0x0
	ds_store_b64 v1, v[120:121]
	s_wait_storecnt_dscnt 0x0
	s_barrier_signal -1
	s_barrier_wait -1
	s_wait_xcnt 0x0
	v_cmpx_gt_u32_e32 42, v0
	s_cbranch_execz .LBB121_990
; %bb.981:
	v_cmp_ne_u32_e32 vcc_lo, 1, v122
	s_cbranch_vccnz .LBB121_983
; %bb.982:
	scratch_load_b64 v[120:121], v59, off
	ds_load_b64 v[124:125], v1
	s_wait_loadcnt_dscnt 0x0
	v_pk_mul_f32 v[126:127], v[124:125], v[120:121] op_sel:[1,1] op_sel_hi:[0,1]
	s_delay_alu instid0(VALU_DEP_1) | instskip(SKIP_1) | instid1(VALU_DEP_2)
	v_pk_fma_f32 v[128:129], v[124:125], v[120:121], v[126:127] op_sel_hi:[1,0,1]
	v_pk_fma_f32 v[120:121], v[124:125], v[120:121], v[126:127] neg_lo:[0,0,1] neg_hi:[0,0,1]
	v_mov_b32_e32 v121, v129
	s_cbranch_execz .LBB121_984
	s_branch .LBB121_985
.LBB121_983:
                                        ; implicit-def: $vgpr120_vgpr121
.LBB121_984:
	ds_load_b64 v[120:121], v1
.LBB121_985:
	s_mov_b32 s2, exec_lo
	v_cmpx_ne_u32_e32 41, v0
	s_cbranch_execz .LBB121_989
; %bb.986:
	v_add_nc_u32_e32 v123, 0x1d8, v58
	v_add3_u32 v124, 0, v58, 8
	v_mov_b32_e32 v125, v0
	s_mov_b32 s3, 0
.LBB121_987:                            ; =>This Inner Loop Header: Depth=1
	scratch_load_b64 v[126:127], v124, off
	ds_load_b64 v[128:129], v123
	s_wait_xcnt 0x0
	v_dual_add_nc_u32 v123, 8, v123 :: v_dual_add_nc_u32 v124, 8, v124
	s_wait_loadcnt_dscnt 0x0
	v_pk_mul_f32 v[130:131], v[128:129], v[126:127] op_sel:[1,1] op_sel_hi:[0,1]
	s_delay_alu instid0(VALU_DEP_1) | instskip(SKIP_2) | instid1(VALU_DEP_3)
	v_pk_fma_f32 v[132:133], v[128:129], v[126:127], v[130:131] op_sel_hi:[1,0,1]
	v_add_nc_u32_e32 v125, 1, v125
	v_pk_fma_f32 v[126:127], v[128:129], v[126:127], v[130:131] neg_lo:[0,0,1] neg_hi:[0,0,1]
	v_mov_b32_e32 v127, v133
	s_delay_alu instid0(VALU_DEP_3) | instskip(NEXT) | instid1(VALU_DEP_2)
	v_cmp_lt_u32_e32 vcc_lo, 40, v125
	v_pk_add_f32 v[120:121], v[120:121], v[126:127]
	s_or_b32 s3, vcc_lo, s3
	s_delay_alu instid0(SALU_CYCLE_1)
	s_and_not1_b32 exec_lo, exec_lo, s3
	s_cbranch_execnz .LBB121_987
; %bb.988:
	s_or_b32 exec_lo, exec_lo, s3
.LBB121_989:
	s_delay_alu instid0(SALU_CYCLE_1) | instskip(SKIP_4) | instid1(VALU_DEP_1)
	s_or_b32 exec_lo, exec_lo, s2
	v_mov_b32_e32 v123, 0
	ds_load_b64 v[124:125], v123 offset:336
	s_wait_dscnt 0x0
	v_pk_mul_f32 v[126:127], v[120:121], v[124:125] op_sel:[1,1] op_sel_hi:[0,1]
	v_pk_fma_f32 v[128:129], v[120:121], v[124:125], v[126:127] op_sel_hi:[1,0,1]
	v_pk_fma_f32 v[120:121], v[120:121], v[124:125], v[126:127] neg_lo:[0,0,1] neg_hi:[0,0,1]
	s_delay_alu instid0(VALU_DEP_2)
	v_mov_b32_e32 v121, v129
	scratch_store_b64 off, v[120:121], off offset:336
.LBB121_990:
	s_wait_xcnt 0x0
	s_or_b32 exec_lo, exec_lo, s0
	scratch_load_b64 v[120:121], off, off offset:344
	s_mov_b32 s0, exec_lo
	s_wait_loadcnt 0x0
	ds_store_b64 v1, v[120:121]
	s_wait_storecnt_dscnt 0x0
	s_barrier_signal -1
	s_barrier_wait -1
	s_wait_xcnt 0x0
	v_cmpx_gt_u32_e32 43, v0
	s_cbranch_execz .LBB121_1000
; %bb.991:
	v_cmp_ne_u32_e32 vcc_lo, 1, v122
	s_cbranch_vccnz .LBB121_993
; %bb.992:
	scratch_load_b64 v[120:121], v59, off
	ds_load_b64 v[124:125], v1
	s_wait_loadcnt_dscnt 0x0
	v_pk_mul_f32 v[126:127], v[124:125], v[120:121] op_sel:[1,1] op_sel_hi:[0,1]
	s_delay_alu instid0(VALU_DEP_1) | instskip(SKIP_1) | instid1(VALU_DEP_2)
	v_pk_fma_f32 v[128:129], v[124:125], v[120:121], v[126:127] op_sel_hi:[1,0,1]
	v_pk_fma_f32 v[120:121], v[124:125], v[120:121], v[126:127] neg_lo:[0,0,1] neg_hi:[0,0,1]
	v_mov_b32_e32 v121, v129
	s_cbranch_execz .LBB121_994
	s_branch .LBB121_995
.LBB121_993:
                                        ; implicit-def: $vgpr120_vgpr121
.LBB121_994:
	ds_load_b64 v[120:121], v1
.LBB121_995:
	s_mov_b32 s2, exec_lo
	v_cmpx_ne_u32_e32 42, v0
	s_cbranch_execz .LBB121_999
; %bb.996:
	v_add_nc_u32_e32 v123, 0x1d8, v58
	v_add3_u32 v124, 0, v58, 8
	v_mov_b32_e32 v125, v0
	s_mov_b32 s3, 0
.LBB121_997:                            ; =>This Inner Loop Header: Depth=1
	scratch_load_b64 v[126:127], v124, off
	ds_load_b64 v[128:129], v123
	s_wait_xcnt 0x0
	v_dual_add_nc_u32 v123, 8, v123 :: v_dual_add_nc_u32 v124, 8, v124
	s_wait_loadcnt_dscnt 0x0
	v_pk_mul_f32 v[130:131], v[128:129], v[126:127] op_sel:[1,1] op_sel_hi:[0,1]
	s_delay_alu instid0(VALU_DEP_1) | instskip(SKIP_2) | instid1(VALU_DEP_3)
	v_pk_fma_f32 v[132:133], v[128:129], v[126:127], v[130:131] op_sel_hi:[1,0,1]
	v_add_nc_u32_e32 v125, 1, v125
	v_pk_fma_f32 v[126:127], v[128:129], v[126:127], v[130:131] neg_lo:[0,0,1] neg_hi:[0,0,1]
	v_mov_b32_e32 v127, v133
	s_delay_alu instid0(VALU_DEP_3) | instskip(NEXT) | instid1(VALU_DEP_2)
	v_cmp_lt_u32_e32 vcc_lo, 41, v125
	v_pk_add_f32 v[120:121], v[120:121], v[126:127]
	s_or_b32 s3, vcc_lo, s3
	s_delay_alu instid0(SALU_CYCLE_1)
	s_and_not1_b32 exec_lo, exec_lo, s3
	s_cbranch_execnz .LBB121_997
; %bb.998:
	s_or_b32 exec_lo, exec_lo, s3
.LBB121_999:
	s_delay_alu instid0(SALU_CYCLE_1) | instskip(SKIP_4) | instid1(VALU_DEP_1)
	s_or_b32 exec_lo, exec_lo, s2
	v_mov_b32_e32 v123, 0
	ds_load_b64 v[124:125], v123 offset:344
	s_wait_dscnt 0x0
	v_pk_mul_f32 v[126:127], v[120:121], v[124:125] op_sel:[1,1] op_sel_hi:[0,1]
	v_pk_fma_f32 v[128:129], v[120:121], v[124:125], v[126:127] op_sel_hi:[1,0,1]
	v_pk_fma_f32 v[120:121], v[120:121], v[124:125], v[126:127] neg_lo:[0,0,1] neg_hi:[0,0,1]
	s_delay_alu instid0(VALU_DEP_2)
	v_mov_b32_e32 v121, v129
	scratch_store_b64 off, v[120:121], off offset:344
.LBB121_1000:
	s_wait_xcnt 0x0
	s_or_b32 exec_lo, exec_lo, s0
	scratch_load_b64 v[120:121], off, off offset:352
	s_mov_b32 s0, exec_lo
	s_wait_loadcnt 0x0
	ds_store_b64 v1, v[120:121]
	s_wait_storecnt_dscnt 0x0
	s_barrier_signal -1
	s_barrier_wait -1
	s_wait_xcnt 0x0
	v_cmpx_gt_u32_e32 44, v0
	s_cbranch_execz .LBB121_1010
; %bb.1001:
	v_cmp_ne_u32_e32 vcc_lo, 1, v122
	s_cbranch_vccnz .LBB121_1003
; %bb.1002:
	scratch_load_b64 v[120:121], v59, off
	ds_load_b64 v[124:125], v1
	s_wait_loadcnt_dscnt 0x0
	v_pk_mul_f32 v[126:127], v[124:125], v[120:121] op_sel:[1,1] op_sel_hi:[0,1]
	s_delay_alu instid0(VALU_DEP_1) | instskip(SKIP_1) | instid1(VALU_DEP_2)
	v_pk_fma_f32 v[128:129], v[124:125], v[120:121], v[126:127] op_sel_hi:[1,0,1]
	v_pk_fma_f32 v[120:121], v[124:125], v[120:121], v[126:127] neg_lo:[0,0,1] neg_hi:[0,0,1]
	v_mov_b32_e32 v121, v129
	s_cbranch_execz .LBB121_1004
	s_branch .LBB121_1005
.LBB121_1003:
                                        ; implicit-def: $vgpr120_vgpr121
.LBB121_1004:
	ds_load_b64 v[120:121], v1
.LBB121_1005:
	s_mov_b32 s2, exec_lo
	v_cmpx_ne_u32_e32 43, v0
	s_cbranch_execz .LBB121_1009
; %bb.1006:
	v_add_nc_u32_e32 v123, 0x1d8, v58
	v_add3_u32 v124, 0, v58, 8
	v_mov_b32_e32 v125, v0
	s_mov_b32 s3, 0
.LBB121_1007:                           ; =>This Inner Loop Header: Depth=1
	scratch_load_b64 v[126:127], v124, off
	ds_load_b64 v[128:129], v123
	s_wait_xcnt 0x0
	v_dual_add_nc_u32 v123, 8, v123 :: v_dual_add_nc_u32 v124, 8, v124
	s_wait_loadcnt_dscnt 0x0
	v_pk_mul_f32 v[130:131], v[128:129], v[126:127] op_sel:[1,1] op_sel_hi:[0,1]
	s_delay_alu instid0(VALU_DEP_1) | instskip(SKIP_2) | instid1(VALU_DEP_3)
	v_pk_fma_f32 v[132:133], v[128:129], v[126:127], v[130:131] op_sel_hi:[1,0,1]
	v_add_nc_u32_e32 v125, 1, v125
	v_pk_fma_f32 v[126:127], v[128:129], v[126:127], v[130:131] neg_lo:[0,0,1] neg_hi:[0,0,1]
	v_mov_b32_e32 v127, v133
	s_delay_alu instid0(VALU_DEP_3) | instskip(NEXT) | instid1(VALU_DEP_2)
	v_cmp_lt_u32_e32 vcc_lo, 42, v125
	v_pk_add_f32 v[120:121], v[120:121], v[126:127]
	s_or_b32 s3, vcc_lo, s3
	s_delay_alu instid0(SALU_CYCLE_1)
	s_and_not1_b32 exec_lo, exec_lo, s3
	s_cbranch_execnz .LBB121_1007
; %bb.1008:
	s_or_b32 exec_lo, exec_lo, s3
.LBB121_1009:
	s_delay_alu instid0(SALU_CYCLE_1) | instskip(SKIP_4) | instid1(VALU_DEP_1)
	s_or_b32 exec_lo, exec_lo, s2
	v_mov_b32_e32 v123, 0
	ds_load_b64 v[124:125], v123 offset:352
	s_wait_dscnt 0x0
	v_pk_mul_f32 v[126:127], v[120:121], v[124:125] op_sel:[1,1] op_sel_hi:[0,1]
	v_pk_fma_f32 v[128:129], v[120:121], v[124:125], v[126:127] op_sel_hi:[1,0,1]
	v_pk_fma_f32 v[120:121], v[120:121], v[124:125], v[126:127] neg_lo:[0,0,1] neg_hi:[0,0,1]
	s_delay_alu instid0(VALU_DEP_2)
	v_mov_b32_e32 v121, v129
	scratch_store_b64 off, v[120:121], off offset:352
.LBB121_1010:
	s_wait_xcnt 0x0
	s_or_b32 exec_lo, exec_lo, s0
	scratch_load_b64 v[120:121], off, off offset:360
	s_mov_b32 s0, exec_lo
	s_wait_loadcnt 0x0
	ds_store_b64 v1, v[120:121]
	s_wait_storecnt_dscnt 0x0
	s_barrier_signal -1
	s_barrier_wait -1
	s_wait_xcnt 0x0
	v_cmpx_gt_u32_e32 45, v0
	s_cbranch_execz .LBB121_1020
; %bb.1011:
	v_cmp_ne_u32_e32 vcc_lo, 1, v122
	s_cbranch_vccnz .LBB121_1013
; %bb.1012:
	scratch_load_b64 v[120:121], v59, off
	ds_load_b64 v[124:125], v1
	s_wait_loadcnt_dscnt 0x0
	v_pk_mul_f32 v[126:127], v[124:125], v[120:121] op_sel:[1,1] op_sel_hi:[0,1]
	s_delay_alu instid0(VALU_DEP_1) | instskip(SKIP_1) | instid1(VALU_DEP_2)
	v_pk_fma_f32 v[128:129], v[124:125], v[120:121], v[126:127] op_sel_hi:[1,0,1]
	v_pk_fma_f32 v[120:121], v[124:125], v[120:121], v[126:127] neg_lo:[0,0,1] neg_hi:[0,0,1]
	v_mov_b32_e32 v121, v129
	s_cbranch_execz .LBB121_1014
	s_branch .LBB121_1015
.LBB121_1013:
                                        ; implicit-def: $vgpr120_vgpr121
.LBB121_1014:
	ds_load_b64 v[120:121], v1
.LBB121_1015:
	s_mov_b32 s2, exec_lo
	v_cmpx_ne_u32_e32 44, v0
	s_cbranch_execz .LBB121_1019
; %bb.1016:
	v_add_nc_u32_e32 v123, 0x1d8, v58
	v_add3_u32 v124, 0, v58, 8
	v_mov_b32_e32 v125, v0
	s_mov_b32 s3, 0
.LBB121_1017:                           ; =>This Inner Loop Header: Depth=1
	scratch_load_b64 v[126:127], v124, off
	ds_load_b64 v[128:129], v123
	s_wait_xcnt 0x0
	v_dual_add_nc_u32 v123, 8, v123 :: v_dual_add_nc_u32 v124, 8, v124
	s_wait_loadcnt_dscnt 0x0
	v_pk_mul_f32 v[130:131], v[128:129], v[126:127] op_sel:[1,1] op_sel_hi:[0,1]
	s_delay_alu instid0(VALU_DEP_1) | instskip(SKIP_2) | instid1(VALU_DEP_3)
	v_pk_fma_f32 v[132:133], v[128:129], v[126:127], v[130:131] op_sel_hi:[1,0,1]
	v_add_nc_u32_e32 v125, 1, v125
	v_pk_fma_f32 v[126:127], v[128:129], v[126:127], v[130:131] neg_lo:[0,0,1] neg_hi:[0,0,1]
	v_mov_b32_e32 v127, v133
	s_delay_alu instid0(VALU_DEP_3) | instskip(NEXT) | instid1(VALU_DEP_2)
	v_cmp_lt_u32_e32 vcc_lo, 43, v125
	v_pk_add_f32 v[120:121], v[120:121], v[126:127]
	s_or_b32 s3, vcc_lo, s3
	s_delay_alu instid0(SALU_CYCLE_1)
	s_and_not1_b32 exec_lo, exec_lo, s3
	s_cbranch_execnz .LBB121_1017
; %bb.1018:
	s_or_b32 exec_lo, exec_lo, s3
.LBB121_1019:
	s_delay_alu instid0(SALU_CYCLE_1) | instskip(SKIP_4) | instid1(VALU_DEP_1)
	s_or_b32 exec_lo, exec_lo, s2
	v_mov_b32_e32 v123, 0
	ds_load_b64 v[124:125], v123 offset:360
	s_wait_dscnt 0x0
	v_pk_mul_f32 v[126:127], v[120:121], v[124:125] op_sel:[1,1] op_sel_hi:[0,1]
	v_pk_fma_f32 v[128:129], v[120:121], v[124:125], v[126:127] op_sel_hi:[1,0,1]
	v_pk_fma_f32 v[120:121], v[120:121], v[124:125], v[126:127] neg_lo:[0,0,1] neg_hi:[0,0,1]
	s_delay_alu instid0(VALU_DEP_2)
	v_mov_b32_e32 v121, v129
	scratch_store_b64 off, v[120:121], off offset:360
.LBB121_1020:
	s_wait_xcnt 0x0
	s_or_b32 exec_lo, exec_lo, s0
	scratch_load_b64 v[120:121], off, off offset:368
	s_mov_b32 s0, exec_lo
	s_wait_loadcnt 0x0
	ds_store_b64 v1, v[120:121]
	s_wait_storecnt_dscnt 0x0
	s_barrier_signal -1
	s_barrier_wait -1
	s_wait_xcnt 0x0
	v_cmpx_gt_u32_e32 46, v0
	s_cbranch_execz .LBB121_1030
; %bb.1021:
	v_cmp_ne_u32_e32 vcc_lo, 1, v122
	s_cbranch_vccnz .LBB121_1023
; %bb.1022:
	scratch_load_b64 v[120:121], v59, off
	ds_load_b64 v[124:125], v1
	s_wait_loadcnt_dscnt 0x0
	v_pk_mul_f32 v[126:127], v[124:125], v[120:121] op_sel:[1,1] op_sel_hi:[0,1]
	s_delay_alu instid0(VALU_DEP_1) | instskip(SKIP_1) | instid1(VALU_DEP_2)
	v_pk_fma_f32 v[128:129], v[124:125], v[120:121], v[126:127] op_sel_hi:[1,0,1]
	v_pk_fma_f32 v[120:121], v[124:125], v[120:121], v[126:127] neg_lo:[0,0,1] neg_hi:[0,0,1]
	v_mov_b32_e32 v121, v129
	s_cbranch_execz .LBB121_1024
	s_branch .LBB121_1025
.LBB121_1023:
                                        ; implicit-def: $vgpr120_vgpr121
.LBB121_1024:
	ds_load_b64 v[120:121], v1
.LBB121_1025:
	s_mov_b32 s2, exec_lo
	v_cmpx_ne_u32_e32 45, v0
	s_cbranch_execz .LBB121_1029
; %bb.1026:
	v_add_nc_u32_e32 v123, 0x1d8, v58
	v_add3_u32 v124, 0, v58, 8
	v_mov_b32_e32 v125, v0
	s_mov_b32 s3, 0
.LBB121_1027:                           ; =>This Inner Loop Header: Depth=1
	scratch_load_b64 v[126:127], v124, off
	ds_load_b64 v[128:129], v123
	s_wait_xcnt 0x0
	v_dual_add_nc_u32 v123, 8, v123 :: v_dual_add_nc_u32 v124, 8, v124
	s_wait_loadcnt_dscnt 0x0
	v_pk_mul_f32 v[130:131], v[128:129], v[126:127] op_sel:[1,1] op_sel_hi:[0,1]
	s_delay_alu instid0(VALU_DEP_1) | instskip(SKIP_2) | instid1(VALU_DEP_3)
	v_pk_fma_f32 v[132:133], v[128:129], v[126:127], v[130:131] op_sel_hi:[1,0,1]
	v_add_nc_u32_e32 v125, 1, v125
	v_pk_fma_f32 v[126:127], v[128:129], v[126:127], v[130:131] neg_lo:[0,0,1] neg_hi:[0,0,1]
	v_mov_b32_e32 v127, v133
	s_delay_alu instid0(VALU_DEP_3) | instskip(NEXT) | instid1(VALU_DEP_2)
	v_cmp_lt_u32_e32 vcc_lo, 44, v125
	v_pk_add_f32 v[120:121], v[120:121], v[126:127]
	s_or_b32 s3, vcc_lo, s3
	s_delay_alu instid0(SALU_CYCLE_1)
	s_and_not1_b32 exec_lo, exec_lo, s3
	s_cbranch_execnz .LBB121_1027
; %bb.1028:
	s_or_b32 exec_lo, exec_lo, s3
.LBB121_1029:
	s_delay_alu instid0(SALU_CYCLE_1) | instskip(SKIP_4) | instid1(VALU_DEP_1)
	s_or_b32 exec_lo, exec_lo, s2
	v_mov_b32_e32 v123, 0
	ds_load_b64 v[124:125], v123 offset:368
	s_wait_dscnt 0x0
	v_pk_mul_f32 v[126:127], v[120:121], v[124:125] op_sel:[1,1] op_sel_hi:[0,1]
	v_pk_fma_f32 v[128:129], v[120:121], v[124:125], v[126:127] op_sel_hi:[1,0,1]
	v_pk_fma_f32 v[120:121], v[120:121], v[124:125], v[126:127] neg_lo:[0,0,1] neg_hi:[0,0,1]
	s_delay_alu instid0(VALU_DEP_2)
	v_mov_b32_e32 v121, v129
	scratch_store_b64 off, v[120:121], off offset:368
.LBB121_1030:
	s_wait_xcnt 0x0
	s_or_b32 exec_lo, exec_lo, s0
	scratch_load_b64 v[120:121], off, off offset:376
	s_mov_b32 s0, exec_lo
	s_wait_loadcnt 0x0
	ds_store_b64 v1, v[120:121]
	s_wait_storecnt_dscnt 0x0
	s_barrier_signal -1
	s_barrier_wait -1
	s_wait_xcnt 0x0
	v_cmpx_gt_u32_e32 47, v0
	s_cbranch_execz .LBB121_1040
; %bb.1031:
	v_cmp_ne_u32_e32 vcc_lo, 1, v122
	s_cbranch_vccnz .LBB121_1033
; %bb.1032:
	scratch_load_b64 v[120:121], v59, off
	ds_load_b64 v[124:125], v1
	s_wait_loadcnt_dscnt 0x0
	v_pk_mul_f32 v[126:127], v[124:125], v[120:121] op_sel:[1,1] op_sel_hi:[0,1]
	s_delay_alu instid0(VALU_DEP_1) | instskip(SKIP_1) | instid1(VALU_DEP_2)
	v_pk_fma_f32 v[128:129], v[124:125], v[120:121], v[126:127] op_sel_hi:[1,0,1]
	v_pk_fma_f32 v[120:121], v[124:125], v[120:121], v[126:127] neg_lo:[0,0,1] neg_hi:[0,0,1]
	v_mov_b32_e32 v121, v129
	s_cbranch_execz .LBB121_1034
	s_branch .LBB121_1035
.LBB121_1033:
                                        ; implicit-def: $vgpr120_vgpr121
.LBB121_1034:
	ds_load_b64 v[120:121], v1
.LBB121_1035:
	s_mov_b32 s2, exec_lo
	v_cmpx_ne_u32_e32 46, v0
	s_cbranch_execz .LBB121_1039
; %bb.1036:
	v_add_nc_u32_e32 v123, 0x1d8, v58
	v_add3_u32 v124, 0, v58, 8
	v_mov_b32_e32 v125, v0
	s_mov_b32 s3, 0
.LBB121_1037:                           ; =>This Inner Loop Header: Depth=1
	scratch_load_b64 v[126:127], v124, off
	ds_load_b64 v[128:129], v123
	s_wait_xcnt 0x0
	v_dual_add_nc_u32 v123, 8, v123 :: v_dual_add_nc_u32 v124, 8, v124
	s_wait_loadcnt_dscnt 0x0
	v_pk_mul_f32 v[130:131], v[128:129], v[126:127] op_sel:[1,1] op_sel_hi:[0,1]
	s_delay_alu instid0(VALU_DEP_1) | instskip(SKIP_2) | instid1(VALU_DEP_3)
	v_pk_fma_f32 v[132:133], v[128:129], v[126:127], v[130:131] op_sel_hi:[1,0,1]
	v_add_nc_u32_e32 v125, 1, v125
	v_pk_fma_f32 v[126:127], v[128:129], v[126:127], v[130:131] neg_lo:[0,0,1] neg_hi:[0,0,1]
	v_mov_b32_e32 v127, v133
	s_delay_alu instid0(VALU_DEP_3) | instskip(NEXT) | instid1(VALU_DEP_2)
	v_cmp_lt_u32_e32 vcc_lo, 45, v125
	v_pk_add_f32 v[120:121], v[120:121], v[126:127]
	s_or_b32 s3, vcc_lo, s3
	s_delay_alu instid0(SALU_CYCLE_1)
	s_and_not1_b32 exec_lo, exec_lo, s3
	s_cbranch_execnz .LBB121_1037
; %bb.1038:
	s_or_b32 exec_lo, exec_lo, s3
.LBB121_1039:
	s_delay_alu instid0(SALU_CYCLE_1) | instskip(SKIP_4) | instid1(VALU_DEP_1)
	s_or_b32 exec_lo, exec_lo, s2
	v_mov_b32_e32 v123, 0
	ds_load_b64 v[124:125], v123 offset:376
	s_wait_dscnt 0x0
	v_pk_mul_f32 v[126:127], v[120:121], v[124:125] op_sel:[1,1] op_sel_hi:[0,1]
	v_pk_fma_f32 v[128:129], v[120:121], v[124:125], v[126:127] op_sel_hi:[1,0,1]
	v_pk_fma_f32 v[120:121], v[120:121], v[124:125], v[126:127] neg_lo:[0,0,1] neg_hi:[0,0,1]
	s_delay_alu instid0(VALU_DEP_2)
	v_mov_b32_e32 v121, v129
	scratch_store_b64 off, v[120:121], off offset:376
.LBB121_1040:
	s_wait_xcnt 0x0
	s_or_b32 exec_lo, exec_lo, s0
	scratch_load_b64 v[120:121], off, off offset:384
	s_mov_b32 s0, exec_lo
	s_wait_loadcnt 0x0
	ds_store_b64 v1, v[120:121]
	s_wait_storecnt_dscnt 0x0
	s_barrier_signal -1
	s_barrier_wait -1
	s_wait_xcnt 0x0
	v_cmpx_gt_u32_e32 48, v0
	s_cbranch_execz .LBB121_1050
; %bb.1041:
	v_cmp_ne_u32_e32 vcc_lo, 1, v122
	s_cbranch_vccnz .LBB121_1043
; %bb.1042:
	scratch_load_b64 v[120:121], v59, off
	ds_load_b64 v[124:125], v1
	s_wait_loadcnt_dscnt 0x0
	v_pk_mul_f32 v[126:127], v[124:125], v[120:121] op_sel:[1,1] op_sel_hi:[0,1]
	s_delay_alu instid0(VALU_DEP_1) | instskip(SKIP_1) | instid1(VALU_DEP_2)
	v_pk_fma_f32 v[128:129], v[124:125], v[120:121], v[126:127] op_sel_hi:[1,0,1]
	v_pk_fma_f32 v[120:121], v[124:125], v[120:121], v[126:127] neg_lo:[0,0,1] neg_hi:[0,0,1]
	v_mov_b32_e32 v121, v129
	s_cbranch_execz .LBB121_1044
	s_branch .LBB121_1045
.LBB121_1043:
                                        ; implicit-def: $vgpr120_vgpr121
.LBB121_1044:
	ds_load_b64 v[120:121], v1
.LBB121_1045:
	s_mov_b32 s2, exec_lo
	v_cmpx_ne_u32_e32 47, v0
	s_cbranch_execz .LBB121_1049
; %bb.1046:
	v_add_nc_u32_e32 v123, 0x1d8, v58
	v_add3_u32 v124, 0, v58, 8
	v_mov_b32_e32 v125, v0
	s_mov_b32 s3, 0
.LBB121_1047:                           ; =>This Inner Loop Header: Depth=1
	scratch_load_b64 v[126:127], v124, off
	ds_load_b64 v[128:129], v123
	s_wait_xcnt 0x0
	v_dual_add_nc_u32 v123, 8, v123 :: v_dual_add_nc_u32 v124, 8, v124
	s_wait_loadcnt_dscnt 0x0
	v_pk_mul_f32 v[130:131], v[128:129], v[126:127] op_sel:[1,1] op_sel_hi:[0,1]
	s_delay_alu instid0(VALU_DEP_1) | instskip(SKIP_2) | instid1(VALU_DEP_3)
	v_pk_fma_f32 v[132:133], v[128:129], v[126:127], v[130:131] op_sel_hi:[1,0,1]
	v_add_nc_u32_e32 v125, 1, v125
	v_pk_fma_f32 v[126:127], v[128:129], v[126:127], v[130:131] neg_lo:[0,0,1] neg_hi:[0,0,1]
	v_mov_b32_e32 v127, v133
	s_delay_alu instid0(VALU_DEP_3) | instskip(NEXT) | instid1(VALU_DEP_2)
	v_cmp_lt_u32_e32 vcc_lo, 46, v125
	v_pk_add_f32 v[120:121], v[120:121], v[126:127]
	s_or_b32 s3, vcc_lo, s3
	s_delay_alu instid0(SALU_CYCLE_1)
	s_and_not1_b32 exec_lo, exec_lo, s3
	s_cbranch_execnz .LBB121_1047
; %bb.1048:
	s_or_b32 exec_lo, exec_lo, s3
.LBB121_1049:
	s_delay_alu instid0(SALU_CYCLE_1) | instskip(SKIP_4) | instid1(VALU_DEP_1)
	s_or_b32 exec_lo, exec_lo, s2
	v_mov_b32_e32 v123, 0
	ds_load_b64 v[124:125], v123 offset:384
	s_wait_dscnt 0x0
	v_pk_mul_f32 v[126:127], v[120:121], v[124:125] op_sel:[1,1] op_sel_hi:[0,1]
	v_pk_fma_f32 v[128:129], v[120:121], v[124:125], v[126:127] op_sel_hi:[1,0,1]
	v_pk_fma_f32 v[120:121], v[120:121], v[124:125], v[126:127] neg_lo:[0,0,1] neg_hi:[0,0,1]
	s_delay_alu instid0(VALU_DEP_2)
	v_mov_b32_e32 v121, v129
	scratch_store_b64 off, v[120:121], off offset:384
.LBB121_1050:
	s_wait_xcnt 0x0
	s_or_b32 exec_lo, exec_lo, s0
	scratch_load_b64 v[120:121], off, off offset:392
	s_mov_b32 s0, exec_lo
	s_wait_loadcnt 0x0
	ds_store_b64 v1, v[120:121]
	s_wait_storecnt_dscnt 0x0
	s_barrier_signal -1
	s_barrier_wait -1
	s_wait_xcnt 0x0
	v_cmpx_gt_u32_e32 49, v0
	s_cbranch_execz .LBB121_1060
; %bb.1051:
	v_cmp_ne_u32_e32 vcc_lo, 1, v122
	s_cbranch_vccnz .LBB121_1053
; %bb.1052:
	scratch_load_b64 v[120:121], v59, off
	ds_load_b64 v[124:125], v1
	s_wait_loadcnt_dscnt 0x0
	v_pk_mul_f32 v[126:127], v[124:125], v[120:121] op_sel:[1,1] op_sel_hi:[0,1]
	s_delay_alu instid0(VALU_DEP_1) | instskip(SKIP_1) | instid1(VALU_DEP_2)
	v_pk_fma_f32 v[128:129], v[124:125], v[120:121], v[126:127] op_sel_hi:[1,0,1]
	v_pk_fma_f32 v[120:121], v[124:125], v[120:121], v[126:127] neg_lo:[0,0,1] neg_hi:[0,0,1]
	v_mov_b32_e32 v121, v129
	s_cbranch_execz .LBB121_1054
	s_branch .LBB121_1055
.LBB121_1053:
                                        ; implicit-def: $vgpr120_vgpr121
.LBB121_1054:
	ds_load_b64 v[120:121], v1
.LBB121_1055:
	s_mov_b32 s2, exec_lo
	v_cmpx_ne_u32_e32 48, v0
	s_cbranch_execz .LBB121_1059
; %bb.1056:
	v_add_nc_u32_e32 v123, 0x1d8, v58
	v_add3_u32 v124, 0, v58, 8
	v_mov_b32_e32 v125, v0
	s_mov_b32 s3, 0
.LBB121_1057:                           ; =>This Inner Loop Header: Depth=1
	scratch_load_b64 v[126:127], v124, off
	ds_load_b64 v[128:129], v123
	s_wait_xcnt 0x0
	v_dual_add_nc_u32 v123, 8, v123 :: v_dual_add_nc_u32 v124, 8, v124
	s_wait_loadcnt_dscnt 0x0
	v_pk_mul_f32 v[130:131], v[128:129], v[126:127] op_sel:[1,1] op_sel_hi:[0,1]
	s_delay_alu instid0(VALU_DEP_1) | instskip(SKIP_2) | instid1(VALU_DEP_3)
	v_pk_fma_f32 v[132:133], v[128:129], v[126:127], v[130:131] op_sel_hi:[1,0,1]
	v_add_nc_u32_e32 v125, 1, v125
	v_pk_fma_f32 v[126:127], v[128:129], v[126:127], v[130:131] neg_lo:[0,0,1] neg_hi:[0,0,1]
	v_mov_b32_e32 v127, v133
	s_delay_alu instid0(VALU_DEP_3) | instskip(NEXT) | instid1(VALU_DEP_2)
	v_cmp_lt_u32_e32 vcc_lo, 47, v125
	v_pk_add_f32 v[120:121], v[120:121], v[126:127]
	s_or_b32 s3, vcc_lo, s3
	s_delay_alu instid0(SALU_CYCLE_1)
	s_and_not1_b32 exec_lo, exec_lo, s3
	s_cbranch_execnz .LBB121_1057
; %bb.1058:
	s_or_b32 exec_lo, exec_lo, s3
.LBB121_1059:
	s_delay_alu instid0(SALU_CYCLE_1) | instskip(SKIP_4) | instid1(VALU_DEP_1)
	s_or_b32 exec_lo, exec_lo, s2
	v_mov_b32_e32 v123, 0
	ds_load_b64 v[124:125], v123 offset:392
	s_wait_dscnt 0x0
	v_pk_mul_f32 v[126:127], v[120:121], v[124:125] op_sel:[1,1] op_sel_hi:[0,1]
	v_pk_fma_f32 v[128:129], v[120:121], v[124:125], v[126:127] op_sel_hi:[1,0,1]
	v_pk_fma_f32 v[120:121], v[120:121], v[124:125], v[126:127] neg_lo:[0,0,1] neg_hi:[0,0,1]
	s_delay_alu instid0(VALU_DEP_2)
	v_mov_b32_e32 v121, v129
	scratch_store_b64 off, v[120:121], off offset:392
.LBB121_1060:
	s_wait_xcnt 0x0
	s_or_b32 exec_lo, exec_lo, s0
	scratch_load_b64 v[120:121], off, off offset:400
	s_mov_b32 s0, exec_lo
	s_wait_loadcnt 0x0
	ds_store_b64 v1, v[120:121]
	s_wait_storecnt_dscnt 0x0
	s_barrier_signal -1
	s_barrier_wait -1
	s_wait_xcnt 0x0
	v_cmpx_gt_u32_e32 50, v0
	s_cbranch_execz .LBB121_1070
; %bb.1061:
	v_cmp_ne_u32_e32 vcc_lo, 1, v122
	s_cbranch_vccnz .LBB121_1063
; %bb.1062:
	scratch_load_b64 v[120:121], v59, off
	ds_load_b64 v[124:125], v1
	s_wait_loadcnt_dscnt 0x0
	v_pk_mul_f32 v[126:127], v[124:125], v[120:121] op_sel:[1,1] op_sel_hi:[0,1]
	s_delay_alu instid0(VALU_DEP_1) | instskip(SKIP_1) | instid1(VALU_DEP_2)
	v_pk_fma_f32 v[128:129], v[124:125], v[120:121], v[126:127] op_sel_hi:[1,0,1]
	v_pk_fma_f32 v[120:121], v[124:125], v[120:121], v[126:127] neg_lo:[0,0,1] neg_hi:[0,0,1]
	v_mov_b32_e32 v121, v129
	s_cbranch_execz .LBB121_1064
	s_branch .LBB121_1065
.LBB121_1063:
                                        ; implicit-def: $vgpr120_vgpr121
.LBB121_1064:
	ds_load_b64 v[120:121], v1
.LBB121_1065:
	s_mov_b32 s2, exec_lo
	v_cmpx_ne_u32_e32 49, v0
	s_cbranch_execz .LBB121_1069
; %bb.1066:
	v_add_nc_u32_e32 v123, 0x1d8, v58
	v_add3_u32 v124, 0, v58, 8
	v_mov_b32_e32 v125, v0
	s_mov_b32 s3, 0
.LBB121_1067:                           ; =>This Inner Loop Header: Depth=1
	scratch_load_b64 v[126:127], v124, off
	ds_load_b64 v[128:129], v123
	s_wait_xcnt 0x0
	v_dual_add_nc_u32 v123, 8, v123 :: v_dual_add_nc_u32 v124, 8, v124
	s_wait_loadcnt_dscnt 0x0
	v_pk_mul_f32 v[130:131], v[128:129], v[126:127] op_sel:[1,1] op_sel_hi:[0,1]
	s_delay_alu instid0(VALU_DEP_1) | instskip(SKIP_2) | instid1(VALU_DEP_3)
	v_pk_fma_f32 v[132:133], v[128:129], v[126:127], v[130:131] op_sel_hi:[1,0,1]
	v_add_nc_u32_e32 v125, 1, v125
	v_pk_fma_f32 v[126:127], v[128:129], v[126:127], v[130:131] neg_lo:[0,0,1] neg_hi:[0,0,1]
	v_mov_b32_e32 v127, v133
	s_delay_alu instid0(VALU_DEP_3) | instskip(NEXT) | instid1(VALU_DEP_2)
	v_cmp_lt_u32_e32 vcc_lo, 48, v125
	v_pk_add_f32 v[120:121], v[120:121], v[126:127]
	s_or_b32 s3, vcc_lo, s3
	s_delay_alu instid0(SALU_CYCLE_1)
	s_and_not1_b32 exec_lo, exec_lo, s3
	s_cbranch_execnz .LBB121_1067
; %bb.1068:
	s_or_b32 exec_lo, exec_lo, s3
.LBB121_1069:
	s_delay_alu instid0(SALU_CYCLE_1) | instskip(SKIP_4) | instid1(VALU_DEP_1)
	s_or_b32 exec_lo, exec_lo, s2
	v_mov_b32_e32 v123, 0
	ds_load_b64 v[124:125], v123 offset:400
	s_wait_dscnt 0x0
	v_pk_mul_f32 v[126:127], v[120:121], v[124:125] op_sel:[1,1] op_sel_hi:[0,1]
	v_pk_fma_f32 v[128:129], v[120:121], v[124:125], v[126:127] op_sel_hi:[1,0,1]
	v_pk_fma_f32 v[120:121], v[120:121], v[124:125], v[126:127] neg_lo:[0,0,1] neg_hi:[0,0,1]
	s_delay_alu instid0(VALU_DEP_2)
	v_mov_b32_e32 v121, v129
	scratch_store_b64 off, v[120:121], off offset:400
.LBB121_1070:
	s_wait_xcnt 0x0
	s_or_b32 exec_lo, exec_lo, s0
	scratch_load_b64 v[120:121], off, off offset:408
	s_mov_b32 s0, exec_lo
	s_wait_loadcnt 0x0
	ds_store_b64 v1, v[120:121]
	s_wait_storecnt_dscnt 0x0
	s_barrier_signal -1
	s_barrier_wait -1
	s_wait_xcnt 0x0
	v_cmpx_gt_u32_e32 51, v0
	s_cbranch_execz .LBB121_1080
; %bb.1071:
	v_cmp_ne_u32_e32 vcc_lo, 1, v122
	s_cbranch_vccnz .LBB121_1073
; %bb.1072:
	scratch_load_b64 v[120:121], v59, off
	ds_load_b64 v[124:125], v1
	s_wait_loadcnt_dscnt 0x0
	v_pk_mul_f32 v[126:127], v[124:125], v[120:121] op_sel:[1,1] op_sel_hi:[0,1]
	s_delay_alu instid0(VALU_DEP_1) | instskip(SKIP_1) | instid1(VALU_DEP_2)
	v_pk_fma_f32 v[128:129], v[124:125], v[120:121], v[126:127] op_sel_hi:[1,0,1]
	v_pk_fma_f32 v[120:121], v[124:125], v[120:121], v[126:127] neg_lo:[0,0,1] neg_hi:[0,0,1]
	v_mov_b32_e32 v121, v129
	s_cbranch_execz .LBB121_1074
	s_branch .LBB121_1075
.LBB121_1073:
                                        ; implicit-def: $vgpr120_vgpr121
.LBB121_1074:
	ds_load_b64 v[120:121], v1
.LBB121_1075:
	s_mov_b32 s2, exec_lo
	v_cmpx_ne_u32_e32 50, v0
	s_cbranch_execz .LBB121_1079
; %bb.1076:
	v_add_nc_u32_e32 v123, 0x1d8, v58
	v_add3_u32 v124, 0, v58, 8
	v_mov_b32_e32 v125, v0
	s_mov_b32 s3, 0
.LBB121_1077:                           ; =>This Inner Loop Header: Depth=1
	scratch_load_b64 v[126:127], v124, off
	ds_load_b64 v[128:129], v123
	s_wait_xcnt 0x0
	v_dual_add_nc_u32 v123, 8, v123 :: v_dual_add_nc_u32 v124, 8, v124
	s_wait_loadcnt_dscnt 0x0
	v_pk_mul_f32 v[130:131], v[128:129], v[126:127] op_sel:[1,1] op_sel_hi:[0,1]
	s_delay_alu instid0(VALU_DEP_1) | instskip(SKIP_2) | instid1(VALU_DEP_3)
	v_pk_fma_f32 v[132:133], v[128:129], v[126:127], v[130:131] op_sel_hi:[1,0,1]
	v_add_nc_u32_e32 v125, 1, v125
	v_pk_fma_f32 v[126:127], v[128:129], v[126:127], v[130:131] neg_lo:[0,0,1] neg_hi:[0,0,1]
	v_mov_b32_e32 v127, v133
	s_delay_alu instid0(VALU_DEP_3) | instskip(NEXT) | instid1(VALU_DEP_2)
	v_cmp_lt_u32_e32 vcc_lo, 49, v125
	v_pk_add_f32 v[120:121], v[120:121], v[126:127]
	s_or_b32 s3, vcc_lo, s3
	s_delay_alu instid0(SALU_CYCLE_1)
	s_and_not1_b32 exec_lo, exec_lo, s3
	s_cbranch_execnz .LBB121_1077
; %bb.1078:
	s_or_b32 exec_lo, exec_lo, s3
.LBB121_1079:
	s_delay_alu instid0(SALU_CYCLE_1) | instskip(SKIP_4) | instid1(VALU_DEP_1)
	s_or_b32 exec_lo, exec_lo, s2
	v_mov_b32_e32 v123, 0
	ds_load_b64 v[124:125], v123 offset:408
	s_wait_dscnt 0x0
	v_pk_mul_f32 v[126:127], v[120:121], v[124:125] op_sel:[1,1] op_sel_hi:[0,1]
	v_pk_fma_f32 v[128:129], v[120:121], v[124:125], v[126:127] op_sel_hi:[1,0,1]
	v_pk_fma_f32 v[120:121], v[120:121], v[124:125], v[126:127] neg_lo:[0,0,1] neg_hi:[0,0,1]
	s_delay_alu instid0(VALU_DEP_2)
	v_mov_b32_e32 v121, v129
	scratch_store_b64 off, v[120:121], off offset:408
.LBB121_1080:
	s_wait_xcnt 0x0
	s_or_b32 exec_lo, exec_lo, s0
	scratch_load_b64 v[120:121], off, off offset:416
	s_mov_b32 s0, exec_lo
	s_wait_loadcnt 0x0
	ds_store_b64 v1, v[120:121]
	s_wait_storecnt_dscnt 0x0
	s_barrier_signal -1
	s_barrier_wait -1
	s_wait_xcnt 0x0
	v_cmpx_gt_u32_e32 52, v0
	s_cbranch_execz .LBB121_1090
; %bb.1081:
	v_cmp_ne_u32_e32 vcc_lo, 1, v122
	s_cbranch_vccnz .LBB121_1083
; %bb.1082:
	scratch_load_b64 v[120:121], v59, off
	ds_load_b64 v[124:125], v1
	s_wait_loadcnt_dscnt 0x0
	v_pk_mul_f32 v[126:127], v[124:125], v[120:121] op_sel:[1,1] op_sel_hi:[0,1]
	s_delay_alu instid0(VALU_DEP_1) | instskip(SKIP_1) | instid1(VALU_DEP_2)
	v_pk_fma_f32 v[128:129], v[124:125], v[120:121], v[126:127] op_sel_hi:[1,0,1]
	v_pk_fma_f32 v[120:121], v[124:125], v[120:121], v[126:127] neg_lo:[0,0,1] neg_hi:[0,0,1]
	v_mov_b32_e32 v121, v129
	s_cbranch_execz .LBB121_1084
	s_branch .LBB121_1085
.LBB121_1083:
                                        ; implicit-def: $vgpr120_vgpr121
.LBB121_1084:
	ds_load_b64 v[120:121], v1
.LBB121_1085:
	s_mov_b32 s2, exec_lo
	v_cmpx_ne_u32_e32 51, v0
	s_cbranch_execz .LBB121_1089
; %bb.1086:
	v_add_nc_u32_e32 v123, 0x1d8, v58
	v_add3_u32 v124, 0, v58, 8
	v_mov_b32_e32 v125, v0
	s_mov_b32 s3, 0
.LBB121_1087:                           ; =>This Inner Loop Header: Depth=1
	scratch_load_b64 v[126:127], v124, off
	ds_load_b64 v[128:129], v123
	s_wait_xcnt 0x0
	v_dual_add_nc_u32 v123, 8, v123 :: v_dual_add_nc_u32 v124, 8, v124
	s_wait_loadcnt_dscnt 0x0
	v_pk_mul_f32 v[130:131], v[128:129], v[126:127] op_sel:[1,1] op_sel_hi:[0,1]
	s_delay_alu instid0(VALU_DEP_1) | instskip(SKIP_2) | instid1(VALU_DEP_3)
	v_pk_fma_f32 v[132:133], v[128:129], v[126:127], v[130:131] op_sel_hi:[1,0,1]
	v_add_nc_u32_e32 v125, 1, v125
	v_pk_fma_f32 v[126:127], v[128:129], v[126:127], v[130:131] neg_lo:[0,0,1] neg_hi:[0,0,1]
	v_mov_b32_e32 v127, v133
	s_delay_alu instid0(VALU_DEP_3) | instskip(NEXT) | instid1(VALU_DEP_2)
	v_cmp_lt_u32_e32 vcc_lo, 50, v125
	v_pk_add_f32 v[120:121], v[120:121], v[126:127]
	s_or_b32 s3, vcc_lo, s3
	s_delay_alu instid0(SALU_CYCLE_1)
	s_and_not1_b32 exec_lo, exec_lo, s3
	s_cbranch_execnz .LBB121_1087
; %bb.1088:
	s_or_b32 exec_lo, exec_lo, s3
.LBB121_1089:
	s_delay_alu instid0(SALU_CYCLE_1) | instskip(SKIP_4) | instid1(VALU_DEP_1)
	s_or_b32 exec_lo, exec_lo, s2
	v_mov_b32_e32 v123, 0
	ds_load_b64 v[124:125], v123 offset:416
	s_wait_dscnt 0x0
	v_pk_mul_f32 v[126:127], v[120:121], v[124:125] op_sel:[1,1] op_sel_hi:[0,1]
	v_pk_fma_f32 v[128:129], v[120:121], v[124:125], v[126:127] op_sel_hi:[1,0,1]
	v_pk_fma_f32 v[120:121], v[120:121], v[124:125], v[126:127] neg_lo:[0,0,1] neg_hi:[0,0,1]
	s_delay_alu instid0(VALU_DEP_2)
	v_mov_b32_e32 v121, v129
	scratch_store_b64 off, v[120:121], off offset:416
.LBB121_1090:
	s_wait_xcnt 0x0
	s_or_b32 exec_lo, exec_lo, s0
	scratch_load_b64 v[120:121], off, off offset:424
	s_mov_b32 s0, exec_lo
	s_wait_loadcnt 0x0
	ds_store_b64 v1, v[120:121]
	s_wait_storecnt_dscnt 0x0
	s_barrier_signal -1
	s_barrier_wait -1
	s_wait_xcnt 0x0
	v_cmpx_gt_u32_e32 53, v0
	s_cbranch_execz .LBB121_1100
; %bb.1091:
	v_cmp_ne_u32_e32 vcc_lo, 1, v122
	s_cbranch_vccnz .LBB121_1093
; %bb.1092:
	scratch_load_b64 v[120:121], v59, off
	ds_load_b64 v[124:125], v1
	s_wait_loadcnt_dscnt 0x0
	v_pk_mul_f32 v[126:127], v[124:125], v[120:121] op_sel:[1,1] op_sel_hi:[0,1]
	s_delay_alu instid0(VALU_DEP_1) | instskip(SKIP_1) | instid1(VALU_DEP_2)
	v_pk_fma_f32 v[128:129], v[124:125], v[120:121], v[126:127] op_sel_hi:[1,0,1]
	v_pk_fma_f32 v[120:121], v[124:125], v[120:121], v[126:127] neg_lo:[0,0,1] neg_hi:[0,0,1]
	v_mov_b32_e32 v121, v129
	s_cbranch_execz .LBB121_1094
	s_branch .LBB121_1095
.LBB121_1093:
                                        ; implicit-def: $vgpr120_vgpr121
.LBB121_1094:
	ds_load_b64 v[120:121], v1
.LBB121_1095:
	s_mov_b32 s2, exec_lo
	v_cmpx_ne_u32_e32 52, v0
	s_cbranch_execz .LBB121_1099
; %bb.1096:
	v_add_nc_u32_e32 v123, 0x1d8, v58
	v_add3_u32 v124, 0, v58, 8
	v_mov_b32_e32 v125, v0
	s_mov_b32 s3, 0
.LBB121_1097:                           ; =>This Inner Loop Header: Depth=1
	scratch_load_b64 v[126:127], v124, off
	ds_load_b64 v[128:129], v123
	s_wait_xcnt 0x0
	v_dual_add_nc_u32 v123, 8, v123 :: v_dual_add_nc_u32 v124, 8, v124
	s_wait_loadcnt_dscnt 0x0
	v_pk_mul_f32 v[130:131], v[128:129], v[126:127] op_sel:[1,1] op_sel_hi:[0,1]
	s_delay_alu instid0(VALU_DEP_1) | instskip(SKIP_2) | instid1(VALU_DEP_3)
	v_pk_fma_f32 v[132:133], v[128:129], v[126:127], v[130:131] op_sel_hi:[1,0,1]
	v_add_nc_u32_e32 v125, 1, v125
	v_pk_fma_f32 v[126:127], v[128:129], v[126:127], v[130:131] neg_lo:[0,0,1] neg_hi:[0,0,1]
	v_mov_b32_e32 v127, v133
	s_delay_alu instid0(VALU_DEP_3) | instskip(NEXT) | instid1(VALU_DEP_2)
	v_cmp_lt_u32_e32 vcc_lo, 51, v125
	v_pk_add_f32 v[120:121], v[120:121], v[126:127]
	s_or_b32 s3, vcc_lo, s3
	s_delay_alu instid0(SALU_CYCLE_1)
	s_and_not1_b32 exec_lo, exec_lo, s3
	s_cbranch_execnz .LBB121_1097
; %bb.1098:
	s_or_b32 exec_lo, exec_lo, s3
.LBB121_1099:
	s_delay_alu instid0(SALU_CYCLE_1) | instskip(SKIP_4) | instid1(VALU_DEP_1)
	s_or_b32 exec_lo, exec_lo, s2
	v_mov_b32_e32 v123, 0
	ds_load_b64 v[124:125], v123 offset:424
	s_wait_dscnt 0x0
	v_pk_mul_f32 v[126:127], v[120:121], v[124:125] op_sel:[1,1] op_sel_hi:[0,1]
	v_pk_fma_f32 v[128:129], v[120:121], v[124:125], v[126:127] op_sel_hi:[1,0,1]
	v_pk_fma_f32 v[120:121], v[120:121], v[124:125], v[126:127] neg_lo:[0,0,1] neg_hi:[0,0,1]
	s_delay_alu instid0(VALU_DEP_2)
	v_mov_b32_e32 v121, v129
	scratch_store_b64 off, v[120:121], off offset:424
.LBB121_1100:
	s_wait_xcnt 0x0
	s_or_b32 exec_lo, exec_lo, s0
	scratch_load_b64 v[120:121], off, off offset:432
	s_mov_b32 s0, exec_lo
	s_wait_loadcnt 0x0
	ds_store_b64 v1, v[120:121]
	s_wait_storecnt_dscnt 0x0
	s_barrier_signal -1
	s_barrier_wait -1
	s_wait_xcnt 0x0
	v_cmpx_gt_u32_e32 54, v0
	s_cbranch_execz .LBB121_1110
; %bb.1101:
	v_cmp_ne_u32_e32 vcc_lo, 1, v122
	s_cbranch_vccnz .LBB121_1103
; %bb.1102:
	scratch_load_b64 v[120:121], v59, off
	ds_load_b64 v[124:125], v1
	s_wait_loadcnt_dscnt 0x0
	v_pk_mul_f32 v[126:127], v[124:125], v[120:121] op_sel:[1,1] op_sel_hi:[0,1]
	s_delay_alu instid0(VALU_DEP_1) | instskip(SKIP_1) | instid1(VALU_DEP_2)
	v_pk_fma_f32 v[128:129], v[124:125], v[120:121], v[126:127] op_sel_hi:[1,0,1]
	v_pk_fma_f32 v[120:121], v[124:125], v[120:121], v[126:127] neg_lo:[0,0,1] neg_hi:[0,0,1]
	v_mov_b32_e32 v121, v129
	s_cbranch_execz .LBB121_1104
	s_branch .LBB121_1105
.LBB121_1103:
                                        ; implicit-def: $vgpr120_vgpr121
.LBB121_1104:
	ds_load_b64 v[120:121], v1
.LBB121_1105:
	s_mov_b32 s2, exec_lo
	v_cmpx_ne_u32_e32 53, v0
	s_cbranch_execz .LBB121_1109
; %bb.1106:
	v_add_nc_u32_e32 v123, 0x1d8, v58
	v_add3_u32 v124, 0, v58, 8
	v_mov_b32_e32 v125, v0
	s_mov_b32 s3, 0
.LBB121_1107:                           ; =>This Inner Loop Header: Depth=1
	scratch_load_b64 v[126:127], v124, off
	ds_load_b64 v[128:129], v123
	s_wait_xcnt 0x0
	v_dual_add_nc_u32 v123, 8, v123 :: v_dual_add_nc_u32 v124, 8, v124
	s_wait_loadcnt_dscnt 0x0
	v_pk_mul_f32 v[130:131], v[128:129], v[126:127] op_sel:[1,1] op_sel_hi:[0,1]
	s_delay_alu instid0(VALU_DEP_1) | instskip(SKIP_2) | instid1(VALU_DEP_3)
	v_pk_fma_f32 v[132:133], v[128:129], v[126:127], v[130:131] op_sel_hi:[1,0,1]
	v_add_nc_u32_e32 v125, 1, v125
	v_pk_fma_f32 v[126:127], v[128:129], v[126:127], v[130:131] neg_lo:[0,0,1] neg_hi:[0,0,1]
	v_mov_b32_e32 v127, v133
	s_delay_alu instid0(VALU_DEP_3) | instskip(NEXT) | instid1(VALU_DEP_2)
	v_cmp_lt_u32_e32 vcc_lo, 52, v125
	v_pk_add_f32 v[120:121], v[120:121], v[126:127]
	s_or_b32 s3, vcc_lo, s3
	s_delay_alu instid0(SALU_CYCLE_1)
	s_and_not1_b32 exec_lo, exec_lo, s3
	s_cbranch_execnz .LBB121_1107
; %bb.1108:
	s_or_b32 exec_lo, exec_lo, s3
.LBB121_1109:
	s_delay_alu instid0(SALU_CYCLE_1) | instskip(SKIP_4) | instid1(VALU_DEP_1)
	s_or_b32 exec_lo, exec_lo, s2
	v_mov_b32_e32 v123, 0
	ds_load_b64 v[124:125], v123 offset:432
	s_wait_dscnt 0x0
	v_pk_mul_f32 v[126:127], v[120:121], v[124:125] op_sel:[1,1] op_sel_hi:[0,1]
	v_pk_fma_f32 v[128:129], v[120:121], v[124:125], v[126:127] op_sel_hi:[1,0,1]
	v_pk_fma_f32 v[120:121], v[120:121], v[124:125], v[126:127] neg_lo:[0,0,1] neg_hi:[0,0,1]
	s_delay_alu instid0(VALU_DEP_2)
	v_mov_b32_e32 v121, v129
	scratch_store_b64 off, v[120:121], off offset:432
.LBB121_1110:
	s_wait_xcnt 0x0
	s_or_b32 exec_lo, exec_lo, s0
	scratch_load_b64 v[120:121], off, off offset:440
	s_mov_b32 s0, exec_lo
	s_wait_loadcnt 0x0
	ds_store_b64 v1, v[120:121]
	s_wait_storecnt_dscnt 0x0
	s_barrier_signal -1
	s_barrier_wait -1
	s_wait_xcnt 0x0
	v_cmpx_gt_u32_e32 55, v0
	s_cbranch_execz .LBB121_1120
; %bb.1111:
	v_cmp_ne_u32_e32 vcc_lo, 1, v122
	s_cbranch_vccnz .LBB121_1113
; %bb.1112:
	scratch_load_b64 v[120:121], v59, off
	ds_load_b64 v[124:125], v1
	s_wait_loadcnt_dscnt 0x0
	v_pk_mul_f32 v[126:127], v[124:125], v[120:121] op_sel:[1,1] op_sel_hi:[0,1]
	s_delay_alu instid0(VALU_DEP_1) | instskip(SKIP_1) | instid1(VALU_DEP_2)
	v_pk_fma_f32 v[128:129], v[124:125], v[120:121], v[126:127] op_sel_hi:[1,0,1]
	v_pk_fma_f32 v[120:121], v[124:125], v[120:121], v[126:127] neg_lo:[0,0,1] neg_hi:[0,0,1]
	v_mov_b32_e32 v121, v129
	s_cbranch_execz .LBB121_1114
	s_branch .LBB121_1115
.LBB121_1113:
                                        ; implicit-def: $vgpr120_vgpr121
.LBB121_1114:
	ds_load_b64 v[120:121], v1
.LBB121_1115:
	s_mov_b32 s2, exec_lo
	v_cmpx_ne_u32_e32 54, v0
	s_cbranch_execz .LBB121_1119
; %bb.1116:
	v_add_nc_u32_e32 v123, 0x1d8, v58
	v_add3_u32 v124, 0, v58, 8
	v_mov_b32_e32 v125, v0
	s_mov_b32 s3, 0
.LBB121_1117:                           ; =>This Inner Loop Header: Depth=1
	scratch_load_b64 v[126:127], v124, off
	ds_load_b64 v[128:129], v123
	s_wait_xcnt 0x0
	v_dual_add_nc_u32 v123, 8, v123 :: v_dual_add_nc_u32 v124, 8, v124
	s_wait_loadcnt_dscnt 0x0
	v_pk_mul_f32 v[130:131], v[128:129], v[126:127] op_sel:[1,1] op_sel_hi:[0,1]
	s_delay_alu instid0(VALU_DEP_1) | instskip(SKIP_2) | instid1(VALU_DEP_3)
	v_pk_fma_f32 v[132:133], v[128:129], v[126:127], v[130:131] op_sel_hi:[1,0,1]
	v_add_nc_u32_e32 v125, 1, v125
	v_pk_fma_f32 v[126:127], v[128:129], v[126:127], v[130:131] neg_lo:[0,0,1] neg_hi:[0,0,1]
	v_mov_b32_e32 v127, v133
	s_delay_alu instid0(VALU_DEP_3) | instskip(NEXT) | instid1(VALU_DEP_2)
	v_cmp_lt_u32_e32 vcc_lo, 53, v125
	v_pk_add_f32 v[120:121], v[120:121], v[126:127]
	s_or_b32 s3, vcc_lo, s3
	s_delay_alu instid0(SALU_CYCLE_1)
	s_and_not1_b32 exec_lo, exec_lo, s3
	s_cbranch_execnz .LBB121_1117
; %bb.1118:
	s_or_b32 exec_lo, exec_lo, s3
.LBB121_1119:
	s_delay_alu instid0(SALU_CYCLE_1) | instskip(SKIP_4) | instid1(VALU_DEP_1)
	s_or_b32 exec_lo, exec_lo, s2
	v_mov_b32_e32 v123, 0
	ds_load_b64 v[124:125], v123 offset:440
	s_wait_dscnt 0x0
	v_pk_mul_f32 v[126:127], v[120:121], v[124:125] op_sel:[1,1] op_sel_hi:[0,1]
	v_pk_fma_f32 v[128:129], v[120:121], v[124:125], v[126:127] op_sel_hi:[1,0,1]
	v_pk_fma_f32 v[120:121], v[120:121], v[124:125], v[126:127] neg_lo:[0,0,1] neg_hi:[0,0,1]
	s_delay_alu instid0(VALU_DEP_2)
	v_mov_b32_e32 v121, v129
	scratch_store_b64 off, v[120:121], off offset:440
.LBB121_1120:
	s_wait_xcnt 0x0
	s_or_b32 exec_lo, exec_lo, s0
	scratch_load_b64 v[120:121], off, off offset:448
	v_cmp_gt_u32_e64 s0, 56, v0
	s_wait_loadcnt 0x0
	ds_store_b64 v1, v[120:121]
	s_wait_storecnt_dscnt 0x0
	s_barrier_signal -1
	s_barrier_wait -1
	s_wait_xcnt 0x0
	s_and_saveexec_b32 s2, s0
	s_cbranch_execz .LBB121_1130
; %bb.1121:
	v_cmp_ne_u32_e32 vcc_lo, 1, v122
	s_cbranch_vccnz .LBB121_1123
; %bb.1122:
	scratch_load_b64 v[120:121], v59, off
	ds_load_b64 v[124:125], v1
	s_wait_loadcnt_dscnt 0x0
	v_pk_mul_f32 v[126:127], v[124:125], v[120:121] op_sel:[1,1] op_sel_hi:[0,1]
	s_delay_alu instid0(VALU_DEP_1) | instskip(SKIP_1) | instid1(VALU_DEP_2)
	v_pk_fma_f32 v[128:129], v[124:125], v[120:121], v[126:127] op_sel_hi:[1,0,1]
	v_pk_fma_f32 v[120:121], v[124:125], v[120:121], v[126:127] neg_lo:[0,0,1] neg_hi:[0,0,1]
	v_mov_b32_e32 v121, v129
	s_cbranch_execz .LBB121_1124
	s_branch .LBB121_1125
.LBB121_1123:
                                        ; implicit-def: $vgpr120_vgpr121
.LBB121_1124:
	ds_load_b64 v[120:121], v1
.LBB121_1125:
	s_mov_b32 s3, exec_lo
	v_cmpx_ne_u32_e32 55, v0
	s_cbranch_execz .LBB121_1129
; %bb.1126:
	v_add_nc_u32_e32 v123, 0x1d8, v58
	v_add3_u32 v124, 0, v58, 8
	v_mov_b32_e32 v125, v0
	s_mov_b32 s4, 0
.LBB121_1127:                           ; =>This Inner Loop Header: Depth=1
	scratch_load_b64 v[126:127], v124, off
	ds_load_b64 v[128:129], v123
	s_wait_xcnt 0x0
	v_dual_add_nc_u32 v123, 8, v123 :: v_dual_add_nc_u32 v124, 8, v124
	s_wait_loadcnt_dscnt 0x0
	v_pk_mul_f32 v[130:131], v[128:129], v[126:127] op_sel:[1,1] op_sel_hi:[0,1]
	s_delay_alu instid0(VALU_DEP_1) | instskip(SKIP_2) | instid1(VALU_DEP_3)
	v_pk_fma_f32 v[132:133], v[128:129], v[126:127], v[130:131] op_sel_hi:[1,0,1]
	v_add_nc_u32_e32 v125, 1, v125
	v_pk_fma_f32 v[126:127], v[128:129], v[126:127], v[130:131] neg_lo:[0,0,1] neg_hi:[0,0,1]
	v_mov_b32_e32 v127, v133
	s_delay_alu instid0(VALU_DEP_3) | instskip(NEXT) | instid1(VALU_DEP_2)
	v_cmp_lt_u32_e32 vcc_lo, 54, v125
	v_pk_add_f32 v[120:121], v[120:121], v[126:127]
	s_or_b32 s4, vcc_lo, s4
	s_delay_alu instid0(SALU_CYCLE_1)
	s_and_not1_b32 exec_lo, exec_lo, s4
	s_cbranch_execnz .LBB121_1127
; %bb.1128:
	s_or_b32 exec_lo, exec_lo, s4
.LBB121_1129:
	s_delay_alu instid0(SALU_CYCLE_1) | instskip(SKIP_4) | instid1(VALU_DEP_1)
	s_or_b32 exec_lo, exec_lo, s3
	v_mov_b32_e32 v123, 0
	ds_load_b64 v[124:125], v123 offset:448
	s_wait_dscnt 0x0
	v_pk_mul_f32 v[126:127], v[120:121], v[124:125] op_sel:[1,1] op_sel_hi:[0,1]
	v_pk_fma_f32 v[128:129], v[120:121], v[124:125], v[126:127] op_sel_hi:[1,0,1]
	v_pk_fma_f32 v[120:121], v[120:121], v[124:125], v[126:127] neg_lo:[0,0,1] neg_hi:[0,0,1]
	s_delay_alu instid0(VALU_DEP_2)
	v_mov_b32_e32 v121, v129
	scratch_store_b64 off, v[120:121], off offset:448
.LBB121_1130:
	s_wait_xcnt 0x0
	s_or_b32 exec_lo, exec_lo, s2
	scratch_load_b64 v[120:121], off, off offset:456
	s_mov_b32 s2, exec_lo
                                        ; implicit-def: $vgpr174
                                        ; implicit-def: $sgpr5
	s_wait_loadcnt 0x0
	ds_store_b64 v1, v[120:121]
	s_wait_storecnt_dscnt 0x0
	s_barrier_signal -1
	s_barrier_wait -1
	s_wait_xcnt 0x0
	v_cmpx_ne_u32_e32 57, v0
	s_cbranch_execz .LBB121_1140
; %bb.1131:
	v_cmp_ne_u32_e32 vcc_lo, 1, v122
	s_cbranch_vccnz .LBB121_1133
; %bb.1132:
	scratch_load_b64 v[122:123], v59, off
	ds_load_b64 v[124:125], v1
	s_wait_loadcnt_dscnt 0x0
	v_dual_mul_f32 v59, v125, v123 :: v_dual_mul_f32 v121, v124, v123
	s_delay_alu instid0(VALU_DEP_1)
	v_dual_fma_f32 v120, v124, v122, -v59 :: v_dual_fmac_f32 v121, v125, v122
	s_cbranch_execz .LBB121_1134
	s_branch .LBB121_1135
.LBB121_1133:
                                        ; implicit-def: $vgpr121
.LBB121_1134:
	ds_load_b64 v[120:121], v1
.LBB121_1135:
	s_and_saveexec_b32 s3, s0
	s_cbranch_execz .LBB121_1139
; %bb.1136:
	v_add_nc_u32_e32 v1, 0x1d8, v58
	v_add3_u32 v58, 0, v58, 8
	s_mov_b32 s0, 0
.LBB121_1137:                           ; =>This Inner Loop Header: Depth=1
	scratch_load_b64 v[122:123], v58, off
	ds_load_b64 v[124:125], v1
	s_wait_loadcnt_dscnt 0x0
	v_dual_add_nc_u32 v1, 8, v1 :: v_dual_mul_f32 v59, v125, v123
	v_dual_mul_f32 v123, v124, v123 :: v_dual_add_nc_u32 v0, 1, v0
	s_delay_alu instid0(VALU_DEP_2) | instskip(NEXT) | instid1(VALU_DEP_2)
	v_fma_f32 v59, v124, v122, -v59
	v_fmac_f32_e32 v123, v125, v122
	s_delay_alu instid0(VALU_DEP_3) | instskip(NEXT) | instid1(VALU_DEP_3)
	v_cmp_lt_u32_e32 vcc_lo, 55, v0
	v_dual_add_nc_u32 v58, 8, v58 :: v_dual_add_f32 v120, v120, v59
	s_delay_alu instid0(VALU_DEP_3) | instskip(SKIP_1) | instid1(SALU_CYCLE_1)
	v_add_f32_e32 v121, v121, v123
	s_or_b32 s0, vcc_lo, s0
	s_and_not1_b32 exec_lo, exec_lo, s0
	s_cbranch_execnz .LBB121_1137
; %bb.1138:
	s_or_b32 exec_lo, exec_lo, s0
.LBB121_1139:
	s_delay_alu instid0(SALU_CYCLE_1)
	s_or_b32 exec_lo, exec_lo, s3
	v_mov_b32_e32 v0, 0
	s_movk_i32 s5, 0x1cc
	s_or_b32 s1, s1, exec_lo
	ds_load_b64 v[0:1], v0 offset:456
	s_wait_dscnt 0x0
	v_dual_mul_f32 v58, v121, v1 :: v_dual_mul_f32 v174, v120, v1
	s_delay_alu instid0(VALU_DEP_1) | instskip(NEXT) | instid1(VALU_DEP_2)
	v_fma_f32 v1, v120, v0, -v58
	v_fmac_f32_e32 v174, v121, v0
	scratch_store_b32 off, v1, off offset:456
.LBB121_1140:
	s_wait_xcnt 0x0
	s_or_b32 exec_lo, exec_lo, s2
.LBB121_1141:
	v_lshl_add_u64 v[172:173], v[6:7], 3, s[6:7]
	v_lshl_add_u64 v[170:171], v[8:9], 3, s[6:7]
	;; [unrolled: 1-line block ×56, first 2 shown]
	s_and_saveexec_b32 s0, s1
	s_cbranch_execz .LBB121_1143
; %bb.1142:
	scratch_store_b32 off, v174, s5
.LBB121_1143:
	s_wait_xcnt 0x0
	s_or_b32 exec_lo, exec_lo, s0
	scratch_load_b64 v[62:63], off, off
	s_wait_loadcnt 0x0
	flat_store_b64 v[2:3], v[62:63]
	scratch_load_b64 v[2:3], off, off offset:8
	s_wait_loadcnt 0x0
	flat_store_b64 v[4:5], v[2:3]
	scratch_load_b64 v[2:3], off, off offset:16
	;; [unrolled: 3-line block ×57, first 2 shown]
	s_wait_loadcnt 0x0
	flat_store_b64 v[0:1], v[2:3]
.LBB121_1144:
	s_sendmsg sendmsg(MSG_DEALLOC_VGPRS)
	s_endpgm
	.section	.rodata,"a",@progbits
	.p2align	6, 0x0
	.amdhsa_kernel _ZN9rocsolver6v33100L18trti2_kernel_smallILi58E19rocblas_complex_numIfEPKPS3_EEv13rocblas_fill_17rocblas_diagonal_T1_iil
		.amdhsa_group_segment_fixed_size 928
		.amdhsa_private_segment_fixed_size 480
		.amdhsa_kernarg_size 32
		.amdhsa_user_sgpr_count 2
		.amdhsa_user_sgpr_dispatch_ptr 0
		.amdhsa_user_sgpr_queue_ptr 0
		.amdhsa_user_sgpr_kernarg_segment_ptr 1
		.amdhsa_user_sgpr_dispatch_id 0
		.amdhsa_user_sgpr_kernarg_preload_length 0
		.amdhsa_user_sgpr_kernarg_preload_offset 0
		.amdhsa_user_sgpr_private_segment_size 0
		.amdhsa_wavefront_size32 1
		.amdhsa_uses_dynamic_stack 0
		.amdhsa_enable_private_segment 1
		.amdhsa_system_sgpr_workgroup_id_x 1
		.amdhsa_system_sgpr_workgroup_id_y 0
		.amdhsa_system_sgpr_workgroup_id_z 0
		.amdhsa_system_sgpr_workgroup_info 0
		.amdhsa_system_vgpr_workitem_id 0
		.amdhsa_next_free_vgpr 175
		.amdhsa_next_free_sgpr 64
		.amdhsa_named_barrier_count 0
		.amdhsa_reserve_vcc 1
		.amdhsa_float_round_mode_32 0
		.amdhsa_float_round_mode_16_64 0
		.amdhsa_float_denorm_mode_32 3
		.amdhsa_float_denorm_mode_16_64 3
		.amdhsa_fp16_overflow 0
		.amdhsa_memory_ordered 1
		.amdhsa_forward_progress 1
		.amdhsa_inst_pref_size 255
		.amdhsa_round_robin_scheduling 0
		.amdhsa_exception_fp_ieee_invalid_op 0
		.amdhsa_exception_fp_denorm_src 0
		.amdhsa_exception_fp_ieee_div_zero 0
		.amdhsa_exception_fp_ieee_overflow 0
		.amdhsa_exception_fp_ieee_underflow 0
		.amdhsa_exception_fp_ieee_inexact 0
		.amdhsa_exception_int_div_zero 0
	.end_amdhsa_kernel
	.section	.text._ZN9rocsolver6v33100L18trti2_kernel_smallILi58E19rocblas_complex_numIfEPKPS3_EEv13rocblas_fill_17rocblas_diagonal_T1_iil,"axG",@progbits,_ZN9rocsolver6v33100L18trti2_kernel_smallILi58E19rocblas_complex_numIfEPKPS3_EEv13rocblas_fill_17rocblas_diagonal_T1_iil,comdat
.Lfunc_end121:
	.size	_ZN9rocsolver6v33100L18trti2_kernel_smallILi58E19rocblas_complex_numIfEPKPS3_EEv13rocblas_fill_17rocblas_diagonal_T1_iil, .Lfunc_end121-_ZN9rocsolver6v33100L18trti2_kernel_smallILi58E19rocblas_complex_numIfEPKPS3_EEv13rocblas_fill_17rocblas_diagonal_T1_iil
                                        ; -- End function
	.set _ZN9rocsolver6v33100L18trti2_kernel_smallILi58E19rocblas_complex_numIfEPKPS3_EEv13rocblas_fill_17rocblas_diagonal_T1_iil.num_vgpr, 175
	.set _ZN9rocsolver6v33100L18trti2_kernel_smallILi58E19rocblas_complex_numIfEPKPS3_EEv13rocblas_fill_17rocblas_diagonal_T1_iil.num_agpr, 0
	.set _ZN9rocsolver6v33100L18trti2_kernel_smallILi58E19rocblas_complex_numIfEPKPS3_EEv13rocblas_fill_17rocblas_diagonal_T1_iil.numbered_sgpr, 64
	.set _ZN9rocsolver6v33100L18trti2_kernel_smallILi58E19rocblas_complex_numIfEPKPS3_EEv13rocblas_fill_17rocblas_diagonal_T1_iil.num_named_barrier, 0
	.set _ZN9rocsolver6v33100L18trti2_kernel_smallILi58E19rocblas_complex_numIfEPKPS3_EEv13rocblas_fill_17rocblas_diagonal_T1_iil.private_seg_size, 480
	.set _ZN9rocsolver6v33100L18trti2_kernel_smallILi58E19rocblas_complex_numIfEPKPS3_EEv13rocblas_fill_17rocblas_diagonal_T1_iil.uses_vcc, 1
	.set _ZN9rocsolver6v33100L18trti2_kernel_smallILi58E19rocblas_complex_numIfEPKPS3_EEv13rocblas_fill_17rocblas_diagonal_T1_iil.uses_flat_scratch, 0
	.set _ZN9rocsolver6v33100L18trti2_kernel_smallILi58E19rocblas_complex_numIfEPKPS3_EEv13rocblas_fill_17rocblas_diagonal_T1_iil.has_dyn_sized_stack, 0
	.set _ZN9rocsolver6v33100L18trti2_kernel_smallILi58E19rocblas_complex_numIfEPKPS3_EEv13rocblas_fill_17rocblas_diagonal_T1_iil.has_recursion, 0
	.set _ZN9rocsolver6v33100L18trti2_kernel_smallILi58E19rocblas_complex_numIfEPKPS3_EEv13rocblas_fill_17rocblas_diagonal_T1_iil.has_indirect_call, 0
	.section	.AMDGPU.csdata,"",@progbits
; Kernel info:
; codeLenInByte = 44840
; TotalNumSgprs: 66
; NumVgprs: 175
; ScratchSize: 480
; MemoryBound: 0
; FloatMode: 240
; IeeeMode: 1
; LDSByteSize: 928 bytes/workgroup (compile time only)
; SGPRBlocks: 0
; VGPRBlocks: 10
; NumSGPRsForWavesPerEU: 66
; NumVGPRsForWavesPerEU: 175
; NamedBarCnt: 0
; Occupancy: 5
; WaveLimiterHint : 1
; COMPUTE_PGM_RSRC2:SCRATCH_EN: 1
; COMPUTE_PGM_RSRC2:USER_SGPR: 2
; COMPUTE_PGM_RSRC2:TRAP_HANDLER: 0
; COMPUTE_PGM_RSRC2:TGID_X_EN: 1
; COMPUTE_PGM_RSRC2:TGID_Y_EN: 0
; COMPUTE_PGM_RSRC2:TGID_Z_EN: 0
; COMPUTE_PGM_RSRC2:TIDIG_COMP_CNT: 0
	.section	.text._ZN9rocsolver6v33100L18trti2_kernel_smallILi59E19rocblas_complex_numIfEPKPS3_EEv13rocblas_fill_17rocblas_diagonal_T1_iil,"axG",@progbits,_ZN9rocsolver6v33100L18trti2_kernel_smallILi59E19rocblas_complex_numIfEPKPS3_EEv13rocblas_fill_17rocblas_diagonal_T1_iil,comdat
	.globl	_ZN9rocsolver6v33100L18trti2_kernel_smallILi59E19rocblas_complex_numIfEPKPS3_EEv13rocblas_fill_17rocblas_diagonal_T1_iil ; -- Begin function _ZN9rocsolver6v33100L18trti2_kernel_smallILi59E19rocblas_complex_numIfEPKPS3_EEv13rocblas_fill_17rocblas_diagonal_T1_iil
	.p2align	8
	.type	_ZN9rocsolver6v33100L18trti2_kernel_smallILi59E19rocblas_complex_numIfEPKPS3_EEv13rocblas_fill_17rocblas_diagonal_T1_iil,@function
_ZN9rocsolver6v33100L18trti2_kernel_smallILi59E19rocblas_complex_numIfEPKPS3_EEv13rocblas_fill_17rocblas_diagonal_T1_iil: ; @_ZN9rocsolver6v33100L18trti2_kernel_smallILi59E19rocblas_complex_numIfEPKPS3_EEv13rocblas_fill_17rocblas_diagonal_T1_iil
; %bb.0:
	s_mov_b32 s2, exec_lo
	v_cmpx_gt_u32_e32 59, v0
	s_cbranch_execz .LBB122_1164
; %bb.1:
	s_clause 0x1
	s_load_b64 s[8:9], s[0:1], 0x10
	s_load_b128 s[4:7], s[0:1], 0x0
	s_wait_xcnt 0x0
	s_bfe_u32 s0, ttmp6, 0x4000c
	s_and_b32 s1, ttmp6, 15
	s_add_co_i32 s0, s0, 1
	s_getreg_b32 s2, hwreg(HW_REG_IB_STS2, 6, 4)
	s_mul_i32 s0, ttmp9, s0
	v_dual_mov_b32 v59, 0 :: v_dual_lshlrev_b32 v58, 3, v0
	s_add_co_i32 s0, s1, s0
	s_wait_kmcnt 0x0
	s_ashr_i32 s1, s8, 31
	s_cmp_eq_u32 s2, 0
	s_cselect_b32 s2, ttmp9, s0
	s_mov_b32 s0, s8
	s_ashr_i32 s3, s2, 31
	s_lshl_b64 s[0:1], s[0:1], 3
	s_lshl_b64 s[2:3], s[2:3], 3
	s_delay_alu instid0(SALU_CYCLE_1)
	s_add_nc_u64 s[2:3], s[6:7], s[2:3]
	s_load_b64 s[2:3], s[2:3], 0x0
	s_wait_kmcnt 0x0
	s_add_nc_u64 s[2:3], s[2:3], s[0:1]
	s_mov_b32 s0, s9
	flat_load_b64 v[6:7], v0, s[2:3] scale_offset
	v_add_nc_u64_e32 v[2:3], s[2:3], v[58:59]
	s_ashr_i32 s1, s9, 31
	s_cmp_lg_u32 s5, 0x84
	s_cselect_b32 s5, -1, 0
	s_delay_alu instid0(SALU_CYCLE_1) | instskip(NEXT) | instid1(VALU_DEP_1)
	s_and_b32 vcc_lo, exec_lo, s5
	v_lshl_add_u64 v[4:5], s[0:1], 3, v[2:3]
	s_mov_b32 s0, -1
	s_wait_loadcnt_dscnt 0x0
	scratch_store_b64 off, v[6:7], off
	flat_load_b64 v[8:9], v[4:5]
	s_wait_xcnt 0x1
	v_add3_u32 v6, s9, s9, v0
	s_wait_loadcnt_dscnt 0x0
	scratch_store_b64 off, v[8:9], off offset:8
	flat_load_b64 v[10:11], v6, s[2:3] scale_offset
	s_wait_xcnt 0x1
	v_add_nc_u32_e32 v8, s9, v6
	s_wait_loadcnt_dscnt 0x0
	scratch_store_b64 off, v[10:11], off offset:16
	flat_load_b64 v[12:13], v8, s[2:3] scale_offset
	s_wait_xcnt 0x1
	v_add_nc_u32_e32 v10, s9, v8
	;; [unrolled: 5-line block ×56, first 2 shown]
	s_wait_loadcnt_dscnt 0x0
	scratch_store_b64 off, v[122:123], off offset:456
	flat_load_b64 v[122:123], v120, s[2:3] scale_offset
	s_wait_loadcnt_dscnt 0x0
	scratch_store_b64 off, v[122:123], off offset:464
	s_cbranch_vccz .LBB122_7
; %bb.2:
	scratch_load_b64 v[122:123], v0, off scale_offset
                                        ; implicit-def: $vgpr127
                                        ; implicit-def: $vgpr124
	s_wait_loadcnt 0x0
	v_cmp_ngt_f32_e64 s0, |v122|, |v123|
	s_wait_xcnt 0x0
	s_and_saveexec_b32 s1, s0
	s_delay_alu instid0(SALU_CYCLE_1)
	s_xor_b32 s0, exec_lo, s1
	s_cbranch_execz .LBB122_4
; %bb.3:
	v_div_scale_f32 v1, null, v123, v123, v122
	v_div_scale_f32 v11, vcc_lo, v122, v123, v122
	s_delay_alu instid0(VALU_DEP_2) | instskip(SKIP_1) | instid1(TRANS32_DEP_1)
	v_rcp_f32_e32 v7, v1
	v_nop
	v_fma_f32 v9, -v1, v7, 1.0
	s_delay_alu instid0(VALU_DEP_1) | instskip(NEXT) | instid1(VALU_DEP_1)
	v_fmac_f32_e32 v7, v9, v7
	v_mul_f32_e32 v9, v11, v7
	s_delay_alu instid0(VALU_DEP_1) | instskip(NEXT) | instid1(VALU_DEP_1)
	v_fma_f32 v13, -v1, v9, v11
	v_fmac_f32_e32 v9, v13, v7
	s_delay_alu instid0(VALU_DEP_1) | instskip(NEXT) | instid1(VALU_DEP_1)
	v_fma_f32 v1, -v1, v9, v11
	v_div_fmas_f32 v1, v1, v7, v9
	s_delay_alu instid0(VALU_DEP_1) | instskip(NEXT) | instid1(VALU_DEP_1)
	v_div_fixup_f32 v1, v1, v123, v122
	v_fmac_f32_e32 v123, v122, v1
	s_delay_alu instid0(VALU_DEP_1) | instskip(NEXT) | instid1(VALU_DEP_1)
	v_div_scale_f32 v7, null, v123, v123, -1.0
	v_rcp_f32_e32 v9, v7
	v_nop
	s_delay_alu instid0(TRANS32_DEP_1) | instskip(NEXT) | instid1(VALU_DEP_1)
	v_fma_f32 v11, -v7, v9, 1.0
	v_fmac_f32_e32 v9, v11, v9
	v_div_scale_f32 v11, vcc_lo, -1.0, v123, -1.0
	s_delay_alu instid0(VALU_DEP_1) | instskip(NEXT) | instid1(VALU_DEP_1)
	v_mul_f32_e32 v13, v11, v9
	v_fma_f32 v15, -v7, v13, v11
	s_delay_alu instid0(VALU_DEP_1) | instskip(NEXT) | instid1(VALU_DEP_1)
	v_fmac_f32_e32 v13, v15, v9
	v_fma_f32 v7, -v7, v13, v11
	s_delay_alu instid0(VALU_DEP_1) | instskip(NEXT) | instid1(VALU_DEP_1)
	v_div_fmas_f32 v7, v7, v9, v13
	v_div_fixup_f32 v127, v7, v123, -1.0
                                        ; implicit-def: $vgpr122_vgpr123
	s_delay_alu instid0(VALU_DEP_1) | instskip(NEXT) | instid1(VALU_DEP_1)
	v_mul_f32_e32 v124, v1, v127
	v_xor_b32_e32 v126, 0x80000000, v124
.LBB122_4:
	s_or_saveexec_b32 s0, s0
	v_lshl_add_u32 v1, v0, 3, 0
	s_xor_b32 exec_lo, exec_lo, s0
	s_cbranch_execz .LBB122_6
; %bb.5:
	v_div_scale_f32 v7, null, v122, v122, v123
	v_div_scale_f32 v13, vcc_lo, v123, v122, v123
	s_delay_alu instid0(VALU_DEP_2) | instskip(SKIP_1) | instid1(TRANS32_DEP_1)
	v_rcp_f32_e32 v9, v7
	v_nop
	v_fma_f32 v11, -v7, v9, 1.0
	s_delay_alu instid0(VALU_DEP_1) | instskip(NEXT) | instid1(VALU_DEP_1)
	v_fmac_f32_e32 v9, v11, v9
	v_mul_f32_e32 v11, v13, v9
	s_delay_alu instid0(VALU_DEP_1) | instskip(NEXT) | instid1(VALU_DEP_1)
	v_fma_f32 v15, -v7, v11, v13
	v_fmac_f32_e32 v11, v15, v9
	s_delay_alu instid0(VALU_DEP_1) | instskip(NEXT) | instid1(VALU_DEP_1)
	v_fma_f32 v7, -v7, v11, v13
	v_div_fmas_f32 v7, v7, v9, v11
	s_delay_alu instid0(VALU_DEP_1) | instskip(NEXT) | instid1(VALU_DEP_1)
	v_div_fixup_f32 v7, v7, v122, v123
	v_fmac_f32_e32 v122, v123, v7
	s_delay_alu instid0(VALU_DEP_1) | instskip(SKIP_1) | instid1(VALU_DEP_2)
	v_div_scale_f32 v9, null, v122, v122, 1.0
	v_div_scale_f32 v15, vcc_lo, 1.0, v122, 1.0
	v_rcp_f32_e32 v11, v9
	v_nop
	s_delay_alu instid0(TRANS32_DEP_1) | instskip(NEXT) | instid1(VALU_DEP_1)
	v_fma_f32 v13, -v9, v11, 1.0
	v_fmac_f32_e32 v11, v13, v11
	s_delay_alu instid0(VALU_DEP_1) | instskip(NEXT) | instid1(VALU_DEP_1)
	v_mul_f32_e32 v13, v15, v11
	v_fma_f32 v17, -v9, v13, v15
	s_delay_alu instid0(VALU_DEP_1) | instskip(NEXT) | instid1(VALU_DEP_1)
	v_fmac_f32_e32 v13, v17, v11
	v_fma_f32 v9, -v9, v13, v15
	s_delay_alu instid0(VALU_DEP_1) | instskip(NEXT) | instid1(VALU_DEP_1)
	v_div_fmas_f32 v9, v9, v11, v13
	v_div_fixup_f32 v126, v9, v122, 1.0
	s_delay_alu instid0(VALU_DEP_1)
	v_xor_b32_e32 v124, 0x80000000, v126
	v_mul_f32_e64 v127, v7, -v126
.LBB122_6:
	s_or_b32 exec_lo, exec_lo, s0
	s_delay_alu instid0(VALU_DEP_1)
	v_xor_b32_e32 v125, 0x80000000, v127
	s_mov_b32 s0, 0
	scratch_store_b64 v1, v[126:127], off
	ds_store_b64 v58, v[124:125]
.LBB122_7:
	s_and_b32 vcc_lo, exec_lo, s0
	s_cbranch_vccz .LBB122_9
; %bb.8:
	s_mov_b64 s[0:1], 0xbf800000
	s_wait_xcnt 0x0
	v_mov_b64_e32 v[122:123], s[0:1]
	ds_store_b64 v58, v[122:123]
.LBB122_9:
	v_dual_ashrrev_i32 v7, 31, v6 :: v_dual_ashrrev_i32 v9, 31, v8
	v_dual_ashrrev_i32 v11, 31, v10 :: v_dual_ashrrev_i32 v13, 31, v12
	;; [unrolled: 1-line block ×28, first 2 shown]
	v_dual_ashrrev_i32 v121, 31, v120 :: v_dual_mov_b32 v59, v58
	s_wait_xcnt 0x0
	v_add_nc_u32_e32 v1, 0x1e0, v58
	s_cmp_eq_u32 s4, 0x79
	s_cbranch_scc1 .LBB122_13
; %bb.10:
	scratch_load_b64 v[122:123], off, off offset:456
	v_cmp_eq_u32_e64 s0, 58, v0
	s_movk_i32 s1, 0x48
	s_movk_i32 s14, 0x50
	;; [unrolled: 1-line block ×48, first 2 shown]
	s_wait_loadcnt 0x0
	ds_store_b64 v1, v[122:123]
	s_wait_storecnt_dscnt 0x0
	s_barrier_signal -1
	s_barrier_wait -1
	s_wait_xcnt 0x0
	s_and_saveexec_b32 s4, s0
	s_cbranch_execz .LBB122_17
; %bb.11:
	s_and_b32 vcc_lo, exec_lo, s5
	s_cbranch_vccz .LBB122_14
; %bb.12:
	scratch_load_b64 v[122:123], v59, off
	ds_load_b64 v[124:125], v1
	s_wait_loadcnt_dscnt 0x0
	v_pk_mul_f32 v[126:127], v[124:125], v[122:123] op_sel:[1,1] op_sel_hi:[0,1]
	v_pk_mul_f32 v[128:129], v[124:125], v[122:123] op_sel_hi:[1,0]
	s_delay_alu instid0(VALU_DEP_2) | instskip(NEXT) | instid1(VALU_DEP_2)
	v_pk_fma_f32 v[122:123], v[124:125], v[122:123], v[126:127] op_sel_hi:[1,0,1]
	v_sub_f32_e32 v122, v128, v126
	s_cbranch_execz .LBB122_15
	s_branch .LBB122_16
.LBB122_13:
	s_mov_b32 s1, 0
                                        ; implicit-def: $vgpr176
                                        ; implicit-def: $sgpr7
	s_cbranch_execnz .LBB122_586
	s_branch .LBB122_1161
.LBB122_14:
                                        ; implicit-def: $vgpr123
.LBB122_15:
	ds_load_b64 v[122:123], v1
.LBB122_16:
	s_wait_dscnt 0x0
	v_dual_mov_b32 v124, 0 :: v_dual_mov_b32 v126, v123
	v_mov_b32_e32 v127, v122
	ds_load_b64 v[124:125], v124 offset:456
	s_wait_dscnt 0x0
	v_pk_mul_f32 v[126:127], v[126:127], v[124:125] op_sel:[0,1]
	s_delay_alu instid0(VALU_DEP_1) | instskip(SKIP_1) | instid1(VALU_DEP_2)
	v_pk_fma_f32 v[128:129], v[122:123], v[124:125], v[126:127] op_sel_hi:[1,0,1]
	v_pk_fma_f32 v[122:123], v[122:123], v[124:125], v[126:127] neg_lo:[0,0,1] neg_hi:[0,0,1]
	v_mov_b32_e32 v123, v129
	scratch_store_b64 off, v[122:123], off offset:456
.LBB122_17:
	s_wait_xcnt 0x0
	s_or_b32 exec_lo, exec_lo, s4
	scratch_load_b64 v[122:123], off, off offset:448
	s_mov_b32 s13, s1
	v_cmp_lt_u32_e64 s1, 56, v0
	s_or_b32 s4, 0, 8
	s_mov_b32 s6, 16
	s_mov_b32 s7, 24
	;; [unrolled: 1-line block ×7, first 2 shown]
	s_wait_loadcnt 0x0
	ds_store_b64 v1, v[122:123]
	s_wait_storecnt_dscnt 0x0
	s_barrier_signal -1
	s_barrier_wait -1
	s_wait_xcnt 0x0
	s_and_saveexec_b32 s62, s1
	s_cbranch_execz .LBB122_25
; %bb.18:
	s_and_not1_b32 vcc_lo, exec_lo, s5
	s_cbranch_vccnz .LBB122_20
; %bb.19:
	scratch_load_b64 v[122:123], v59, off
	ds_load_b64 v[124:125], v1
	s_wait_loadcnt_dscnt 0x0
	v_pk_mul_f32 v[126:127], v[124:125], v[122:123] op_sel:[1,1] op_sel_hi:[0,1]
	s_delay_alu instid0(VALU_DEP_1) | instskip(SKIP_1) | instid1(VALU_DEP_2)
	v_pk_fma_f32 v[128:129], v[124:125], v[122:123], v[126:127] op_sel_hi:[1,0,1]
	v_pk_fma_f32 v[122:123], v[124:125], v[122:123], v[126:127] neg_lo:[0,0,1] neg_hi:[0,0,1]
	v_mov_b32_e32 v123, v129
	s_cbranch_execz .LBB122_21
	s_branch .LBB122_22
.LBB122_20:
                                        ; implicit-def: $vgpr122_vgpr123
.LBB122_21:
	ds_load_b64 v[122:123], v1
.LBB122_22:
	s_and_saveexec_b32 s63, s0
	s_cbranch_execz .LBB122_24
; %bb.23:
	scratch_load_b64 v[124:125], off, off offset:456
	v_mov_b32_e32 v126, 0
	ds_load_b64 v[126:127], v126 offset:936
	s_wait_loadcnt_dscnt 0x0
	v_pk_mul_f32 v[128:129], v[126:127], v[124:125] op_sel:[1,1] op_sel_hi:[0,1]
	s_delay_alu instid0(VALU_DEP_1) | instskip(SKIP_1) | instid1(VALU_DEP_2)
	v_pk_fma_f32 v[130:131], v[126:127], v[124:125], v[128:129] op_sel_hi:[1,0,1]
	v_pk_fma_f32 v[124:125], v[126:127], v[124:125], v[128:129] neg_lo:[0,0,1] neg_hi:[0,0,1]
	v_mov_b32_e32 v125, v131
	s_delay_alu instid0(VALU_DEP_1)
	v_pk_add_f32 v[122:123], v[122:123], v[124:125]
.LBB122_24:
	s_or_b32 exec_lo, exec_lo, s63
	v_mov_b32_e32 v124, 0
	ds_load_b64 v[124:125], v124 offset:448
	s_wait_dscnt 0x0
	v_pk_mul_f32 v[126:127], v[122:123], v[124:125] op_sel:[1,1] op_sel_hi:[0,1]
	s_delay_alu instid0(VALU_DEP_1) | instskip(SKIP_1) | instid1(VALU_DEP_2)
	v_pk_fma_f32 v[128:129], v[122:123], v[124:125], v[126:127] op_sel_hi:[1,0,1]
	v_pk_fma_f32 v[122:123], v[122:123], v[124:125], v[126:127] neg_lo:[0,0,1] neg_hi:[0,0,1]
	v_mov_b32_e32 v123, v129
	scratch_store_b64 off, v[122:123], off offset:448
.LBB122_25:
	s_wait_xcnt 0x0
	s_or_b32 exec_lo, exec_lo, s62
	scratch_load_b64 v[122:123], off, off offset:440
	v_cmp_lt_u32_e64 s0, 55, v0
	s_wait_loadcnt 0x0
	ds_store_b64 v1, v[122:123]
	s_wait_storecnt_dscnt 0x0
	s_barrier_signal -1
	s_barrier_wait -1
	s_wait_xcnt 0x0
	s_and_saveexec_b32 s62, s0
	s_cbranch_execz .LBB122_35
; %bb.26:
	s_and_not1_b32 vcc_lo, exec_lo, s5
	s_cbranch_vccnz .LBB122_28
; %bb.27:
	scratch_load_b64 v[122:123], v59, off
	ds_load_b64 v[124:125], v1
	s_wait_loadcnt_dscnt 0x0
	v_pk_mul_f32 v[126:127], v[124:125], v[122:123] op_sel:[1,1] op_sel_hi:[0,1]
	s_delay_alu instid0(VALU_DEP_1) | instskip(SKIP_1) | instid1(VALU_DEP_2)
	v_pk_fma_f32 v[128:129], v[124:125], v[122:123], v[126:127] op_sel_hi:[1,0,1]
	v_pk_fma_f32 v[122:123], v[124:125], v[122:123], v[126:127] neg_lo:[0,0,1] neg_hi:[0,0,1]
	v_mov_b32_e32 v123, v129
	s_cbranch_execz .LBB122_29
	s_branch .LBB122_30
.LBB122_28:
                                        ; implicit-def: $vgpr122_vgpr123
.LBB122_29:
	ds_load_b64 v[122:123], v1
.LBB122_30:
	s_and_saveexec_b32 s63, s1
	s_cbranch_execz .LBB122_34
; %bb.31:
	v_subrev_nc_u32_e32 v124, 56, v0
	s_movk_i32 s64, 0x3a0
	s_mov_b32 s1, 0
.LBB122_32:                             ; =>This Inner Loop Header: Depth=1
	scratch_load_b64 v[126:127], off, s61
	v_dual_mov_b32 v125, s64 :: v_dual_add_nc_u32 v124, -1, v124
	s_add_co_i32 s64, s64, 8
	s_wait_xcnt 0x0
	s_add_co_i32 s61, s61, 8
	ds_load_b64 v[128:129], v125
	v_cmp_eq_u32_e32 vcc_lo, 0, v124
	s_or_b32 s1, vcc_lo, s1
	s_wait_loadcnt_dscnt 0x0
	v_pk_mul_f32 v[130:131], v[128:129], v[126:127] op_sel:[1,1] op_sel_hi:[0,1]
	s_delay_alu instid0(VALU_DEP_1) | instskip(SKIP_1) | instid1(VALU_DEP_2)
	v_pk_fma_f32 v[132:133], v[128:129], v[126:127], v[130:131] op_sel_hi:[1,0,1]
	v_pk_fma_f32 v[126:127], v[128:129], v[126:127], v[130:131] neg_lo:[0,0,1] neg_hi:[0,0,1]
	v_mov_b32_e32 v127, v133
	s_delay_alu instid0(VALU_DEP_1)
	v_pk_add_f32 v[122:123], v[122:123], v[126:127]
	s_and_not1_b32 exec_lo, exec_lo, s1
	s_cbranch_execnz .LBB122_32
; %bb.33:
	s_or_b32 exec_lo, exec_lo, s1
.LBB122_34:
	s_delay_alu instid0(SALU_CYCLE_1) | instskip(SKIP_4) | instid1(VALU_DEP_1)
	s_or_b32 exec_lo, exec_lo, s63
	v_mov_b32_e32 v124, 0
	ds_load_b64 v[124:125], v124 offset:440
	s_wait_dscnt 0x0
	v_pk_mul_f32 v[126:127], v[122:123], v[124:125] op_sel:[1,1] op_sel_hi:[0,1]
	v_pk_fma_f32 v[128:129], v[122:123], v[124:125], v[126:127] op_sel_hi:[1,0,1]
	v_pk_fma_f32 v[122:123], v[122:123], v[124:125], v[126:127] neg_lo:[0,0,1] neg_hi:[0,0,1]
	s_delay_alu instid0(VALU_DEP_2)
	v_mov_b32_e32 v123, v129
	scratch_store_b64 off, v[122:123], off offset:440
.LBB122_35:
	s_wait_xcnt 0x0
	s_or_b32 exec_lo, exec_lo, s62
	scratch_load_b64 v[122:123], off, off offset:432
	v_cmp_lt_u32_e64 s1, 54, v0
	s_wait_loadcnt 0x0
	ds_store_b64 v1, v[122:123]
	s_wait_storecnt_dscnt 0x0
	s_barrier_signal -1
	s_barrier_wait -1
	s_wait_xcnt 0x0
	s_and_saveexec_b32 s61, s1
	s_cbranch_execz .LBB122_45
; %bb.36:
	s_and_not1_b32 vcc_lo, exec_lo, s5
	s_cbranch_vccnz .LBB122_38
; %bb.37:
	scratch_load_b64 v[122:123], v59, off
	ds_load_b64 v[124:125], v1
	s_wait_loadcnt_dscnt 0x0
	v_pk_mul_f32 v[126:127], v[124:125], v[122:123] op_sel:[1,1] op_sel_hi:[0,1]
	s_delay_alu instid0(VALU_DEP_1) | instskip(SKIP_1) | instid1(VALU_DEP_2)
	v_pk_fma_f32 v[128:129], v[124:125], v[122:123], v[126:127] op_sel_hi:[1,0,1]
	v_pk_fma_f32 v[122:123], v[124:125], v[122:123], v[126:127] neg_lo:[0,0,1] neg_hi:[0,0,1]
	v_mov_b32_e32 v123, v129
	s_cbranch_execz .LBB122_39
	s_branch .LBB122_40
.LBB122_38:
                                        ; implicit-def: $vgpr122_vgpr123
.LBB122_39:
	ds_load_b64 v[122:123], v1
.LBB122_40:
	s_and_saveexec_b32 s62, s0
	s_cbranch_execz .LBB122_44
; %bb.41:
	v_subrev_nc_u32_e32 v124, 55, v0
	s_movk_i32 s63, 0x398
	s_mov_b32 s0, 0
.LBB122_42:                             ; =>This Inner Loop Header: Depth=1
	scratch_load_b64 v[126:127], off, s60
	v_dual_mov_b32 v125, s63 :: v_dual_add_nc_u32 v124, -1, v124
	s_add_co_i32 s63, s63, 8
	s_wait_xcnt 0x0
	s_add_co_i32 s60, s60, 8
	ds_load_b64 v[128:129], v125
	v_cmp_eq_u32_e32 vcc_lo, 0, v124
	s_or_b32 s0, vcc_lo, s0
	s_wait_loadcnt_dscnt 0x0
	v_pk_mul_f32 v[130:131], v[128:129], v[126:127] op_sel:[1,1] op_sel_hi:[0,1]
	s_delay_alu instid0(VALU_DEP_1) | instskip(SKIP_1) | instid1(VALU_DEP_2)
	v_pk_fma_f32 v[132:133], v[128:129], v[126:127], v[130:131] op_sel_hi:[1,0,1]
	v_pk_fma_f32 v[126:127], v[128:129], v[126:127], v[130:131] neg_lo:[0,0,1] neg_hi:[0,0,1]
	v_mov_b32_e32 v127, v133
	s_delay_alu instid0(VALU_DEP_1)
	v_pk_add_f32 v[122:123], v[122:123], v[126:127]
	s_and_not1_b32 exec_lo, exec_lo, s0
	s_cbranch_execnz .LBB122_42
; %bb.43:
	s_or_b32 exec_lo, exec_lo, s0
.LBB122_44:
	s_delay_alu instid0(SALU_CYCLE_1) | instskip(SKIP_4) | instid1(VALU_DEP_1)
	s_or_b32 exec_lo, exec_lo, s62
	v_mov_b32_e32 v124, 0
	ds_load_b64 v[124:125], v124 offset:432
	s_wait_dscnt 0x0
	v_pk_mul_f32 v[126:127], v[122:123], v[124:125] op_sel:[1,1] op_sel_hi:[0,1]
	v_pk_fma_f32 v[128:129], v[122:123], v[124:125], v[126:127] op_sel_hi:[1,0,1]
	v_pk_fma_f32 v[122:123], v[122:123], v[124:125], v[126:127] neg_lo:[0,0,1] neg_hi:[0,0,1]
	s_delay_alu instid0(VALU_DEP_2)
	v_mov_b32_e32 v123, v129
	scratch_store_b64 off, v[122:123], off offset:432
.LBB122_45:
	s_wait_xcnt 0x0
	s_or_b32 exec_lo, exec_lo, s61
	scratch_load_b64 v[122:123], off, off offset:424
	v_cmp_lt_u32_e64 s0, 53, v0
	s_wait_loadcnt 0x0
	ds_store_b64 v1, v[122:123]
	s_wait_storecnt_dscnt 0x0
	s_barrier_signal -1
	s_barrier_wait -1
	s_wait_xcnt 0x0
	s_and_saveexec_b32 s60, s0
	s_cbranch_execz .LBB122_55
; %bb.46:
	s_and_not1_b32 vcc_lo, exec_lo, s5
	s_cbranch_vccnz .LBB122_48
; %bb.47:
	scratch_load_b64 v[122:123], v59, off
	ds_load_b64 v[124:125], v1
	s_wait_loadcnt_dscnt 0x0
	v_pk_mul_f32 v[126:127], v[124:125], v[122:123] op_sel:[1,1] op_sel_hi:[0,1]
	s_delay_alu instid0(VALU_DEP_1) | instskip(SKIP_1) | instid1(VALU_DEP_2)
	v_pk_fma_f32 v[128:129], v[124:125], v[122:123], v[126:127] op_sel_hi:[1,0,1]
	v_pk_fma_f32 v[122:123], v[124:125], v[122:123], v[126:127] neg_lo:[0,0,1] neg_hi:[0,0,1]
	v_mov_b32_e32 v123, v129
	s_cbranch_execz .LBB122_49
	s_branch .LBB122_50
.LBB122_48:
                                        ; implicit-def: $vgpr122_vgpr123
.LBB122_49:
	ds_load_b64 v[122:123], v1
.LBB122_50:
	s_and_saveexec_b32 s61, s1
	s_cbranch_execz .LBB122_54
; %bb.51:
	v_subrev_nc_u32_e32 v124, 54, v0
	s_movk_i32 s62, 0x390
	s_mov_b32 s1, 0
.LBB122_52:                             ; =>This Inner Loop Header: Depth=1
	scratch_load_b64 v[126:127], off, s59
	v_dual_mov_b32 v125, s62 :: v_dual_add_nc_u32 v124, -1, v124
	s_add_co_i32 s62, s62, 8
	s_wait_xcnt 0x0
	s_add_co_i32 s59, s59, 8
	ds_load_b64 v[128:129], v125
	v_cmp_eq_u32_e32 vcc_lo, 0, v124
	s_or_b32 s1, vcc_lo, s1
	s_wait_loadcnt_dscnt 0x0
	v_pk_mul_f32 v[130:131], v[128:129], v[126:127] op_sel:[1,1] op_sel_hi:[0,1]
	s_delay_alu instid0(VALU_DEP_1) | instskip(SKIP_1) | instid1(VALU_DEP_2)
	v_pk_fma_f32 v[132:133], v[128:129], v[126:127], v[130:131] op_sel_hi:[1,0,1]
	v_pk_fma_f32 v[126:127], v[128:129], v[126:127], v[130:131] neg_lo:[0,0,1] neg_hi:[0,0,1]
	v_mov_b32_e32 v127, v133
	s_delay_alu instid0(VALU_DEP_1)
	v_pk_add_f32 v[122:123], v[122:123], v[126:127]
	s_and_not1_b32 exec_lo, exec_lo, s1
	s_cbranch_execnz .LBB122_52
; %bb.53:
	s_or_b32 exec_lo, exec_lo, s1
.LBB122_54:
	s_delay_alu instid0(SALU_CYCLE_1) | instskip(SKIP_4) | instid1(VALU_DEP_1)
	s_or_b32 exec_lo, exec_lo, s61
	v_mov_b32_e32 v124, 0
	ds_load_b64 v[124:125], v124 offset:424
	s_wait_dscnt 0x0
	v_pk_mul_f32 v[126:127], v[122:123], v[124:125] op_sel:[1,1] op_sel_hi:[0,1]
	v_pk_fma_f32 v[128:129], v[122:123], v[124:125], v[126:127] op_sel_hi:[1,0,1]
	v_pk_fma_f32 v[122:123], v[122:123], v[124:125], v[126:127] neg_lo:[0,0,1] neg_hi:[0,0,1]
	s_delay_alu instid0(VALU_DEP_2)
	v_mov_b32_e32 v123, v129
	scratch_store_b64 off, v[122:123], off offset:424
.LBB122_55:
	s_wait_xcnt 0x0
	s_or_b32 exec_lo, exec_lo, s60
	scratch_load_b64 v[122:123], off, off offset:416
	v_cmp_lt_u32_e64 s1, 52, v0
	s_wait_loadcnt 0x0
	ds_store_b64 v1, v[122:123]
	s_wait_storecnt_dscnt 0x0
	s_barrier_signal -1
	s_barrier_wait -1
	s_wait_xcnt 0x0
	s_and_saveexec_b32 s59, s1
	s_cbranch_execz .LBB122_65
; %bb.56:
	s_and_not1_b32 vcc_lo, exec_lo, s5
	s_cbranch_vccnz .LBB122_58
; %bb.57:
	scratch_load_b64 v[122:123], v59, off
	ds_load_b64 v[124:125], v1
	s_wait_loadcnt_dscnt 0x0
	v_pk_mul_f32 v[126:127], v[124:125], v[122:123] op_sel:[1,1] op_sel_hi:[0,1]
	s_delay_alu instid0(VALU_DEP_1) | instskip(SKIP_1) | instid1(VALU_DEP_2)
	v_pk_fma_f32 v[128:129], v[124:125], v[122:123], v[126:127] op_sel_hi:[1,0,1]
	v_pk_fma_f32 v[122:123], v[124:125], v[122:123], v[126:127] neg_lo:[0,0,1] neg_hi:[0,0,1]
	v_mov_b32_e32 v123, v129
	s_cbranch_execz .LBB122_59
	s_branch .LBB122_60
.LBB122_58:
                                        ; implicit-def: $vgpr122_vgpr123
.LBB122_59:
	ds_load_b64 v[122:123], v1
.LBB122_60:
	s_and_saveexec_b32 s60, s0
	s_cbranch_execz .LBB122_64
; %bb.61:
	v_subrev_nc_u32_e32 v124, 53, v0
	s_movk_i32 s61, 0x388
	s_mov_b32 s0, 0
.LBB122_62:                             ; =>This Inner Loop Header: Depth=1
	scratch_load_b64 v[126:127], off, s58
	v_dual_mov_b32 v125, s61 :: v_dual_add_nc_u32 v124, -1, v124
	s_add_co_i32 s61, s61, 8
	s_wait_xcnt 0x0
	s_add_co_i32 s58, s58, 8
	ds_load_b64 v[128:129], v125
	v_cmp_eq_u32_e32 vcc_lo, 0, v124
	s_or_b32 s0, vcc_lo, s0
	s_wait_loadcnt_dscnt 0x0
	v_pk_mul_f32 v[130:131], v[128:129], v[126:127] op_sel:[1,1] op_sel_hi:[0,1]
	s_delay_alu instid0(VALU_DEP_1) | instskip(SKIP_1) | instid1(VALU_DEP_2)
	v_pk_fma_f32 v[132:133], v[128:129], v[126:127], v[130:131] op_sel_hi:[1,0,1]
	v_pk_fma_f32 v[126:127], v[128:129], v[126:127], v[130:131] neg_lo:[0,0,1] neg_hi:[0,0,1]
	v_mov_b32_e32 v127, v133
	s_delay_alu instid0(VALU_DEP_1)
	v_pk_add_f32 v[122:123], v[122:123], v[126:127]
	s_and_not1_b32 exec_lo, exec_lo, s0
	s_cbranch_execnz .LBB122_62
; %bb.63:
	s_or_b32 exec_lo, exec_lo, s0
.LBB122_64:
	s_delay_alu instid0(SALU_CYCLE_1) | instskip(SKIP_4) | instid1(VALU_DEP_1)
	s_or_b32 exec_lo, exec_lo, s60
	v_mov_b32_e32 v124, 0
	ds_load_b64 v[124:125], v124 offset:416
	s_wait_dscnt 0x0
	v_pk_mul_f32 v[126:127], v[122:123], v[124:125] op_sel:[1,1] op_sel_hi:[0,1]
	v_pk_fma_f32 v[128:129], v[122:123], v[124:125], v[126:127] op_sel_hi:[1,0,1]
	v_pk_fma_f32 v[122:123], v[122:123], v[124:125], v[126:127] neg_lo:[0,0,1] neg_hi:[0,0,1]
	s_delay_alu instid0(VALU_DEP_2)
	v_mov_b32_e32 v123, v129
	scratch_store_b64 off, v[122:123], off offset:416
.LBB122_65:
	s_wait_xcnt 0x0
	s_or_b32 exec_lo, exec_lo, s59
	scratch_load_b64 v[122:123], off, off offset:408
	v_cmp_lt_u32_e64 s0, 51, v0
	s_wait_loadcnt 0x0
	ds_store_b64 v1, v[122:123]
	s_wait_storecnt_dscnt 0x0
	s_barrier_signal -1
	s_barrier_wait -1
	s_wait_xcnt 0x0
	s_and_saveexec_b32 s58, s0
	s_cbranch_execz .LBB122_75
; %bb.66:
	s_and_not1_b32 vcc_lo, exec_lo, s5
	s_cbranch_vccnz .LBB122_68
; %bb.67:
	scratch_load_b64 v[122:123], v59, off
	ds_load_b64 v[124:125], v1
	s_wait_loadcnt_dscnt 0x0
	v_pk_mul_f32 v[126:127], v[124:125], v[122:123] op_sel:[1,1] op_sel_hi:[0,1]
	s_delay_alu instid0(VALU_DEP_1) | instskip(SKIP_1) | instid1(VALU_DEP_2)
	v_pk_fma_f32 v[128:129], v[124:125], v[122:123], v[126:127] op_sel_hi:[1,0,1]
	v_pk_fma_f32 v[122:123], v[124:125], v[122:123], v[126:127] neg_lo:[0,0,1] neg_hi:[0,0,1]
	v_mov_b32_e32 v123, v129
	s_cbranch_execz .LBB122_69
	s_branch .LBB122_70
.LBB122_68:
                                        ; implicit-def: $vgpr122_vgpr123
.LBB122_69:
	ds_load_b64 v[122:123], v1
.LBB122_70:
	s_and_saveexec_b32 s59, s1
	s_cbranch_execz .LBB122_74
; %bb.71:
	v_subrev_nc_u32_e32 v124, 52, v0
	s_movk_i32 s60, 0x380
	s_mov_b32 s1, 0
.LBB122_72:                             ; =>This Inner Loop Header: Depth=1
	scratch_load_b64 v[126:127], off, s57
	v_dual_mov_b32 v125, s60 :: v_dual_add_nc_u32 v124, -1, v124
	s_add_co_i32 s60, s60, 8
	s_wait_xcnt 0x0
	s_add_co_i32 s57, s57, 8
	ds_load_b64 v[128:129], v125
	v_cmp_eq_u32_e32 vcc_lo, 0, v124
	s_or_b32 s1, vcc_lo, s1
	s_wait_loadcnt_dscnt 0x0
	v_pk_mul_f32 v[130:131], v[128:129], v[126:127] op_sel:[1,1] op_sel_hi:[0,1]
	s_delay_alu instid0(VALU_DEP_1) | instskip(SKIP_1) | instid1(VALU_DEP_2)
	v_pk_fma_f32 v[132:133], v[128:129], v[126:127], v[130:131] op_sel_hi:[1,0,1]
	v_pk_fma_f32 v[126:127], v[128:129], v[126:127], v[130:131] neg_lo:[0,0,1] neg_hi:[0,0,1]
	v_mov_b32_e32 v127, v133
	s_delay_alu instid0(VALU_DEP_1)
	v_pk_add_f32 v[122:123], v[122:123], v[126:127]
	s_and_not1_b32 exec_lo, exec_lo, s1
	s_cbranch_execnz .LBB122_72
; %bb.73:
	s_or_b32 exec_lo, exec_lo, s1
.LBB122_74:
	s_delay_alu instid0(SALU_CYCLE_1) | instskip(SKIP_4) | instid1(VALU_DEP_1)
	s_or_b32 exec_lo, exec_lo, s59
	v_mov_b32_e32 v124, 0
	ds_load_b64 v[124:125], v124 offset:408
	s_wait_dscnt 0x0
	v_pk_mul_f32 v[126:127], v[122:123], v[124:125] op_sel:[1,1] op_sel_hi:[0,1]
	v_pk_fma_f32 v[128:129], v[122:123], v[124:125], v[126:127] op_sel_hi:[1,0,1]
	v_pk_fma_f32 v[122:123], v[122:123], v[124:125], v[126:127] neg_lo:[0,0,1] neg_hi:[0,0,1]
	s_delay_alu instid0(VALU_DEP_2)
	v_mov_b32_e32 v123, v129
	scratch_store_b64 off, v[122:123], off offset:408
.LBB122_75:
	s_wait_xcnt 0x0
	s_or_b32 exec_lo, exec_lo, s58
	scratch_load_b64 v[122:123], off, off offset:400
	v_cmp_lt_u32_e64 s1, 50, v0
	s_wait_loadcnt 0x0
	ds_store_b64 v1, v[122:123]
	s_wait_storecnt_dscnt 0x0
	s_barrier_signal -1
	s_barrier_wait -1
	s_wait_xcnt 0x0
	s_and_saveexec_b32 s57, s1
	s_cbranch_execz .LBB122_85
; %bb.76:
	s_and_not1_b32 vcc_lo, exec_lo, s5
	s_cbranch_vccnz .LBB122_78
; %bb.77:
	scratch_load_b64 v[122:123], v59, off
	ds_load_b64 v[124:125], v1
	s_wait_loadcnt_dscnt 0x0
	v_pk_mul_f32 v[126:127], v[124:125], v[122:123] op_sel:[1,1] op_sel_hi:[0,1]
	s_delay_alu instid0(VALU_DEP_1) | instskip(SKIP_1) | instid1(VALU_DEP_2)
	v_pk_fma_f32 v[128:129], v[124:125], v[122:123], v[126:127] op_sel_hi:[1,0,1]
	v_pk_fma_f32 v[122:123], v[124:125], v[122:123], v[126:127] neg_lo:[0,0,1] neg_hi:[0,0,1]
	v_mov_b32_e32 v123, v129
	s_cbranch_execz .LBB122_79
	s_branch .LBB122_80
.LBB122_78:
                                        ; implicit-def: $vgpr122_vgpr123
.LBB122_79:
	ds_load_b64 v[122:123], v1
.LBB122_80:
	s_and_saveexec_b32 s58, s0
	s_cbranch_execz .LBB122_84
; %bb.81:
	v_subrev_nc_u32_e32 v124, 51, v0
	s_movk_i32 s59, 0x378
	s_mov_b32 s0, 0
.LBB122_82:                             ; =>This Inner Loop Header: Depth=1
	scratch_load_b64 v[126:127], off, s56
	v_dual_mov_b32 v125, s59 :: v_dual_add_nc_u32 v124, -1, v124
	s_add_co_i32 s59, s59, 8
	s_wait_xcnt 0x0
	s_add_co_i32 s56, s56, 8
	ds_load_b64 v[128:129], v125
	v_cmp_eq_u32_e32 vcc_lo, 0, v124
	s_or_b32 s0, vcc_lo, s0
	s_wait_loadcnt_dscnt 0x0
	v_pk_mul_f32 v[130:131], v[128:129], v[126:127] op_sel:[1,1] op_sel_hi:[0,1]
	s_delay_alu instid0(VALU_DEP_1) | instskip(SKIP_1) | instid1(VALU_DEP_2)
	v_pk_fma_f32 v[132:133], v[128:129], v[126:127], v[130:131] op_sel_hi:[1,0,1]
	v_pk_fma_f32 v[126:127], v[128:129], v[126:127], v[130:131] neg_lo:[0,0,1] neg_hi:[0,0,1]
	v_mov_b32_e32 v127, v133
	s_delay_alu instid0(VALU_DEP_1)
	v_pk_add_f32 v[122:123], v[122:123], v[126:127]
	s_and_not1_b32 exec_lo, exec_lo, s0
	s_cbranch_execnz .LBB122_82
; %bb.83:
	s_or_b32 exec_lo, exec_lo, s0
.LBB122_84:
	s_delay_alu instid0(SALU_CYCLE_1) | instskip(SKIP_4) | instid1(VALU_DEP_1)
	s_or_b32 exec_lo, exec_lo, s58
	v_mov_b32_e32 v124, 0
	ds_load_b64 v[124:125], v124 offset:400
	s_wait_dscnt 0x0
	v_pk_mul_f32 v[126:127], v[122:123], v[124:125] op_sel:[1,1] op_sel_hi:[0,1]
	v_pk_fma_f32 v[128:129], v[122:123], v[124:125], v[126:127] op_sel_hi:[1,0,1]
	v_pk_fma_f32 v[122:123], v[122:123], v[124:125], v[126:127] neg_lo:[0,0,1] neg_hi:[0,0,1]
	s_delay_alu instid0(VALU_DEP_2)
	v_mov_b32_e32 v123, v129
	scratch_store_b64 off, v[122:123], off offset:400
.LBB122_85:
	s_wait_xcnt 0x0
	s_or_b32 exec_lo, exec_lo, s57
	scratch_load_b64 v[122:123], off, off offset:392
	v_cmp_lt_u32_e64 s0, 49, v0
	s_wait_loadcnt 0x0
	ds_store_b64 v1, v[122:123]
	s_wait_storecnt_dscnt 0x0
	s_barrier_signal -1
	s_barrier_wait -1
	s_wait_xcnt 0x0
	s_and_saveexec_b32 s56, s0
	s_cbranch_execz .LBB122_95
; %bb.86:
	s_and_not1_b32 vcc_lo, exec_lo, s5
	s_cbranch_vccnz .LBB122_88
; %bb.87:
	scratch_load_b64 v[122:123], v59, off
	ds_load_b64 v[124:125], v1
	s_wait_loadcnt_dscnt 0x0
	v_pk_mul_f32 v[126:127], v[124:125], v[122:123] op_sel:[1,1] op_sel_hi:[0,1]
	s_delay_alu instid0(VALU_DEP_1) | instskip(SKIP_1) | instid1(VALU_DEP_2)
	v_pk_fma_f32 v[128:129], v[124:125], v[122:123], v[126:127] op_sel_hi:[1,0,1]
	v_pk_fma_f32 v[122:123], v[124:125], v[122:123], v[126:127] neg_lo:[0,0,1] neg_hi:[0,0,1]
	v_mov_b32_e32 v123, v129
	s_cbranch_execz .LBB122_89
	s_branch .LBB122_90
.LBB122_88:
                                        ; implicit-def: $vgpr122_vgpr123
.LBB122_89:
	ds_load_b64 v[122:123], v1
.LBB122_90:
	s_and_saveexec_b32 s57, s1
	s_cbranch_execz .LBB122_94
; %bb.91:
	v_subrev_nc_u32_e32 v124, 50, v0
	s_movk_i32 s58, 0x370
	s_mov_b32 s1, 0
.LBB122_92:                             ; =>This Inner Loop Header: Depth=1
	scratch_load_b64 v[126:127], off, s55
	v_dual_mov_b32 v125, s58 :: v_dual_add_nc_u32 v124, -1, v124
	s_add_co_i32 s58, s58, 8
	s_wait_xcnt 0x0
	s_add_co_i32 s55, s55, 8
	ds_load_b64 v[128:129], v125
	v_cmp_eq_u32_e32 vcc_lo, 0, v124
	s_or_b32 s1, vcc_lo, s1
	s_wait_loadcnt_dscnt 0x0
	v_pk_mul_f32 v[130:131], v[128:129], v[126:127] op_sel:[1,1] op_sel_hi:[0,1]
	s_delay_alu instid0(VALU_DEP_1) | instskip(SKIP_1) | instid1(VALU_DEP_2)
	v_pk_fma_f32 v[132:133], v[128:129], v[126:127], v[130:131] op_sel_hi:[1,0,1]
	v_pk_fma_f32 v[126:127], v[128:129], v[126:127], v[130:131] neg_lo:[0,0,1] neg_hi:[0,0,1]
	v_mov_b32_e32 v127, v133
	s_delay_alu instid0(VALU_DEP_1)
	v_pk_add_f32 v[122:123], v[122:123], v[126:127]
	s_and_not1_b32 exec_lo, exec_lo, s1
	s_cbranch_execnz .LBB122_92
; %bb.93:
	s_or_b32 exec_lo, exec_lo, s1
.LBB122_94:
	s_delay_alu instid0(SALU_CYCLE_1) | instskip(SKIP_4) | instid1(VALU_DEP_1)
	s_or_b32 exec_lo, exec_lo, s57
	v_mov_b32_e32 v124, 0
	ds_load_b64 v[124:125], v124 offset:392
	s_wait_dscnt 0x0
	v_pk_mul_f32 v[126:127], v[122:123], v[124:125] op_sel:[1,1] op_sel_hi:[0,1]
	v_pk_fma_f32 v[128:129], v[122:123], v[124:125], v[126:127] op_sel_hi:[1,0,1]
	v_pk_fma_f32 v[122:123], v[122:123], v[124:125], v[126:127] neg_lo:[0,0,1] neg_hi:[0,0,1]
	s_delay_alu instid0(VALU_DEP_2)
	v_mov_b32_e32 v123, v129
	scratch_store_b64 off, v[122:123], off offset:392
.LBB122_95:
	s_wait_xcnt 0x0
	s_or_b32 exec_lo, exec_lo, s56
	scratch_load_b64 v[122:123], off, off offset:384
	v_cmp_lt_u32_e64 s1, 48, v0
	s_wait_loadcnt 0x0
	ds_store_b64 v1, v[122:123]
	s_wait_storecnt_dscnt 0x0
	s_barrier_signal -1
	s_barrier_wait -1
	s_wait_xcnt 0x0
	s_and_saveexec_b32 s55, s1
	s_cbranch_execz .LBB122_105
; %bb.96:
	s_and_not1_b32 vcc_lo, exec_lo, s5
	s_cbranch_vccnz .LBB122_98
; %bb.97:
	scratch_load_b64 v[122:123], v59, off
	ds_load_b64 v[124:125], v1
	s_wait_loadcnt_dscnt 0x0
	v_pk_mul_f32 v[126:127], v[124:125], v[122:123] op_sel:[1,1] op_sel_hi:[0,1]
	s_delay_alu instid0(VALU_DEP_1) | instskip(SKIP_1) | instid1(VALU_DEP_2)
	v_pk_fma_f32 v[128:129], v[124:125], v[122:123], v[126:127] op_sel_hi:[1,0,1]
	v_pk_fma_f32 v[122:123], v[124:125], v[122:123], v[126:127] neg_lo:[0,0,1] neg_hi:[0,0,1]
	v_mov_b32_e32 v123, v129
	s_cbranch_execz .LBB122_99
	s_branch .LBB122_100
.LBB122_98:
                                        ; implicit-def: $vgpr122_vgpr123
.LBB122_99:
	ds_load_b64 v[122:123], v1
.LBB122_100:
	s_and_saveexec_b32 s56, s0
	s_cbranch_execz .LBB122_104
; %bb.101:
	v_subrev_nc_u32_e32 v124, 49, v0
	s_movk_i32 s57, 0x368
	s_mov_b32 s0, 0
.LBB122_102:                            ; =>This Inner Loop Header: Depth=1
	scratch_load_b64 v[126:127], off, s54
	v_dual_mov_b32 v125, s57 :: v_dual_add_nc_u32 v124, -1, v124
	s_add_co_i32 s57, s57, 8
	s_wait_xcnt 0x0
	s_add_co_i32 s54, s54, 8
	ds_load_b64 v[128:129], v125
	v_cmp_eq_u32_e32 vcc_lo, 0, v124
	s_or_b32 s0, vcc_lo, s0
	s_wait_loadcnt_dscnt 0x0
	v_pk_mul_f32 v[130:131], v[128:129], v[126:127] op_sel:[1,1] op_sel_hi:[0,1]
	s_delay_alu instid0(VALU_DEP_1) | instskip(SKIP_1) | instid1(VALU_DEP_2)
	v_pk_fma_f32 v[132:133], v[128:129], v[126:127], v[130:131] op_sel_hi:[1,0,1]
	v_pk_fma_f32 v[126:127], v[128:129], v[126:127], v[130:131] neg_lo:[0,0,1] neg_hi:[0,0,1]
	v_mov_b32_e32 v127, v133
	s_delay_alu instid0(VALU_DEP_1)
	v_pk_add_f32 v[122:123], v[122:123], v[126:127]
	s_and_not1_b32 exec_lo, exec_lo, s0
	s_cbranch_execnz .LBB122_102
; %bb.103:
	s_or_b32 exec_lo, exec_lo, s0
.LBB122_104:
	s_delay_alu instid0(SALU_CYCLE_1) | instskip(SKIP_4) | instid1(VALU_DEP_1)
	s_or_b32 exec_lo, exec_lo, s56
	v_mov_b32_e32 v124, 0
	ds_load_b64 v[124:125], v124 offset:384
	s_wait_dscnt 0x0
	v_pk_mul_f32 v[126:127], v[122:123], v[124:125] op_sel:[1,1] op_sel_hi:[0,1]
	v_pk_fma_f32 v[128:129], v[122:123], v[124:125], v[126:127] op_sel_hi:[1,0,1]
	v_pk_fma_f32 v[122:123], v[122:123], v[124:125], v[126:127] neg_lo:[0,0,1] neg_hi:[0,0,1]
	s_delay_alu instid0(VALU_DEP_2)
	v_mov_b32_e32 v123, v129
	scratch_store_b64 off, v[122:123], off offset:384
.LBB122_105:
	s_wait_xcnt 0x0
	s_or_b32 exec_lo, exec_lo, s55
	scratch_load_b64 v[122:123], off, off offset:376
	v_cmp_lt_u32_e64 s0, 47, v0
	s_wait_loadcnt 0x0
	ds_store_b64 v1, v[122:123]
	s_wait_storecnt_dscnt 0x0
	s_barrier_signal -1
	s_barrier_wait -1
	s_wait_xcnt 0x0
	s_and_saveexec_b32 s54, s0
	s_cbranch_execz .LBB122_115
; %bb.106:
	s_and_not1_b32 vcc_lo, exec_lo, s5
	s_cbranch_vccnz .LBB122_108
; %bb.107:
	scratch_load_b64 v[122:123], v59, off
	ds_load_b64 v[124:125], v1
	s_wait_loadcnt_dscnt 0x0
	v_pk_mul_f32 v[126:127], v[124:125], v[122:123] op_sel:[1,1] op_sel_hi:[0,1]
	s_delay_alu instid0(VALU_DEP_1) | instskip(SKIP_1) | instid1(VALU_DEP_2)
	v_pk_fma_f32 v[128:129], v[124:125], v[122:123], v[126:127] op_sel_hi:[1,0,1]
	v_pk_fma_f32 v[122:123], v[124:125], v[122:123], v[126:127] neg_lo:[0,0,1] neg_hi:[0,0,1]
	v_mov_b32_e32 v123, v129
	s_cbranch_execz .LBB122_109
	s_branch .LBB122_110
.LBB122_108:
                                        ; implicit-def: $vgpr122_vgpr123
.LBB122_109:
	ds_load_b64 v[122:123], v1
.LBB122_110:
	s_and_saveexec_b32 s55, s1
	s_cbranch_execz .LBB122_114
; %bb.111:
	v_subrev_nc_u32_e32 v124, 48, v0
	s_movk_i32 s56, 0x360
	s_mov_b32 s1, 0
.LBB122_112:                            ; =>This Inner Loop Header: Depth=1
	scratch_load_b64 v[126:127], off, s53
	v_dual_mov_b32 v125, s56 :: v_dual_add_nc_u32 v124, -1, v124
	s_add_co_i32 s56, s56, 8
	s_wait_xcnt 0x0
	s_add_co_i32 s53, s53, 8
	ds_load_b64 v[128:129], v125
	v_cmp_eq_u32_e32 vcc_lo, 0, v124
	s_or_b32 s1, vcc_lo, s1
	s_wait_loadcnt_dscnt 0x0
	v_pk_mul_f32 v[130:131], v[128:129], v[126:127] op_sel:[1,1] op_sel_hi:[0,1]
	s_delay_alu instid0(VALU_DEP_1) | instskip(SKIP_1) | instid1(VALU_DEP_2)
	v_pk_fma_f32 v[132:133], v[128:129], v[126:127], v[130:131] op_sel_hi:[1,0,1]
	v_pk_fma_f32 v[126:127], v[128:129], v[126:127], v[130:131] neg_lo:[0,0,1] neg_hi:[0,0,1]
	v_mov_b32_e32 v127, v133
	s_delay_alu instid0(VALU_DEP_1)
	v_pk_add_f32 v[122:123], v[122:123], v[126:127]
	s_and_not1_b32 exec_lo, exec_lo, s1
	s_cbranch_execnz .LBB122_112
; %bb.113:
	s_or_b32 exec_lo, exec_lo, s1
.LBB122_114:
	s_delay_alu instid0(SALU_CYCLE_1) | instskip(SKIP_4) | instid1(VALU_DEP_1)
	s_or_b32 exec_lo, exec_lo, s55
	v_mov_b32_e32 v124, 0
	ds_load_b64 v[124:125], v124 offset:376
	s_wait_dscnt 0x0
	v_pk_mul_f32 v[126:127], v[122:123], v[124:125] op_sel:[1,1] op_sel_hi:[0,1]
	v_pk_fma_f32 v[128:129], v[122:123], v[124:125], v[126:127] op_sel_hi:[1,0,1]
	v_pk_fma_f32 v[122:123], v[122:123], v[124:125], v[126:127] neg_lo:[0,0,1] neg_hi:[0,0,1]
	s_delay_alu instid0(VALU_DEP_2)
	v_mov_b32_e32 v123, v129
	scratch_store_b64 off, v[122:123], off offset:376
.LBB122_115:
	s_wait_xcnt 0x0
	s_or_b32 exec_lo, exec_lo, s54
	scratch_load_b64 v[122:123], off, off offset:368
	v_cmp_lt_u32_e64 s1, 46, v0
	s_wait_loadcnt 0x0
	ds_store_b64 v1, v[122:123]
	s_wait_storecnt_dscnt 0x0
	s_barrier_signal -1
	s_barrier_wait -1
	s_wait_xcnt 0x0
	s_and_saveexec_b32 s53, s1
	s_cbranch_execz .LBB122_125
; %bb.116:
	s_and_not1_b32 vcc_lo, exec_lo, s5
	s_cbranch_vccnz .LBB122_118
; %bb.117:
	scratch_load_b64 v[122:123], v59, off
	ds_load_b64 v[124:125], v1
	s_wait_loadcnt_dscnt 0x0
	v_pk_mul_f32 v[126:127], v[124:125], v[122:123] op_sel:[1,1] op_sel_hi:[0,1]
	s_delay_alu instid0(VALU_DEP_1) | instskip(SKIP_1) | instid1(VALU_DEP_2)
	v_pk_fma_f32 v[128:129], v[124:125], v[122:123], v[126:127] op_sel_hi:[1,0,1]
	v_pk_fma_f32 v[122:123], v[124:125], v[122:123], v[126:127] neg_lo:[0,0,1] neg_hi:[0,0,1]
	v_mov_b32_e32 v123, v129
	s_cbranch_execz .LBB122_119
	s_branch .LBB122_120
.LBB122_118:
                                        ; implicit-def: $vgpr122_vgpr123
.LBB122_119:
	ds_load_b64 v[122:123], v1
.LBB122_120:
	s_and_saveexec_b32 s54, s0
	s_cbranch_execz .LBB122_124
; %bb.121:
	v_subrev_nc_u32_e32 v124, 47, v0
	s_movk_i32 s55, 0x358
	s_mov_b32 s0, 0
.LBB122_122:                            ; =>This Inner Loop Header: Depth=1
	scratch_load_b64 v[126:127], off, s52
	v_dual_mov_b32 v125, s55 :: v_dual_add_nc_u32 v124, -1, v124
	s_add_co_i32 s55, s55, 8
	s_wait_xcnt 0x0
	s_add_co_i32 s52, s52, 8
	ds_load_b64 v[128:129], v125
	v_cmp_eq_u32_e32 vcc_lo, 0, v124
	s_or_b32 s0, vcc_lo, s0
	s_wait_loadcnt_dscnt 0x0
	v_pk_mul_f32 v[130:131], v[128:129], v[126:127] op_sel:[1,1] op_sel_hi:[0,1]
	s_delay_alu instid0(VALU_DEP_1) | instskip(SKIP_1) | instid1(VALU_DEP_2)
	v_pk_fma_f32 v[132:133], v[128:129], v[126:127], v[130:131] op_sel_hi:[1,0,1]
	v_pk_fma_f32 v[126:127], v[128:129], v[126:127], v[130:131] neg_lo:[0,0,1] neg_hi:[0,0,1]
	v_mov_b32_e32 v127, v133
	s_delay_alu instid0(VALU_DEP_1)
	v_pk_add_f32 v[122:123], v[122:123], v[126:127]
	s_and_not1_b32 exec_lo, exec_lo, s0
	s_cbranch_execnz .LBB122_122
; %bb.123:
	s_or_b32 exec_lo, exec_lo, s0
.LBB122_124:
	s_delay_alu instid0(SALU_CYCLE_1) | instskip(SKIP_4) | instid1(VALU_DEP_1)
	s_or_b32 exec_lo, exec_lo, s54
	v_mov_b32_e32 v124, 0
	ds_load_b64 v[124:125], v124 offset:368
	s_wait_dscnt 0x0
	v_pk_mul_f32 v[126:127], v[122:123], v[124:125] op_sel:[1,1] op_sel_hi:[0,1]
	v_pk_fma_f32 v[128:129], v[122:123], v[124:125], v[126:127] op_sel_hi:[1,0,1]
	v_pk_fma_f32 v[122:123], v[122:123], v[124:125], v[126:127] neg_lo:[0,0,1] neg_hi:[0,0,1]
	s_delay_alu instid0(VALU_DEP_2)
	v_mov_b32_e32 v123, v129
	scratch_store_b64 off, v[122:123], off offset:368
.LBB122_125:
	s_wait_xcnt 0x0
	s_or_b32 exec_lo, exec_lo, s53
	scratch_load_b64 v[122:123], off, off offset:360
	v_cmp_lt_u32_e64 s0, 45, v0
	s_wait_loadcnt 0x0
	ds_store_b64 v1, v[122:123]
	s_wait_storecnt_dscnt 0x0
	s_barrier_signal -1
	s_barrier_wait -1
	s_wait_xcnt 0x0
	s_and_saveexec_b32 s52, s0
	s_cbranch_execz .LBB122_135
; %bb.126:
	s_and_not1_b32 vcc_lo, exec_lo, s5
	s_cbranch_vccnz .LBB122_128
; %bb.127:
	scratch_load_b64 v[122:123], v59, off
	ds_load_b64 v[124:125], v1
	s_wait_loadcnt_dscnt 0x0
	v_pk_mul_f32 v[126:127], v[124:125], v[122:123] op_sel:[1,1] op_sel_hi:[0,1]
	s_delay_alu instid0(VALU_DEP_1) | instskip(SKIP_1) | instid1(VALU_DEP_2)
	v_pk_fma_f32 v[128:129], v[124:125], v[122:123], v[126:127] op_sel_hi:[1,0,1]
	v_pk_fma_f32 v[122:123], v[124:125], v[122:123], v[126:127] neg_lo:[0,0,1] neg_hi:[0,0,1]
	v_mov_b32_e32 v123, v129
	s_cbranch_execz .LBB122_129
	s_branch .LBB122_130
.LBB122_128:
                                        ; implicit-def: $vgpr122_vgpr123
.LBB122_129:
	ds_load_b64 v[122:123], v1
.LBB122_130:
	s_and_saveexec_b32 s53, s1
	s_cbranch_execz .LBB122_134
; %bb.131:
	v_subrev_nc_u32_e32 v124, 46, v0
	s_movk_i32 s54, 0x350
	s_mov_b32 s1, 0
.LBB122_132:                            ; =>This Inner Loop Header: Depth=1
	scratch_load_b64 v[126:127], off, s51
	v_dual_mov_b32 v125, s54 :: v_dual_add_nc_u32 v124, -1, v124
	s_add_co_i32 s54, s54, 8
	s_wait_xcnt 0x0
	s_add_co_i32 s51, s51, 8
	ds_load_b64 v[128:129], v125
	v_cmp_eq_u32_e32 vcc_lo, 0, v124
	s_or_b32 s1, vcc_lo, s1
	s_wait_loadcnt_dscnt 0x0
	v_pk_mul_f32 v[130:131], v[128:129], v[126:127] op_sel:[1,1] op_sel_hi:[0,1]
	s_delay_alu instid0(VALU_DEP_1) | instskip(SKIP_1) | instid1(VALU_DEP_2)
	v_pk_fma_f32 v[132:133], v[128:129], v[126:127], v[130:131] op_sel_hi:[1,0,1]
	v_pk_fma_f32 v[126:127], v[128:129], v[126:127], v[130:131] neg_lo:[0,0,1] neg_hi:[0,0,1]
	v_mov_b32_e32 v127, v133
	s_delay_alu instid0(VALU_DEP_1)
	v_pk_add_f32 v[122:123], v[122:123], v[126:127]
	s_and_not1_b32 exec_lo, exec_lo, s1
	s_cbranch_execnz .LBB122_132
; %bb.133:
	s_or_b32 exec_lo, exec_lo, s1
.LBB122_134:
	s_delay_alu instid0(SALU_CYCLE_1) | instskip(SKIP_4) | instid1(VALU_DEP_1)
	s_or_b32 exec_lo, exec_lo, s53
	v_mov_b32_e32 v124, 0
	ds_load_b64 v[124:125], v124 offset:360
	s_wait_dscnt 0x0
	v_pk_mul_f32 v[126:127], v[122:123], v[124:125] op_sel:[1,1] op_sel_hi:[0,1]
	v_pk_fma_f32 v[128:129], v[122:123], v[124:125], v[126:127] op_sel_hi:[1,0,1]
	v_pk_fma_f32 v[122:123], v[122:123], v[124:125], v[126:127] neg_lo:[0,0,1] neg_hi:[0,0,1]
	s_delay_alu instid0(VALU_DEP_2)
	v_mov_b32_e32 v123, v129
	scratch_store_b64 off, v[122:123], off offset:360
.LBB122_135:
	s_wait_xcnt 0x0
	s_or_b32 exec_lo, exec_lo, s52
	scratch_load_b64 v[122:123], off, off offset:352
	v_cmp_lt_u32_e64 s1, 44, v0
	s_wait_loadcnt 0x0
	ds_store_b64 v1, v[122:123]
	s_wait_storecnt_dscnt 0x0
	s_barrier_signal -1
	s_barrier_wait -1
	s_wait_xcnt 0x0
	s_and_saveexec_b32 s51, s1
	s_cbranch_execz .LBB122_145
; %bb.136:
	s_and_not1_b32 vcc_lo, exec_lo, s5
	s_cbranch_vccnz .LBB122_138
; %bb.137:
	scratch_load_b64 v[122:123], v59, off
	ds_load_b64 v[124:125], v1
	s_wait_loadcnt_dscnt 0x0
	v_pk_mul_f32 v[126:127], v[124:125], v[122:123] op_sel:[1,1] op_sel_hi:[0,1]
	s_delay_alu instid0(VALU_DEP_1) | instskip(SKIP_1) | instid1(VALU_DEP_2)
	v_pk_fma_f32 v[128:129], v[124:125], v[122:123], v[126:127] op_sel_hi:[1,0,1]
	v_pk_fma_f32 v[122:123], v[124:125], v[122:123], v[126:127] neg_lo:[0,0,1] neg_hi:[0,0,1]
	v_mov_b32_e32 v123, v129
	s_cbranch_execz .LBB122_139
	s_branch .LBB122_140
.LBB122_138:
                                        ; implicit-def: $vgpr122_vgpr123
.LBB122_139:
	ds_load_b64 v[122:123], v1
.LBB122_140:
	s_and_saveexec_b32 s52, s0
	s_cbranch_execz .LBB122_144
; %bb.141:
	v_subrev_nc_u32_e32 v124, 45, v0
	s_movk_i32 s53, 0x348
	s_mov_b32 s0, 0
.LBB122_142:                            ; =>This Inner Loop Header: Depth=1
	scratch_load_b64 v[126:127], off, s50
	v_dual_mov_b32 v125, s53 :: v_dual_add_nc_u32 v124, -1, v124
	s_add_co_i32 s53, s53, 8
	s_wait_xcnt 0x0
	s_add_co_i32 s50, s50, 8
	ds_load_b64 v[128:129], v125
	v_cmp_eq_u32_e32 vcc_lo, 0, v124
	s_or_b32 s0, vcc_lo, s0
	s_wait_loadcnt_dscnt 0x0
	v_pk_mul_f32 v[130:131], v[128:129], v[126:127] op_sel:[1,1] op_sel_hi:[0,1]
	s_delay_alu instid0(VALU_DEP_1) | instskip(SKIP_1) | instid1(VALU_DEP_2)
	v_pk_fma_f32 v[132:133], v[128:129], v[126:127], v[130:131] op_sel_hi:[1,0,1]
	v_pk_fma_f32 v[126:127], v[128:129], v[126:127], v[130:131] neg_lo:[0,0,1] neg_hi:[0,0,1]
	v_mov_b32_e32 v127, v133
	s_delay_alu instid0(VALU_DEP_1)
	v_pk_add_f32 v[122:123], v[122:123], v[126:127]
	s_and_not1_b32 exec_lo, exec_lo, s0
	s_cbranch_execnz .LBB122_142
; %bb.143:
	s_or_b32 exec_lo, exec_lo, s0
.LBB122_144:
	s_delay_alu instid0(SALU_CYCLE_1) | instskip(SKIP_4) | instid1(VALU_DEP_1)
	s_or_b32 exec_lo, exec_lo, s52
	v_mov_b32_e32 v124, 0
	ds_load_b64 v[124:125], v124 offset:352
	s_wait_dscnt 0x0
	v_pk_mul_f32 v[126:127], v[122:123], v[124:125] op_sel:[1,1] op_sel_hi:[0,1]
	v_pk_fma_f32 v[128:129], v[122:123], v[124:125], v[126:127] op_sel_hi:[1,0,1]
	v_pk_fma_f32 v[122:123], v[122:123], v[124:125], v[126:127] neg_lo:[0,0,1] neg_hi:[0,0,1]
	s_delay_alu instid0(VALU_DEP_2)
	v_mov_b32_e32 v123, v129
	scratch_store_b64 off, v[122:123], off offset:352
.LBB122_145:
	s_wait_xcnt 0x0
	s_or_b32 exec_lo, exec_lo, s51
	scratch_load_b64 v[122:123], off, off offset:344
	v_cmp_lt_u32_e64 s0, 43, v0
	s_wait_loadcnt 0x0
	ds_store_b64 v1, v[122:123]
	s_wait_storecnt_dscnt 0x0
	s_barrier_signal -1
	s_barrier_wait -1
	s_wait_xcnt 0x0
	s_and_saveexec_b32 s50, s0
	s_cbranch_execz .LBB122_155
; %bb.146:
	s_and_not1_b32 vcc_lo, exec_lo, s5
	s_cbranch_vccnz .LBB122_148
; %bb.147:
	scratch_load_b64 v[122:123], v59, off
	ds_load_b64 v[124:125], v1
	s_wait_loadcnt_dscnt 0x0
	v_pk_mul_f32 v[126:127], v[124:125], v[122:123] op_sel:[1,1] op_sel_hi:[0,1]
	s_delay_alu instid0(VALU_DEP_1) | instskip(SKIP_1) | instid1(VALU_DEP_2)
	v_pk_fma_f32 v[128:129], v[124:125], v[122:123], v[126:127] op_sel_hi:[1,0,1]
	v_pk_fma_f32 v[122:123], v[124:125], v[122:123], v[126:127] neg_lo:[0,0,1] neg_hi:[0,0,1]
	v_mov_b32_e32 v123, v129
	s_cbranch_execz .LBB122_149
	s_branch .LBB122_150
.LBB122_148:
                                        ; implicit-def: $vgpr122_vgpr123
.LBB122_149:
	ds_load_b64 v[122:123], v1
.LBB122_150:
	s_and_saveexec_b32 s51, s1
	s_cbranch_execz .LBB122_154
; %bb.151:
	v_subrev_nc_u32_e32 v124, 44, v0
	s_movk_i32 s52, 0x340
	s_mov_b32 s1, 0
.LBB122_152:                            ; =>This Inner Loop Header: Depth=1
	scratch_load_b64 v[126:127], off, s49
	v_dual_mov_b32 v125, s52 :: v_dual_add_nc_u32 v124, -1, v124
	s_add_co_i32 s52, s52, 8
	s_wait_xcnt 0x0
	s_add_co_i32 s49, s49, 8
	ds_load_b64 v[128:129], v125
	v_cmp_eq_u32_e32 vcc_lo, 0, v124
	s_or_b32 s1, vcc_lo, s1
	s_wait_loadcnt_dscnt 0x0
	v_pk_mul_f32 v[130:131], v[128:129], v[126:127] op_sel:[1,1] op_sel_hi:[0,1]
	s_delay_alu instid0(VALU_DEP_1) | instskip(SKIP_1) | instid1(VALU_DEP_2)
	v_pk_fma_f32 v[132:133], v[128:129], v[126:127], v[130:131] op_sel_hi:[1,0,1]
	v_pk_fma_f32 v[126:127], v[128:129], v[126:127], v[130:131] neg_lo:[0,0,1] neg_hi:[0,0,1]
	v_mov_b32_e32 v127, v133
	s_delay_alu instid0(VALU_DEP_1)
	v_pk_add_f32 v[122:123], v[122:123], v[126:127]
	s_and_not1_b32 exec_lo, exec_lo, s1
	s_cbranch_execnz .LBB122_152
; %bb.153:
	s_or_b32 exec_lo, exec_lo, s1
.LBB122_154:
	s_delay_alu instid0(SALU_CYCLE_1) | instskip(SKIP_4) | instid1(VALU_DEP_1)
	s_or_b32 exec_lo, exec_lo, s51
	v_mov_b32_e32 v124, 0
	ds_load_b64 v[124:125], v124 offset:344
	s_wait_dscnt 0x0
	v_pk_mul_f32 v[126:127], v[122:123], v[124:125] op_sel:[1,1] op_sel_hi:[0,1]
	v_pk_fma_f32 v[128:129], v[122:123], v[124:125], v[126:127] op_sel_hi:[1,0,1]
	v_pk_fma_f32 v[122:123], v[122:123], v[124:125], v[126:127] neg_lo:[0,0,1] neg_hi:[0,0,1]
	s_delay_alu instid0(VALU_DEP_2)
	v_mov_b32_e32 v123, v129
	scratch_store_b64 off, v[122:123], off offset:344
.LBB122_155:
	s_wait_xcnt 0x0
	s_or_b32 exec_lo, exec_lo, s50
	scratch_load_b64 v[122:123], off, off offset:336
	v_cmp_lt_u32_e64 s1, 42, v0
	s_wait_loadcnt 0x0
	ds_store_b64 v1, v[122:123]
	s_wait_storecnt_dscnt 0x0
	s_barrier_signal -1
	s_barrier_wait -1
	s_wait_xcnt 0x0
	s_and_saveexec_b32 s49, s1
	s_cbranch_execz .LBB122_165
; %bb.156:
	s_and_not1_b32 vcc_lo, exec_lo, s5
	s_cbranch_vccnz .LBB122_158
; %bb.157:
	scratch_load_b64 v[122:123], v59, off
	ds_load_b64 v[124:125], v1
	s_wait_loadcnt_dscnt 0x0
	v_pk_mul_f32 v[126:127], v[124:125], v[122:123] op_sel:[1,1] op_sel_hi:[0,1]
	s_delay_alu instid0(VALU_DEP_1) | instskip(SKIP_1) | instid1(VALU_DEP_2)
	v_pk_fma_f32 v[128:129], v[124:125], v[122:123], v[126:127] op_sel_hi:[1,0,1]
	v_pk_fma_f32 v[122:123], v[124:125], v[122:123], v[126:127] neg_lo:[0,0,1] neg_hi:[0,0,1]
	v_mov_b32_e32 v123, v129
	s_cbranch_execz .LBB122_159
	s_branch .LBB122_160
.LBB122_158:
                                        ; implicit-def: $vgpr122_vgpr123
.LBB122_159:
	ds_load_b64 v[122:123], v1
.LBB122_160:
	s_and_saveexec_b32 s50, s0
	s_cbranch_execz .LBB122_164
; %bb.161:
	v_subrev_nc_u32_e32 v124, 43, v0
	s_movk_i32 s51, 0x338
	s_mov_b32 s0, 0
.LBB122_162:                            ; =>This Inner Loop Header: Depth=1
	scratch_load_b64 v[126:127], off, s48
	v_dual_mov_b32 v125, s51 :: v_dual_add_nc_u32 v124, -1, v124
	s_add_co_i32 s51, s51, 8
	s_wait_xcnt 0x0
	s_add_co_i32 s48, s48, 8
	ds_load_b64 v[128:129], v125
	v_cmp_eq_u32_e32 vcc_lo, 0, v124
	s_or_b32 s0, vcc_lo, s0
	s_wait_loadcnt_dscnt 0x0
	v_pk_mul_f32 v[130:131], v[128:129], v[126:127] op_sel:[1,1] op_sel_hi:[0,1]
	s_delay_alu instid0(VALU_DEP_1) | instskip(SKIP_1) | instid1(VALU_DEP_2)
	v_pk_fma_f32 v[132:133], v[128:129], v[126:127], v[130:131] op_sel_hi:[1,0,1]
	v_pk_fma_f32 v[126:127], v[128:129], v[126:127], v[130:131] neg_lo:[0,0,1] neg_hi:[0,0,1]
	v_mov_b32_e32 v127, v133
	s_delay_alu instid0(VALU_DEP_1)
	v_pk_add_f32 v[122:123], v[122:123], v[126:127]
	s_and_not1_b32 exec_lo, exec_lo, s0
	s_cbranch_execnz .LBB122_162
; %bb.163:
	s_or_b32 exec_lo, exec_lo, s0
.LBB122_164:
	s_delay_alu instid0(SALU_CYCLE_1) | instskip(SKIP_4) | instid1(VALU_DEP_1)
	s_or_b32 exec_lo, exec_lo, s50
	v_mov_b32_e32 v124, 0
	ds_load_b64 v[124:125], v124 offset:336
	s_wait_dscnt 0x0
	v_pk_mul_f32 v[126:127], v[122:123], v[124:125] op_sel:[1,1] op_sel_hi:[0,1]
	v_pk_fma_f32 v[128:129], v[122:123], v[124:125], v[126:127] op_sel_hi:[1,0,1]
	v_pk_fma_f32 v[122:123], v[122:123], v[124:125], v[126:127] neg_lo:[0,0,1] neg_hi:[0,0,1]
	s_delay_alu instid0(VALU_DEP_2)
	v_mov_b32_e32 v123, v129
	scratch_store_b64 off, v[122:123], off offset:336
.LBB122_165:
	s_wait_xcnt 0x0
	s_or_b32 exec_lo, exec_lo, s49
	scratch_load_b64 v[122:123], off, off offset:328
	v_cmp_lt_u32_e64 s0, 41, v0
	s_wait_loadcnt 0x0
	ds_store_b64 v1, v[122:123]
	s_wait_storecnt_dscnt 0x0
	s_barrier_signal -1
	s_barrier_wait -1
	s_wait_xcnt 0x0
	s_and_saveexec_b32 s48, s0
	s_cbranch_execz .LBB122_175
; %bb.166:
	s_and_not1_b32 vcc_lo, exec_lo, s5
	s_cbranch_vccnz .LBB122_168
; %bb.167:
	scratch_load_b64 v[122:123], v59, off
	ds_load_b64 v[124:125], v1
	s_wait_loadcnt_dscnt 0x0
	v_pk_mul_f32 v[126:127], v[124:125], v[122:123] op_sel:[1,1] op_sel_hi:[0,1]
	s_delay_alu instid0(VALU_DEP_1) | instskip(SKIP_1) | instid1(VALU_DEP_2)
	v_pk_fma_f32 v[128:129], v[124:125], v[122:123], v[126:127] op_sel_hi:[1,0,1]
	v_pk_fma_f32 v[122:123], v[124:125], v[122:123], v[126:127] neg_lo:[0,0,1] neg_hi:[0,0,1]
	v_mov_b32_e32 v123, v129
	s_cbranch_execz .LBB122_169
	s_branch .LBB122_170
.LBB122_168:
                                        ; implicit-def: $vgpr122_vgpr123
.LBB122_169:
	ds_load_b64 v[122:123], v1
.LBB122_170:
	s_and_saveexec_b32 s49, s1
	s_cbranch_execz .LBB122_174
; %bb.171:
	v_subrev_nc_u32_e32 v124, 42, v0
	s_movk_i32 s50, 0x330
	s_mov_b32 s1, 0
.LBB122_172:                            ; =>This Inner Loop Header: Depth=1
	scratch_load_b64 v[126:127], off, s47
	v_dual_mov_b32 v125, s50 :: v_dual_add_nc_u32 v124, -1, v124
	s_add_co_i32 s50, s50, 8
	s_wait_xcnt 0x0
	s_add_co_i32 s47, s47, 8
	ds_load_b64 v[128:129], v125
	v_cmp_eq_u32_e32 vcc_lo, 0, v124
	s_or_b32 s1, vcc_lo, s1
	s_wait_loadcnt_dscnt 0x0
	v_pk_mul_f32 v[130:131], v[128:129], v[126:127] op_sel:[1,1] op_sel_hi:[0,1]
	s_delay_alu instid0(VALU_DEP_1) | instskip(SKIP_1) | instid1(VALU_DEP_2)
	v_pk_fma_f32 v[132:133], v[128:129], v[126:127], v[130:131] op_sel_hi:[1,0,1]
	v_pk_fma_f32 v[126:127], v[128:129], v[126:127], v[130:131] neg_lo:[0,0,1] neg_hi:[0,0,1]
	v_mov_b32_e32 v127, v133
	s_delay_alu instid0(VALU_DEP_1)
	v_pk_add_f32 v[122:123], v[122:123], v[126:127]
	s_and_not1_b32 exec_lo, exec_lo, s1
	s_cbranch_execnz .LBB122_172
; %bb.173:
	s_or_b32 exec_lo, exec_lo, s1
.LBB122_174:
	s_delay_alu instid0(SALU_CYCLE_1) | instskip(SKIP_4) | instid1(VALU_DEP_1)
	s_or_b32 exec_lo, exec_lo, s49
	v_mov_b32_e32 v124, 0
	ds_load_b64 v[124:125], v124 offset:328
	s_wait_dscnt 0x0
	v_pk_mul_f32 v[126:127], v[122:123], v[124:125] op_sel:[1,1] op_sel_hi:[0,1]
	v_pk_fma_f32 v[128:129], v[122:123], v[124:125], v[126:127] op_sel_hi:[1,0,1]
	v_pk_fma_f32 v[122:123], v[122:123], v[124:125], v[126:127] neg_lo:[0,0,1] neg_hi:[0,0,1]
	s_delay_alu instid0(VALU_DEP_2)
	v_mov_b32_e32 v123, v129
	scratch_store_b64 off, v[122:123], off offset:328
.LBB122_175:
	s_wait_xcnt 0x0
	s_or_b32 exec_lo, exec_lo, s48
	scratch_load_b64 v[122:123], off, off offset:320
	v_cmp_lt_u32_e64 s1, 40, v0
	s_wait_loadcnt 0x0
	ds_store_b64 v1, v[122:123]
	s_wait_storecnt_dscnt 0x0
	s_barrier_signal -1
	s_barrier_wait -1
	s_wait_xcnt 0x0
	s_and_saveexec_b32 s47, s1
	s_cbranch_execz .LBB122_185
; %bb.176:
	s_and_not1_b32 vcc_lo, exec_lo, s5
	s_cbranch_vccnz .LBB122_178
; %bb.177:
	scratch_load_b64 v[122:123], v59, off
	ds_load_b64 v[124:125], v1
	s_wait_loadcnt_dscnt 0x0
	v_pk_mul_f32 v[126:127], v[124:125], v[122:123] op_sel:[1,1] op_sel_hi:[0,1]
	s_delay_alu instid0(VALU_DEP_1) | instskip(SKIP_1) | instid1(VALU_DEP_2)
	v_pk_fma_f32 v[128:129], v[124:125], v[122:123], v[126:127] op_sel_hi:[1,0,1]
	v_pk_fma_f32 v[122:123], v[124:125], v[122:123], v[126:127] neg_lo:[0,0,1] neg_hi:[0,0,1]
	v_mov_b32_e32 v123, v129
	s_cbranch_execz .LBB122_179
	s_branch .LBB122_180
.LBB122_178:
                                        ; implicit-def: $vgpr122_vgpr123
.LBB122_179:
	ds_load_b64 v[122:123], v1
.LBB122_180:
	s_and_saveexec_b32 s48, s0
	s_cbranch_execz .LBB122_184
; %bb.181:
	v_subrev_nc_u32_e32 v124, 41, v0
	s_movk_i32 s49, 0x328
	s_mov_b32 s0, 0
.LBB122_182:                            ; =>This Inner Loop Header: Depth=1
	scratch_load_b64 v[126:127], off, s46
	v_dual_mov_b32 v125, s49 :: v_dual_add_nc_u32 v124, -1, v124
	s_add_co_i32 s49, s49, 8
	s_wait_xcnt 0x0
	s_add_co_i32 s46, s46, 8
	ds_load_b64 v[128:129], v125
	v_cmp_eq_u32_e32 vcc_lo, 0, v124
	s_or_b32 s0, vcc_lo, s0
	s_wait_loadcnt_dscnt 0x0
	v_pk_mul_f32 v[130:131], v[128:129], v[126:127] op_sel:[1,1] op_sel_hi:[0,1]
	s_delay_alu instid0(VALU_DEP_1) | instskip(SKIP_1) | instid1(VALU_DEP_2)
	v_pk_fma_f32 v[132:133], v[128:129], v[126:127], v[130:131] op_sel_hi:[1,0,1]
	v_pk_fma_f32 v[126:127], v[128:129], v[126:127], v[130:131] neg_lo:[0,0,1] neg_hi:[0,0,1]
	v_mov_b32_e32 v127, v133
	s_delay_alu instid0(VALU_DEP_1)
	v_pk_add_f32 v[122:123], v[122:123], v[126:127]
	s_and_not1_b32 exec_lo, exec_lo, s0
	s_cbranch_execnz .LBB122_182
; %bb.183:
	s_or_b32 exec_lo, exec_lo, s0
.LBB122_184:
	s_delay_alu instid0(SALU_CYCLE_1) | instskip(SKIP_4) | instid1(VALU_DEP_1)
	s_or_b32 exec_lo, exec_lo, s48
	v_mov_b32_e32 v124, 0
	ds_load_b64 v[124:125], v124 offset:320
	s_wait_dscnt 0x0
	v_pk_mul_f32 v[126:127], v[122:123], v[124:125] op_sel:[1,1] op_sel_hi:[0,1]
	v_pk_fma_f32 v[128:129], v[122:123], v[124:125], v[126:127] op_sel_hi:[1,0,1]
	v_pk_fma_f32 v[122:123], v[122:123], v[124:125], v[126:127] neg_lo:[0,0,1] neg_hi:[0,0,1]
	s_delay_alu instid0(VALU_DEP_2)
	v_mov_b32_e32 v123, v129
	scratch_store_b64 off, v[122:123], off offset:320
.LBB122_185:
	s_wait_xcnt 0x0
	s_or_b32 exec_lo, exec_lo, s47
	scratch_load_b64 v[122:123], off, off offset:312
	v_cmp_lt_u32_e64 s0, 39, v0
	s_wait_loadcnt 0x0
	ds_store_b64 v1, v[122:123]
	s_wait_storecnt_dscnt 0x0
	s_barrier_signal -1
	s_barrier_wait -1
	s_wait_xcnt 0x0
	s_and_saveexec_b32 s46, s0
	s_cbranch_execz .LBB122_195
; %bb.186:
	s_and_not1_b32 vcc_lo, exec_lo, s5
	s_cbranch_vccnz .LBB122_188
; %bb.187:
	scratch_load_b64 v[122:123], v59, off
	ds_load_b64 v[124:125], v1
	s_wait_loadcnt_dscnt 0x0
	v_pk_mul_f32 v[126:127], v[124:125], v[122:123] op_sel:[1,1] op_sel_hi:[0,1]
	s_delay_alu instid0(VALU_DEP_1) | instskip(SKIP_1) | instid1(VALU_DEP_2)
	v_pk_fma_f32 v[128:129], v[124:125], v[122:123], v[126:127] op_sel_hi:[1,0,1]
	v_pk_fma_f32 v[122:123], v[124:125], v[122:123], v[126:127] neg_lo:[0,0,1] neg_hi:[0,0,1]
	v_mov_b32_e32 v123, v129
	s_cbranch_execz .LBB122_189
	s_branch .LBB122_190
.LBB122_188:
                                        ; implicit-def: $vgpr122_vgpr123
.LBB122_189:
	ds_load_b64 v[122:123], v1
.LBB122_190:
	s_and_saveexec_b32 s47, s1
	s_cbranch_execz .LBB122_194
; %bb.191:
	v_subrev_nc_u32_e32 v124, 40, v0
	s_movk_i32 s48, 0x320
	s_mov_b32 s1, 0
.LBB122_192:                            ; =>This Inner Loop Header: Depth=1
	scratch_load_b64 v[126:127], off, s45
	v_dual_mov_b32 v125, s48 :: v_dual_add_nc_u32 v124, -1, v124
	s_add_co_i32 s48, s48, 8
	s_wait_xcnt 0x0
	s_add_co_i32 s45, s45, 8
	ds_load_b64 v[128:129], v125
	v_cmp_eq_u32_e32 vcc_lo, 0, v124
	s_or_b32 s1, vcc_lo, s1
	s_wait_loadcnt_dscnt 0x0
	v_pk_mul_f32 v[130:131], v[128:129], v[126:127] op_sel:[1,1] op_sel_hi:[0,1]
	s_delay_alu instid0(VALU_DEP_1) | instskip(SKIP_1) | instid1(VALU_DEP_2)
	v_pk_fma_f32 v[132:133], v[128:129], v[126:127], v[130:131] op_sel_hi:[1,0,1]
	v_pk_fma_f32 v[126:127], v[128:129], v[126:127], v[130:131] neg_lo:[0,0,1] neg_hi:[0,0,1]
	v_mov_b32_e32 v127, v133
	s_delay_alu instid0(VALU_DEP_1)
	v_pk_add_f32 v[122:123], v[122:123], v[126:127]
	s_and_not1_b32 exec_lo, exec_lo, s1
	s_cbranch_execnz .LBB122_192
; %bb.193:
	s_or_b32 exec_lo, exec_lo, s1
.LBB122_194:
	s_delay_alu instid0(SALU_CYCLE_1) | instskip(SKIP_4) | instid1(VALU_DEP_1)
	s_or_b32 exec_lo, exec_lo, s47
	v_mov_b32_e32 v124, 0
	ds_load_b64 v[124:125], v124 offset:312
	s_wait_dscnt 0x0
	v_pk_mul_f32 v[126:127], v[122:123], v[124:125] op_sel:[1,1] op_sel_hi:[0,1]
	v_pk_fma_f32 v[128:129], v[122:123], v[124:125], v[126:127] op_sel_hi:[1,0,1]
	v_pk_fma_f32 v[122:123], v[122:123], v[124:125], v[126:127] neg_lo:[0,0,1] neg_hi:[0,0,1]
	s_delay_alu instid0(VALU_DEP_2)
	v_mov_b32_e32 v123, v129
	scratch_store_b64 off, v[122:123], off offset:312
.LBB122_195:
	s_wait_xcnt 0x0
	s_or_b32 exec_lo, exec_lo, s46
	scratch_load_b64 v[122:123], off, off offset:304
	v_cmp_lt_u32_e64 s1, 38, v0
	s_wait_loadcnt 0x0
	ds_store_b64 v1, v[122:123]
	s_wait_storecnt_dscnt 0x0
	s_barrier_signal -1
	s_barrier_wait -1
	s_wait_xcnt 0x0
	s_and_saveexec_b32 s45, s1
	s_cbranch_execz .LBB122_205
; %bb.196:
	s_and_not1_b32 vcc_lo, exec_lo, s5
	s_cbranch_vccnz .LBB122_198
; %bb.197:
	scratch_load_b64 v[122:123], v59, off
	ds_load_b64 v[124:125], v1
	s_wait_loadcnt_dscnt 0x0
	v_pk_mul_f32 v[126:127], v[124:125], v[122:123] op_sel:[1,1] op_sel_hi:[0,1]
	s_delay_alu instid0(VALU_DEP_1) | instskip(SKIP_1) | instid1(VALU_DEP_2)
	v_pk_fma_f32 v[128:129], v[124:125], v[122:123], v[126:127] op_sel_hi:[1,0,1]
	v_pk_fma_f32 v[122:123], v[124:125], v[122:123], v[126:127] neg_lo:[0,0,1] neg_hi:[0,0,1]
	v_mov_b32_e32 v123, v129
	s_cbranch_execz .LBB122_199
	s_branch .LBB122_200
.LBB122_198:
                                        ; implicit-def: $vgpr122_vgpr123
.LBB122_199:
	ds_load_b64 v[122:123], v1
.LBB122_200:
	s_and_saveexec_b32 s46, s0
	s_cbranch_execz .LBB122_204
; %bb.201:
	v_subrev_nc_u32_e32 v124, 39, v0
	s_movk_i32 s47, 0x318
	s_mov_b32 s0, 0
.LBB122_202:                            ; =>This Inner Loop Header: Depth=1
	scratch_load_b64 v[126:127], off, s44
	v_dual_mov_b32 v125, s47 :: v_dual_add_nc_u32 v124, -1, v124
	s_add_co_i32 s47, s47, 8
	s_wait_xcnt 0x0
	s_add_co_i32 s44, s44, 8
	ds_load_b64 v[128:129], v125
	v_cmp_eq_u32_e32 vcc_lo, 0, v124
	s_or_b32 s0, vcc_lo, s0
	s_wait_loadcnt_dscnt 0x0
	v_pk_mul_f32 v[130:131], v[128:129], v[126:127] op_sel:[1,1] op_sel_hi:[0,1]
	s_delay_alu instid0(VALU_DEP_1) | instskip(SKIP_1) | instid1(VALU_DEP_2)
	v_pk_fma_f32 v[132:133], v[128:129], v[126:127], v[130:131] op_sel_hi:[1,0,1]
	v_pk_fma_f32 v[126:127], v[128:129], v[126:127], v[130:131] neg_lo:[0,0,1] neg_hi:[0,0,1]
	v_mov_b32_e32 v127, v133
	s_delay_alu instid0(VALU_DEP_1)
	v_pk_add_f32 v[122:123], v[122:123], v[126:127]
	s_and_not1_b32 exec_lo, exec_lo, s0
	s_cbranch_execnz .LBB122_202
; %bb.203:
	s_or_b32 exec_lo, exec_lo, s0
.LBB122_204:
	s_delay_alu instid0(SALU_CYCLE_1) | instskip(SKIP_4) | instid1(VALU_DEP_1)
	s_or_b32 exec_lo, exec_lo, s46
	v_mov_b32_e32 v124, 0
	ds_load_b64 v[124:125], v124 offset:304
	s_wait_dscnt 0x0
	v_pk_mul_f32 v[126:127], v[122:123], v[124:125] op_sel:[1,1] op_sel_hi:[0,1]
	v_pk_fma_f32 v[128:129], v[122:123], v[124:125], v[126:127] op_sel_hi:[1,0,1]
	v_pk_fma_f32 v[122:123], v[122:123], v[124:125], v[126:127] neg_lo:[0,0,1] neg_hi:[0,0,1]
	s_delay_alu instid0(VALU_DEP_2)
	v_mov_b32_e32 v123, v129
	scratch_store_b64 off, v[122:123], off offset:304
.LBB122_205:
	s_wait_xcnt 0x0
	s_or_b32 exec_lo, exec_lo, s45
	scratch_load_b64 v[122:123], off, off offset:296
	v_cmp_lt_u32_e64 s0, 37, v0
	s_wait_loadcnt 0x0
	ds_store_b64 v1, v[122:123]
	s_wait_storecnt_dscnt 0x0
	s_barrier_signal -1
	s_barrier_wait -1
	s_wait_xcnt 0x0
	s_and_saveexec_b32 s44, s0
	s_cbranch_execz .LBB122_215
; %bb.206:
	s_and_not1_b32 vcc_lo, exec_lo, s5
	s_cbranch_vccnz .LBB122_208
; %bb.207:
	scratch_load_b64 v[122:123], v59, off
	ds_load_b64 v[124:125], v1
	s_wait_loadcnt_dscnt 0x0
	v_pk_mul_f32 v[126:127], v[124:125], v[122:123] op_sel:[1,1] op_sel_hi:[0,1]
	s_delay_alu instid0(VALU_DEP_1) | instskip(SKIP_1) | instid1(VALU_DEP_2)
	v_pk_fma_f32 v[128:129], v[124:125], v[122:123], v[126:127] op_sel_hi:[1,0,1]
	v_pk_fma_f32 v[122:123], v[124:125], v[122:123], v[126:127] neg_lo:[0,0,1] neg_hi:[0,0,1]
	v_mov_b32_e32 v123, v129
	s_cbranch_execz .LBB122_209
	s_branch .LBB122_210
.LBB122_208:
                                        ; implicit-def: $vgpr122_vgpr123
.LBB122_209:
	ds_load_b64 v[122:123], v1
.LBB122_210:
	s_and_saveexec_b32 s45, s1
	s_cbranch_execz .LBB122_214
; %bb.211:
	v_subrev_nc_u32_e32 v124, 38, v0
	s_movk_i32 s46, 0x310
	s_mov_b32 s1, 0
.LBB122_212:                            ; =>This Inner Loop Header: Depth=1
	scratch_load_b64 v[126:127], off, s43
	v_dual_mov_b32 v125, s46 :: v_dual_add_nc_u32 v124, -1, v124
	s_add_co_i32 s46, s46, 8
	s_wait_xcnt 0x0
	s_add_co_i32 s43, s43, 8
	ds_load_b64 v[128:129], v125
	v_cmp_eq_u32_e32 vcc_lo, 0, v124
	s_or_b32 s1, vcc_lo, s1
	s_wait_loadcnt_dscnt 0x0
	v_pk_mul_f32 v[130:131], v[128:129], v[126:127] op_sel:[1,1] op_sel_hi:[0,1]
	s_delay_alu instid0(VALU_DEP_1) | instskip(SKIP_1) | instid1(VALU_DEP_2)
	v_pk_fma_f32 v[132:133], v[128:129], v[126:127], v[130:131] op_sel_hi:[1,0,1]
	v_pk_fma_f32 v[126:127], v[128:129], v[126:127], v[130:131] neg_lo:[0,0,1] neg_hi:[0,0,1]
	v_mov_b32_e32 v127, v133
	s_delay_alu instid0(VALU_DEP_1)
	v_pk_add_f32 v[122:123], v[122:123], v[126:127]
	s_and_not1_b32 exec_lo, exec_lo, s1
	s_cbranch_execnz .LBB122_212
; %bb.213:
	s_or_b32 exec_lo, exec_lo, s1
.LBB122_214:
	s_delay_alu instid0(SALU_CYCLE_1) | instskip(SKIP_4) | instid1(VALU_DEP_1)
	s_or_b32 exec_lo, exec_lo, s45
	v_mov_b32_e32 v124, 0
	ds_load_b64 v[124:125], v124 offset:296
	s_wait_dscnt 0x0
	v_pk_mul_f32 v[126:127], v[122:123], v[124:125] op_sel:[1,1] op_sel_hi:[0,1]
	v_pk_fma_f32 v[128:129], v[122:123], v[124:125], v[126:127] op_sel_hi:[1,0,1]
	v_pk_fma_f32 v[122:123], v[122:123], v[124:125], v[126:127] neg_lo:[0,0,1] neg_hi:[0,0,1]
	s_delay_alu instid0(VALU_DEP_2)
	v_mov_b32_e32 v123, v129
	scratch_store_b64 off, v[122:123], off offset:296
.LBB122_215:
	s_wait_xcnt 0x0
	s_or_b32 exec_lo, exec_lo, s44
	scratch_load_b64 v[122:123], off, off offset:288
	v_cmp_lt_u32_e64 s1, 36, v0
	s_wait_loadcnt 0x0
	ds_store_b64 v1, v[122:123]
	s_wait_storecnt_dscnt 0x0
	s_barrier_signal -1
	s_barrier_wait -1
	s_wait_xcnt 0x0
	s_and_saveexec_b32 s43, s1
	s_cbranch_execz .LBB122_225
; %bb.216:
	s_and_not1_b32 vcc_lo, exec_lo, s5
	s_cbranch_vccnz .LBB122_218
; %bb.217:
	scratch_load_b64 v[122:123], v59, off
	ds_load_b64 v[124:125], v1
	s_wait_loadcnt_dscnt 0x0
	v_pk_mul_f32 v[126:127], v[124:125], v[122:123] op_sel:[1,1] op_sel_hi:[0,1]
	s_delay_alu instid0(VALU_DEP_1) | instskip(SKIP_1) | instid1(VALU_DEP_2)
	v_pk_fma_f32 v[128:129], v[124:125], v[122:123], v[126:127] op_sel_hi:[1,0,1]
	v_pk_fma_f32 v[122:123], v[124:125], v[122:123], v[126:127] neg_lo:[0,0,1] neg_hi:[0,0,1]
	v_mov_b32_e32 v123, v129
	s_cbranch_execz .LBB122_219
	s_branch .LBB122_220
.LBB122_218:
                                        ; implicit-def: $vgpr122_vgpr123
.LBB122_219:
	ds_load_b64 v[122:123], v1
.LBB122_220:
	s_and_saveexec_b32 s44, s0
	s_cbranch_execz .LBB122_224
; %bb.221:
	v_subrev_nc_u32_e32 v124, 37, v0
	s_movk_i32 s45, 0x308
	s_mov_b32 s0, 0
.LBB122_222:                            ; =>This Inner Loop Header: Depth=1
	scratch_load_b64 v[126:127], off, s42
	v_dual_mov_b32 v125, s45 :: v_dual_add_nc_u32 v124, -1, v124
	s_add_co_i32 s45, s45, 8
	s_wait_xcnt 0x0
	s_add_co_i32 s42, s42, 8
	ds_load_b64 v[128:129], v125
	v_cmp_eq_u32_e32 vcc_lo, 0, v124
	s_or_b32 s0, vcc_lo, s0
	s_wait_loadcnt_dscnt 0x0
	v_pk_mul_f32 v[130:131], v[128:129], v[126:127] op_sel:[1,1] op_sel_hi:[0,1]
	s_delay_alu instid0(VALU_DEP_1) | instskip(SKIP_1) | instid1(VALU_DEP_2)
	v_pk_fma_f32 v[132:133], v[128:129], v[126:127], v[130:131] op_sel_hi:[1,0,1]
	v_pk_fma_f32 v[126:127], v[128:129], v[126:127], v[130:131] neg_lo:[0,0,1] neg_hi:[0,0,1]
	v_mov_b32_e32 v127, v133
	s_delay_alu instid0(VALU_DEP_1)
	v_pk_add_f32 v[122:123], v[122:123], v[126:127]
	s_and_not1_b32 exec_lo, exec_lo, s0
	s_cbranch_execnz .LBB122_222
; %bb.223:
	s_or_b32 exec_lo, exec_lo, s0
.LBB122_224:
	s_delay_alu instid0(SALU_CYCLE_1) | instskip(SKIP_4) | instid1(VALU_DEP_1)
	s_or_b32 exec_lo, exec_lo, s44
	v_mov_b32_e32 v124, 0
	ds_load_b64 v[124:125], v124 offset:288
	s_wait_dscnt 0x0
	v_pk_mul_f32 v[126:127], v[122:123], v[124:125] op_sel:[1,1] op_sel_hi:[0,1]
	v_pk_fma_f32 v[128:129], v[122:123], v[124:125], v[126:127] op_sel_hi:[1,0,1]
	v_pk_fma_f32 v[122:123], v[122:123], v[124:125], v[126:127] neg_lo:[0,0,1] neg_hi:[0,0,1]
	s_delay_alu instid0(VALU_DEP_2)
	v_mov_b32_e32 v123, v129
	scratch_store_b64 off, v[122:123], off offset:288
.LBB122_225:
	s_wait_xcnt 0x0
	s_or_b32 exec_lo, exec_lo, s43
	scratch_load_b64 v[122:123], off, off offset:280
	v_cmp_lt_u32_e64 s0, 35, v0
	s_wait_loadcnt 0x0
	ds_store_b64 v1, v[122:123]
	s_wait_storecnt_dscnt 0x0
	s_barrier_signal -1
	s_barrier_wait -1
	s_wait_xcnt 0x0
	s_and_saveexec_b32 s42, s0
	s_cbranch_execz .LBB122_235
; %bb.226:
	s_and_not1_b32 vcc_lo, exec_lo, s5
	s_cbranch_vccnz .LBB122_228
; %bb.227:
	scratch_load_b64 v[122:123], v59, off
	ds_load_b64 v[124:125], v1
	s_wait_loadcnt_dscnt 0x0
	v_pk_mul_f32 v[126:127], v[124:125], v[122:123] op_sel:[1,1] op_sel_hi:[0,1]
	s_delay_alu instid0(VALU_DEP_1) | instskip(SKIP_1) | instid1(VALU_DEP_2)
	v_pk_fma_f32 v[128:129], v[124:125], v[122:123], v[126:127] op_sel_hi:[1,0,1]
	v_pk_fma_f32 v[122:123], v[124:125], v[122:123], v[126:127] neg_lo:[0,0,1] neg_hi:[0,0,1]
	v_mov_b32_e32 v123, v129
	s_cbranch_execz .LBB122_229
	s_branch .LBB122_230
.LBB122_228:
                                        ; implicit-def: $vgpr122_vgpr123
.LBB122_229:
	ds_load_b64 v[122:123], v1
.LBB122_230:
	s_and_saveexec_b32 s43, s1
	s_cbranch_execz .LBB122_234
; %bb.231:
	v_subrev_nc_u32_e32 v124, 36, v0
	s_movk_i32 s44, 0x300
	s_mov_b32 s1, 0
.LBB122_232:                            ; =>This Inner Loop Header: Depth=1
	scratch_load_b64 v[126:127], off, s41
	v_dual_mov_b32 v125, s44 :: v_dual_add_nc_u32 v124, -1, v124
	s_add_co_i32 s44, s44, 8
	s_wait_xcnt 0x0
	s_add_co_i32 s41, s41, 8
	ds_load_b64 v[128:129], v125
	v_cmp_eq_u32_e32 vcc_lo, 0, v124
	s_or_b32 s1, vcc_lo, s1
	s_wait_loadcnt_dscnt 0x0
	v_pk_mul_f32 v[130:131], v[128:129], v[126:127] op_sel:[1,1] op_sel_hi:[0,1]
	s_delay_alu instid0(VALU_DEP_1) | instskip(SKIP_1) | instid1(VALU_DEP_2)
	v_pk_fma_f32 v[132:133], v[128:129], v[126:127], v[130:131] op_sel_hi:[1,0,1]
	v_pk_fma_f32 v[126:127], v[128:129], v[126:127], v[130:131] neg_lo:[0,0,1] neg_hi:[0,0,1]
	v_mov_b32_e32 v127, v133
	s_delay_alu instid0(VALU_DEP_1)
	v_pk_add_f32 v[122:123], v[122:123], v[126:127]
	s_and_not1_b32 exec_lo, exec_lo, s1
	s_cbranch_execnz .LBB122_232
; %bb.233:
	s_or_b32 exec_lo, exec_lo, s1
.LBB122_234:
	s_delay_alu instid0(SALU_CYCLE_1) | instskip(SKIP_4) | instid1(VALU_DEP_1)
	s_or_b32 exec_lo, exec_lo, s43
	v_mov_b32_e32 v124, 0
	ds_load_b64 v[124:125], v124 offset:280
	s_wait_dscnt 0x0
	v_pk_mul_f32 v[126:127], v[122:123], v[124:125] op_sel:[1,1] op_sel_hi:[0,1]
	v_pk_fma_f32 v[128:129], v[122:123], v[124:125], v[126:127] op_sel_hi:[1,0,1]
	v_pk_fma_f32 v[122:123], v[122:123], v[124:125], v[126:127] neg_lo:[0,0,1] neg_hi:[0,0,1]
	s_delay_alu instid0(VALU_DEP_2)
	v_mov_b32_e32 v123, v129
	scratch_store_b64 off, v[122:123], off offset:280
.LBB122_235:
	s_wait_xcnt 0x0
	s_or_b32 exec_lo, exec_lo, s42
	scratch_load_b64 v[122:123], off, off offset:272
	v_cmp_lt_u32_e64 s1, 34, v0
	s_wait_loadcnt 0x0
	ds_store_b64 v1, v[122:123]
	s_wait_storecnt_dscnt 0x0
	s_barrier_signal -1
	s_barrier_wait -1
	s_wait_xcnt 0x0
	s_and_saveexec_b32 s41, s1
	s_cbranch_execz .LBB122_245
; %bb.236:
	s_and_not1_b32 vcc_lo, exec_lo, s5
	s_cbranch_vccnz .LBB122_238
; %bb.237:
	scratch_load_b64 v[122:123], v59, off
	ds_load_b64 v[124:125], v1
	s_wait_loadcnt_dscnt 0x0
	v_pk_mul_f32 v[126:127], v[124:125], v[122:123] op_sel:[1,1] op_sel_hi:[0,1]
	s_delay_alu instid0(VALU_DEP_1) | instskip(SKIP_1) | instid1(VALU_DEP_2)
	v_pk_fma_f32 v[128:129], v[124:125], v[122:123], v[126:127] op_sel_hi:[1,0,1]
	v_pk_fma_f32 v[122:123], v[124:125], v[122:123], v[126:127] neg_lo:[0,0,1] neg_hi:[0,0,1]
	v_mov_b32_e32 v123, v129
	s_cbranch_execz .LBB122_239
	s_branch .LBB122_240
.LBB122_238:
                                        ; implicit-def: $vgpr122_vgpr123
.LBB122_239:
	ds_load_b64 v[122:123], v1
.LBB122_240:
	s_and_saveexec_b32 s42, s0
	s_cbranch_execz .LBB122_244
; %bb.241:
	v_subrev_nc_u32_e32 v124, 35, v0
	s_movk_i32 s43, 0x2f8
	s_mov_b32 s0, 0
.LBB122_242:                            ; =>This Inner Loop Header: Depth=1
	scratch_load_b64 v[126:127], off, s40
	v_dual_mov_b32 v125, s43 :: v_dual_add_nc_u32 v124, -1, v124
	s_add_co_i32 s43, s43, 8
	s_wait_xcnt 0x0
	s_add_co_i32 s40, s40, 8
	ds_load_b64 v[128:129], v125
	v_cmp_eq_u32_e32 vcc_lo, 0, v124
	s_or_b32 s0, vcc_lo, s0
	s_wait_loadcnt_dscnt 0x0
	v_pk_mul_f32 v[130:131], v[128:129], v[126:127] op_sel:[1,1] op_sel_hi:[0,1]
	s_delay_alu instid0(VALU_DEP_1) | instskip(SKIP_1) | instid1(VALU_DEP_2)
	v_pk_fma_f32 v[132:133], v[128:129], v[126:127], v[130:131] op_sel_hi:[1,0,1]
	v_pk_fma_f32 v[126:127], v[128:129], v[126:127], v[130:131] neg_lo:[0,0,1] neg_hi:[0,0,1]
	v_mov_b32_e32 v127, v133
	s_delay_alu instid0(VALU_DEP_1)
	v_pk_add_f32 v[122:123], v[122:123], v[126:127]
	s_and_not1_b32 exec_lo, exec_lo, s0
	s_cbranch_execnz .LBB122_242
; %bb.243:
	s_or_b32 exec_lo, exec_lo, s0
.LBB122_244:
	s_delay_alu instid0(SALU_CYCLE_1) | instskip(SKIP_4) | instid1(VALU_DEP_1)
	s_or_b32 exec_lo, exec_lo, s42
	v_mov_b32_e32 v124, 0
	ds_load_b64 v[124:125], v124 offset:272
	s_wait_dscnt 0x0
	v_pk_mul_f32 v[126:127], v[122:123], v[124:125] op_sel:[1,1] op_sel_hi:[0,1]
	v_pk_fma_f32 v[128:129], v[122:123], v[124:125], v[126:127] op_sel_hi:[1,0,1]
	v_pk_fma_f32 v[122:123], v[122:123], v[124:125], v[126:127] neg_lo:[0,0,1] neg_hi:[0,0,1]
	s_delay_alu instid0(VALU_DEP_2)
	v_mov_b32_e32 v123, v129
	scratch_store_b64 off, v[122:123], off offset:272
.LBB122_245:
	s_wait_xcnt 0x0
	s_or_b32 exec_lo, exec_lo, s41
	scratch_load_b64 v[122:123], off, off offset:264
	v_cmp_lt_u32_e64 s0, 33, v0
	s_wait_loadcnt 0x0
	ds_store_b64 v1, v[122:123]
	s_wait_storecnt_dscnt 0x0
	s_barrier_signal -1
	s_barrier_wait -1
	s_wait_xcnt 0x0
	s_and_saveexec_b32 s40, s0
	s_cbranch_execz .LBB122_255
; %bb.246:
	s_and_not1_b32 vcc_lo, exec_lo, s5
	s_cbranch_vccnz .LBB122_248
; %bb.247:
	scratch_load_b64 v[122:123], v59, off
	ds_load_b64 v[124:125], v1
	s_wait_loadcnt_dscnt 0x0
	v_pk_mul_f32 v[126:127], v[124:125], v[122:123] op_sel:[1,1] op_sel_hi:[0,1]
	s_delay_alu instid0(VALU_DEP_1) | instskip(SKIP_1) | instid1(VALU_DEP_2)
	v_pk_fma_f32 v[128:129], v[124:125], v[122:123], v[126:127] op_sel_hi:[1,0,1]
	v_pk_fma_f32 v[122:123], v[124:125], v[122:123], v[126:127] neg_lo:[0,0,1] neg_hi:[0,0,1]
	v_mov_b32_e32 v123, v129
	s_cbranch_execz .LBB122_249
	s_branch .LBB122_250
.LBB122_248:
                                        ; implicit-def: $vgpr122_vgpr123
.LBB122_249:
	ds_load_b64 v[122:123], v1
.LBB122_250:
	s_and_saveexec_b32 s41, s1
	s_cbranch_execz .LBB122_254
; %bb.251:
	v_subrev_nc_u32_e32 v124, 34, v0
	s_movk_i32 s42, 0x2f0
	s_mov_b32 s1, 0
.LBB122_252:                            ; =>This Inner Loop Header: Depth=1
	scratch_load_b64 v[126:127], off, s39
	v_dual_mov_b32 v125, s42 :: v_dual_add_nc_u32 v124, -1, v124
	s_add_co_i32 s42, s42, 8
	s_wait_xcnt 0x0
	s_add_co_i32 s39, s39, 8
	ds_load_b64 v[128:129], v125
	v_cmp_eq_u32_e32 vcc_lo, 0, v124
	s_or_b32 s1, vcc_lo, s1
	s_wait_loadcnt_dscnt 0x0
	v_pk_mul_f32 v[130:131], v[128:129], v[126:127] op_sel:[1,1] op_sel_hi:[0,1]
	s_delay_alu instid0(VALU_DEP_1) | instskip(SKIP_1) | instid1(VALU_DEP_2)
	v_pk_fma_f32 v[132:133], v[128:129], v[126:127], v[130:131] op_sel_hi:[1,0,1]
	v_pk_fma_f32 v[126:127], v[128:129], v[126:127], v[130:131] neg_lo:[0,0,1] neg_hi:[0,0,1]
	v_mov_b32_e32 v127, v133
	s_delay_alu instid0(VALU_DEP_1)
	v_pk_add_f32 v[122:123], v[122:123], v[126:127]
	s_and_not1_b32 exec_lo, exec_lo, s1
	s_cbranch_execnz .LBB122_252
; %bb.253:
	s_or_b32 exec_lo, exec_lo, s1
.LBB122_254:
	s_delay_alu instid0(SALU_CYCLE_1) | instskip(SKIP_4) | instid1(VALU_DEP_1)
	s_or_b32 exec_lo, exec_lo, s41
	v_mov_b32_e32 v124, 0
	ds_load_b64 v[124:125], v124 offset:264
	s_wait_dscnt 0x0
	v_pk_mul_f32 v[126:127], v[122:123], v[124:125] op_sel:[1,1] op_sel_hi:[0,1]
	v_pk_fma_f32 v[128:129], v[122:123], v[124:125], v[126:127] op_sel_hi:[1,0,1]
	v_pk_fma_f32 v[122:123], v[122:123], v[124:125], v[126:127] neg_lo:[0,0,1] neg_hi:[0,0,1]
	s_delay_alu instid0(VALU_DEP_2)
	v_mov_b32_e32 v123, v129
	scratch_store_b64 off, v[122:123], off offset:264
.LBB122_255:
	s_wait_xcnt 0x0
	s_or_b32 exec_lo, exec_lo, s40
	scratch_load_b64 v[122:123], off, off offset:256
	v_cmp_lt_u32_e64 s1, 32, v0
	s_wait_loadcnt 0x0
	ds_store_b64 v1, v[122:123]
	s_wait_storecnt_dscnt 0x0
	s_barrier_signal -1
	s_barrier_wait -1
	s_wait_xcnt 0x0
	s_and_saveexec_b32 s39, s1
	s_cbranch_execz .LBB122_265
; %bb.256:
	s_and_not1_b32 vcc_lo, exec_lo, s5
	s_cbranch_vccnz .LBB122_258
; %bb.257:
	scratch_load_b64 v[122:123], v59, off
	ds_load_b64 v[124:125], v1
	s_wait_loadcnt_dscnt 0x0
	v_pk_mul_f32 v[126:127], v[124:125], v[122:123] op_sel:[1,1] op_sel_hi:[0,1]
	s_delay_alu instid0(VALU_DEP_1) | instskip(SKIP_1) | instid1(VALU_DEP_2)
	v_pk_fma_f32 v[128:129], v[124:125], v[122:123], v[126:127] op_sel_hi:[1,0,1]
	v_pk_fma_f32 v[122:123], v[124:125], v[122:123], v[126:127] neg_lo:[0,0,1] neg_hi:[0,0,1]
	v_mov_b32_e32 v123, v129
	s_cbranch_execz .LBB122_259
	s_branch .LBB122_260
.LBB122_258:
                                        ; implicit-def: $vgpr122_vgpr123
.LBB122_259:
	ds_load_b64 v[122:123], v1
.LBB122_260:
	s_and_saveexec_b32 s40, s0
	s_cbranch_execz .LBB122_264
; %bb.261:
	v_subrev_nc_u32_e32 v124, 33, v0
	s_movk_i32 s41, 0x2e8
	s_mov_b32 s0, 0
.LBB122_262:                            ; =>This Inner Loop Header: Depth=1
	scratch_load_b64 v[126:127], off, s38
	v_dual_mov_b32 v125, s41 :: v_dual_add_nc_u32 v124, -1, v124
	s_add_co_i32 s41, s41, 8
	s_wait_xcnt 0x0
	s_add_co_i32 s38, s38, 8
	ds_load_b64 v[128:129], v125
	v_cmp_eq_u32_e32 vcc_lo, 0, v124
	s_or_b32 s0, vcc_lo, s0
	s_wait_loadcnt_dscnt 0x0
	v_pk_mul_f32 v[130:131], v[128:129], v[126:127] op_sel:[1,1] op_sel_hi:[0,1]
	s_delay_alu instid0(VALU_DEP_1) | instskip(SKIP_1) | instid1(VALU_DEP_2)
	v_pk_fma_f32 v[132:133], v[128:129], v[126:127], v[130:131] op_sel_hi:[1,0,1]
	v_pk_fma_f32 v[126:127], v[128:129], v[126:127], v[130:131] neg_lo:[0,0,1] neg_hi:[0,0,1]
	v_mov_b32_e32 v127, v133
	s_delay_alu instid0(VALU_DEP_1)
	v_pk_add_f32 v[122:123], v[122:123], v[126:127]
	s_and_not1_b32 exec_lo, exec_lo, s0
	s_cbranch_execnz .LBB122_262
; %bb.263:
	s_or_b32 exec_lo, exec_lo, s0
.LBB122_264:
	s_delay_alu instid0(SALU_CYCLE_1) | instskip(SKIP_4) | instid1(VALU_DEP_1)
	s_or_b32 exec_lo, exec_lo, s40
	v_mov_b32_e32 v124, 0
	ds_load_b64 v[124:125], v124 offset:256
	s_wait_dscnt 0x0
	v_pk_mul_f32 v[126:127], v[122:123], v[124:125] op_sel:[1,1] op_sel_hi:[0,1]
	v_pk_fma_f32 v[128:129], v[122:123], v[124:125], v[126:127] op_sel_hi:[1,0,1]
	v_pk_fma_f32 v[122:123], v[122:123], v[124:125], v[126:127] neg_lo:[0,0,1] neg_hi:[0,0,1]
	s_delay_alu instid0(VALU_DEP_2)
	v_mov_b32_e32 v123, v129
	scratch_store_b64 off, v[122:123], off offset:256
.LBB122_265:
	s_wait_xcnt 0x0
	s_or_b32 exec_lo, exec_lo, s39
	scratch_load_b64 v[122:123], off, off offset:248
	v_cmp_lt_u32_e64 s0, 31, v0
	s_wait_loadcnt 0x0
	ds_store_b64 v1, v[122:123]
	s_wait_storecnt_dscnt 0x0
	s_barrier_signal -1
	s_barrier_wait -1
	s_wait_xcnt 0x0
	s_and_saveexec_b32 s38, s0
	s_cbranch_execz .LBB122_275
; %bb.266:
	s_and_not1_b32 vcc_lo, exec_lo, s5
	s_cbranch_vccnz .LBB122_268
; %bb.267:
	scratch_load_b64 v[122:123], v59, off
	ds_load_b64 v[124:125], v1
	s_wait_loadcnt_dscnt 0x0
	v_pk_mul_f32 v[126:127], v[124:125], v[122:123] op_sel:[1,1] op_sel_hi:[0,1]
	s_delay_alu instid0(VALU_DEP_1) | instskip(SKIP_1) | instid1(VALU_DEP_2)
	v_pk_fma_f32 v[128:129], v[124:125], v[122:123], v[126:127] op_sel_hi:[1,0,1]
	v_pk_fma_f32 v[122:123], v[124:125], v[122:123], v[126:127] neg_lo:[0,0,1] neg_hi:[0,0,1]
	v_mov_b32_e32 v123, v129
	s_cbranch_execz .LBB122_269
	s_branch .LBB122_270
.LBB122_268:
                                        ; implicit-def: $vgpr122_vgpr123
.LBB122_269:
	ds_load_b64 v[122:123], v1
.LBB122_270:
	s_and_saveexec_b32 s39, s1
	s_cbranch_execz .LBB122_274
; %bb.271:
	v_subrev_nc_u32_e32 v124, 32, v0
	s_movk_i32 s40, 0x2e0
	s_mov_b32 s1, 0
.LBB122_272:                            ; =>This Inner Loop Header: Depth=1
	scratch_load_b64 v[126:127], off, s37
	v_dual_mov_b32 v125, s40 :: v_dual_add_nc_u32 v124, -1, v124
	s_add_co_i32 s40, s40, 8
	s_wait_xcnt 0x0
	s_add_co_i32 s37, s37, 8
	ds_load_b64 v[128:129], v125
	v_cmp_eq_u32_e32 vcc_lo, 0, v124
	s_or_b32 s1, vcc_lo, s1
	s_wait_loadcnt_dscnt 0x0
	v_pk_mul_f32 v[130:131], v[128:129], v[126:127] op_sel:[1,1] op_sel_hi:[0,1]
	s_delay_alu instid0(VALU_DEP_1) | instskip(SKIP_1) | instid1(VALU_DEP_2)
	v_pk_fma_f32 v[132:133], v[128:129], v[126:127], v[130:131] op_sel_hi:[1,0,1]
	v_pk_fma_f32 v[126:127], v[128:129], v[126:127], v[130:131] neg_lo:[0,0,1] neg_hi:[0,0,1]
	v_mov_b32_e32 v127, v133
	s_delay_alu instid0(VALU_DEP_1)
	v_pk_add_f32 v[122:123], v[122:123], v[126:127]
	s_and_not1_b32 exec_lo, exec_lo, s1
	s_cbranch_execnz .LBB122_272
; %bb.273:
	s_or_b32 exec_lo, exec_lo, s1
.LBB122_274:
	s_delay_alu instid0(SALU_CYCLE_1) | instskip(SKIP_4) | instid1(VALU_DEP_1)
	s_or_b32 exec_lo, exec_lo, s39
	v_mov_b32_e32 v124, 0
	ds_load_b64 v[124:125], v124 offset:248
	s_wait_dscnt 0x0
	v_pk_mul_f32 v[126:127], v[122:123], v[124:125] op_sel:[1,1] op_sel_hi:[0,1]
	v_pk_fma_f32 v[128:129], v[122:123], v[124:125], v[126:127] op_sel_hi:[1,0,1]
	v_pk_fma_f32 v[122:123], v[122:123], v[124:125], v[126:127] neg_lo:[0,0,1] neg_hi:[0,0,1]
	s_delay_alu instid0(VALU_DEP_2)
	v_mov_b32_e32 v123, v129
	scratch_store_b64 off, v[122:123], off offset:248
.LBB122_275:
	s_wait_xcnt 0x0
	s_or_b32 exec_lo, exec_lo, s38
	scratch_load_b64 v[122:123], off, off offset:240
	v_cmp_lt_u32_e64 s1, 30, v0
	s_wait_loadcnt 0x0
	ds_store_b64 v1, v[122:123]
	s_wait_storecnt_dscnt 0x0
	s_barrier_signal -1
	s_barrier_wait -1
	s_wait_xcnt 0x0
	s_and_saveexec_b32 s37, s1
	s_cbranch_execz .LBB122_285
; %bb.276:
	s_and_not1_b32 vcc_lo, exec_lo, s5
	s_cbranch_vccnz .LBB122_278
; %bb.277:
	scratch_load_b64 v[122:123], v59, off
	ds_load_b64 v[124:125], v1
	s_wait_loadcnt_dscnt 0x0
	v_pk_mul_f32 v[126:127], v[124:125], v[122:123] op_sel:[1,1] op_sel_hi:[0,1]
	s_delay_alu instid0(VALU_DEP_1) | instskip(SKIP_1) | instid1(VALU_DEP_2)
	v_pk_fma_f32 v[128:129], v[124:125], v[122:123], v[126:127] op_sel_hi:[1,0,1]
	v_pk_fma_f32 v[122:123], v[124:125], v[122:123], v[126:127] neg_lo:[0,0,1] neg_hi:[0,0,1]
	v_mov_b32_e32 v123, v129
	s_cbranch_execz .LBB122_279
	s_branch .LBB122_280
.LBB122_278:
                                        ; implicit-def: $vgpr122_vgpr123
.LBB122_279:
	ds_load_b64 v[122:123], v1
.LBB122_280:
	s_and_saveexec_b32 s38, s0
	s_cbranch_execz .LBB122_284
; %bb.281:
	v_subrev_nc_u32_e32 v124, 31, v0
	s_movk_i32 s39, 0x2d8
	s_mov_b32 s0, 0
.LBB122_282:                            ; =>This Inner Loop Header: Depth=1
	scratch_load_b64 v[126:127], off, s36
	v_dual_mov_b32 v125, s39 :: v_dual_add_nc_u32 v124, -1, v124
	s_add_co_i32 s39, s39, 8
	s_wait_xcnt 0x0
	s_add_co_i32 s36, s36, 8
	ds_load_b64 v[128:129], v125
	v_cmp_eq_u32_e32 vcc_lo, 0, v124
	s_or_b32 s0, vcc_lo, s0
	s_wait_loadcnt_dscnt 0x0
	v_pk_mul_f32 v[130:131], v[128:129], v[126:127] op_sel:[1,1] op_sel_hi:[0,1]
	s_delay_alu instid0(VALU_DEP_1) | instskip(SKIP_1) | instid1(VALU_DEP_2)
	v_pk_fma_f32 v[132:133], v[128:129], v[126:127], v[130:131] op_sel_hi:[1,0,1]
	v_pk_fma_f32 v[126:127], v[128:129], v[126:127], v[130:131] neg_lo:[0,0,1] neg_hi:[0,0,1]
	v_mov_b32_e32 v127, v133
	s_delay_alu instid0(VALU_DEP_1)
	v_pk_add_f32 v[122:123], v[122:123], v[126:127]
	s_and_not1_b32 exec_lo, exec_lo, s0
	s_cbranch_execnz .LBB122_282
; %bb.283:
	s_or_b32 exec_lo, exec_lo, s0
.LBB122_284:
	s_delay_alu instid0(SALU_CYCLE_1) | instskip(SKIP_4) | instid1(VALU_DEP_1)
	s_or_b32 exec_lo, exec_lo, s38
	v_mov_b32_e32 v124, 0
	ds_load_b64 v[124:125], v124 offset:240
	s_wait_dscnt 0x0
	v_pk_mul_f32 v[126:127], v[122:123], v[124:125] op_sel:[1,1] op_sel_hi:[0,1]
	v_pk_fma_f32 v[128:129], v[122:123], v[124:125], v[126:127] op_sel_hi:[1,0,1]
	v_pk_fma_f32 v[122:123], v[122:123], v[124:125], v[126:127] neg_lo:[0,0,1] neg_hi:[0,0,1]
	s_delay_alu instid0(VALU_DEP_2)
	v_mov_b32_e32 v123, v129
	scratch_store_b64 off, v[122:123], off offset:240
.LBB122_285:
	s_wait_xcnt 0x0
	s_or_b32 exec_lo, exec_lo, s37
	scratch_load_b64 v[122:123], off, off offset:232
	v_cmp_lt_u32_e64 s0, 29, v0
	s_wait_loadcnt 0x0
	ds_store_b64 v1, v[122:123]
	s_wait_storecnt_dscnt 0x0
	s_barrier_signal -1
	s_barrier_wait -1
	s_wait_xcnt 0x0
	s_and_saveexec_b32 s36, s0
	s_cbranch_execz .LBB122_295
; %bb.286:
	s_and_not1_b32 vcc_lo, exec_lo, s5
	s_cbranch_vccnz .LBB122_288
; %bb.287:
	scratch_load_b64 v[122:123], v59, off
	ds_load_b64 v[124:125], v1
	s_wait_loadcnt_dscnt 0x0
	v_pk_mul_f32 v[126:127], v[124:125], v[122:123] op_sel:[1,1] op_sel_hi:[0,1]
	s_delay_alu instid0(VALU_DEP_1) | instskip(SKIP_1) | instid1(VALU_DEP_2)
	v_pk_fma_f32 v[128:129], v[124:125], v[122:123], v[126:127] op_sel_hi:[1,0,1]
	v_pk_fma_f32 v[122:123], v[124:125], v[122:123], v[126:127] neg_lo:[0,0,1] neg_hi:[0,0,1]
	v_mov_b32_e32 v123, v129
	s_cbranch_execz .LBB122_289
	s_branch .LBB122_290
.LBB122_288:
                                        ; implicit-def: $vgpr122_vgpr123
.LBB122_289:
	ds_load_b64 v[122:123], v1
.LBB122_290:
	s_and_saveexec_b32 s37, s1
	s_cbranch_execz .LBB122_294
; %bb.291:
	v_subrev_nc_u32_e32 v124, 30, v0
	s_movk_i32 s38, 0x2d0
	s_mov_b32 s1, 0
.LBB122_292:                            ; =>This Inner Loop Header: Depth=1
	scratch_load_b64 v[126:127], off, s35
	v_dual_mov_b32 v125, s38 :: v_dual_add_nc_u32 v124, -1, v124
	s_add_co_i32 s38, s38, 8
	s_wait_xcnt 0x0
	s_add_co_i32 s35, s35, 8
	ds_load_b64 v[128:129], v125
	v_cmp_eq_u32_e32 vcc_lo, 0, v124
	s_or_b32 s1, vcc_lo, s1
	s_wait_loadcnt_dscnt 0x0
	v_pk_mul_f32 v[130:131], v[128:129], v[126:127] op_sel:[1,1] op_sel_hi:[0,1]
	s_delay_alu instid0(VALU_DEP_1) | instskip(SKIP_1) | instid1(VALU_DEP_2)
	v_pk_fma_f32 v[132:133], v[128:129], v[126:127], v[130:131] op_sel_hi:[1,0,1]
	v_pk_fma_f32 v[126:127], v[128:129], v[126:127], v[130:131] neg_lo:[0,0,1] neg_hi:[0,0,1]
	v_mov_b32_e32 v127, v133
	s_delay_alu instid0(VALU_DEP_1)
	v_pk_add_f32 v[122:123], v[122:123], v[126:127]
	s_and_not1_b32 exec_lo, exec_lo, s1
	s_cbranch_execnz .LBB122_292
; %bb.293:
	s_or_b32 exec_lo, exec_lo, s1
.LBB122_294:
	s_delay_alu instid0(SALU_CYCLE_1) | instskip(SKIP_4) | instid1(VALU_DEP_1)
	s_or_b32 exec_lo, exec_lo, s37
	v_mov_b32_e32 v124, 0
	ds_load_b64 v[124:125], v124 offset:232
	s_wait_dscnt 0x0
	v_pk_mul_f32 v[126:127], v[122:123], v[124:125] op_sel:[1,1] op_sel_hi:[0,1]
	v_pk_fma_f32 v[128:129], v[122:123], v[124:125], v[126:127] op_sel_hi:[1,0,1]
	v_pk_fma_f32 v[122:123], v[122:123], v[124:125], v[126:127] neg_lo:[0,0,1] neg_hi:[0,0,1]
	s_delay_alu instid0(VALU_DEP_2)
	v_mov_b32_e32 v123, v129
	scratch_store_b64 off, v[122:123], off offset:232
.LBB122_295:
	s_wait_xcnt 0x0
	s_or_b32 exec_lo, exec_lo, s36
	scratch_load_b64 v[122:123], off, off offset:224
	v_cmp_lt_u32_e64 s1, 28, v0
	s_wait_loadcnt 0x0
	ds_store_b64 v1, v[122:123]
	s_wait_storecnt_dscnt 0x0
	s_barrier_signal -1
	s_barrier_wait -1
	s_wait_xcnt 0x0
	s_and_saveexec_b32 s35, s1
	s_cbranch_execz .LBB122_305
; %bb.296:
	s_and_not1_b32 vcc_lo, exec_lo, s5
	s_cbranch_vccnz .LBB122_298
; %bb.297:
	scratch_load_b64 v[122:123], v59, off
	ds_load_b64 v[124:125], v1
	s_wait_loadcnt_dscnt 0x0
	v_pk_mul_f32 v[126:127], v[124:125], v[122:123] op_sel:[1,1] op_sel_hi:[0,1]
	s_delay_alu instid0(VALU_DEP_1) | instskip(SKIP_1) | instid1(VALU_DEP_2)
	v_pk_fma_f32 v[128:129], v[124:125], v[122:123], v[126:127] op_sel_hi:[1,0,1]
	v_pk_fma_f32 v[122:123], v[124:125], v[122:123], v[126:127] neg_lo:[0,0,1] neg_hi:[0,0,1]
	v_mov_b32_e32 v123, v129
	s_cbranch_execz .LBB122_299
	s_branch .LBB122_300
.LBB122_298:
                                        ; implicit-def: $vgpr122_vgpr123
.LBB122_299:
	ds_load_b64 v[122:123], v1
.LBB122_300:
	s_and_saveexec_b32 s36, s0
	s_cbranch_execz .LBB122_304
; %bb.301:
	v_subrev_nc_u32_e32 v124, 29, v0
	s_movk_i32 s37, 0x2c8
	s_mov_b32 s0, 0
.LBB122_302:                            ; =>This Inner Loop Header: Depth=1
	scratch_load_b64 v[126:127], off, s34
	v_dual_mov_b32 v125, s37 :: v_dual_add_nc_u32 v124, -1, v124
	s_add_co_i32 s37, s37, 8
	s_wait_xcnt 0x0
	s_add_co_i32 s34, s34, 8
	ds_load_b64 v[128:129], v125
	v_cmp_eq_u32_e32 vcc_lo, 0, v124
	s_or_b32 s0, vcc_lo, s0
	s_wait_loadcnt_dscnt 0x0
	v_pk_mul_f32 v[130:131], v[128:129], v[126:127] op_sel:[1,1] op_sel_hi:[0,1]
	s_delay_alu instid0(VALU_DEP_1) | instskip(SKIP_1) | instid1(VALU_DEP_2)
	v_pk_fma_f32 v[132:133], v[128:129], v[126:127], v[130:131] op_sel_hi:[1,0,1]
	v_pk_fma_f32 v[126:127], v[128:129], v[126:127], v[130:131] neg_lo:[0,0,1] neg_hi:[0,0,1]
	v_mov_b32_e32 v127, v133
	s_delay_alu instid0(VALU_DEP_1)
	v_pk_add_f32 v[122:123], v[122:123], v[126:127]
	s_and_not1_b32 exec_lo, exec_lo, s0
	s_cbranch_execnz .LBB122_302
; %bb.303:
	s_or_b32 exec_lo, exec_lo, s0
.LBB122_304:
	s_delay_alu instid0(SALU_CYCLE_1) | instskip(SKIP_4) | instid1(VALU_DEP_1)
	s_or_b32 exec_lo, exec_lo, s36
	v_mov_b32_e32 v124, 0
	ds_load_b64 v[124:125], v124 offset:224
	s_wait_dscnt 0x0
	v_pk_mul_f32 v[126:127], v[122:123], v[124:125] op_sel:[1,1] op_sel_hi:[0,1]
	v_pk_fma_f32 v[128:129], v[122:123], v[124:125], v[126:127] op_sel_hi:[1,0,1]
	v_pk_fma_f32 v[122:123], v[122:123], v[124:125], v[126:127] neg_lo:[0,0,1] neg_hi:[0,0,1]
	s_delay_alu instid0(VALU_DEP_2)
	v_mov_b32_e32 v123, v129
	scratch_store_b64 off, v[122:123], off offset:224
.LBB122_305:
	s_wait_xcnt 0x0
	s_or_b32 exec_lo, exec_lo, s35
	scratch_load_b64 v[122:123], off, off offset:216
	v_cmp_lt_u32_e64 s0, 27, v0
	s_wait_loadcnt 0x0
	ds_store_b64 v1, v[122:123]
	s_wait_storecnt_dscnt 0x0
	s_barrier_signal -1
	s_barrier_wait -1
	s_wait_xcnt 0x0
	s_and_saveexec_b32 s34, s0
	s_cbranch_execz .LBB122_315
; %bb.306:
	s_and_not1_b32 vcc_lo, exec_lo, s5
	s_cbranch_vccnz .LBB122_308
; %bb.307:
	scratch_load_b64 v[122:123], v59, off
	ds_load_b64 v[124:125], v1
	s_wait_loadcnt_dscnt 0x0
	v_pk_mul_f32 v[126:127], v[124:125], v[122:123] op_sel:[1,1] op_sel_hi:[0,1]
	s_delay_alu instid0(VALU_DEP_1) | instskip(SKIP_1) | instid1(VALU_DEP_2)
	v_pk_fma_f32 v[128:129], v[124:125], v[122:123], v[126:127] op_sel_hi:[1,0,1]
	v_pk_fma_f32 v[122:123], v[124:125], v[122:123], v[126:127] neg_lo:[0,0,1] neg_hi:[0,0,1]
	v_mov_b32_e32 v123, v129
	s_cbranch_execz .LBB122_309
	s_branch .LBB122_310
.LBB122_308:
                                        ; implicit-def: $vgpr122_vgpr123
.LBB122_309:
	ds_load_b64 v[122:123], v1
.LBB122_310:
	s_and_saveexec_b32 s35, s1
	s_cbranch_execz .LBB122_314
; %bb.311:
	v_subrev_nc_u32_e32 v124, 28, v0
	s_movk_i32 s36, 0x2c0
	s_mov_b32 s1, 0
.LBB122_312:                            ; =>This Inner Loop Header: Depth=1
	scratch_load_b64 v[126:127], off, s33
	v_dual_mov_b32 v125, s36 :: v_dual_add_nc_u32 v124, -1, v124
	s_add_co_i32 s36, s36, 8
	s_wait_xcnt 0x0
	s_add_co_i32 s33, s33, 8
	ds_load_b64 v[128:129], v125
	v_cmp_eq_u32_e32 vcc_lo, 0, v124
	s_or_b32 s1, vcc_lo, s1
	s_wait_loadcnt_dscnt 0x0
	v_pk_mul_f32 v[130:131], v[128:129], v[126:127] op_sel:[1,1] op_sel_hi:[0,1]
	s_delay_alu instid0(VALU_DEP_1) | instskip(SKIP_1) | instid1(VALU_DEP_2)
	v_pk_fma_f32 v[132:133], v[128:129], v[126:127], v[130:131] op_sel_hi:[1,0,1]
	v_pk_fma_f32 v[126:127], v[128:129], v[126:127], v[130:131] neg_lo:[0,0,1] neg_hi:[0,0,1]
	v_mov_b32_e32 v127, v133
	s_delay_alu instid0(VALU_DEP_1)
	v_pk_add_f32 v[122:123], v[122:123], v[126:127]
	s_and_not1_b32 exec_lo, exec_lo, s1
	s_cbranch_execnz .LBB122_312
; %bb.313:
	s_or_b32 exec_lo, exec_lo, s1
.LBB122_314:
	s_delay_alu instid0(SALU_CYCLE_1) | instskip(SKIP_4) | instid1(VALU_DEP_1)
	s_or_b32 exec_lo, exec_lo, s35
	v_mov_b32_e32 v124, 0
	ds_load_b64 v[124:125], v124 offset:216
	s_wait_dscnt 0x0
	v_pk_mul_f32 v[126:127], v[122:123], v[124:125] op_sel:[1,1] op_sel_hi:[0,1]
	v_pk_fma_f32 v[128:129], v[122:123], v[124:125], v[126:127] op_sel_hi:[1,0,1]
	v_pk_fma_f32 v[122:123], v[122:123], v[124:125], v[126:127] neg_lo:[0,0,1] neg_hi:[0,0,1]
	s_delay_alu instid0(VALU_DEP_2)
	v_mov_b32_e32 v123, v129
	scratch_store_b64 off, v[122:123], off offset:216
.LBB122_315:
	s_wait_xcnt 0x0
	s_or_b32 exec_lo, exec_lo, s34
	scratch_load_b64 v[122:123], off, off offset:208
	v_cmp_lt_u32_e64 s1, 26, v0
	s_wait_loadcnt 0x0
	ds_store_b64 v1, v[122:123]
	s_wait_storecnt_dscnt 0x0
	s_barrier_signal -1
	s_barrier_wait -1
	s_wait_xcnt 0x0
	s_and_saveexec_b32 s33, s1
	s_cbranch_execz .LBB122_325
; %bb.316:
	s_and_not1_b32 vcc_lo, exec_lo, s5
	s_cbranch_vccnz .LBB122_318
; %bb.317:
	scratch_load_b64 v[122:123], v59, off
	ds_load_b64 v[124:125], v1
	s_wait_loadcnt_dscnt 0x0
	v_pk_mul_f32 v[126:127], v[124:125], v[122:123] op_sel:[1,1] op_sel_hi:[0,1]
	s_delay_alu instid0(VALU_DEP_1) | instskip(SKIP_1) | instid1(VALU_DEP_2)
	v_pk_fma_f32 v[128:129], v[124:125], v[122:123], v[126:127] op_sel_hi:[1,0,1]
	v_pk_fma_f32 v[122:123], v[124:125], v[122:123], v[126:127] neg_lo:[0,0,1] neg_hi:[0,0,1]
	v_mov_b32_e32 v123, v129
	s_cbranch_execz .LBB122_319
	s_branch .LBB122_320
.LBB122_318:
                                        ; implicit-def: $vgpr122_vgpr123
.LBB122_319:
	ds_load_b64 v[122:123], v1
.LBB122_320:
	s_and_saveexec_b32 s34, s0
	s_cbranch_execz .LBB122_324
; %bb.321:
	v_subrev_nc_u32_e32 v124, 27, v0
	s_movk_i32 s35, 0x2b8
	s_mov_b32 s0, 0
.LBB122_322:                            ; =>This Inner Loop Header: Depth=1
	scratch_load_b64 v[126:127], off, s31
	v_dual_mov_b32 v125, s35 :: v_dual_add_nc_u32 v124, -1, v124
	s_add_co_i32 s35, s35, 8
	s_wait_xcnt 0x0
	s_add_co_i32 s31, s31, 8
	ds_load_b64 v[128:129], v125
	v_cmp_eq_u32_e32 vcc_lo, 0, v124
	s_or_b32 s0, vcc_lo, s0
	s_wait_loadcnt_dscnt 0x0
	v_pk_mul_f32 v[130:131], v[128:129], v[126:127] op_sel:[1,1] op_sel_hi:[0,1]
	s_delay_alu instid0(VALU_DEP_1) | instskip(SKIP_1) | instid1(VALU_DEP_2)
	v_pk_fma_f32 v[132:133], v[128:129], v[126:127], v[130:131] op_sel_hi:[1,0,1]
	v_pk_fma_f32 v[126:127], v[128:129], v[126:127], v[130:131] neg_lo:[0,0,1] neg_hi:[0,0,1]
	v_mov_b32_e32 v127, v133
	s_delay_alu instid0(VALU_DEP_1)
	v_pk_add_f32 v[122:123], v[122:123], v[126:127]
	s_and_not1_b32 exec_lo, exec_lo, s0
	s_cbranch_execnz .LBB122_322
; %bb.323:
	s_or_b32 exec_lo, exec_lo, s0
.LBB122_324:
	s_delay_alu instid0(SALU_CYCLE_1) | instskip(SKIP_4) | instid1(VALU_DEP_1)
	s_or_b32 exec_lo, exec_lo, s34
	v_mov_b32_e32 v124, 0
	ds_load_b64 v[124:125], v124 offset:208
	s_wait_dscnt 0x0
	v_pk_mul_f32 v[126:127], v[122:123], v[124:125] op_sel:[1,1] op_sel_hi:[0,1]
	v_pk_fma_f32 v[128:129], v[122:123], v[124:125], v[126:127] op_sel_hi:[1,0,1]
	v_pk_fma_f32 v[122:123], v[122:123], v[124:125], v[126:127] neg_lo:[0,0,1] neg_hi:[0,0,1]
	s_delay_alu instid0(VALU_DEP_2)
	v_mov_b32_e32 v123, v129
	scratch_store_b64 off, v[122:123], off offset:208
.LBB122_325:
	s_wait_xcnt 0x0
	s_or_b32 exec_lo, exec_lo, s33
	scratch_load_b64 v[122:123], off, off offset:200
	v_cmp_lt_u32_e64 s0, 25, v0
	s_wait_loadcnt 0x0
	ds_store_b64 v1, v[122:123]
	s_wait_storecnt_dscnt 0x0
	s_barrier_signal -1
	s_barrier_wait -1
	s_wait_xcnt 0x0
	s_and_saveexec_b32 s31, s0
	s_cbranch_execz .LBB122_335
; %bb.326:
	s_and_not1_b32 vcc_lo, exec_lo, s5
	s_cbranch_vccnz .LBB122_328
; %bb.327:
	scratch_load_b64 v[122:123], v59, off
	ds_load_b64 v[124:125], v1
	s_wait_loadcnt_dscnt 0x0
	v_pk_mul_f32 v[126:127], v[124:125], v[122:123] op_sel:[1,1] op_sel_hi:[0,1]
	s_delay_alu instid0(VALU_DEP_1) | instskip(SKIP_1) | instid1(VALU_DEP_2)
	v_pk_fma_f32 v[128:129], v[124:125], v[122:123], v[126:127] op_sel_hi:[1,0,1]
	v_pk_fma_f32 v[122:123], v[124:125], v[122:123], v[126:127] neg_lo:[0,0,1] neg_hi:[0,0,1]
	v_mov_b32_e32 v123, v129
	s_cbranch_execz .LBB122_329
	s_branch .LBB122_330
.LBB122_328:
                                        ; implicit-def: $vgpr122_vgpr123
.LBB122_329:
	ds_load_b64 v[122:123], v1
.LBB122_330:
	s_and_saveexec_b32 s33, s1
	s_cbranch_execz .LBB122_334
; %bb.331:
	v_subrev_nc_u32_e32 v124, 26, v0
	s_movk_i32 s34, 0x2b0
	s_mov_b32 s1, 0
.LBB122_332:                            ; =>This Inner Loop Header: Depth=1
	scratch_load_b64 v[126:127], off, s30
	v_dual_mov_b32 v125, s34 :: v_dual_add_nc_u32 v124, -1, v124
	s_add_co_i32 s34, s34, 8
	s_wait_xcnt 0x0
	s_add_co_i32 s30, s30, 8
	ds_load_b64 v[128:129], v125
	v_cmp_eq_u32_e32 vcc_lo, 0, v124
	s_or_b32 s1, vcc_lo, s1
	s_wait_loadcnt_dscnt 0x0
	v_pk_mul_f32 v[130:131], v[128:129], v[126:127] op_sel:[1,1] op_sel_hi:[0,1]
	s_delay_alu instid0(VALU_DEP_1) | instskip(SKIP_1) | instid1(VALU_DEP_2)
	v_pk_fma_f32 v[132:133], v[128:129], v[126:127], v[130:131] op_sel_hi:[1,0,1]
	v_pk_fma_f32 v[126:127], v[128:129], v[126:127], v[130:131] neg_lo:[0,0,1] neg_hi:[0,0,1]
	v_mov_b32_e32 v127, v133
	s_delay_alu instid0(VALU_DEP_1)
	v_pk_add_f32 v[122:123], v[122:123], v[126:127]
	s_and_not1_b32 exec_lo, exec_lo, s1
	s_cbranch_execnz .LBB122_332
; %bb.333:
	s_or_b32 exec_lo, exec_lo, s1
.LBB122_334:
	s_delay_alu instid0(SALU_CYCLE_1) | instskip(SKIP_4) | instid1(VALU_DEP_1)
	s_or_b32 exec_lo, exec_lo, s33
	v_mov_b32_e32 v124, 0
	ds_load_b64 v[124:125], v124 offset:200
	s_wait_dscnt 0x0
	v_pk_mul_f32 v[126:127], v[122:123], v[124:125] op_sel:[1,1] op_sel_hi:[0,1]
	v_pk_fma_f32 v[128:129], v[122:123], v[124:125], v[126:127] op_sel_hi:[1,0,1]
	v_pk_fma_f32 v[122:123], v[122:123], v[124:125], v[126:127] neg_lo:[0,0,1] neg_hi:[0,0,1]
	s_delay_alu instid0(VALU_DEP_2)
	v_mov_b32_e32 v123, v129
	scratch_store_b64 off, v[122:123], off offset:200
.LBB122_335:
	s_wait_xcnt 0x0
	s_or_b32 exec_lo, exec_lo, s31
	scratch_load_b64 v[122:123], off, off offset:192
	v_cmp_lt_u32_e64 s1, 24, v0
	s_wait_loadcnt 0x0
	ds_store_b64 v1, v[122:123]
	s_wait_storecnt_dscnt 0x0
	s_barrier_signal -1
	s_barrier_wait -1
	s_wait_xcnt 0x0
	s_and_saveexec_b32 s30, s1
	s_cbranch_execz .LBB122_345
; %bb.336:
	s_and_not1_b32 vcc_lo, exec_lo, s5
	s_cbranch_vccnz .LBB122_338
; %bb.337:
	scratch_load_b64 v[122:123], v59, off
	ds_load_b64 v[124:125], v1
	s_wait_loadcnt_dscnt 0x0
	v_pk_mul_f32 v[126:127], v[124:125], v[122:123] op_sel:[1,1] op_sel_hi:[0,1]
	s_delay_alu instid0(VALU_DEP_1) | instskip(SKIP_1) | instid1(VALU_DEP_2)
	v_pk_fma_f32 v[128:129], v[124:125], v[122:123], v[126:127] op_sel_hi:[1,0,1]
	v_pk_fma_f32 v[122:123], v[124:125], v[122:123], v[126:127] neg_lo:[0,0,1] neg_hi:[0,0,1]
	v_mov_b32_e32 v123, v129
	s_cbranch_execz .LBB122_339
	s_branch .LBB122_340
.LBB122_338:
                                        ; implicit-def: $vgpr122_vgpr123
.LBB122_339:
	ds_load_b64 v[122:123], v1
.LBB122_340:
	s_and_saveexec_b32 s31, s0
	s_cbranch_execz .LBB122_344
; %bb.341:
	v_subrev_nc_u32_e32 v124, 25, v0
	s_movk_i32 s33, 0x2a8
	s_mov_b32 s0, 0
.LBB122_342:                            ; =>This Inner Loop Header: Depth=1
	scratch_load_b64 v[126:127], off, s29
	v_dual_mov_b32 v125, s33 :: v_dual_add_nc_u32 v124, -1, v124
	s_add_co_i32 s33, s33, 8
	s_wait_xcnt 0x0
	s_add_co_i32 s29, s29, 8
	ds_load_b64 v[128:129], v125
	v_cmp_eq_u32_e32 vcc_lo, 0, v124
	s_or_b32 s0, vcc_lo, s0
	s_wait_loadcnt_dscnt 0x0
	v_pk_mul_f32 v[130:131], v[128:129], v[126:127] op_sel:[1,1] op_sel_hi:[0,1]
	s_delay_alu instid0(VALU_DEP_1) | instskip(SKIP_1) | instid1(VALU_DEP_2)
	v_pk_fma_f32 v[132:133], v[128:129], v[126:127], v[130:131] op_sel_hi:[1,0,1]
	v_pk_fma_f32 v[126:127], v[128:129], v[126:127], v[130:131] neg_lo:[0,0,1] neg_hi:[0,0,1]
	v_mov_b32_e32 v127, v133
	s_delay_alu instid0(VALU_DEP_1)
	v_pk_add_f32 v[122:123], v[122:123], v[126:127]
	s_and_not1_b32 exec_lo, exec_lo, s0
	s_cbranch_execnz .LBB122_342
; %bb.343:
	s_or_b32 exec_lo, exec_lo, s0
.LBB122_344:
	s_delay_alu instid0(SALU_CYCLE_1) | instskip(SKIP_4) | instid1(VALU_DEP_1)
	s_or_b32 exec_lo, exec_lo, s31
	v_mov_b32_e32 v124, 0
	ds_load_b64 v[124:125], v124 offset:192
	s_wait_dscnt 0x0
	v_pk_mul_f32 v[126:127], v[122:123], v[124:125] op_sel:[1,1] op_sel_hi:[0,1]
	v_pk_fma_f32 v[128:129], v[122:123], v[124:125], v[126:127] op_sel_hi:[1,0,1]
	v_pk_fma_f32 v[122:123], v[122:123], v[124:125], v[126:127] neg_lo:[0,0,1] neg_hi:[0,0,1]
	s_delay_alu instid0(VALU_DEP_2)
	v_mov_b32_e32 v123, v129
	scratch_store_b64 off, v[122:123], off offset:192
.LBB122_345:
	s_wait_xcnt 0x0
	s_or_b32 exec_lo, exec_lo, s30
	scratch_load_b64 v[122:123], off, off offset:184
	v_cmp_lt_u32_e64 s0, 23, v0
	s_wait_loadcnt 0x0
	ds_store_b64 v1, v[122:123]
	s_wait_storecnt_dscnt 0x0
	s_barrier_signal -1
	s_barrier_wait -1
	s_wait_xcnt 0x0
	s_and_saveexec_b32 s29, s0
	s_cbranch_execz .LBB122_355
; %bb.346:
	s_and_not1_b32 vcc_lo, exec_lo, s5
	s_cbranch_vccnz .LBB122_348
; %bb.347:
	scratch_load_b64 v[122:123], v59, off
	ds_load_b64 v[124:125], v1
	s_wait_loadcnt_dscnt 0x0
	v_pk_mul_f32 v[126:127], v[124:125], v[122:123] op_sel:[1,1] op_sel_hi:[0,1]
	s_delay_alu instid0(VALU_DEP_1) | instskip(SKIP_1) | instid1(VALU_DEP_2)
	v_pk_fma_f32 v[128:129], v[124:125], v[122:123], v[126:127] op_sel_hi:[1,0,1]
	v_pk_fma_f32 v[122:123], v[124:125], v[122:123], v[126:127] neg_lo:[0,0,1] neg_hi:[0,0,1]
	v_mov_b32_e32 v123, v129
	s_cbranch_execz .LBB122_349
	s_branch .LBB122_350
.LBB122_348:
                                        ; implicit-def: $vgpr122_vgpr123
.LBB122_349:
	ds_load_b64 v[122:123], v1
.LBB122_350:
	s_and_saveexec_b32 s30, s1
	s_cbranch_execz .LBB122_354
; %bb.351:
	v_subrev_nc_u32_e32 v124, 24, v0
	s_movk_i32 s31, 0x2a0
	s_mov_b32 s1, 0
.LBB122_352:                            ; =>This Inner Loop Header: Depth=1
	scratch_load_b64 v[126:127], off, s28
	v_dual_mov_b32 v125, s31 :: v_dual_add_nc_u32 v124, -1, v124
	s_add_co_i32 s31, s31, 8
	s_wait_xcnt 0x0
	s_add_co_i32 s28, s28, 8
	ds_load_b64 v[128:129], v125
	v_cmp_eq_u32_e32 vcc_lo, 0, v124
	s_or_b32 s1, vcc_lo, s1
	s_wait_loadcnt_dscnt 0x0
	v_pk_mul_f32 v[130:131], v[128:129], v[126:127] op_sel:[1,1] op_sel_hi:[0,1]
	s_delay_alu instid0(VALU_DEP_1) | instskip(SKIP_1) | instid1(VALU_DEP_2)
	v_pk_fma_f32 v[132:133], v[128:129], v[126:127], v[130:131] op_sel_hi:[1,0,1]
	v_pk_fma_f32 v[126:127], v[128:129], v[126:127], v[130:131] neg_lo:[0,0,1] neg_hi:[0,0,1]
	v_mov_b32_e32 v127, v133
	s_delay_alu instid0(VALU_DEP_1)
	v_pk_add_f32 v[122:123], v[122:123], v[126:127]
	s_and_not1_b32 exec_lo, exec_lo, s1
	s_cbranch_execnz .LBB122_352
; %bb.353:
	s_or_b32 exec_lo, exec_lo, s1
.LBB122_354:
	s_delay_alu instid0(SALU_CYCLE_1) | instskip(SKIP_4) | instid1(VALU_DEP_1)
	s_or_b32 exec_lo, exec_lo, s30
	v_mov_b32_e32 v124, 0
	ds_load_b64 v[124:125], v124 offset:184
	s_wait_dscnt 0x0
	v_pk_mul_f32 v[126:127], v[122:123], v[124:125] op_sel:[1,1] op_sel_hi:[0,1]
	v_pk_fma_f32 v[128:129], v[122:123], v[124:125], v[126:127] op_sel_hi:[1,0,1]
	v_pk_fma_f32 v[122:123], v[122:123], v[124:125], v[126:127] neg_lo:[0,0,1] neg_hi:[0,0,1]
	s_delay_alu instid0(VALU_DEP_2)
	v_mov_b32_e32 v123, v129
	scratch_store_b64 off, v[122:123], off offset:184
.LBB122_355:
	s_wait_xcnt 0x0
	s_or_b32 exec_lo, exec_lo, s29
	scratch_load_b64 v[122:123], off, off offset:176
	v_cmp_lt_u32_e64 s1, 22, v0
	s_wait_loadcnt 0x0
	ds_store_b64 v1, v[122:123]
	s_wait_storecnt_dscnt 0x0
	s_barrier_signal -1
	s_barrier_wait -1
	s_wait_xcnt 0x0
	s_and_saveexec_b32 s28, s1
	s_cbranch_execz .LBB122_365
; %bb.356:
	s_and_not1_b32 vcc_lo, exec_lo, s5
	s_cbranch_vccnz .LBB122_358
; %bb.357:
	scratch_load_b64 v[122:123], v59, off
	ds_load_b64 v[124:125], v1
	s_wait_loadcnt_dscnt 0x0
	v_pk_mul_f32 v[126:127], v[124:125], v[122:123] op_sel:[1,1] op_sel_hi:[0,1]
	s_delay_alu instid0(VALU_DEP_1) | instskip(SKIP_1) | instid1(VALU_DEP_2)
	v_pk_fma_f32 v[128:129], v[124:125], v[122:123], v[126:127] op_sel_hi:[1,0,1]
	v_pk_fma_f32 v[122:123], v[124:125], v[122:123], v[126:127] neg_lo:[0,0,1] neg_hi:[0,0,1]
	v_mov_b32_e32 v123, v129
	s_cbranch_execz .LBB122_359
	s_branch .LBB122_360
.LBB122_358:
                                        ; implicit-def: $vgpr122_vgpr123
.LBB122_359:
	ds_load_b64 v[122:123], v1
.LBB122_360:
	s_and_saveexec_b32 s29, s0
	s_cbranch_execz .LBB122_364
; %bb.361:
	v_subrev_nc_u32_e32 v124, 23, v0
	s_movk_i32 s30, 0x298
	s_mov_b32 s0, 0
.LBB122_362:                            ; =>This Inner Loop Header: Depth=1
	scratch_load_b64 v[126:127], off, s27
	v_dual_mov_b32 v125, s30 :: v_dual_add_nc_u32 v124, -1, v124
	s_add_co_i32 s30, s30, 8
	s_wait_xcnt 0x0
	s_add_co_i32 s27, s27, 8
	ds_load_b64 v[128:129], v125
	v_cmp_eq_u32_e32 vcc_lo, 0, v124
	s_or_b32 s0, vcc_lo, s0
	s_wait_loadcnt_dscnt 0x0
	v_pk_mul_f32 v[130:131], v[128:129], v[126:127] op_sel:[1,1] op_sel_hi:[0,1]
	s_delay_alu instid0(VALU_DEP_1) | instskip(SKIP_1) | instid1(VALU_DEP_2)
	v_pk_fma_f32 v[132:133], v[128:129], v[126:127], v[130:131] op_sel_hi:[1,0,1]
	v_pk_fma_f32 v[126:127], v[128:129], v[126:127], v[130:131] neg_lo:[0,0,1] neg_hi:[0,0,1]
	v_mov_b32_e32 v127, v133
	s_delay_alu instid0(VALU_DEP_1)
	v_pk_add_f32 v[122:123], v[122:123], v[126:127]
	s_and_not1_b32 exec_lo, exec_lo, s0
	s_cbranch_execnz .LBB122_362
; %bb.363:
	s_or_b32 exec_lo, exec_lo, s0
.LBB122_364:
	s_delay_alu instid0(SALU_CYCLE_1) | instskip(SKIP_4) | instid1(VALU_DEP_1)
	s_or_b32 exec_lo, exec_lo, s29
	v_mov_b32_e32 v124, 0
	ds_load_b64 v[124:125], v124 offset:176
	s_wait_dscnt 0x0
	v_pk_mul_f32 v[126:127], v[122:123], v[124:125] op_sel:[1,1] op_sel_hi:[0,1]
	v_pk_fma_f32 v[128:129], v[122:123], v[124:125], v[126:127] op_sel_hi:[1,0,1]
	v_pk_fma_f32 v[122:123], v[122:123], v[124:125], v[126:127] neg_lo:[0,0,1] neg_hi:[0,0,1]
	s_delay_alu instid0(VALU_DEP_2)
	v_mov_b32_e32 v123, v129
	scratch_store_b64 off, v[122:123], off offset:176
.LBB122_365:
	s_wait_xcnt 0x0
	s_or_b32 exec_lo, exec_lo, s28
	scratch_load_b64 v[122:123], off, off offset:168
	v_cmp_lt_u32_e64 s0, 21, v0
	s_wait_loadcnt 0x0
	ds_store_b64 v1, v[122:123]
	s_wait_storecnt_dscnt 0x0
	s_barrier_signal -1
	s_barrier_wait -1
	s_wait_xcnt 0x0
	s_and_saveexec_b32 s27, s0
	s_cbranch_execz .LBB122_375
; %bb.366:
	s_and_not1_b32 vcc_lo, exec_lo, s5
	s_cbranch_vccnz .LBB122_368
; %bb.367:
	scratch_load_b64 v[122:123], v59, off
	ds_load_b64 v[124:125], v1
	s_wait_loadcnt_dscnt 0x0
	v_pk_mul_f32 v[126:127], v[124:125], v[122:123] op_sel:[1,1] op_sel_hi:[0,1]
	s_delay_alu instid0(VALU_DEP_1) | instskip(SKIP_1) | instid1(VALU_DEP_2)
	v_pk_fma_f32 v[128:129], v[124:125], v[122:123], v[126:127] op_sel_hi:[1,0,1]
	v_pk_fma_f32 v[122:123], v[124:125], v[122:123], v[126:127] neg_lo:[0,0,1] neg_hi:[0,0,1]
	v_mov_b32_e32 v123, v129
	s_cbranch_execz .LBB122_369
	s_branch .LBB122_370
.LBB122_368:
                                        ; implicit-def: $vgpr122_vgpr123
.LBB122_369:
	ds_load_b64 v[122:123], v1
.LBB122_370:
	s_and_saveexec_b32 s28, s1
	s_cbranch_execz .LBB122_374
; %bb.371:
	v_subrev_nc_u32_e32 v124, 22, v0
	s_movk_i32 s29, 0x290
	s_mov_b32 s1, 0
.LBB122_372:                            ; =>This Inner Loop Header: Depth=1
	scratch_load_b64 v[126:127], off, s26
	v_dual_mov_b32 v125, s29 :: v_dual_add_nc_u32 v124, -1, v124
	s_add_co_i32 s29, s29, 8
	s_wait_xcnt 0x0
	s_add_co_i32 s26, s26, 8
	ds_load_b64 v[128:129], v125
	v_cmp_eq_u32_e32 vcc_lo, 0, v124
	s_or_b32 s1, vcc_lo, s1
	s_wait_loadcnt_dscnt 0x0
	v_pk_mul_f32 v[130:131], v[128:129], v[126:127] op_sel:[1,1] op_sel_hi:[0,1]
	s_delay_alu instid0(VALU_DEP_1) | instskip(SKIP_1) | instid1(VALU_DEP_2)
	v_pk_fma_f32 v[132:133], v[128:129], v[126:127], v[130:131] op_sel_hi:[1,0,1]
	v_pk_fma_f32 v[126:127], v[128:129], v[126:127], v[130:131] neg_lo:[0,0,1] neg_hi:[0,0,1]
	v_mov_b32_e32 v127, v133
	s_delay_alu instid0(VALU_DEP_1)
	v_pk_add_f32 v[122:123], v[122:123], v[126:127]
	s_and_not1_b32 exec_lo, exec_lo, s1
	s_cbranch_execnz .LBB122_372
; %bb.373:
	s_or_b32 exec_lo, exec_lo, s1
.LBB122_374:
	s_delay_alu instid0(SALU_CYCLE_1) | instskip(SKIP_4) | instid1(VALU_DEP_1)
	s_or_b32 exec_lo, exec_lo, s28
	v_mov_b32_e32 v124, 0
	ds_load_b64 v[124:125], v124 offset:168
	s_wait_dscnt 0x0
	v_pk_mul_f32 v[126:127], v[122:123], v[124:125] op_sel:[1,1] op_sel_hi:[0,1]
	v_pk_fma_f32 v[128:129], v[122:123], v[124:125], v[126:127] op_sel_hi:[1,0,1]
	v_pk_fma_f32 v[122:123], v[122:123], v[124:125], v[126:127] neg_lo:[0,0,1] neg_hi:[0,0,1]
	s_delay_alu instid0(VALU_DEP_2)
	v_mov_b32_e32 v123, v129
	scratch_store_b64 off, v[122:123], off offset:168
.LBB122_375:
	s_wait_xcnt 0x0
	s_or_b32 exec_lo, exec_lo, s27
	scratch_load_b64 v[122:123], off, off offset:160
	v_cmp_lt_u32_e64 s1, 20, v0
	s_wait_loadcnt 0x0
	ds_store_b64 v1, v[122:123]
	s_wait_storecnt_dscnt 0x0
	s_barrier_signal -1
	s_barrier_wait -1
	s_wait_xcnt 0x0
	s_and_saveexec_b32 s26, s1
	s_cbranch_execz .LBB122_385
; %bb.376:
	s_and_not1_b32 vcc_lo, exec_lo, s5
	s_cbranch_vccnz .LBB122_378
; %bb.377:
	scratch_load_b64 v[122:123], v59, off
	ds_load_b64 v[124:125], v1
	s_wait_loadcnt_dscnt 0x0
	v_pk_mul_f32 v[126:127], v[124:125], v[122:123] op_sel:[1,1] op_sel_hi:[0,1]
	s_delay_alu instid0(VALU_DEP_1) | instskip(SKIP_1) | instid1(VALU_DEP_2)
	v_pk_fma_f32 v[128:129], v[124:125], v[122:123], v[126:127] op_sel_hi:[1,0,1]
	v_pk_fma_f32 v[122:123], v[124:125], v[122:123], v[126:127] neg_lo:[0,0,1] neg_hi:[0,0,1]
	v_mov_b32_e32 v123, v129
	s_cbranch_execz .LBB122_379
	s_branch .LBB122_380
.LBB122_378:
                                        ; implicit-def: $vgpr122_vgpr123
.LBB122_379:
	ds_load_b64 v[122:123], v1
.LBB122_380:
	s_and_saveexec_b32 s27, s0
	s_cbranch_execz .LBB122_384
; %bb.381:
	v_subrev_nc_u32_e32 v124, 21, v0
	s_movk_i32 s28, 0x288
	s_mov_b32 s0, 0
.LBB122_382:                            ; =>This Inner Loop Header: Depth=1
	scratch_load_b64 v[126:127], off, s25
	v_dual_mov_b32 v125, s28 :: v_dual_add_nc_u32 v124, -1, v124
	s_add_co_i32 s28, s28, 8
	s_wait_xcnt 0x0
	s_add_co_i32 s25, s25, 8
	ds_load_b64 v[128:129], v125
	v_cmp_eq_u32_e32 vcc_lo, 0, v124
	s_or_b32 s0, vcc_lo, s0
	s_wait_loadcnt_dscnt 0x0
	v_pk_mul_f32 v[130:131], v[128:129], v[126:127] op_sel:[1,1] op_sel_hi:[0,1]
	s_delay_alu instid0(VALU_DEP_1) | instskip(SKIP_1) | instid1(VALU_DEP_2)
	v_pk_fma_f32 v[132:133], v[128:129], v[126:127], v[130:131] op_sel_hi:[1,0,1]
	v_pk_fma_f32 v[126:127], v[128:129], v[126:127], v[130:131] neg_lo:[0,0,1] neg_hi:[0,0,1]
	v_mov_b32_e32 v127, v133
	s_delay_alu instid0(VALU_DEP_1)
	v_pk_add_f32 v[122:123], v[122:123], v[126:127]
	s_and_not1_b32 exec_lo, exec_lo, s0
	s_cbranch_execnz .LBB122_382
; %bb.383:
	s_or_b32 exec_lo, exec_lo, s0
.LBB122_384:
	s_delay_alu instid0(SALU_CYCLE_1) | instskip(SKIP_4) | instid1(VALU_DEP_1)
	s_or_b32 exec_lo, exec_lo, s27
	v_mov_b32_e32 v124, 0
	ds_load_b64 v[124:125], v124 offset:160
	s_wait_dscnt 0x0
	v_pk_mul_f32 v[126:127], v[122:123], v[124:125] op_sel:[1,1] op_sel_hi:[0,1]
	v_pk_fma_f32 v[128:129], v[122:123], v[124:125], v[126:127] op_sel_hi:[1,0,1]
	v_pk_fma_f32 v[122:123], v[122:123], v[124:125], v[126:127] neg_lo:[0,0,1] neg_hi:[0,0,1]
	s_delay_alu instid0(VALU_DEP_2)
	v_mov_b32_e32 v123, v129
	scratch_store_b64 off, v[122:123], off offset:160
.LBB122_385:
	s_wait_xcnt 0x0
	s_or_b32 exec_lo, exec_lo, s26
	scratch_load_b64 v[122:123], off, off offset:152
	v_cmp_lt_u32_e64 s0, 19, v0
	s_wait_loadcnt 0x0
	ds_store_b64 v1, v[122:123]
	s_wait_storecnt_dscnt 0x0
	s_barrier_signal -1
	s_barrier_wait -1
	s_wait_xcnt 0x0
	s_and_saveexec_b32 s25, s0
	s_cbranch_execz .LBB122_395
; %bb.386:
	s_and_not1_b32 vcc_lo, exec_lo, s5
	s_cbranch_vccnz .LBB122_388
; %bb.387:
	scratch_load_b64 v[122:123], v59, off
	ds_load_b64 v[124:125], v1
	s_wait_loadcnt_dscnt 0x0
	v_pk_mul_f32 v[126:127], v[124:125], v[122:123] op_sel:[1,1] op_sel_hi:[0,1]
	s_delay_alu instid0(VALU_DEP_1) | instskip(SKIP_1) | instid1(VALU_DEP_2)
	v_pk_fma_f32 v[128:129], v[124:125], v[122:123], v[126:127] op_sel_hi:[1,0,1]
	v_pk_fma_f32 v[122:123], v[124:125], v[122:123], v[126:127] neg_lo:[0,0,1] neg_hi:[0,0,1]
	v_mov_b32_e32 v123, v129
	s_cbranch_execz .LBB122_389
	s_branch .LBB122_390
.LBB122_388:
                                        ; implicit-def: $vgpr122_vgpr123
.LBB122_389:
	ds_load_b64 v[122:123], v1
.LBB122_390:
	s_and_saveexec_b32 s26, s1
	s_cbranch_execz .LBB122_394
; %bb.391:
	v_subrev_nc_u32_e32 v124, 20, v0
	s_movk_i32 s27, 0x280
	s_mov_b32 s1, 0
.LBB122_392:                            ; =>This Inner Loop Header: Depth=1
	scratch_load_b64 v[126:127], off, s24
	v_dual_mov_b32 v125, s27 :: v_dual_add_nc_u32 v124, -1, v124
	s_add_co_i32 s27, s27, 8
	s_wait_xcnt 0x0
	s_add_co_i32 s24, s24, 8
	ds_load_b64 v[128:129], v125
	v_cmp_eq_u32_e32 vcc_lo, 0, v124
	s_or_b32 s1, vcc_lo, s1
	s_wait_loadcnt_dscnt 0x0
	v_pk_mul_f32 v[130:131], v[128:129], v[126:127] op_sel:[1,1] op_sel_hi:[0,1]
	s_delay_alu instid0(VALU_DEP_1) | instskip(SKIP_1) | instid1(VALU_DEP_2)
	v_pk_fma_f32 v[132:133], v[128:129], v[126:127], v[130:131] op_sel_hi:[1,0,1]
	v_pk_fma_f32 v[126:127], v[128:129], v[126:127], v[130:131] neg_lo:[0,0,1] neg_hi:[0,0,1]
	v_mov_b32_e32 v127, v133
	s_delay_alu instid0(VALU_DEP_1)
	v_pk_add_f32 v[122:123], v[122:123], v[126:127]
	s_and_not1_b32 exec_lo, exec_lo, s1
	s_cbranch_execnz .LBB122_392
; %bb.393:
	s_or_b32 exec_lo, exec_lo, s1
.LBB122_394:
	s_delay_alu instid0(SALU_CYCLE_1) | instskip(SKIP_4) | instid1(VALU_DEP_1)
	s_or_b32 exec_lo, exec_lo, s26
	v_mov_b32_e32 v124, 0
	ds_load_b64 v[124:125], v124 offset:152
	s_wait_dscnt 0x0
	v_pk_mul_f32 v[126:127], v[122:123], v[124:125] op_sel:[1,1] op_sel_hi:[0,1]
	v_pk_fma_f32 v[128:129], v[122:123], v[124:125], v[126:127] op_sel_hi:[1,0,1]
	v_pk_fma_f32 v[122:123], v[122:123], v[124:125], v[126:127] neg_lo:[0,0,1] neg_hi:[0,0,1]
	s_delay_alu instid0(VALU_DEP_2)
	v_mov_b32_e32 v123, v129
	scratch_store_b64 off, v[122:123], off offset:152
.LBB122_395:
	s_wait_xcnt 0x0
	s_or_b32 exec_lo, exec_lo, s25
	scratch_load_b64 v[122:123], off, off offset:144
	v_cmp_lt_u32_e64 s1, 18, v0
	s_wait_loadcnt 0x0
	ds_store_b64 v1, v[122:123]
	s_wait_storecnt_dscnt 0x0
	s_barrier_signal -1
	s_barrier_wait -1
	s_wait_xcnt 0x0
	s_and_saveexec_b32 s24, s1
	s_cbranch_execz .LBB122_405
; %bb.396:
	s_and_not1_b32 vcc_lo, exec_lo, s5
	s_cbranch_vccnz .LBB122_398
; %bb.397:
	scratch_load_b64 v[122:123], v59, off
	ds_load_b64 v[124:125], v1
	s_wait_loadcnt_dscnt 0x0
	v_pk_mul_f32 v[126:127], v[124:125], v[122:123] op_sel:[1,1] op_sel_hi:[0,1]
	s_delay_alu instid0(VALU_DEP_1) | instskip(SKIP_1) | instid1(VALU_DEP_2)
	v_pk_fma_f32 v[128:129], v[124:125], v[122:123], v[126:127] op_sel_hi:[1,0,1]
	v_pk_fma_f32 v[122:123], v[124:125], v[122:123], v[126:127] neg_lo:[0,0,1] neg_hi:[0,0,1]
	v_mov_b32_e32 v123, v129
	s_cbranch_execz .LBB122_399
	s_branch .LBB122_400
.LBB122_398:
                                        ; implicit-def: $vgpr122_vgpr123
.LBB122_399:
	ds_load_b64 v[122:123], v1
.LBB122_400:
	s_and_saveexec_b32 s25, s0
	s_cbranch_execz .LBB122_404
; %bb.401:
	v_subrev_nc_u32_e32 v124, 19, v0
	s_movk_i32 s26, 0x278
	s_mov_b32 s0, 0
.LBB122_402:                            ; =>This Inner Loop Header: Depth=1
	scratch_load_b64 v[126:127], off, s23
	v_dual_mov_b32 v125, s26 :: v_dual_add_nc_u32 v124, -1, v124
	s_add_co_i32 s26, s26, 8
	s_wait_xcnt 0x0
	s_add_co_i32 s23, s23, 8
	ds_load_b64 v[128:129], v125
	v_cmp_eq_u32_e32 vcc_lo, 0, v124
	s_or_b32 s0, vcc_lo, s0
	s_wait_loadcnt_dscnt 0x0
	v_pk_mul_f32 v[130:131], v[128:129], v[126:127] op_sel:[1,1] op_sel_hi:[0,1]
	s_delay_alu instid0(VALU_DEP_1) | instskip(SKIP_1) | instid1(VALU_DEP_2)
	v_pk_fma_f32 v[132:133], v[128:129], v[126:127], v[130:131] op_sel_hi:[1,0,1]
	v_pk_fma_f32 v[126:127], v[128:129], v[126:127], v[130:131] neg_lo:[0,0,1] neg_hi:[0,0,1]
	v_mov_b32_e32 v127, v133
	s_delay_alu instid0(VALU_DEP_1)
	v_pk_add_f32 v[122:123], v[122:123], v[126:127]
	s_and_not1_b32 exec_lo, exec_lo, s0
	s_cbranch_execnz .LBB122_402
; %bb.403:
	s_or_b32 exec_lo, exec_lo, s0
.LBB122_404:
	s_delay_alu instid0(SALU_CYCLE_1) | instskip(SKIP_4) | instid1(VALU_DEP_1)
	s_or_b32 exec_lo, exec_lo, s25
	v_mov_b32_e32 v124, 0
	ds_load_b64 v[124:125], v124 offset:144
	s_wait_dscnt 0x0
	v_pk_mul_f32 v[126:127], v[122:123], v[124:125] op_sel:[1,1] op_sel_hi:[0,1]
	v_pk_fma_f32 v[128:129], v[122:123], v[124:125], v[126:127] op_sel_hi:[1,0,1]
	v_pk_fma_f32 v[122:123], v[122:123], v[124:125], v[126:127] neg_lo:[0,0,1] neg_hi:[0,0,1]
	s_delay_alu instid0(VALU_DEP_2)
	v_mov_b32_e32 v123, v129
	scratch_store_b64 off, v[122:123], off offset:144
.LBB122_405:
	s_wait_xcnt 0x0
	s_or_b32 exec_lo, exec_lo, s24
	scratch_load_b64 v[122:123], off, off offset:136
	v_cmp_lt_u32_e64 s0, 17, v0
	s_wait_loadcnt 0x0
	ds_store_b64 v1, v[122:123]
	s_wait_storecnt_dscnt 0x0
	s_barrier_signal -1
	s_barrier_wait -1
	s_wait_xcnt 0x0
	s_and_saveexec_b32 s23, s0
	s_cbranch_execz .LBB122_415
; %bb.406:
	s_and_not1_b32 vcc_lo, exec_lo, s5
	s_cbranch_vccnz .LBB122_408
; %bb.407:
	scratch_load_b64 v[122:123], v59, off
	ds_load_b64 v[124:125], v1
	s_wait_loadcnt_dscnt 0x0
	v_pk_mul_f32 v[126:127], v[124:125], v[122:123] op_sel:[1,1] op_sel_hi:[0,1]
	s_delay_alu instid0(VALU_DEP_1) | instskip(SKIP_1) | instid1(VALU_DEP_2)
	v_pk_fma_f32 v[128:129], v[124:125], v[122:123], v[126:127] op_sel_hi:[1,0,1]
	v_pk_fma_f32 v[122:123], v[124:125], v[122:123], v[126:127] neg_lo:[0,0,1] neg_hi:[0,0,1]
	v_mov_b32_e32 v123, v129
	s_cbranch_execz .LBB122_409
	s_branch .LBB122_410
.LBB122_408:
                                        ; implicit-def: $vgpr122_vgpr123
.LBB122_409:
	ds_load_b64 v[122:123], v1
.LBB122_410:
	s_and_saveexec_b32 s24, s1
	s_cbranch_execz .LBB122_414
; %bb.411:
	v_subrev_nc_u32_e32 v124, 18, v0
	s_movk_i32 s25, 0x270
	s_mov_b32 s1, 0
.LBB122_412:                            ; =>This Inner Loop Header: Depth=1
	scratch_load_b64 v[126:127], off, s22
	v_dual_mov_b32 v125, s25 :: v_dual_add_nc_u32 v124, -1, v124
	s_add_co_i32 s25, s25, 8
	s_wait_xcnt 0x0
	s_add_co_i32 s22, s22, 8
	ds_load_b64 v[128:129], v125
	v_cmp_eq_u32_e32 vcc_lo, 0, v124
	s_or_b32 s1, vcc_lo, s1
	s_wait_loadcnt_dscnt 0x0
	v_pk_mul_f32 v[130:131], v[128:129], v[126:127] op_sel:[1,1] op_sel_hi:[0,1]
	s_delay_alu instid0(VALU_DEP_1) | instskip(SKIP_1) | instid1(VALU_DEP_2)
	v_pk_fma_f32 v[132:133], v[128:129], v[126:127], v[130:131] op_sel_hi:[1,0,1]
	v_pk_fma_f32 v[126:127], v[128:129], v[126:127], v[130:131] neg_lo:[0,0,1] neg_hi:[0,0,1]
	v_mov_b32_e32 v127, v133
	s_delay_alu instid0(VALU_DEP_1)
	v_pk_add_f32 v[122:123], v[122:123], v[126:127]
	s_and_not1_b32 exec_lo, exec_lo, s1
	s_cbranch_execnz .LBB122_412
; %bb.413:
	s_or_b32 exec_lo, exec_lo, s1
.LBB122_414:
	s_delay_alu instid0(SALU_CYCLE_1) | instskip(SKIP_4) | instid1(VALU_DEP_1)
	s_or_b32 exec_lo, exec_lo, s24
	v_mov_b32_e32 v124, 0
	ds_load_b64 v[124:125], v124 offset:136
	s_wait_dscnt 0x0
	v_pk_mul_f32 v[126:127], v[122:123], v[124:125] op_sel:[1,1] op_sel_hi:[0,1]
	v_pk_fma_f32 v[128:129], v[122:123], v[124:125], v[126:127] op_sel_hi:[1,0,1]
	v_pk_fma_f32 v[122:123], v[122:123], v[124:125], v[126:127] neg_lo:[0,0,1] neg_hi:[0,0,1]
	s_delay_alu instid0(VALU_DEP_2)
	v_mov_b32_e32 v123, v129
	scratch_store_b64 off, v[122:123], off offset:136
.LBB122_415:
	s_wait_xcnt 0x0
	s_or_b32 exec_lo, exec_lo, s23
	scratch_load_b64 v[122:123], off, off offset:128
	v_cmp_lt_u32_e64 s1, 16, v0
	s_wait_loadcnt 0x0
	ds_store_b64 v1, v[122:123]
	s_wait_storecnt_dscnt 0x0
	s_barrier_signal -1
	s_barrier_wait -1
	s_wait_xcnt 0x0
	s_and_saveexec_b32 s22, s1
	s_cbranch_execz .LBB122_425
; %bb.416:
	s_and_not1_b32 vcc_lo, exec_lo, s5
	s_cbranch_vccnz .LBB122_418
; %bb.417:
	scratch_load_b64 v[122:123], v59, off
	ds_load_b64 v[124:125], v1
	s_wait_loadcnt_dscnt 0x0
	v_pk_mul_f32 v[126:127], v[124:125], v[122:123] op_sel:[1,1] op_sel_hi:[0,1]
	s_delay_alu instid0(VALU_DEP_1) | instskip(SKIP_1) | instid1(VALU_DEP_2)
	v_pk_fma_f32 v[128:129], v[124:125], v[122:123], v[126:127] op_sel_hi:[1,0,1]
	v_pk_fma_f32 v[122:123], v[124:125], v[122:123], v[126:127] neg_lo:[0,0,1] neg_hi:[0,0,1]
	v_mov_b32_e32 v123, v129
	s_cbranch_execz .LBB122_419
	s_branch .LBB122_420
.LBB122_418:
                                        ; implicit-def: $vgpr122_vgpr123
.LBB122_419:
	ds_load_b64 v[122:123], v1
.LBB122_420:
	s_and_saveexec_b32 s23, s0
	s_cbranch_execz .LBB122_424
; %bb.421:
	v_subrev_nc_u32_e32 v124, 17, v0
	s_movk_i32 s24, 0x268
	s_mov_b32 s0, 0
.LBB122_422:                            ; =>This Inner Loop Header: Depth=1
	scratch_load_b64 v[126:127], off, s21
	v_dual_mov_b32 v125, s24 :: v_dual_add_nc_u32 v124, -1, v124
	s_add_co_i32 s24, s24, 8
	s_wait_xcnt 0x0
	s_add_co_i32 s21, s21, 8
	ds_load_b64 v[128:129], v125
	v_cmp_eq_u32_e32 vcc_lo, 0, v124
	s_or_b32 s0, vcc_lo, s0
	s_wait_loadcnt_dscnt 0x0
	v_pk_mul_f32 v[130:131], v[128:129], v[126:127] op_sel:[1,1] op_sel_hi:[0,1]
	s_delay_alu instid0(VALU_DEP_1) | instskip(SKIP_1) | instid1(VALU_DEP_2)
	v_pk_fma_f32 v[132:133], v[128:129], v[126:127], v[130:131] op_sel_hi:[1,0,1]
	v_pk_fma_f32 v[126:127], v[128:129], v[126:127], v[130:131] neg_lo:[0,0,1] neg_hi:[0,0,1]
	v_mov_b32_e32 v127, v133
	s_delay_alu instid0(VALU_DEP_1)
	v_pk_add_f32 v[122:123], v[122:123], v[126:127]
	s_and_not1_b32 exec_lo, exec_lo, s0
	s_cbranch_execnz .LBB122_422
; %bb.423:
	s_or_b32 exec_lo, exec_lo, s0
.LBB122_424:
	s_delay_alu instid0(SALU_CYCLE_1) | instskip(SKIP_4) | instid1(VALU_DEP_1)
	s_or_b32 exec_lo, exec_lo, s23
	v_mov_b32_e32 v124, 0
	ds_load_b64 v[124:125], v124 offset:128
	s_wait_dscnt 0x0
	v_pk_mul_f32 v[126:127], v[122:123], v[124:125] op_sel:[1,1] op_sel_hi:[0,1]
	v_pk_fma_f32 v[128:129], v[122:123], v[124:125], v[126:127] op_sel_hi:[1,0,1]
	v_pk_fma_f32 v[122:123], v[122:123], v[124:125], v[126:127] neg_lo:[0,0,1] neg_hi:[0,0,1]
	s_delay_alu instid0(VALU_DEP_2)
	v_mov_b32_e32 v123, v129
	scratch_store_b64 off, v[122:123], off offset:128
.LBB122_425:
	s_wait_xcnt 0x0
	s_or_b32 exec_lo, exec_lo, s22
	scratch_load_b64 v[122:123], off, off offset:120
	v_cmp_lt_u32_e64 s0, 15, v0
	s_wait_loadcnt 0x0
	ds_store_b64 v1, v[122:123]
	s_wait_storecnt_dscnt 0x0
	s_barrier_signal -1
	s_barrier_wait -1
	s_wait_xcnt 0x0
	s_and_saveexec_b32 s21, s0
	s_cbranch_execz .LBB122_435
; %bb.426:
	s_and_not1_b32 vcc_lo, exec_lo, s5
	s_cbranch_vccnz .LBB122_428
; %bb.427:
	scratch_load_b64 v[122:123], v59, off
	ds_load_b64 v[124:125], v1
	s_wait_loadcnt_dscnt 0x0
	v_pk_mul_f32 v[126:127], v[124:125], v[122:123] op_sel:[1,1] op_sel_hi:[0,1]
	s_delay_alu instid0(VALU_DEP_1) | instskip(SKIP_1) | instid1(VALU_DEP_2)
	v_pk_fma_f32 v[128:129], v[124:125], v[122:123], v[126:127] op_sel_hi:[1,0,1]
	v_pk_fma_f32 v[122:123], v[124:125], v[122:123], v[126:127] neg_lo:[0,0,1] neg_hi:[0,0,1]
	v_mov_b32_e32 v123, v129
	s_cbranch_execz .LBB122_429
	s_branch .LBB122_430
.LBB122_428:
                                        ; implicit-def: $vgpr122_vgpr123
.LBB122_429:
	ds_load_b64 v[122:123], v1
.LBB122_430:
	s_and_saveexec_b32 s22, s1
	s_cbranch_execz .LBB122_434
; %bb.431:
	v_add_nc_u32_e32 v124, -16, v0
	s_movk_i32 s23, 0x260
	s_mov_b32 s1, 0
.LBB122_432:                            ; =>This Inner Loop Header: Depth=1
	scratch_load_b64 v[126:127], off, s20
	v_dual_mov_b32 v125, s23 :: v_dual_add_nc_u32 v124, -1, v124
	s_add_co_i32 s23, s23, 8
	s_wait_xcnt 0x0
	s_add_co_i32 s20, s20, 8
	ds_load_b64 v[128:129], v125
	v_cmp_eq_u32_e32 vcc_lo, 0, v124
	s_or_b32 s1, vcc_lo, s1
	s_wait_loadcnt_dscnt 0x0
	v_pk_mul_f32 v[130:131], v[128:129], v[126:127] op_sel:[1,1] op_sel_hi:[0,1]
	s_delay_alu instid0(VALU_DEP_1) | instskip(SKIP_1) | instid1(VALU_DEP_2)
	v_pk_fma_f32 v[132:133], v[128:129], v[126:127], v[130:131] op_sel_hi:[1,0,1]
	v_pk_fma_f32 v[126:127], v[128:129], v[126:127], v[130:131] neg_lo:[0,0,1] neg_hi:[0,0,1]
	v_mov_b32_e32 v127, v133
	s_delay_alu instid0(VALU_DEP_1)
	v_pk_add_f32 v[122:123], v[122:123], v[126:127]
	s_and_not1_b32 exec_lo, exec_lo, s1
	s_cbranch_execnz .LBB122_432
; %bb.433:
	s_or_b32 exec_lo, exec_lo, s1
.LBB122_434:
	s_delay_alu instid0(SALU_CYCLE_1) | instskip(SKIP_4) | instid1(VALU_DEP_1)
	s_or_b32 exec_lo, exec_lo, s22
	v_mov_b32_e32 v124, 0
	ds_load_b64 v[124:125], v124 offset:120
	s_wait_dscnt 0x0
	v_pk_mul_f32 v[126:127], v[122:123], v[124:125] op_sel:[1,1] op_sel_hi:[0,1]
	v_pk_fma_f32 v[128:129], v[122:123], v[124:125], v[126:127] op_sel_hi:[1,0,1]
	v_pk_fma_f32 v[122:123], v[122:123], v[124:125], v[126:127] neg_lo:[0,0,1] neg_hi:[0,0,1]
	s_delay_alu instid0(VALU_DEP_2)
	v_mov_b32_e32 v123, v129
	scratch_store_b64 off, v[122:123], off offset:120
.LBB122_435:
	s_wait_xcnt 0x0
	s_or_b32 exec_lo, exec_lo, s21
	scratch_load_b64 v[122:123], off, off offset:112
	v_cmp_lt_u32_e64 s1, 14, v0
	s_wait_loadcnt 0x0
	ds_store_b64 v1, v[122:123]
	s_wait_storecnt_dscnt 0x0
	s_barrier_signal -1
	s_barrier_wait -1
	s_wait_xcnt 0x0
	s_and_saveexec_b32 s20, s1
	s_cbranch_execz .LBB122_445
; %bb.436:
	s_and_not1_b32 vcc_lo, exec_lo, s5
	s_cbranch_vccnz .LBB122_438
; %bb.437:
	scratch_load_b64 v[122:123], v59, off
	ds_load_b64 v[124:125], v1
	s_wait_loadcnt_dscnt 0x0
	v_pk_mul_f32 v[126:127], v[124:125], v[122:123] op_sel:[1,1] op_sel_hi:[0,1]
	s_delay_alu instid0(VALU_DEP_1) | instskip(SKIP_1) | instid1(VALU_DEP_2)
	v_pk_fma_f32 v[128:129], v[124:125], v[122:123], v[126:127] op_sel_hi:[1,0,1]
	v_pk_fma_f32 v[122:123], v[124:125], v[122:123], v[126:127] neg_lo:[0,0,1] neg_hi:[0,0,1]
	v_mov_b32_e32 v123, v129
	s_cbranch_execz .LBB122_439
	s_branch .LBB122_440
.LBB122_438:
                                        ; implicit-def: $vgpr122_vgpr123
.LBB122_439:
	ds_load_b64 v[122:123], v1
.LBB122_440:
	s_and_saveexec_b32 s21, s0
	s_cbranch_execz .LBB122_444
; %bb.441:
	v_add_nc_u32_e32 v124, -15, v0
	s_movk_i32 s22, 0x258
	s_mov_b32 s0, 0
.LBB122_442:                            ; =>This Inner Loop Header: Depth=1
	scratch_load_b64 v[126:127], off, s19
	v_dual_mov_b32 v125, s22 :: v_dual_add_nc_u32 v124, -1, v124
	s_add_co_i32 s22, s22, 8
	s_wait_xcnt 0x0
	s_add_co_i32 s19, s19, 8
	ds_load_b64 v[128:129], v125
	v_cmp_eq_u32_e32 vcc_lo, 0, v124
	s_or_b32 s0, vcc_lo, s0
	s_wait_loadcnt_dscnt 0x0
	v_pk_mul_f32 v[130:131], v[128:129], v[126:127] op_sel:[1,1] op_sel_hi:[0,1]
	s_delay_alu instid0(VALU_DEP_1) | instskip(SKIP_1) | instid1(VALU_DEP_2)
	v_pk_fma_f32 v[132:133], v[128:129], v[126:127], v[130:131] op_sel_hi:[1,0,1]
	v_pk_fma_f32 v[126:127], v[128:129], v[126:127], v[130:131] neg_lo:[0,0,1] neg_hi:[0,0,1]
	v_mov_b32_e32 v127, v133
	s_delay_alu instid0(VALU_DEP_1)
	v_pk_add_f32 v[122:123], v[122:123], v[126:127]
	s_and_not1_b32 exec_lo, exec_lo, s0
	s_cbranch_execnz .LBB122_442
; %bb.443:
	s_or_b32 exec_lo, exec_lo, s0
.LBB122_444:
	s_delay_alu instid0(SALU_CYCLE_1) | instskip(SKIP_4) | instid1(VALU_DEP_1)
	s_or_b32 exec_lo, exec_lo, s21
	v_mov_b32_e32 v124, 0
	ds_load_b64 v[124:125], v124 offset:112
	s_wait_dscnt 0x0
	v_pk_mul_f32 v[126:127], v[122:123], v[124:125] op_sel:[1,1] op_sel_hi:[0,1]
	v_pk_fma_f32 v[128:129], v[122:123], v[124:125], v[126:127] op_sel_hi:[1,0,1]
	v_pk_fma_f32 v[122:123], v[122:123], v[124:125], v[126:127] neg_lo:[0,0,1] neg_hi:[0,0,1]
	s_delay_alu instid0(VALU_DEP_2)
	v_mov_b32_e32 v123, v129
	scratch_store_b64 off, v[122:123], off offset:112
.LBB122_445:
	s_wait_xcnt 0x0
	s_or_b32 exec_lo, exec_lo, s20
	scratch_load_b64 v[122:123], off, off offset:104
	v_cmp_lt_u32_e64 s0, 13, v0
	s_wait_loadcnt 0x0
	ds_store_b64 v1, v[122:123]
	s_wait_storecnt_dscnt 0x0
	s_barrier_signal -1
	s_barrier_wait -1
	s_wait_xcnt 0x0
	s_and_saveexec_b32 s19, s0
	s_cbranch_execz .LBB122_455
; %bb.446:
	s_and_not1_b32 vcc_lo, exec_lo, s5
	s_cbranch_vccnz .LBB122_448
; %bb.447:
	scratch_load_b64 v[122:123], v59, off
	ds_load_b64 v[124:125], v1
	s_wait_loadcnt_dscnt 0x0
	v_pk_mul_f32 v[126:127], v[124:125], v[122:123] op_sel:[1,1] op_sel_hi:[0,1]
	s_delay_alu instid0(VALU_DEP_1) | instskip(SKIP_1) | instid1(VALU_DEP_2)
	v_pk_fma_f32 v[128:129], v[124:125], v[122:123], v[126:127] op_sel_hi:[1,0,1]
	v_pk_fma_f32 v[122:123], v[124:125], v[122:123], v[126:127] neg_lo:[0,0,1] neg_hi:[0,0,1]
	v_mov_b32_e32 v123, v129
	s_cbranch_execz .LBB122_449
	s_branch .LBB122_450
.LBB122_448:
                                        ; implicit-def: $vgpr122_vgpr123
.LBB122_449:
	ds_load_b64 v[122:123], v1
.LBB122_450:
	s_and_saveexec_b32 s20, s1
	s_cbranch_execz .LBB122_454
; %bb.451:
	v_add_nc_u32_e32 v124, -14, v0
	s_movk_i32 s21, 0x250
	s_mov_b32 s1, 0
.LBB122_452:                            ; =>This Inner Loop Header: Depth=1
	scratch_load_b64 v[126:127], off, s18
	v_dual_mov_b32 v125, s21 :: v_dual_add_nc_u32 v124, -1, v124
	s_add_co_i32 s21, s21, 8
	s_wait_xcnt 0x0
	s_add_co_i32 s18, s18, 8
	ds_load_b64 v[128:129], v125
	v_cmp_eq_u32_e32 vcc_lo, 0, v124
	s_or_b32 s1, vcc_lo, s1
	s_wait_loadcnt_dscnt 0x0
	v_pk_mul_f32 v[130:131], v[128:129], v[126:127] op_sel:[1,1] op_sel_hi:[0,1]
	s_delay_alu instid0(VALU_DEP_1) | instskip(SKIP_1) | instid1(VALU_DEP_2)
	v_pk_fma_f32 v[132:133], v[128:129], v[126:127], v[130:131] op_sel_hi:[1,0,1]
	v_pk_fma_f32 v[126:127], v[128:129], v[126:127], v[130:131] neg_lo:[0,0,1] neg_hi:[0,0,1]
	v_mov_b32_e32 v127, v133
	s_delay_alu instid0(VALU_DEP_1)
	v_pk_add_f32 v[122:123], v[122:123], v[126:127]
	s_and_not1_b32 exec_lo, exec_lo, s1
	s_cbranch_execnz .LBB122_452
; %bb.453:
	s_or_b32 exec_lo, exec_lo, s1
.LBB122_454:
	s_delay_alu instid0(SALU_CYCLE_1) | instskip(SKIP_4) | instid1(VALU_DEP_1)
	s_or_b32 exec_lo, exec_lo, s20
	v_mov_b32_e32 v124, 0
	ds_load_b64 v[124:125], v124 offset:104
	s_wait_dscnt 0x0
	v_pk_mul_f32 v[126:127], v[122:123], v[124:125] op_sel:[1,1] op_sel_hi:[0,1]
	v_pk_fma_f32 v[128:129], v[122:123], v[124:125], v[126:127] op_sel_hi:[1,0,1]
	v_pk_fma_f32 v[122:123], v[122:123], v[124:125], v[126:127] neg_lo:[0,0,1] neg_hi:[0,0,1]
	s_delay_alu instid0(VALU_DEP_2)
	v_mov_b32_e32 v123, v129
	scratch_store_b64 off, v[122:123], off offset:104
.LBB122_455:
	s_wait_xcnt 0x0
	s_or_b32 exec_lo, exec_lo, s19
	scratch_load_b64 v[122:123], off, off offset:96
	v_cmp_lt_u32_e64 s1, 12, v0
	s_wait_loadcnt 0x0
	ds_store_b64 v1, v[122:123]
	s_wait_storecnt_dscnt 0x0
	s_barrier_signal -1
	s_barrier_wait -1
	s_wait_xcnt 0x0
	s_and_saveexec_b32 s18, s1
	s_cbranch_execz .LBB122_465
; %bb.456:
	s_and_not1_b32 vcc_lo, exec_lo, s5
	s_cbranch_vccnz .LBB122_458
; %bb.457:
	scratch_load_b64 v[122:123], v59, off
	ds_load_b64 v[124:125], v1
	s_wait_loadcnt_dscnt 0x0
	v_pk_mul_f32 v[126:127], v[124:125], v[122:123] op_sel:[1,1] op_sel_hi:[0,1]
	s_delay_alu instid0(VALU_DEP_1) | instskip(SKIP_1) | instid1(VALU_DEP_2)
	v_pk_fma_f32 v[128:129], v[124:125], v[122:123], v[126:127] op_sel_hi:[1,0,1]
	v_pk_fma_f32 v[122:123], v[124:125], v[122:123], v[126:127] neg_lo:[0,0,1] neg_hi:[0,0,1]
	v_mov_b32_e32 v123, v129
	s_cbranch_execz .LBB122_459
	s_branch .LBB122_460
.LBB122_458:
                                        ; implicit-def: $vgpr122_vgpr123
.LBB122_459:
	ds_load_b64 v[122:123], v1
.LBB122_460:
	s_and_saveexec_b32 s19, s0
	s_cbranch_execz .LBB122_464
; %bb.461:
	v_add_nc_u32_e32 v124, -13, v0
	s_movk_i32 s20, 0x248
	s_mov_b32 s0, 0
.LBB122_462:                            ; =>This Inner Loop Header: Depth=1
	scratch_load_b64 v[126:127], off, s17
	v_dual_mov_b32 v125, s20 :: v_dual_add_nc_u32 v124, -1, v124
	s_add_co_i32 s20, s20, 8
	s_wait_xcnt 0x0
	s_add_co_i32 s17, s17, 8
	ds_load_b64 v[128:129], v125
	v_cmp_eq_u32_e32 vcc_lo, 0, v124
	s_or_b32 s0, vcc_lo, s0
	s_wait_loadcnt_dscnt 0x0
	v_pk_mul_f32 v[130:131], v[128:129], v[126:127] op_sel:[1,1] op_sel_hi:[0,1]
	s_delay_alu instid0(VALU_DEP_1) | instskip(SKIP_1) | instid1(VALU_DEP_2)
	v_pk_fma_f32 v[132:133], v[128:129], v[126:127], v[130:131] op_sel_hi:[1,0,1]
	v_pk_fma_f32 v[126:127], v[128:129], v[126:127], v[130:131] neg_lo:[0,0,1] neg_hi:[0,0,1]
	v_mov_b32_e32 v127, v133
	s_delay_alu instid0(VALU_DEP_1)
	v_pk_add_f32 v[122:123], v[122:123], v[126:127]
	s_and_not1_b32 exec_lo, exec_lo, s0
	s_cbranch_execnz .LBB122_462
; %bb.463:
	s_or_b32 exec_lo, exec_lo, s0
.LBB122_464:
	s_delay_alu instid0(SALU_CYCLE_1) | instskip(SKIP_4) | instid1(VALU_DEP_1)
	s_or_b32 exec_lo, exec_lo, s19
	v_mov_b32_e32 v124, 0
	ds_load_b64 v[124:125], v124 offset:96
	s_wait_dscnt 0x0
	v_pk_mul_f32 v[126:127], v[122:123], v[124:125] op_sel:[1,1] op_sel_hi:[0,1]
	v_pk_fma_f32 v[128:129], v[122:123], v[124:125], v[126:127] op_sel_hi:[1,0,1]
	v_pk_fma_f32 v[122:123], v[122:123], v[124:125], v[126:127] neg_lo:[0,0,1] neg_hi:[0,0,1]
	s_delay_alu instid0(VALU_DEP_2)
	v_mov_b32_e32 v123, v129
	scratch_store_b64 off, v[122:123], off offset:96
.LBB122_465:
	s_wait_xcnt 0x0
	s_or_b32 exec_lo, exec_lo, s18
	scratch_load_b64 v[122:123], off, off offset:88
	v_cmp_lt_u32_e64 s0, 11, v0
	s_wait_loadcnt 0x0
	ds_store_b64 v1, v[122:123]
	s_wait_storecnt_dscnt 0x0
	s_barrier_signal -1
	s_barrier_wait -1
	s_wait_xcnt 0x0
	s_and_saveexec_b32 s17, s0
	s_cbranch_execz .LBB122_475
; %bb.466:
	s_and_not1_b32 vcc_lo, exec_lo, s5
	s_cbranch_vccnz .LBB122_468
; %bb.467:
	scratch_load_b64 v[122:123], v59, off
	ds_load_b64 v[124:125], v1
	s_wait_loadcnt_dscnt 0x0
	v_pk_mul_f32 v[126:127], v[124:125], v[122:123] op_sel:[1,1] op_sel_hi:[0,1]
	s_delay_alu instid0(VALU_DEP_1) | instskip(SKIP_1) | instid1(VALU_DEP_2)
	v_pk_fma_f32 v[128:129], v[124:125], v[122:123], v[126:127] op_sel_hi:[1,0,1]
	v_pk_fma_f32 v[122:123], v[124:125], v[122:123], v[126:127] neg_lo:[0,0,1] neg_hi:[0,0,1]
	v_mov_b32_e32 v123, v129
	s_cbranch_execz .LBB122_469
	s_branch .LBB122_470
.LBB122_468:
                                        ; implicit-def: $vgpr122_vgpr123
.LBB122_469:
	ds_load_b64 v[122:123], v1
.LBB122_470:
	s_and_saveexec_b32 s18, s1
	s_cbranch_execz .LBB122_474
; %bb.471:
	v_add_nc_u32_e32 v124, -12, v0
	s_movk_i32 s19, 0x240
	s_mov_b32 s1, 0
.LBB122_472:                            ; =>This Inner Loop Header: Depth=1
	scratch_load_b64 v[126:127], off, s16
	v_dual_mov_b32 v125, s19 :: v_dual_add_nc_u32 v124, -1, v124
	s_add_co_i32 s19, s19, 8
	s_wait_xcnt 0x0
	s_add_co_i32 s16, s16, 8
	ds_load_b64 v[128:129], v125
	v_cmp_eq_u32_e32 vcc_lo, 0, v124
	s_or_b32 s1, vcc_lo, s1
	s_wait_loadcnt_dscnt 0x0
	v_pk_mul_f32 v[130:131], v[128:129], v[126:127] op_sel:[1,1] op_sel_hi:[0,1]
	s_delay_alu instid0(VALU_DEP_1) | instskip(SKIP_1) | instid1(VALU_DEP_2)
	v_pk_fma_f32 v[132:133], v[128:129], v[126:127], v[130:131] op_sel_hi:[1,0,1]
	v_pk_fma_f32 v[126:127], v[128:129], v[126:127], v[130:131] neg_lo:[0,0,1] neg_hi:[0,0,1]
	v_mov_b32_e32 v127, v133
	s_delay_alu instid0(VALU_DEP_1)
	v_pk_add_f32 v[122:123], v[122:123], v[126:127]
	s_and_not1_b32 exec_lo, exec_lo, s1
	s_cbranch_execnz .LBB122_472
; %bb.473:
	s_or_b32 exec_lo, exec_lo, s1
.LBB122_474:
	s_delay_alu instid0(SALU_CYCLE_1) | instskip(SKIP_4) | instid1(VALU_DEP_1)
	s_or_b32 exec_lo, exec_lo, s18
	v_mov_b32_e32 v124, 0
	ds_load_b64 v[124:125], v124 offset:88
	s_wait_dscnt 0x0
	v_pk_mul_f32 v[126:127], v[122:123], v[124:125] op_sel:[1,1] op_sel_hi:[0,1]
	v_pk_fma_f32 v[128:129], v[122:123], v[124:125], v[126:127] op_sel_hi:[1,0,1]
	v_pk_fma_f32 v[122:123], v[122:123], v[124:125], v[126:127] neg_lo:[0,0,1] neg_hi:[0,0,1]
	s_delay_alu instid0(VALU_DEP_2)
	v_mov_b32_e32 v123, v129
	scratch_store_b64 off, v[122:123], off offset:88
.LBB122_475:
	s_wait_xcnt 0x0
	s_or_b32 exec_lo, exec_lo, s17
	scratch_load_b64 v[122:123], off, off offset:80
	v_cmp_lt_u32_e64 s1, 10, v0
	s_wait_loadcnt 0x0
	ds_store_b64 v1, v[122:123]
	s_wait_storecnt_dscnt 0x0
	s_barrier_signal -1
	s_barrier_wait -1
	s_wait_xcnt 0x0
	s_and_saveexec_b32 s16, s1
	s_cbranch_execz .LBB122_485
; %bb.476:
	s_and_not1_b32 vcc_lo, exec_lo, s5
	s_cbranch_vccnz .LBB122_478
; %bb.477:
	scratch_load_b64 v[122:123], v59, off
	ds_load_b64 v[124:125], v1
	s_wait_loadcnt_dscnt 0x0
	v_pk_mul_f32 v[126:127], v[124:125], v[122:123] op_sel:[1,1] op_sel_hi:[0,1]
	s_delay_alu instid0(VALU_DEP_1) | instskip(SKIP_1) | instid1(VALU_DEP_2)
	v_pk_fma_f32 v[128:129], v[124:125], v[122:123], v[126:127] op_sel_hi:[1,0,1]
	v_pk_fma_f32 v[122:123], v[124:125], v[122:123], v[126:127] neg_lo:[0,0,1] neg_hi:[0,0,1]
	v_mov_b32_e32 v123, v129
	s_cbranch_execz .LBB122_479
	s_branch .LBB122_480
.LBB122_478:
                                        ; implicit-def: $vgpr122_vgpr123
.LBB122_479:
	ds_load_b64 v[122:123], v1
.LBB122_480:
	s_and_saveexec_b32 s17, s0
	s_cbranch_execz .LBB122_484
; %bb.481:
	v_add_nc_u32_e32 v124, -11, v0
	s_movk_i32 s18, 0x238
	s_mov_b32 s0, 0
.LBB122_482:                            ; =>This Inner Loop Header: Depth=1
	scratch_load_b64 v[126:127], off, s15
	v_dual_mov_b32 v125, s18 :: v_dual_add_nc_u32 v124, -1, v124
	s_add_co_i32 s18, s18, 8
	s_wait_xcnt 0x0
	s_add_co_i32 s15, s15, 8
	ds_load_b64 v[128:129], v125
	v_cmp_eq_u32_e32 vcc_lo, 0, v124
	s_or_b32 s0, vcc_lo, s0
	s_wait_loadcnt_dscnt 0x0
	v_pk_mul_f32 v[130:131], v[128:129], v[126:127] op_sel:[1,1] op_sel_hi:[0,1]
	s_delay_alu instid0(VALU_DEP_1) | instskip(SKIP_1) | instid1(VALU_DEP_2)
	v_pk_fma_f32 v[132:133], v[128:129], v[126:127], v[130:131] op_sel_hi:[1,0,1]
	v_pk_fma_f32 v[126:127], v[128:129], v[126:127], v[130:131] neg_lo:[0,0,1] neg_hi:[0,0,1]
	v_mov_b32_e32 v127, v133
	s_delay_alu instid0(VALU_DEP_1)
	v_pk_add_f32 v[122:123], v[122:123], v[126:127]
	s_and_not1_b32 exec_lo, exec_lo, s0
	s_cbranch_execnz .LBB122_482
; %bb.483:
	s_or_b32 exec_lo, exec_lo, s0
.LBB122_484:
	s_delay_alu instid0(SALU_CYCLE_1) | instskip(SKIP_4) | instid1(VALU_DEP_1)
	s_or_b32 exec_lo, exec_lo, s17
	v_mov_b32_e32 v124, 0
	ds_load_b64 v[124:125], v124 offset:80
	s_wait_dscnt 0x0
	v_pk_mul_f32 v[126:127], v[122:123], v[124:125] op_sel:[1,1] op_sel_hi:[0,1]
	v_pk_fma_f32 v[128:129], v[122:123], v[124:125], v[126:127] op_sel_hi:[1,0,1]
	v_pk_fma_f32 v[122:123], v[122:123], v[124:125], v[126:127] neg_lo:[0,0,1] neg_hi:[0,0,1]
	s_delay_alu instid0(VALU_DEP_2)
	v_mov_b32_e32 v123, v129
	scratch_store_b64 off, v[122:123], off offset:80
.LBB122_485:
	s_wait_xcnt 0x0
	s_or_b32 exec_lo, exec_lo, s16
	scratch_load_b64 v[122:123], off, off offset:72
	v_cmp_lt_u32_e64 s0, 9, v0
	s_wait_loadcnt 0x0
	ds_store_b64 v1, v[122:123]
	s_wait_storecnt_dscnt 0x0
	s_barrier_signal -1
	s_barrier_wait -1
	s_wait_xcnt 0x0
	s_and_saveexec_b32 s15, s0
	s_cbranch_execz .LBB122_495
; %bb.486:
	s_and_not1_b32 vcc_lo, exec_lo, s5
	s_cbranch_vccnz .LBB122_488
; %bb.487:
	scratch_load_b64 v[122:123], v59, off
	ds_load_b64 v[124:125], v1
	s_wait_loadcnt_dscnt 0x0
	v_pk_mul_f32 v[126:127], v[124:125], v[122:123] op_sel:[1,1] op_sel_hi:[0,1]
	s_delay_alu instid0(VALU_DEP_1) | instskip(SKIP_1) | instid1(VALU_DEP_2)
	v_pk_fma_f32 v[128:129], v[124:125], v[122:123], v[126:127] op_sel_hi:[1,0,1]
	v_pk_fma_f32 v[122:123], v[124:125], v[122:123], v[126:127] neg_lo:[0,0,1] neg_hi:[0,0,1]
	v_mov_b32_e32 v123, v129
	s_cbranch_execz .LBB122_489
	s_branch .LBB122_490
.LBB122_488:
                                        ; implicit-def: $vgpr122_vgpr123
.LBB122_489:
	ds_load_b64 v[122:123], v1
.LBB122_490:
	s_and_saveexec_b32 s16, s1
	s_cbranch_execz .LBB122_494
; %bb.491:
	v_add_nc_u32_e32 v124, -10, v0
	s_movk_i32 s17, 0x230
	s_mov_b32 s1, 0
.LBB122_492:                            ; =>This Inner Loop Header: Depth=1
	scratch_load_b64 v[126:127], off, s14
	v_dual_mov_b32 v125, s17 :: v_dual_add_nc_u32 v124, -1, v124
	s_add_co_i32 s17, s17, 8
	s_wait_xcnt 0x0
	s_add_co_i32 s14, s14, 8
	ds_load_b64 v[128:129], v125
	v_cmp_eq_u32_e32 vcc_lo, 0, v124
	s_or_b32 s1, vcc_lo, s1
	s_wait_loadcnt_dscnt 0x0
	v_pk_mul_f32 v[130:131], v[128:129], v[126:127] op_sel:[1,1] op_sel_hi:[0,1]
	s_delay_alu instid0(VALU_DEP_1) | instskip(SKIP_1) | instid1(VALU_DEP_2)
	v_pk_fma_f32 v[132:133], v[128:129], v[126:127], v[130:131] op_sel_hi:[1,0,1]
	v_pk_fma_f32 v[126:127], v[128:129], v[126:127], v[130:131] neg_lo:[0,0,1] neg_hi:[0,0,1]
	v_mov_b32_e32 v127, v133
	s_delay_alu instid0(VALU_DEP_1)
	v_pk_add_f32 v[122:123], v[122:123], v[126:127]
	s_and_not1_b32 exec_lo, exec_lo, s1
	s_cbranch_execnz .LBB122_492
; %bb.493:
	s_or_b32 exec_lo, exec_lo, s1
.LBB122_494:
	s_delay_alu instid0(SALU_CYCLE_1) | instskip(SKIP_4) | instid1(VALU_DEP_1)
	s_or_b32 exec_lo, exec_lo, s16
	v_mov_b32_e32 v124, 0
	ds_load_b64 v[124:125], v124 offset:72
	s_wait_dscnt 0x0
	v_pk_mul_f32 v[126:127], v[122:123], v[124:125] op_sel:[1,1] op_sel_hi:[0,1]
	v_pk_fma_f32 v[128:129], v[122:123], v[124:125], v[126:127] op_sel_hi:[1,0,1]
	v_pk_fma_f32 v[122:123], v[122:123], v[124:125], v[126:127] neg_lo:[0,0,1] neg_hi:[0,0,1]
	s_delay_alu instid0(VALU_DEP_2)
	v_mov_b32_e32 v123, v129
	scratch_store_b64 off, v[122:123], off offset:72
.LBB122_495:
	s_wait_xcnt 0x0
	s_or_b32 exec_lo, exec_lo, s15
	scratch_load_b64 v[122:123], off, off offset:64
	v_cmp_lt_u32_e64 s1, 8, v0
	s_wait_loadcnt 0x0
	ds_store_b64 v1, v[122:123]
	s_wait_storecnt_dscnt 0x0
	s_barrier_signal -1
	s_barrier_wait -1
	s_wait_xcnt 0x0
	s_and_saveexec_b32 s14, s1
	s_cbranch_execz .LBB122_505
; %bb.496:
	s_and_not1_b32 vcc_lo, exec_lo, s5
	s_cbranch_vccnz .LBB122_498
; %bb.497:
	scratch_load_b64 v[122:123], v59, off
	ds_load_b64 v[124:125], v1
	s_wait_loadcnt_dscnt 0x0
	v_pk_mul_f32 v[126:127], v[124:125], v[122:123] op_sel:[1,1] op_sel_hi:[0,1]
	s_delay_alu instid0(VALU_DEP_1) | instskip(SKIP_1) | instid1(VALU_DEP_2)
	v_pk_fma_f32 v[128:129], v[124:125], v[122:123], v[126:127] op_sel_hi:[1,0,1]
	v_pk_fma_f32 v[122:123], v[124:125], v[122:123], v[126:127] neg_lo:[0,0,1] neg_hi:[0,0,1]
	v_mov_b32_e32 v123, v129
	s_cbranch_execz .LBB122_499
	s_branch .LBB122_500
.LBB122_498:
                                        ; implicit-def: $vgpr122_vgpr123
.LBB122_499:
	ds_load_b64 v[122:123], v1
.LBB122_500:
	s_and_saveexec_b32 s15, s0
	s_cbranch_execz .LBB122_504
; %bb.501:
	v_add_nc_u32_e32 v124, -9, v0
	s_movk_i32 s16, 0x228
	s_mov_b32 s0, 0
.LBB122_502:                            ; =>This Inner Loop Header: Depth=1
	scratch_load_b64 v[126:127], off, s13
	v_dual_mov_b32 v125, s16 :: v_dual_add_nc_u32 v124, -1, v124
	s_add_co_i32 s16, s16, 8
	s_wait_xcnt 0x0
	s_add_co_i32 s13, s13, 8
	ds_load_b64 v[128:129], v125
	v_cmp_eq_u32_e32 vcc_lo, 0, v124
	s_or_b32 s0, vcc_lo, s0
	s_wait_loadcnt_dscnt 0x0
	v_pk_mul_f32 v[130:131], v[128:129], v[126:127] op_sel:[1,1] op_sel_hi:[0,1]
	s_delay_alu instid0(VALU_DEP_1) | instskip(SKIP_1) | instid1(VALU_DEP_2)
	v_pk_fma_f32 v[132:133], v[128:129], v[126:127], v[130:131] op_sel_hi:[1,0,1]
	v_pk_fma_f32 v[126:127], v[128:129], v[126:127], v[130:131] neg_lo:[0,0,1] neg_hi:[0,0,1]
	v_mov_b32_e32 v127, v133
	s_delay_alu instid0(VALU_DEP_1)
	v_pk_add_f32 v[122:123], v[122:123], v[126:127]
	s_and_not1_b32 exec_lo, exec_lo, s0
	s_cbranch_execnz .LBB122_502
; %bb.503:
	s_or_b32 exec_lo, exec_lo, s0
.LBB122_504:
	s_delay_alu instid0(SALU_CYCLE_1) | instskip(SKIP_4) | instid1(VALU_DEP_1)
	s_or_b32 exec_lo, exec_lo, s15
	v_mov_b32_e32 v124, 0
	ds_load_b64 v[124:125], v124 offset:64
	s_wait_dscnt 0x0
	v_pk_mul_f32 v[126:127], v[122:123], v[124:125] op_sel:[1,1] op_sel_hi:[0,1]
	v_pk_fma_f32 v[128:129], v[122:123], v[124:125], v[126:127] op_sel_hi:[1,0,1]
	v_pk_fma_f32 v[122:123], v[122:123], v[124:125], v[126:127] neg_lo:[0,0,1] neg_hi:[0,0,1]
	s_delay_alu instid0(VALU_DEP_2)
	v_mov_b32_e32 v123, v129
	scratch_store_b64 off, v[122:123], off offset:64
.LBB122_505:
	s_wait_xcnt 0x0
	s_or_b32 exec_lo, exec_lo, s14
	scratch_load_b64 v[122:123], off, off offset:56
	v_cmp_lt_u32_e64 s0, 7, v0
	s_wait_loadcnt 0x0
	ds_store_b64 v1, v[122:123]
	s_wait_storecnt_dscnt 0x0
	s_barrier_signal -1
	s_barrier_wait -1
	s_wait_xcnt 0x0
	s_and_saveexec_b32 s13, s0
	s_cbranch_execz .LBB122_515
; %bb.506:
	s_and_not1_b32 vcc_lo, exec_lo, s5
	s_cbranch_vccnz .LBB122_508
; %bb.507:
	scratch_load_b64 v[122:123], v59, off
	ds_load_b64 v[124:125], v1
	s_wait_loadcnt_dscnt 0x0
	v_pk_mul_f32 v[126:127], v[124:125], v[122:123] op_sel:[1,1] op_sel_hi:[0,1]
	s_delay_alu instid0(VALU_DEP_1) | instskip(SKIP_1) | instid1(VALU_DEP_2)
	v_pk_fma_f32 v[128:129], v[124:125], v[122:123], v[126:127] op_sel_hi:[1,0,1]
	v_pk_fma_f32 v[122:123], v[124:125], v[122:123], v[126:127] neg_lo:[0,0,1] neg_hi:[0,0,1]
	v_mov_b32_e32 v123, v129
	s_cbranch_execz .LBB122_509
	s_branch .LBB122_510
.LBB122_508:
                                        ; implicit-def: $vgpr122_vgpr123
.LBB122_509:
	ds_load_b64 v[122:123], v1
.LBB122_510:
	s_and_saveexec_b32 s14, s1
	s_cbranch_execz .LBB122_514
; %bb.511:
	v_add_nc_u32_e32 v124, -8, v0
	s_movk_i32 s15, 0x220
	s_mov_b32 s1, 0
.LBB122_512:                            ; =>This Inner Loop Header: Depth=1
	scratch_load_b64 v[126:127], off, s12
	v_dual_mov_b32 v125, s15 :: v_dual_add_nc_u32 v124, -1, v124
	s_add_co_i32 s15, s15, 8
	s_wait_xcnt 0x0
	s_add_co_i32 s12, s12, 8
	ds_load_b64 v[128:129], v125
	v_cmp_eq_u32_e32 vcc_lo, 0, v124
	s_or_b32 s1, vcc_lo, s1
	s_wait_loadcnt_dscnt 0x0
	v_pk_mul_f32 v[130:131], v[128:129], v[126:127] op_sel:[1,1] op_sel_hi:[0,1]
	s_delay_alu instid0(VALU_DEP_1) | instskip(SKIP_1) | instid1(VALU_DEP_2)
	v_pk_fma_f32 v[132:133], v[128:129], v[126:127], v[130:131] op_sel_hi:[1,0,1]
	v_pk_fma_f32 v[126:127], v[128:129], v[126:127], v[130:131] neg_lo:[0,0,1] neg_hi:[0,0,1]
	v_mov_b32_e32 v127, v133
	s_delay_alu instid0(VALU_DEP_1)
	v_pk_add_f32 v[122:123], v[122:123], v[126:127]
	s_and_not1_b32 exec_lo, exec_lo, s1
	s_cbranch_execnz .LBB122_512
; %bb.513:
	s_or_b32 exec_lo, exec_lo, s1
.LBB122_514:
	s_delay_alu instid0(SALU_CYCLE_1) | instskip(SKIP_4) | instid1(VALU_DEP_1)
	s_or_b32 exec_lo, exec_lo, s14
	v_mov_b32_e32 v124, 0
	ds_load_b64 v[124:125], v124 offset:56
	s_wait_dscnt 0x0
	v_pk_mul_f32 v[126:127], v[122:123], v[124:125] op_sel:[1,1] op_sel_hi:[0,1]
	v_pk_fma_f32 v[128:129], v[122:123], v[124:125], v[126:127] op_sel_hi:[1,0,1]
	v_pk_fma_f32 v[122:123], v[122:123], v[124:125], v[126:127] neg_lo:[0,0,1] neg_hi:[0,0,1]
	s_delay_alu instid0(VALU_DEP_2)
	v_mov_b32_e32 v123, v129
	scratch_store_b64 off, v[122:123], off offset:56
.LBB122_515:
	s_wait_xcnt 0x0
	s_or_b32 exec_lo, exec_lo, s13
	scratch_load_b64 v[122:123], off, off offset:48
	v_cmp_lt_u32_e64 s1, 6, v0
	s_wait_loadcnt 0x0
	ds_store_b64 v1, v[122:123]
	s_wait_storecnt_dscnt 0x0
	s_barrier_signal -1
	s_barrier_wait -1
	s_wait_xcnt 0x0
	s_and_saveexec_b32 s12, s1
	s_cbranch_execz .LBB122_525
; %bb.516:
	s_and_not1_b32 vcc_lo, exec_lo, s5
	s_cbranch_vccnz .LBB122_518
; %bb.517:
	scratch_load_b64 v[122:123], v59, off
	ds_load_b64 v[124:125], v1
	s_wait_loadcnt_dscnt 0x0
	v_pk_mul_f32 v[126:127], v[124:125], v[122:123] op_sel:[1,1] op_sel_hi:[0,1]
	s_delay_alu instid0(VALU_DEP_1) | instskip(SKIP_1) | instid1(VALU_DEP_2)
	v_pk_fma_f32 v[128:129], v[124:125], v[122:123], v[126:127] op_sel_hi:[1,0,1]
	v_pk_fma_f32 v[122:123], v[124:125], v[122:123], v[126:127] neg_lo:[0,0,1] neg_hi:[0,0,1]
	v_mov_b32_e32 v123, v129
	s_cbranch_execz .LBB122_519
	s_branch .LBB122_520
.LBB122_518:
                                        ; implicit-def: $vgpr122_vgpr123
.LBB122_519:
	ds_load_b64 v[122:123], v1
.LBB122_520:
	s_and_saveexec_b32 s13, s0
	s_cbranch_execz .LBB122_524
; %bb.521:
	v_add_nc_u32_e32 v124, -7, v0
	s_movk_i32 s14, 0x218
	s_mov_b32 s0, 0
.LBB122_522:                            ; =>This Inner Loop Header: Depth=1
	scratch_load_b64 v[126:127], off, s11
	v_dual_mov_b32 v125, s14 :: v_dual_add_nc_u32 v124, -1, v124
	s_add_co_i32 s14, s14, 8
	s_wait_xcnt 0x0
	s_add_co_i32 s11, s11, 8
	ds_load_b64 v[128:129], v125
	v_cmp_eq_u32_e32 vcc_lo, 0, v124
	s_or_b32 s0, vcc_lo, s0
	s_wait_loadcnt_dscnt 0x0
	v_pk_mul_f32 v[130:131], v[128:129], v[126:127] op_sel:[1,1] op_sel_hi:[0,1]
	s_delay_alu instid0(VALU_DEP_1) | instskip(SKIP_1) | instid1(VALU_DEP_2)
	v_pk_fma_f32 v[132:133], v[128:129], v[126:127], v[130:131] op_sel_hi:[1,0,1]
	v_pk_fma_f32 v[126:127], v[128:129], v[126:127], v[130:131] neg_lo:[0,0,1] neg_hi:[0,0,1]
	v_mov_b32_e32 v127, v133
	s_delay_alu instid0(VALU_DEP_1)
	v_pk_add_f32 v[122:123], v[122:123], v[126:127]
	s_and_not1_b32 exec_lo, exec_lo, s0
	s_cbranch_execnz .LBB122_522
; %bb.523:
	s_or_b32 exec_lo, exec_lo, s0
.LBB122_524:
	s_delay_alu instid0(SALU_CYCLE_1) | instskip(SKIP_4) | instid1(VALU_DEP_1)
	s_or_b32 exec_lo, exec_lo, s13
	v_mov_b32_e32 v124, 0
	ds_load_b64 v[124:125], v124 offset:48
	s_wait_dscnt 0x0
	v_pk_mul_f32 v[126:127], v[122:123], v[124:125] op_sel:[1,1] op_sel_hi:[0,1]
	v_pk_fma_f32 v[128:129], v[122:123], v[124:125], v[126:127] op_sel_hi:[1,0,1]
	v_pk_fma_f32 v[122:123], v[122:123], v[124:125], v[126:127] neg_lo:[0,0,1] neg_hi:[0,0,1]
	s_delay_alu instid0(VALU_DEP_2)
	v_mov_b32_e32 v123, v129
	scratch_store_b64 off, v[122:123], off offset:48
.LBB122_525:
	s_wait_xcnt 0x0
	s_or_b32 exec_lo, exec_lo, s12
	scratch_load_b64 v[122:123], off, off offset:40
	v_cmp_lt_u32_e64 s0, 5, v0
	s_wait_loadcnt 0x0
	ds_store_b64 v1, v[122:123]
	s_wait_storecnt_dscnt 0x0
	s_barrier_signal -1
	s_barrier_wait -1
	s_wait_xcnt 0x0
	s_and_saveexec_b32 s11, s0
	s_cbranch_execz .LBB122_535
; %bb.526:
	s_and_not1_b32 vcc_lo, exec_lo, s5
	s_cbranch_vccnz .LBB122_528
; %bb.527:
	scratch_load_b64 v[122:123], v59, off
	ds_load_b64 v[124:125], v1
	s_wait_loadcnt_dscnt 0x0
	v_pk_mul_f32 v[126:127], v[124:125], v[122:123] op_sel:[1,1] op_sel_hi:[0,1]
	s_delay_alu instid0(VALU_DEP_1) | instskip(SKIP_1) | instid1(VALU_DEP_2)
	v_pk_fma_f32 v[128:129], v[124:125], v[122:123], v[126:127] op_sel_hi:[1,0,1]
	v_pk_fma_f32 v[122:123], v[124:125], v[122:123], v[126:127] neg_lo:[0,0,1] neg_hi:[0,0,1]
	v_mov_b32_e32 v123, v129
	s_cbranch_execz .LBB122_529
	s_branch .LBB122_530
.LBB122_528:
                                        ; implicit-def: $vgpr122_vgpr123
.LBB122_529:
	ds_load_b64 v[122:123], v1
.LBB122_530:
	s_and_saveexec_b32 s12, s1
	s_cbranch_execz .LBB122_534
; %bb.531:
	v_add_nc_u32_e32 v124, -6, v0
	s_movk_i32 s13, 0x210
	s_mov_b32 s1, 0
.LBB122_532:                            ; =>This Inner Loop Header: Depth=1
	scratch_load_b64 v[126:127], off, s10
	v_dual_mov_b32 v125, s13 :: v_dual_add_nc_u32 v124, -1, v124
	s_add_co_i32 s13, s13, 8
	s_wait_xcnt 0x0
	s_add_co_i32 s10, s10, 8
	ds_load_b64 v[128:129], v125
	v_cmp_eq_u32_e32 vcc_lo, 0, v124
	s_or_b32 s1, vcc_lo, s1
	s_wait_loadcnt_dscnt 0x0
	v_pk_mul_f32 v[130:131], v[128:129], v[126:127] op_sel:[1,1] op_sel_hi:[0,1]
	s_delay_alu instid0(VALU_DEP_1) | instskip(SKIP_1) | instid1(VALU_DEP_2)
	v_pk_fma_f32 v[132:133], v[128:129], v[126:127], v[130:131] op_sel_hi:[1,0,1]
	v_pk_fma_f32 v[126:127], v[128:129], v[126:127], v[130:131] neg_lo:[0,0,1] neg_hi:[0,0,1]
	v_mov_b32_e32 v127, v133
	s_delay_alu instid0(VALU_DEP_1)
	v_pk_add_f32 v[122:123], v[122:123], v[126:127]
	s_and_not1_b32 exec_lo, exec_lo, s1
	s_cbranch_execnz .LBB122_532
; %bb.533:
	s_or_b32 exec_lo, exec_lo, s1
.LBB122_534:
	s_delay_alu instid0(SALU_CYCLE_1) | instskip(SKIP_4) | instid1(VALU_DEP_1)
	s_or_b32 exec_lo, exec_lo, s12
	v_mov_b32_e32 v124, 0
	ds_load_b64 v[124:125], v124 offset:40
	s_wait_dscnt 0x0
	v_pk_mul_f32 v[126:127], v[122:123], v[124:125] op_sel:[1,1] op_sel_hi:[0,1]
	v_pk_fma_f32 v[128:129], v[122:123], v[124:125], v[126:127] op_sel_hi:[1,0,1]
	v_pk_fma_f32 v[122:123], v[122:123], v[124:125], v[126:127] neg_lo:[0,0,1] neg_hi:[0,0,1]
	s_delay_alu instid0(VALU_DEP_2)
	v_mov_b32_e32 v123, v129
	scratch_store_b64 off, v[122:123], off offset:40
.LBB122_535:
	s_wait_xcnt 0x0
	s_or_b32 exec_lo, exec_lo, s11
	scratch_load_b64 v[122:123], off, off offset:32
	v_cmp_lt_u32_e64 s1, 4, v0
	s_wait_loadcnt 0x0
	ds_store_b64 v1, v[122:123]
	s_wait_storecnt_dscnt 0x0
	s_barrier_signal -1
	s_barrier_wait -1
	s_wait_xcnt 0x0
	s_and_saveexec_b32 s10, s1
	s_cbranch_execz .LBB122_545
; %bb.536:
	s_and_not1_b32 vcc_lo, exec_lo, s5
	s_cbranch_vccnz .LBB122_538
; %bb.537:
	scratch_load_b64 v[122:123], v59, off
	ds_load_b64 v[124:125], v1
	s_wait_loadcnt_dscnt 0x0
	v_pk_mul_f32 v[126:127], v[124:125], v[122:123] op_sel:[1,1] op_sel_hi:[0,1]
	s_delay_alu instid0(VALU_DEP_1) | instskip(SKIP_1) | instid1(VALU_DEP_2)
	v_pk_fma_f32 v[128:129], v[124:125], v[122:123], v[126:127] op_sel_hi:[1,0,1]
	v_pk_fma_f32 v[122:123], v[124:125], v[122:123], v[126:127] neg_lo:[0,0,1] neg_hi:[0,0,1]
	v_mov_b32_e32 v123, v129
	s_cbranch_execz .LBB122_539
	s_branch .LBB122_540
.LBB122_538:
                                        ; implicit-def: $vgpr122_vgpr123
.LBB122_539:
	ds_load_b64 v[122:123], v1
.LBB122_540:
	s_and_saveexec_b32 s11, s0
	s_cbranch_execz .LBB122_544
; %bb.541:
	v_add_nc_u32_e32 v124, -5, v0
	s_movk_i32 s12, 0x208
	s_mov_b32 s0, 0
.LBB122_542:                            ; =>This Inner Loop Header: Depth=1
	scratch_load_b64 v[126:127], off, s9
	v_dual_mov_b32 v125, s12 :: v_dual_add_nc_u32 v124, -1, v124
	s_add_co_i32 s12, s12, 8
	s_wait_xcnt 0x0
	s_add_co_i32 s9, s9, 8
	ds_load_b64 v[128:129], v125
	v_cmp_eq_u32_e32 vcc_lo, 0, v124
	s_or_b32 s0, vcc_lo, s0
	s_wait_loadcnt_dscnt 0x0
	v_pk_mul_f32 v[130:131], v[128:129], v[126:127] op_sel:[1,1] op_sel_hi:[0,1]
	s_delay_alu instid0(VALU_DEP_1) | instskip(SKIP_1) | instid1(VALU_DEP_2)
	v_pk_fma_f32 v[132:133], v[128:129], v[126:127], v[130:131] op_sel_hi:[1,0,1]
	v_pk_fma_f32 v[126:127], v[128:129], v[126:127], v[130:131] neg_lo:[0,0,1] neg_hi:[0,0,1]
	v_mov_b32_e32 v127, v133
	s_delay_alu instid0(VALU_DEP_1)
	v_pk_add_f32 v[122:123], v[122:123], v[126:127]
	s_and_not1_b32 exec_lo, exec_lo, s0
	s_cbranch_execnz .LBB122_542
; %bb.543:
	s_or_b32 exec_lo, exec_lo, s0
.LBB122_544:
	s_delay_alu instid0(SALU_CYCLE_1) | instskip(SKIP_4) | instid1(VALU_DEP_1)
	s_or_b32 exec_lo, exec_lo, s11
	v_mov_b32_e32 v124, 0
	ds_load_b64 v[124:125], v124 offset:32
	s_wait_dscnt 0x0
	v_pk_mul_f32 v[126:127], v[122:123], v[124:125] op_sel:[1,1] op_sel_hi:[0,1]
	v_pk_fma_f32 v[128:129], v[122:123], v[124:125], v[126:127] op_sel_hi:[1,0,1]
	v_pk_fma_f32 v[122:123], v[122:123], v[124:125], v[126:127] neg_lo:[0,0,1] neg_hi:[0,0,1]
	s_delay_alu instid0(VALU_DEP_2)
	v_mov_b32_e32 v123, v129
	scratch_store_b64 off, v[122:123], off offset:32
.LBB122_545:
	s_wait_xcnt 0x0
	s_or_b32 exec_lo, exec_lo, s10
	scratch_load_b64 v[122:123], off, off offset:24
	v_cmp_lt_u32_e64 s0, 3, v0
	s_wait_loadcnt 0x0
	ds_store_b64 v1, v[122:123]
	s_wait_storecnt_dscnt 0x0
	s_barrier_signal -1
	s_barrier_wait -1
	s_wait_xcnt 0x0
	s_and_saveexec_b32 s9, s0
	s_cbranch_execz .LBB122_555
; %bb.546:
	s_and_not1_b32 vcc_lo, exec_lo, s5
	s_cbranch_vccnz .LBB122_548
; %bb.547:
	scratch_load_b64 v[122:123], v59, off
	ds_load_b64 v[124:125], v1
	s_wait_loadcnt_dscnt 0x0
	v_pk_mul_f32 v[126:127], v[124:125], v[122:123] op_sel:[1,1] op_sel_hi:[0,1]
	s_delay_alu instid0(VALU_DEP_1) | instskip(SKIP_1) | instid1(VALU_DEP_2)
	v_pk_fma_f32 v[128:129], v[124:125], v[122:123], v[126:127] op_sel_hi:[1,0,1]
	v_pk_fma_f32 v[122:123], v[124:125], v[122:123], v[126:127] neg_lo:[0,0,1] neg_hi:[0,0,1]
	v_mov_b32_e32 v123, v129
	s_cbranch_execz .LBB122_549
	s_branch .LBB122_550
.LBB122_548:
                                        ; implicit-def: $vgpr122_vgpr123
.LBB122_549:
	ds_load_b64 v[122:123], v1
.LBB122_550:
	s_and_saveexec_b32 s10, s1
	s_cbranch_execz .LBB122_554
; %bb.551:
	v_add_nc_u32_e32 v124, -4, v0
	s_movk_i32 s11, 0x200
	s_mov_b32 s1, 0
.LBB122_552:                            ; =>This Inner Loop Header: Depth=1
	scratch_load_b64 v[126:127], off, s8
	v_dual_mov_b32 v125, s11 :: v_dual_add_nc_u32 v124, -1, v124
	s_add_co_i32 s11, s11, 8
	s_wait_xcnt 0x0
	s_add_co_i32 s8, s8, 8
	ds_load_b64 v[128:129], v125
	v_cmp_eq_u32_e32 vcc_lo, 0, v124
	s_or_b32 s1, vcc_lo, s1
	s_wait_loadcnt_dscnt 0x0
	v_pk_mul_f32 v[130:131], v[128:129], v[126:127] op_sel:[1,1] op_sel_hi:[0,1]
	s_delay_alu instid0(VALU_DEP_1) | instskip(SKIP_1) | instid1(VALU_DEP_2)
	v_pk_fma_f32 v[132:133], v[128:129], v[126:127], v[130:131] op_sel_hi:[1,0,1]
	v_pk_fma_f32 v[126:127], v[128:129], v[126:127], v[130:131] neg_lo:[0,0,1] neg_hi:[0,0,1]
	v_mov_b32_e32 v127, v133
	s_delay_alu instid0(VALU_DEP_1)
	v_pk_add_f32 v[122:123], v[122:123], v[126:127]
	s_and_not1_b32 exec_lo, exec_lo, s1
	s_cbranch_execnz .LBB122_552
; %bb.553:
	s_or_b32 exec_lo, exec_lo, s1
.LBB122_554:
	s_delay_alu instid0(SALU_CYCLE_1) | instskip(SKIP_4) | instid1(VALU_DEP_1)
	s_or_b32 exec_lo, exec_lo, s10
	v_mov_b32_e32 v124, 0
	ds_load_b64 v[124:125], v124 offset:24
	s_wait_dscnt 0x0
	v_pk_mul_f32 v[126:127], v[122:123], v[124:125] op_sel:[1,1] op_sel_hi:[0,1]
	v_pk_fma_f32 v[128:129], v[122:123], v[124:125], v[126:127] op_sel_hi:[1,0,1]
	v_pk_fma_f32 v[122:123], v[122:123], v[124:125], v[126:127] neg_lo:[0,0,1] neg_hi:[0,0,1]
	s_delay_alu instid0(VALU_DEP_2)
	v_mov_b32_e32 v123, v129
	scratch_store_b64 off, v[122:123], off offset:24
.LBB122_555:
	s_wait_xcnt 0x0
	s_or_b32 exec_lo, exec_lo, s9
	scratch_load_b64 v[122:123], off, off offset:16
	v_cmp_lt_u32_e64 s1, 2, v0
	s_wait_loadcnt 0x0
	ds_store_b64 v1, v[122:123]
	s_wait_storecnt_dscnt 0x0
	s_barrier_signal -1
	s_barrier_wait -1
	s_wait_xcnt 0x0
	s_and_saveexec_b32 s8, s1
	s_cbranch_execz .LBB122_565
; %bb.556:
	s_and_not1_b32 vcc_lo, exec_lo, s5
	s_cbranch_vccnz .LBB122_558
; %bb.557:
	scratch_load_b64 v[122:123], v59, off
	ds_load_b64 v[124:125], v1
	s_wait_loadcnt_dscnt 0x0
	v_pk_mul_f32 v[126:127], v[124:125], v[122:123] op_sel:[1,1] op_sel_hi:[0,1]
	s_delay_alu instid0(VALU_DEP_1) | instskip(SKIP_1) | instid1(VALU_DEP_2)
	v_pk_fma_f32 v[128:129], v[124:125], v[122:123], v[126:127] op_sel_hi:[1,0,1]
	v_pk_fma_f32 v[122:123], v[124:125], v[122:123], v[126:127] neg_lo:[0,0,1] neg_hi:[0,0,1]
	v_mov_b32_e32 v123, v129
	s_cbranch_execz .LBB122_559
	s_branch .LBB122_560
.LBB122_558:
                                        ; implicit-def: $vgpr122_vgpr123
.LBB122_559:
	ds_load_b64 v[122:123], v1
.LBB122_560:
	s_and_saveexec_b32 s9, s0
	s_cbranch_execz .LBB122_564
; %bb.561:
	v_add_nc_u32_e32 v124, -3, v0
	s_movk_i32 s10, 0x1f8
	s_mov_b32 s0, 0
.LBB122_562:                            ; =>This Inner Loop Header: Depth=1
	scratch_load_b64 v[126:127], off, s7
	v_dual_mov_b32 v125, s10 :: v_dual_add_nc_u32 v124, -1, v124
	s_add_co_i32 s10, s10, 8
	s_wait_xcnt 0x0
	s_add_co_i32 s7, s7, 8
	ds_load_b64 v[128:129], v125
	v_cmp_eq_u32_e32 vcc_lo, 0, v124
	s_or_b32 s0, vcc_lo, s0
	s_wait_loadcnt_dscnt 0x0
	v_pk_mul_f32 v[130:131], v[128:129], v[126:127] op_sel:[1,1] op_sel_hi:[0,1]
	s_delay_alu instid0(VALU_DEP_1) | instskip(SKIP_1) | instid1(VALU_DEP_2)
	v_pk_fma_f32 v[132:133], v[128:129], v[126:127], v[130:131] op_sel_hi:[1,0,1]
	v_pk_fma_f32 v[126:127], v[128:129], v[126:127], v[130:131] neg_lo:[0,0,1] neg_hi:[0,0,1]
	v_mov_b32_e32 v127, v133
	s_delay_alu instid0(VALU_DEP_1)
	v_pk_add_f32 v[122:123], v[122:123], v[126:127]
	s_and_not1_b32 exec_lo, exec_lo, s0
	s_cbranch_execnz .LBB122_562
; %bb.563:
	s_or_b32 exec_lo, exec_lo, s0
.LBB122_564:
	s_delay_alu instid0(SALU_CYCLE_1) | instskip(SKIP_4) | instid1(VALU_DEP_1)
	s_or_b32 exec_lo, exec_lo, s9
	v_mov_b32_e32 v124, 0
	ds_load_b64 v[124:125], v124 offset:16
	s_wait_dscnt 0x0
	v_pk_mul_f32 v[126:127], v[122:123], v[124:125] op_sel:[1,1] op_sel_hi:[0,1]
	v_pk_fma_f32 v[128:129], v[122:123], v[124:125], v[126:127] op_sel_hi:[1,0,1]
	v_pk_fma_f32 v[122:123], v[122:123], v[124:125], v[126:127] neg_lo:[0,0,1] neg_hi:[0,0,1]
	s_delay_alu instid0(VALU_DEP_2)
	v_mov_b32_e32 v123, v129
	scratch_store_b64 off, v[122:123], off offset:16
.LBB122_565:
	s_wait_xcnt 0x0
	s_or_b32 exec_lo, exec_lo, s8
	scratch_load_b64 v[122:123], off, off offset:8
	v_cmp_lt_u32_e64 s0, 1, v0
	s_wait_loadcnt 0x0
	ds_store_b64 v1, v[122:123]
	s_wait_storecnt_dscnt 0x0
	s_barrier_signal -1
	s_barrier_wait -1
	s_wait_xcnt 0x0
	s_and_saveexec_b32 s7, s0
	s_cbranch_execz .LBB122_575
; %bb.566:
	s_and_not1_b32 vcc_lo, exec_lo, s5
	s_cbranch_vccnz .LBB122_568
; %bb.567:
	scratch_load_b64 v[122:123], v59, off
	ds_load_b64 v[124:125], v1
	s_wait_loadcnt_dscnt 0x0
	v_pk_mul_f32 v[126:127], v[124:125], v[122:123] op_sel:[1,1] op_sel_hi:[0,1]
	s_delay_alu instid0(VALU_DEP_1) | instskip(SKIP_1) | instid1(VALU_DEP_2)
	v_pk_fma_f32 v[128:129], v[124:125], v[122:123], v[126:127] op_sel_hi:[1,0,1]
	v_pk_fma_f32 v[122:123], v[124:125], v[122:123], v[126:127] neg_lo:[0,0,1] neg_hi:[0,0,1]
	v_mov_b32_e32 v123, v129
	s_cbranch_execz .LBB122_569
	s_branch .LBB122_570
.LBB122_568:
                                        ; implicit-def: $vgpr122_vgpr123
.LBB122_569:
	ds_load_b64 v[122:123], v1
.LBB122_570:
	s_and_saveexec_b32 s8, s1
	s_cbranch_execz .LBB122_574
; %bb.571:
	v_add_nc_u32_e32 v124, -2, v0
	s_movk_i32 s9, 0x1f0
	s_mov_b32 s1, 0
.LBB122_572:                            ; =>This Inner Loop Header: Depth=1
	scratch_load_b64 v[126:127], off, s6
	v_dual_mov_b32 v125, s9 :: v_dual_add_nc_u32 v124, -1, v124
	s_add_co_i32 s9, s9, 8
	s_wait_xcnt 0x0
	s_add_co_i32 s6, s6, 8
	ds_load_b64 v[128:129], v125
	v_cmp_eq_u32_e32 vcc_lo, 0, v124
	s_or_b32 s1, vcc_lo, s1
	s_wait_loadcnt_dscnt 0x0
	v_pk_mul_f32 v[130:131], v[128:129], v[126:127] op_sel:[1,1] op_sel_hi:[0,1]
	s_delay_alu instid0(VALU_DEP_1) | instskip(SKIP_1) | instid1(VALU_DEP_2)
	v_pk_fma_f32 v[132:133], v[128:129], v[126:127], v[130:131] op_sel_hi:[1,0,1]
	v_pk_fma_f32 v[126:127], v[128:129], v[126:127], v[130:131] neg_lo:[0,0,1] neg_hi:[0,0,1]
	v_mov_b32_e32 v127, v133
	s_delay_alu instid0(VALU_DEP_1)
	v_pk_add_f32 v[122:123], v[122:123], v[126:127]
	s_and_not1_b32 exec_lo, exec_lo, s1
	s_cbranch_execnz .LBB122_572
; %bb.573:
	s_or_b32 exec_lo, exec_lo, s1
.LBB122_574:
	s_delay_alu instid0(SALU_CYCLE_1) | instskip(SKIP_4) | instid1(VALU_DEP_1)
	s_or_b32 exec_lo, exec_lo, s8
	v_mov_b32_e32 v124, 0
	ds_load_b64 v[124:125], v124 offset:8
	s_wait_dscnt 0x0
	v_pk_mul_f32 v[126:127], v[122:123], v[124:125] op_sel:[1,1] op_sel_hi:[0,1]
	v_pk_fma_f32 v[128:129], v[122:123], v[124:125], v[126:127] op_sel_hi:[1,0,1]
	v_pk_fma_f32 v[122:123], v[122:123], v[124:125], v[126:127] neg_lo:[0,0,1] neg_hi:[0,0,1]
	s_delay_alu instid0(VALU_DEP_2)
	v_mov_b32_e32 v123, v129
	scratch_store_b64 off, v[122:123], off offset:8
.LBB122_575:
	s_wait_xcnt 0x0
	s_or_b32 exec_lo, exec_lo, s7
	scratch_load_b64 v[122:123], off, off
	s_mov_b32 s6, 0
	s_mov_b32 s1, 0
	s_mov_b32 s8, exec_lo
                                        ; implicit-def: $vgpr176
                                        ; implicit-def: $sgpr7
	s_wait_loadcnt 0x0
	ds_store_b64 v1, v[122:123]
	s_wait_storecnt_dscnt 0x0
	s_barrier_signal -1
	s_barrier_wait -1
	s_wait_xcnt 0x0
	v_cmpx_ne_u32_e32 0, v0
	s_cbranch_execz .LBB122_585
; %bb.576:
	s_and_not1_b32 vcc_lo, exec_lo, s5
	s_cbranch_vccnz .LBB122_578
; %bb.577:
	scratch_load_b64 v[124:125], v59, off
	ds_load_b64 v[126:127], v1
	s_wait_loadcnt_dscnt 0x0
	v_dual_mul_f32 v122, v127, v125 :: v_dual_mul_f32 v123, v126, v125
	s_delay_alu instid0(VALU_DEP_1)
	v_dual_fma_f32 v122, v126, v124, -v122 :: v_dual_fmac_f32 v123, v127, v124
	s_and_not1_b32 vcc_lo, exec_lo, s1
	s_cbranch_vccz .LBB122_579
	s_branch .LBB122_580
.LBB122_578:
                                        ; implicit-def: $vgpr122
.LBB122_579:
	ds_load_b64 v[122:123], v1
.LBB122_580:
	s_and_saveexec_b32 s1, s0
	s_cbranch_execz .LBB122_584
; %bb.581:
	v_add_nc_u32_e32 v124, -1, v0
	s_movk_i32 s7, 0x1e8
	s_mov_b32 s0, 0
.LBB122_582:                            ; =>This Inner Loop Header: Depth=1
	scratch_load_b64 v[126:127], off, s4
	v_mov_b32_e32 v125, s7
	s_add_co_i32 s7, s7, 8
	s_wait_xcnt 0x0
	s_add_co_i32 s4, s4, 8
	v_add_nc_u32_e32 v124, -1, v124
	ds_load_b64 v[128:129], v125
	v_cmp_eq_u32_e32 vcc_lo, 0, v124
	s_or_b32 s0, vcc_lo, s0
	s_wait_loadcnt_dscnt 0x0
	v_dual_mul_f32 v125, v129, v127 :: v_dual_mul_f32 v127, v128, v127
	s_delay_alu instid0(VALU_DEP_1) | instskip(NEXT) | instid1(VALU_DEP_1)
	v_dual_fma_f32 v125, v128, v126, -v125 :: v_dual_fmac_f32 v127, v129, v126
	v_dual_add_f32 v122, v122, v125 :: v_dual_add_f32 v123, v123, v127
	s_and_not1_b32 exec_lo, exec_lo, s0
	s_cbranch_execnz .LBB122_582
; %bb.583:
	s_or_b32 exec_lo, exec_lo, s0
.LBB122_584:
	s_delay_alu instid0(SALU_CYCLE_1)
	s_or_b32 exec_lo, exec_lo, s1
	v_mov_b32_e32 v124, 0
	s_mov_b32 s1, exec_lo
	s_or_b32 s7, 0, 4
	ds_load_b64 v[124:125], v124
	s_wait_dscnt 0x0
	v_dual_mul_f32 v126, v123, v125 :: v_dual_mul_f32 v176, v122, v125
	s_delay_alu instid0(VALU_DEP_1)
	v_dual_fma_f32 v122, v122, v124, -v126 :: v_dual_fmac_f32 v176, v123, v124
	scratch_store_b32 off, v122, off
.LBB122_585:
	s_wait_xcnt 0x0
	s_or_b32 exec_lo, exec_lo, s8
	s_delay_alu instid0(SALU_CYCLE_1)
	s_and_b32 vcc_lo, exec_lo, s6
	s_cbranch_vccz .LBB122_1161
.LBB122_586:
	scratch_load_b64 v[122:123], off, off offset:8
	v_cmp_eq_u32_e64 s0, 0, v0
	s_wait_loadcnt 0x0
	ds_store_b64 v1, v[122:123]
	s_wait_storecnt_dscnt 0x0
	s_barrier_signal -1
	s_barrier_wait -1
	s_wait_xcnt 0x0
	s_and_saveexec_b32 s4, s0
	s_cbranch_execz .LBB122_592
; %bb.587:
	s_and_b32 vcc_lo, exec_lo, s5
	s_cbranch_vccz .LBB122_589
; %bb.588:
	scratch_load_b64 v[122:123], v59, off
	ds_load_b64 v[124:125], v1
	s_wait_loadcnt_dscnt 0x0
	v_pk_mul_f32 v[126:127], v[124:125], v[122:123] op_sel:[1,1] op_sel_hi:[0,1]
	v_pk_mul_f32 v[128:129], v[124:125], v[122:123] op_sel_hi:[1,0]
	s_delay_alu instid0(VALU_DEP_2) | instskip(NEXT) | instid1(VALU_DEP_2)
	v_pk_fma_f32 v[122:123], v[124:125], v[122:123], v[126:127] op_sel_hi:[1,0,1]
	v_sub_f32_e32 v122, v128, v126
	s_cbranch_execz .LBB122_590
	s_branch .LBB122_591
.LBB122_589:
                                        ; implicit-def: $vgpr123
.LBB122_590:
	ds_load_b64 v[122:123], v1
.LBB122_591:
	s_wait_dscnt 0x0
	v_dual_mov_b32 v124, 0 :: v_dual_mov_b32 v126, v123
	v_mov_b32_e32 v127, v122
	ds_load_b64 v[124:125], v124 offset:8
	s_wait_dscnt 0x0
	v_pk_mul_f32 v[126:127], v[126:127], v[124:125] op_sel:[0,1]
	s_delay_alu instid0(VALU_DEP_1) | instskip(SKIP_1) | instid1(VALU_DEP_2)
	v_pk_fma_f32 v[128:129], v[122:123], v[124:125], v[126:127] op_sel_hi:[1,0,1]
	v_pk_fma_f32 v[122:123], v[122:123], v[124:125], v[126:127] neg_lo:[0,0,1] neg_hi:[0,0,1]
	v_mov_b32_e32 v123, v129
	scratch_store_b64 off, v[122:123], off offset:8
.LBB122_592:
	s_wait_xcnt 0x0
	s_or_b32 exec_lo, exec_lo, s4
	scratch_load_b64 v[122:123], off, off offset:16
	v_cndmask_b32_e64 v124, 0, 1, s5
	s_mov_b32 s4, exec_lo
	s_wait_loadcnt 0x0
	ds_store_b64 v1, v[122:123]
	s_wait_storecnt_dscnt 0x0
	s_barrier_signal -1
	s_barrier_wait -1
	s_wait_xcnt 0x0
	v_cmpx_gt_u32_e32 2, v0
	s_cbranch_execz .LBB122_600
; %bb.593:
	s_and_not1_b32 vcc_lo, exec_lo, s5
	s_cbranch_vccnz .LBB122_595
; %bb.594:
	scratch_load_b64 v[122:123], v59, off
	ds_load_b64 v[126:127], v1
	s_wait_loadcnt_dscnt 0x0
	v_pk_mul_f32 v[128:129], v[126:127], v[122:123] op_sel:[1,1] op_sel_hi:[0,1]
	s_delay_alu instid0(VALU_DEP_1) | instskip(SKIP_1) | instid1(VALU_DEP_2)
	v_pk_fma_f32 v[130:131], v[126:127], v[122:123], v[128:129] op_sel_hi:[1,0,1]
	v_pk_fma_f32 v[122:123], v[126:127], v[122:123], v[128:129] neg_lo:[0,0,1] neg_hi:[0,0,1]
	v_mov_b32_e32 v123, v131
	s_cbranch_execz .LBB122_596
	s_branch .LBB122_597
.LBB122_595:
                                        ; implicit-def: $vgpr122_vgpr123
.LBB122_596:
	ds_load_b64 v[122:123], v1
.LBB122_597:
	s_and_saveexec_b32 s5, s0
	s_cbranch_execz .LBB122_599
; %bb.598:
	scratch_load_b64 v[126:127], off, off offset:8
	v_mov_b32_e32 v125, 0
	ds_load_b64 v[128:129], v125 offset:488
	s_wait_loadcnt_dscnt 0x0
	v_pk_mul_f32 v[130:131], v[128:129], v[126:127] op_sel:[1,1] op_sel_hi:[0,1]
	s_delay_alu instid0(VALU_DEP_1) | instskip(SKIP_1) | instid1(VALU_DEP_2)
	v_pk_fma_f32 v[132:133], v[128:129], v[126:127], v[130:131] op_sel_hi:[1,0,1]
	v_pk_fma_f32 v[126:127], v[128:129], v[126:127], v[130:131] neg_lo:[0,0,1] neg_hi:[0,0,1]
	v_mov_b32_e32 v127, v133
	s_delay_alu instid0(VALU_DEP_1)
	v_pk_add_f32 v[122:123], v[122:123], v[126:127]
.LBB122_599:
	s_or_b32 exec_lo, exec_lo, s5
	v_mov_b32_e32 v125, 0
	ds_load_b64 v[126:127], v125 offset:16
	s_wait_dscnt 0x0
	v_pk_mul_f32 v[128:129], v[122:123], v[126:127] op_sel:[1,1] op_sel_hi:[0,1]
	s_delay_alu instid0(VALU_DEP_1) | instskip(SKIP_1) | instid1(VALU_DEP_2)
	v_pk_fma_f32 v[130:131], v[122:123], v[126:127], v[128:129] op_sel_hi:[1,0,1]
	v_pk_fma_f32 v[122:123], v[122:123], v[126:127], v[128:129] neg_lo:[0,0,1] neg_hi:[0,0,1]
	v_mov_b32_e32 v123, v131
	scratch_store_b64 off, v[122:123], off offset:16
.LBB122_600:
	s_wait_xcnt 0x0
	s_or_b32 exec_lo, exec_lo, s4
	scratch_load_b64 v[122:123], off, off offset:24
	s_mov_b32 s4, exec_lo
	s_wait_loadcnt 0x0
	ds_store_b64 v1, v[122:123]
	s_wait_storecnt_dscnt 0x0
	s_barrier_signal -1
	s_barrier_wait -1
	s_wait_xcnt 0x0
	v_cmpx_gt_u32_e32 3, v0
	s_cbranch_execz .LBB122_610
; %bb.601:
	v_cmp_ne_u32_e32 vcc_lo, 1, v124
	s_cbranch_vccnz .LBB122_603
; %bb.602:
	scratch_load_b64 v[122:123], v59, off
	ds_load_b64 v[126:127], v1
	s_wait_loadcnt_dscnt 0x0
	v_pk_mul_f32 v[128:129], v[126:127], v[122:123] op_sel:[1,1] op_sel_hi:[0,1]
	s_delay_alu instid0(VALU_DEP_1) | instskip(SKIP_1) | instid1(VALU_DEP_2)
	v_pk_fma_f32 v[130:131], v[126:127], v[122:123], v[128:129] op_sel_hi:[1,0,1]
	v_pk_fma_f32 v[122:123], v[126:127], v[122:123], v[128:129] neg_lo:[0,0,1] neg_hi:[0,0,1]
	v_mov_b32_e32 v123, v131
	s_cbranch_execz .LBB122_604
	s_branch .LBB122_605
.LBB122_603:
                                        ; implicit-def: $vgpr122_vgpr123
.LBB122_604:
	ds_load_b64 v[122:123], v1
.LBB122_605:
	s_mov_b32 s5, exec_lo
	v_cmpx_ne_u32_e32 2, v0
	s_cbranch_execz .LBB122_609
; %bb.606:
	scratch_load_b64 v[126:127], v59, off offset:8
	ds_load_b64 v[128:129], v1 offset:8
	s_wait_loadcnt_dscnt 0x0
	v_pk_mul_f32 v[130:131], v[128:129], v[126:127] op_sel:[1,1] op_sel_hi:[0,1]
	s_delay_alu instid0(VALU_DEP_1) | instskip(SKIP_1) | instid1(VALU_DEP_2)
	v_pk_fma_f32 v[132:133], v[128:129], v[126:127], v[130:131] op_sel_hi:[1,0,1]
	v_pk_fma_f32 v[126:127], v[128:129], v[126:127], v[130:131] neg_lo:[0,0,1] neg_hi:[0,0,1]
	v_mov_b32_e32 v127, v133
	s_delay_alu instid0(VALU_DEP_1)
	v_pk_add_f32 v[122:123], v[122:123], v[126:127]
	s_and_saveexec_b32 s6, s0
	s_cbranch_execz .LBB122_608
; %bb.607:
	scratch_load_b64 v[126:127], off, off offset:16
	v_mov_b32_e32 v125, 0
	ds_load_b64 v[128:129], v125 offset:496
	s_wait_loadcnt_dscnt 0x0
	v_pk_mul_f32 v[130:131], v[128:129], v[126:127] op_sel:[1,1] op_sel_hi:[0,1]
	s_delay_alu instid0(VALU_DEP_1) | instskip(SKIP_1) | instid1(VALU_DEP_2)
	v_pk_fma_f32 v[132:133], v[128:129], v[126:127], v[130:131] op_sel_hi:[1,0,1]
	v_pk_fma_f32 v[126:127], v[128:129], v[126:127], v[130:131] neg_lo:[0,0,1] neg_hi:[0,0,1]
	v_mov_b32_e32 v127, v133
	s_delay_alu instid0(VALU_DEP_1)
	v_pk_add_f32 v[122:123], v[122:123], v[126:127]
.LBB122_608:
	s_or_b32 exec_lo, exec_lo, s6
.LBB122_609:
	s_delay_alu instid0(SALU_CYCLE_1) | instskip(SKIP_4) | instid1(VALU_DEP_1)
	s_or_b32 exec_lo, exec_lo, s5
	v_mov_b32_e32 v125, 0
	ds_load_b64 v[126:127], v125 offset:24
	s_wait_dscnt 0x0
	v_pk_mul_f32 v[128:129], v[122:123], v[126:127] op_sel:[1,1] op_sel_hi:[0,1]
	v_pk_fma_f32 v[130:131], v[122:123], v[126:127], v[128:129] op_sel_hi:[1,0,1]
	v_pk_fma_f32 v[122:123], v[122:123], v[126:127], v[128:129] neg_lo:[0,0,1] neg_hi:[0,0,1]
	s_delay_alu instid0(VALU_DEP_2)
	v_mov_b32_e32 v123, v131
	scratch_store_b64 off, v[122:123], off offset:24
.LBB122_610:
	s_wait_xcnt 0x0
	s_or_b32 exec_lo, exec_lo, s4
	scratch_load_b64 v[122:123], off, off offset:32
	s_mov_b32 s0, exec_lo
	s_wait_loadcnt 0x0
	ds_store_b64 v1, v[122:123]
	s_wait_storecnt_dscnt 0x0
	s_barrier_signal -1
	s_barrier_wait -1
	s_wait_xcnt 0x0
	v_cmpx_gt_u32_e32 4, v0
	s_cbranch_execz .LBB122_620
; %bb.611:
	v_cmp_ne_u32_e32 vcc_lo, 1, v124
	s_cbranch_vccnz .LBB122_613
; %bb.612:
	scratch_load_b64 v[122:123], v59, off
	ds_load_b64 v[126:127], v1
	s_wait_loadcnt_dscnt 0x0
	v_pk_mul_f32 v[128:129], v[126:127], v[122:123] op_sel:[1,1] op_sel_hi:[0,1]
	s_delay_alu instid0(VALU_DEP_1) | instskip(SKIP_1) | instid1(VALU_DEP_2)
	v_pk_fma_f32 v[130:131], v[126:127], v[122:123], v[128:129] op_sel_hi:[1,0,1]
	v_pk_fma_f32 v[122:123], v[126:127], v[122:123], v[128:129] neg_lo:[0,0,1] neg_hi:[0,0,1]
	v_mov_b32_e32 v123, v131
	s_cbranch_execz .LBB122_614
	s_branch .LBB122_615
.LBB122_613:
                                        ; implicit-def: $vgpr122_vgpr123
.LBB122_614:
	ds_load_b64 v[122:123], v1
.LBB122_615:
	s_mov_b32 s4, exec_lo
	v_cmpx_ne_u32_e32 3, v0
	s_cbranch_execz .LBB122_619
; %bb.616:
	v_add_nc_u32_e32 v125, 0x1e8, v58
	v_add3_u32 v126, 0, v58, 8
	v_mov_b32_e32 v127, v0
	s_mov_b32 s5, 0
.LBB122_617:                            ; =>This Inner Loop Header: Depth=1
	scratch_load_b64 v[128:129], v126, off
	ds_load_b64 v[130:131], v125
	s_wait_xcnt 0x0
	v_dual_add_nc_u32 v125, 8, v125 :: v_dual_add_nc_u32 v126, 8, v126
	s_wait_loadcnt_dscnt 0x0
	v_pk_mul_f32 v[132:133], v[130:131], v[128:129] op_sel:[1,1] op_sel_hi:[0,1]
	s_delay_alu instid0(VALU_DEP_1) | instskip(SKIP_2) | instid1(VALU_DEP_3)
	v_pk_fma_f32 v[134:135], v[130:131], v[128:129], v[132:133] op_sel_hi:[1,0,1]
	v_add_nc_u32_e32 v127, 1, v127
	v_pk_fma_f32 v[128:129], v[130:131], v[128:129], v[132:133] neg_lo:[0,0,1] neg_hi:[0,0,1]
	v_mov_b32_e32 v129, v135
	s_delay_alu instid0(VALU_DEP_3) | instskip(NEXT) | instid1(VALU_DEP_2)
	v_cmp_lt_u32_e32 vcc_lo, 2, v127
	v_pk_add_f32 v[122:123], v[122:123], v[128:129]
	s_or_b32 s5, vcc_lo, s5
	s_delay_alu instid0(SALU_CYCLE_1)
	s_and_not1_b32 exec_lo, exec_lo, s5
	s_cbranch_execnz .LBB122_617
; %bb.618:
	s_or_b32 exec_lo, exec_lo, s5
.LBB122_619:
	s_delay_alu instid0(SALU_CYCLE_1) | instskip(SKIP_4) | instid1(VALU_DEP_1)
	s_or_b32 exec_lo, exec_lo, s4
	v_mov_b32_e32 v125, 0
	ds_load_b64 v[126:127], v125 offset:32
	s_wait_dscnt 0x0
	v_pk_mul_f32 v[128:129], v[122:123], v[126:127] op_sel:[1,1] op_sel_hi:[0,1]
	v_pk_fma_f32 v[130:131], v[122:123], v[126:127], v[128:129] op_sel_hi:[1,0,1]
	v_pk_fma_f32 v[122:123], v[122:123], v[126:127], v[128:129] neg_lo:[0,0,1] neg_hi:[0,0,1]
	s_delay_alu instid0(VALU_DEP_2)
	v_mov_b32_e32 v123, v131
	scratch_store_b64 off, v[122:123], off offset:32
.LBB122_620:
	s_wait_xcnt 0x0
	s_or_b32 exec_lo, exec_lo, s0
	scratch_load_b64 v[122:123], off, off offset:40
	s_mov_b32 s0, exec_lo
	s_wait_loadcnt 0x0
	ds_store_b64 v1, v[122:123]
	s_wait_storecnt_dscnt 0x0
	s_barrier_signal -1
	s_barrier_wait -1
	s_wait_xcnt 0x0
	v_cmpx_gt_u32_e32 5, v0
	s_cbranch_execz .LBB122_630
; %bb.621:
	v_cmp_ne_u32_e32 vcc_lo, 1, v124
	s_cbranch_vccnz .LBB122_623
; %bb.622:
	scratch_load_b64 v[122:123], v59, off
	ds_load_b64 v[126:127], v1
	s_wait_loadcnt_dscnt 0x0
	v_pk_mul_f32 v[128:129], v[126:127], v[122:123] op_sel:[1,1] op_sel_hi:[0,1]
	s_delay_alu instid0(VALU_DEP_1) | instskip(SKIP_1) | instid1(VALU_DEP_2)
	v_pk_fma_f32 v[130:131], v[126:127], v[122:123], v[128:129] op_sel_hi:[1,0,1]
	v_pk_fma_f32 v[122:123], v[126:127], v[122:123], v[128:129] neg_lo:[0,0,1] neg_hi:[0,0,1]
	v_mov_b32_e32 v123, v131
	s_cbranch_execz .LBB122_624
	s_branch .LBB122_625
.LBB122_623:
                                        ; implicit-def: $vgpr122_vgpr123
.LBB122_624:
	ds_load_b64 v[122:123], v1
.LBB122_625:
	s_mov_b32 s4, exec_lo
	v_cmpx_ne_u32_e32 4, v0
	s_cbranch_execz .LBB122_629
; %bb.626:
	v_add_nc_u32_e32 v125, 0x1e8, v58
	v_add3_u32 v126, 0, v58, 8
	v_mov_b32_e32 v127, v0
	s_mov_b32 s5, 0
.LBB122_627:                            ; =>This Inner Loop Header: Depth=1
	scratch_load_b64 v[128:129], v126, off
	ds_load_b64 v[130:131], v125
	s_wait_xcnt 0x0
	v_dual_add_nc_u32 v125, 8, v125 :: v_dual_add_nc_u32 v126, 8, v126
	s_wait_loadcnt_dscnt 0x0
	v_pk_mul_f32 v[132:133], v[130:131], v[128:129] op_sel:[1,1] op_sel_hi:[0,1]
	s_delay_alu instid0(VALU_DEP_1) | instskip(SKIP_2) | instid1(VALU_DEP_3)
	v_pk_fma_f32 v[134:135], v[130:131], v[128:129], v[132:133] op_sel_hi:[1,0,1]
	v_add_nc_u32_e32 v127, 1, v127
	v_pk_fma_f32 v[128:129], v[130:131], v[128:129], v[132:133] neg_lo:[0,0,1] neg_hi:[0,0,1]
	v_mov_b32_e32 v129, v135
	s_delay_alu instid0(VALU_DEP_3) | instskip(NEXT) | instid1(VALU_DEP_2)
	v_cmp_lt_u32_e32 vcc_lo, 3, v127
	v_pk_add_f32 v[122:123], v[122:123], v[128:129]
	s_or_b32 s5, vcc_lo, s5
	s_delay_alu instid0(SALU_CYCLE_1)
	s_and_not1_b32 exec_lo, exec_lo, s5
	s_cbranch_execnz .LBB122_627
; %bb.628:
	s_or_b32 exec_lo, exec_lo, s5
.LBB122_629:
	s_delay_alu instid0(SALU_CYCLE_1) | instskip(SKIP_4) | instid1(VALU_DEP_1)
	s_or_b32 exec_lo, exec_lo, s4
	v_mov_b32_e32 v125, 0
	ds_load_b64 v[126:127], v125 offset:40
	s_wait_dscnt 0x0
	v_pk_mul_f32 v[128:129], v[122:123], v[126:127] op_sel:[1,1] op_sel_hi:[0,1]
	v_pk_fma_f32 v[130:131], v[122:123], v[126:127], v[128:129] op_sel_hi:[1,0,1]
	v_pk_fma_f32 v[122:123], v[122:123], v[126:127], v[128:129] neg_lo:[0,0,1] neg_hi:[0,0,1]
	s_delay_alu instid0(VALU_DEP_2)
	v_mov_b32_e32 v123, v131
	scratch_store_b64 off, v[122:123], off offset:40
.LBB122_630:
	s_wait_xcnt 0x0
	s_or_b32 exec_lo, exec_lo, s0
	scratch_load_b64 v[122:123], off, off offset:48
	s_mov_b32 s0, exec_lo
	s_wait_loadcnt 0x0
	ds_store_b64 v1, v[122:123]
	s_wait_storecnt_dscnt 0x0
	s_barrier_signal -1
	s_barrier_wait -1
	s_wait_xcnt 0x0
	v_cmpx_gt_u32_e32 6, v0
	s_cbranch_execz .LBB122_640
; %bb.631:
	v_cmp_ne_u32_e32 vcc_lo, 1, v124
	s_cbranch_vccnz .LBB122_633
; %bb.632:
	scratch_load_b64 v[122:123], v59, off
	ds_load_b64 v[126:127], v1
	s_wait_loadcnt_dscnt 0x0
	v_pk_mul_f32 v[128:129], v[126:127], v[122:123] op_sel:[1,1] op_sel_hi:[0,1]
	s_delay_alu instid0(VALU_DEP_1) | instskip(SKIP_1) | instid1(VALU_DEP_2)
	v_pk_fma_f32 v[130:131], v[126:127], v[122:123], v[128:129] op_sel_hi:[1,0,1]
	v_pk_fma_f32 v[122:123], v[126:127], v[122:123], v[128:129] neg_lo:[0,0,1] neg_hi:[0,0,1]
	v_mov_b32_e32 v123, v131
	s_cbranch_execz .LBB122_634
	s_branch .LBB122_635
.LBB122_633:
                                        ; implicit-def: $vgpr122_vgpr123
.LBB122_634:
	ds_load_b64 v[122:123], v1
.LBB122_635:
	s_mov_b32 s4, exec_lo
	v_cmpx_ne_u32_e32 5, v0
	s_cbranch_execz .LBB122_639
; %bb.636:
	v_add_nc_u32_e32 v125, 0x1e8, v58
	v_add3_u32 v126, 0, v58, 8
	v_mov_b32_e32 v127, v0
	s_mov_b32 s5, 0
.LBB122_637:                            ; =>This Inner Loop Header: Depth=1
	scratch_load_b64 v[128:129], v126, off
	ds_load_b64 v[130:131], v125
	s_wait_xcnt 0x0
	v_dual_add_nc_u32 v125, 8, v125 :: v_dual_add_nc_u32 v126, 8, v126
	s_wait_loadcnt_dscnt 0x0
	v_pk_mul_f32 v[132:133], v[130:131], v[128:129] op_sel:[1,1] op_sel_hi:[0,1]
	s_delay_alu instid0(VALU_DEP_1) | instskip(SKIP_2) | instid1(VALU_DEP_3)
	v_pk_fma_f32 v[134:135], v[130:131], v[128:129], v[132:133] op_sel_hi:[1,0,1]
	v_add_nc_u32_e32 v127, 1, v127
	v_pk_fma_f32 v[128:129], v[130:131], v[128:129], v[132:133] neg_lo:[0,0,1] neg_hi:[0,0,1]
	v_mov_b32_e32 v129, v135
	s_delay_alu instid0(VALU_DEP_3) | instskip(NEXT) | instid1(VALU_DEP_2)
	v_cmp_lt_u32_e32 vcc_lo, 4, v127
	v_pk_add_f32 v[122:123], v[122:123], v[128:129]
	s_or_b32 s5, vcc_lo, s5
	s_delay_alu instid0(SALU_CYCLE_1)
	s_and_not1_b32 exec_lo, exec_lo, s5
	s_cbranch_execnz .LBB122_637
; %bb.638:
	s_or_b32 exec_lo, exec_lo, s5
.LBB122_639:
	s_delay_alu instid0(SALU_CYCLE_1) | instskip(SKIP_4) | instid1(VALU_DEP_1)
	s_or_b32 exec_lo, exec_lo, s4
	v_mov_b32_e32 v125, 0
	ds_load_b64 v[126:127], v125 offset:48
	s_wait_dscnt 0x0
	v_pk_mul_f32 v[128:129], v[122:123], v[126:127] op_sel:[1,1] op_sel_hi:[0,1]
	v_pk_fma_f32 v[130:131], v[122:123], v[126:127], v[128:129] op_sel_hi:[1,0,1]
	v_pk_fma_f32 v[122:123], v[122:123], v[126:127], v[128:129] neg_lo:[0,0,1] neg_hi:[0,0,1]
	s_delay_alu instid0(VALU_DEP_2)
	v_mov_b32_e32 v123, v131
	scratch_store_b64 off, v[122:123], off offset:48
.LBB122_640:
	s_wait_xcnt 0x0
	s_or_b32 exec_lo, exec_lo, s0
	scratch_load_b64 v[122:123], off, off offset:56
	s_mov_b32 s0, exec_lo
	s_wait_loadcnt 0x0
	ds_store_b64 v1, v[122:123]
	s_wait_storecnt_dscnt 0x0
	s_barrier_signal -1
	s_barrier_wait -1
	s_wait_xcnt 0x0
	v_cmpx_gt_u32_e32 7, v0
	s_cbranch_execz .LBB122_650
; %bb.641:
	v_cmp_ne_u32_e32 vcc_lo, 1, v124
	s_cbranch_vccnz .LBB122_643
; %bb.642:
	scratch_load_b64 v[122:123], v59, off
	ds_load_b64 v[126:127], v1
	s_wait_loadcnt_dscnt 0x0
	v_pk_mul_f32 v[128:129], v[126:127], v[122:123] op_sel:[1,1] op_sel_hi:[0,1]
	s_delay_alu instid0(VALU_DEP_1) | instskip(SKIP_1) | instid1(VALU_DEP_2)
	v_pk_fma_f32 v[130:131], v[126:127], v[122:123], v[128:129] op_sel_hi:[1,0,1]
	v_pk_fma_f32 v[122:123], v[126:127], v[122:123], v[128:129] neg_lo:[0,0,1] neg_hi:[0,0,1]
	v_mov_b32_e32 v123, v131
	s_cbranch_execz .LBB122_644
	s_branch .LBB122_645
.LBB122_643:
                                        ; implicit-def: $vgpr122_vgpr123
.LBB122_644:
	ds_load_b64 v[122:123], v1
.LBB122_645:
	s_mov_b32 s4, exec_lo
	v_cmpx_ne_u32_e32 6, v0
	s_cbranch_execz .LBB122_649
; %bb.646:
	v_add_nc_u32_e32 v125, 0x1e8, v58
	v_add3_u32 v126, 0, v58, 8
	v_mov_b32_e32 v127, v0
	s_mov_b32 s5, 0
.LBB122_647:                            ; =>This Inner Loop Header: Depth=1
	scratch_load_b64 v[128:129], v126, off
	ds_load_b64 v[130:131], v125
	s_wait_xcnt 0x0
	v_dual_add_nc_u32 v125, 8, v125 :: v_dual_add_nc_u32 v126, 8, v126
	s_wait_loadcnt_dscnt 0x0
	v_pk_mul_f32 v[132:133], v[130:131], v[128:129] op_sel:[1,1] op_sel_hi:[0,1]
	s_delay_alu instid0(VALU_DEP_1) | instskip(SKIP_2) | instid1(VALU_DEP_3)
	v_pk_fma_f32 v[134:135], v[130:131], v[128:129], v[132:133] op_sel_hi:[1,0,1]
	v_add_nc_u32_e32 v127, 1, v127
	v_pk_fma_f32 v[128:129], v[130:131], v[128:129], v[132:133] neg_lo:[0,0,1] neg_hi:[0,0,1]
	v_mov_b32_e32 v129, v135
	s_delay_alu instid0(VALU_DEP_3) | instskip(NEXT) | instid1(VALU_DEP_2)
	v_cmp_lt_u32_e32 vcc_lo, 5, v127
	v_pk_add_f32 v[122:123], v[122:123], v[128:129]
	s_or_b32 s5, vcc_lo, s5
	s_delay_alu instid0(SALU_CYCLE_1)
	s_and_not1_b32 exec_lo, exec_lo, s5
	s_cbranch_execnz .LBB122_647
; %bb.648:
	s_or_b32 exec_lo, exec_lo, s5
.LBB122_649:
	s_delay_alu instid0(SALU_CYCLE_1) | instskip(SKIP_4) | instid1(VALU_DEP_1)
	s_or_b32 exec_lo, exec_lo, s4
	v_mov_b32_e32 v125, 0
	ds_load_b64 v[126:127], v125 offset:56
	s_wait_dscnt 0x0
	v_pk_mul_f32 v[128:129], v[122:123], v[126:127] op_sel:[1,1] op_sel_hi:[0,1]
	v_pk_fma_f32 v[130:131], v[122:123], v[126:127], v[128:129] op_sel_hi:[1,0,1]
	v_pk_fma_f32 v[122:123], v[122:123], v[126:127], v[128:129] neg_lo:[0,0,1] neg_hi:[0,0,1]
	s_delay_alu instid0(VALU_DEP_2)
	v_mov_b32_e32 v123, v131
	scratch_store_b64 off, v[122:123], off offset:56
.LBB122_650:
	s_wait_xcnt 0x0
	s_or_b32 exec_lo, exec_lo, s0
	scratch_load_b64 v[122:123], off, off offset:64
	s_mov_b32 s0, exec_lo
	s_wait_loadcnt 0x0
	ds_store_b64 v1, v[122:123]
	s_wait_storecnt_dscnt 0x0
	s_barrier_signal -1
	s_barrier_wait -1
	s_wait_xcnt 0x0
	v_cmpx_gt_u32_e32 8, v0
	s_cbranch_execz .LBB122_660
; %bb.651:
	v_cmp_ne_u32_e32 vcc_lo, 1, v124
	s_cbranch_vccnz .LBB122_653
; %bb.652:
	scratch_load_b64 v[122:123], v59, off
	ds_load_b64 v[126:127], v1
	s_wait_loadcnt_dscnt 0x0
	v_pk_mul_f32 v[128:129], v[126:127], v[122:123] op_sel:[1,1] op_sel_hi:[0,1]
	s_delay_alu instid0(VALU_DEP_1) | instskip(SKIP_1) | instid1(VALU_DEP_2)
	v_pk_fma_f32 v[130:131], v[126:127], v[122:123], v[128:129] op_sel_hi:[1,0,1]
	v_pk_fma_f32 v[122:123], v[126:127], v[122:123], v[128:129] neg_lo:[0,0,1] neg_hi:[0,0,1]
	v_mov_b32_e32 v123, v131
	s_cbranch_execz .LBB122_654
	s_branch .LBB122_655
.LBB122_653:
                                        ; implicit-def: $vgpr122_vgpr123
.LBB122_654:
	ds_load_b64 v[122:123], v1
.LBB122_655:
	s_mov_b32 s4, exec_lo
	v_cmpx_ne_u32_e32 7, v0
	s_cbranch_execz .LBB122_659
; %bb.656:
	v_add_nc_u32_e32 v125, 0x1e8, v58
	v_add3_u32 v126, 0, v58, 8
	v_mov_b32_e32 v127, v0
	s_mov_b32 s5, 0
.LBB122_657:                            ; =>This Inner Loop Header: Depth=1
	scratch_load_b64 v[128:129], v126, off
	ds_load_b64 v[130:131], v125
	s_wait_xcnt 0x0
	v_dual_add_nc_u32 v125, 8, v125 :: v_dual_add_nc_u32 v126, 8, v126
	s_wait_loadcnt_dscnt 0x0
	v_pk_mul_f32 v[132:133], v[130:131], v[128:129] op_sel:[1,1] op_sel_hi:[0,1]
	s_delay_alu instid0(VALU_DEP_1) | instskip(SKIP_2) | instid1(VALU_DEP_3)
	v_pk_fma_f32 v[134:135], v[130:131], v[128:129], v[132:133] op_sel_hi:[1,0,1]
	v_add_nc_u32_e32 v127, 1, v127
	v_pk_fma_f32 v[128:129], v[130:131], v[128:129], v[132:133] neg_lo:[0,0,1] neg_hi:[0,0,1]
	v_mov_b32_e32 v129, v135
	s_delay_alu instid0(VALU_DEP_3) | instskip(NEXT) | instid1(VALU_DEP_2)
	v_cmp_lt_u32_e32 vcc_lo, 6, v127
	v_pk_add_f32 v[122:123], v[122:123], v[128:129]
	s_or_b32 s5, vcc_lo, s5
	s_delay_alu instid0(SALU_CYCLE_1)
	s_and_not1_b32 exec_lo, exec_lo, s5
	s_cbranch_execnz .LBB122_657
; %bb.658:
	s_or_b32 exec_lo, exec_lo, s5
.LBB122_659:
	s_delay_alu instid0(SALU_CYCLE_1) | instskip(SKIP_4) | instid1(VALU_DEP_1)
	s_or_b32 exec_lo, exec_lo, s4
	v_mov_b32_e32 v125, 0
	ds_load_b64 v[126:127], v125 offset:64
	s_wait_dscnt 0x0
	v_pk_mul_f32 v[128:129], v[122:123], v[126:127] op_sel:[1,1] op_sel_hi:[0,1]
	v_pk_fma_f32 v[130:131], v[122:123], v[126:127], v[128:129] op_sel_hi:[1,0,1]
	v_pk_fma_f32 v[122:123], v[122:123], v[126:127], v[128:129] neg_lo:[0,0,1] neg_hi:[0,0,1]
	s_delay_alu instid0(VALU_DEP_2)
	v_mov_b32_e32 v123, v131
	scratch_store_b64 off, v[122:123], off offset:64
.LBB122_660:
	s_wait_xcnt 0x0
	s_or_b32 exec_lo, exec_lo, s0
	scratch_load_b64 v[122:123], off, off offset:72
	s_mov_b32 s0, exec_lo
	s_wait_loadcnt 0x0
	ds_store_b64 v1, v[122:123]
	s_wait_storecnt_dscnt 0x0
	s_barrier_signal -1
	s_barrier_wait -1
	s_wait_xcnt 0x0
	v_cmpx_gt_u32_e32 9, v0
	s_cbranch_execz .LBB122_670
; %bb.661:
	v_cmp_ne_u32_e32 vcc_lo, 1, v124
	s_cbranch_vccnz .LBB122_663
; %bb.662:
	scratch_load_b64 v[122:123], v59, off
	ds_load_b64 v[126:127], v1
	s_wait_loadcnt_dscnt 0x0
	v_pk_mul_f32 v[128:129], v[126:127], v[122:123] op_sel:[1,1] op_sel_hi:[0,1]
	s_delay_alu instid0(VALU_DEP_1) | instskip(SKIP_1) | instid1(VALU_DEP_2)
	v_pk_fma_f32 v[130:131], v[126:127], v[122:123], v[128:129] op_sel_hi:[1,0,1]
	v_pk_fma_f32 v[122:123], v[126:127], v[122:123], v[128:129] neg_lo:[0,0,1] neg_hi:[0,0,1]
	v_mov_b32_e32 v123, v131
	s_cbranch_execz .LBB122_664
	s_branch .LBB122_665
.LBB122_663:
                                        ; implicit-def: $vgpr122_vgpr123
.LBB122_664:
	ds_load_b64 v[122:123], v1
.LBB122_665:
	s_mov_b32 s4, exec_lo
	v_cmpx_ne_u32_e32 8, v0
	s_cbranch_execz .LBB122_669
; %bb.666:
	v_add_nc_u32_e32 v125, 0x1e8, v58
	v_add3_u32 v126, 0, v58, 8
	v_mov_b32_e32 v127, v0
	s_mov_b32 s5, 0
.LBB122_667:                            ; =>This Inner Loop Header: Depth=1
	scratch_load_b64 v[128:129], v126, off
	ds_load_b64 v[130:131], v125
	s_wait_xcnt 0x0
	v_dual_add_nc_u32 v125, 8, v125 :: v_dual_add_nc_u32 v126, 8, v126
	s_wait_loadcnt_dscnt 0x0
	v_pk_mul_f32 v[132:133], v[130:131], v[128:129] op_sel:[1,1] op_sel_hi:[0,1]
	s_delay_alu instid0(VALU_DEP_1) | instskip(SKIP_2) | instid1(VALU_DEP_3)
	v_pk_fma_f32 v[134:135], v[130:131], v[128:129], v[132:133] op_sel_hi:[1,0,1]
	v_add_nc_u32_e32 v127, 1, v127
	v_pk_fma_f32 v[128:129], v[130:131], v[128:129], v[132:133] neg_lo:[0,0,1] neg_hi:[0,0,1]
	v_mov_b32_e32 v129, v135
	s_delay_alu instid0(VALU_DEP_3) | instskip(NEXT) | instid1(VALU_DEP_2)
	v_cmp_lt_u32_e32 vcc_lo, 7, v127
	v_pk_add_f32 v[122:123], v[122:123], v[128:129]
	s_or_b32 s5, vcc_lo, s5
	s_delay_alu instid0(SALU_CYCLE_1)
	s_and_not1_b32 exec_lo, exec_lo, s5
	s_cbranch_execnz .LBB122_667
; %bb.668:
	s_or_b32 exec_lo, exec_lo, s5
.LBB122_669:
	s_delay_alu instid0(SALU_CYCLE_1) | instskip(SKIP_4) | instid1(VALU_DEP_1)
	s_or_b32 exec_lo, exec_lo, s4
	v_mov_b32_e32 v125, 0
	ds_load_b64 v[126:127], v125 offset:72
	s_wait_dscnt 0x0
	v_pk_mul_f32 v[128:129], v[122:123], v[126:127] op_sel:[1,1] op_sel_hi:[0,1]
	v_pk_fma_f32 v[130:131], v[122:123], v[126:127], v[128:129] op_sel_hi:[1,0,1]
	v_pk_fma_f32 v[122:123], v[122:123], v[126:127], v[128:129] neg_lo:[0,0,1] neg_hi:[0,0,1]
	s_delay_alu instid0(VALU_DEP_2)
	v_mov_b32_e32 v123, v131
	scratch_store_b64 off, v[122:123], off offset:72
.LBB122_670:
	s_wait_xcnt 0x0
	s_or_b32 exec_lo, exec_lo, s0
	scratch_load_b64 v[122:123], off, off offset:80
	s_mov_b32 s0, exec_lo
	s_wait_loadcnt 0x0
	ds_store_b64 v1, v[122:123]
	s_wait_storecnt_dscnt 0x0
	s_barrier_signal -1
	s_barrier_wait -1
	s_wait_xcnt 0x0
	v_cmpx_gt_u32_e32 10, v0
	s_cbranch_execz .LBB122_680
; %bb.671:
	v_cmp_ne_u32_e32 vcc_lo, 1, v124
	s_cbranch_vccnz .LBB122_673
; %bb.672:
	scratch_load_b64 v[122:123], v59, off
	ds_load_b64 v[126:127], v1
	s_wait_loadcnt_dscnt 0x0
	v_pk_mul_f32 v[128:129], v[126:127], v[122:123] op_sel:[1,1] op_sel_hi:[0,1]
	s_delay_alu instid0(VALU_DEP_1) | instskip(SKIP_1) | instid1(VALU_DEP_2)
	v_pk_fma_f32 v[130:131], v[126:127], v[122:123], v[128:129] op_sel_hi:[1,0,1]
	v_pk_fma_f32 v[122:123], v[126:127], v[122:123], v[128:129] neg_lo:[0,0,1] neg_hi:[0,0,1]
	v_mov_b32_e32 v123, v131
	s_cbranch_execz .LBB122_674
	s_branch .LBB122_675
.LBB122_673:
                                        ; implicit-def: $vgpr122_vgpr123
.LBB122_674:
	ds_load_b64 v[122:123], v1
.LBB122_675:
	s_mov_b32 s4, exec_lo
	v_cmpx_ne_u32_e32 9, v0
	s_cbranch_execz .LBB122_679
; %bb.676:
	v_add_nc_u32_e32 v125, 0x1e8, v58
	v_add3_u32 v126, 0, v58, 8
	v_mov_b32_e32 v127, v0
	s_mov_b32 s5, 0
.LBB122_677:                            ; =>This Inner Loop Header: Depth=1
	scratch_load_b64 v[128:129], v126, off
	ds_load_b64 v[130:131], v125
	s_wait_xcnt 0x0
	v_dual_add_nc_u32 v125, 8, v125 :: v_dual_add_nc_u32 v126, 8, v126
	s_wait_loadcnt_dscnt 0x0
	v_pk_mul_f32 v[132:133], v[130:131], v[128:129] op_sel:[1,1] op_sel_hi:[0,1]
	s_delay_alu instid0(VALU_DEP_1) | instskip(SKIP_2) | instid1(VALU_DEP_3)
	v_pk_fma_f32 v[134:135], v[130:131], v[128:129], v[132:133] op_sel_hi:[1,0,1]
	v_add_nc_u32_e32 v127, 1, v127
	v_pk_fma_f32 v[128:129], v[130:131], v[128:129], v[132:133] neg_lo:[0,0,1] neg_hi:[0,0,1]
	v_mov_b32_e32 v129, v135
	s_delay_alu instid0(VALU_DEP_3) | instskip(NEXT) | instid1(VALU_DEP_2)
	v_cmp_lt_u32_e32 vcc_lo, 8, v127
	v_pk_add_f32 v[122:123], v[122:123], v[128:129]
	s_or_b32 s5, vcc_lo, s5
	s_delay_alu instid0(SALU_CYCLE_1)
	s_and_not1_b32 exec_lo, exec_lo, s5
	s_cbranch_execnz .LBB122_677
; %bb.678:
	s_or_b32 exec_lo, exec_lo, s5
.LBB122_679:
	s_delay_alu instid0(SALU_CYCLE_1) | instskip(SKIP_4) | instid1(VALU_DEP_1)
	s_or_b32 exec_lo, exec_lo, s4
	v_mov_b32_e32 v125, 0
	ds_load_b64 v[126:127], v125 offset:80
	s_wait_dscnt 0x0
	v_pk_mul_f32 v[128:129], v[122:123], v[126:127] op_sel:[1,1] op_sel_hi:[0,1]
	v_pk_fma_f32 v[130:131], v[122:123], v[126:127], v[128:129] op_sel_hi:[1,0,1]
	v_pk_fma_f32 v[122:123], v[122:123], v[126:127], v[128:129] neg_lo:[0,0,1] neg_hi:[0,0,1]
	s_delay_alu instid0(VALU_DEP_2)
	v_mov_b32_e32 v123, v131
	scratch_store_b64 off, v[122:123], off offset:80
.LBB122_680:
	s_wait_xcnt 0x0
	s_or_b32 exec_lo, exec_lo, s0
	scratch_load_b64 v[122:123], off, off offset:88
	s_mov_b32 s0, exec_lo
	s_wait_loadcnt 0x0
	ds_store_b64 v1, v[122:123]
	s_wait_storecnt_dscnt 0x0
	s_barrier_signal -1
	s_barrier_wait -1
	s_wait_xcnt 0x0
	v_cmpx_gt_u32_e32 11, v0
	s_cbranch_execz .LBB122_690
; %bb.681:
	v_cmp_ne_u32_e32 vcc_lo, 1, v124
	s_cbranch_vccnz .LBB122_683
; %bb.682:
	scratch_load_b64 v[122:123], v59, off
	ds_load_b64 v[126:127], v1
	s_wait_loadcnt_dscnt 0x0
	v_pk_mul_f32 v[128:129], v[126:127], v[122:123] op_sel:[1,1] op_sel_hi:[0,1]
	s_delay_alu instid0(VALU_DEP_1) | instskip(SKIP_1) | instid1(VALU_DEP_2)
	v_pk_fma_f32 v[130:131], v[126:127], v[122:123], v[128:129] op_sel_hi:[1,0,1]
	v_pk_fma_f32 v[122:123], v[126:127], v[122:123], v[128:129] neg_lo:[0,0,1] neg_hi:[0,0,1]
	v_mov_b32_e32 v123, v131
	s_cbranch_execz .LBB122_684
	s_branch .LBB122_685
.LBB122_683:
                                        ; implicit-def: $vgpr122_vgpr123
.LBB122_684:
	ds_load_b64 v[122:123], v1
.LBB122_685:
	s_mov_b32 s4, exec_lo
	v_cmpx_ne_u32_e32 10, v0
	s_cbranch_execz .LBB122_689
; %bb.686:
	v_add_nc_u32_e32 v125, 0x1e8, v58
	v_add3_u32 v126, 0, v58, 8
	v_mov_b32_e32 v127, v0
	s_mov_b32 s5, 0
.LBB122_687:                            ; =>This Inner Loop Header: Depth=1
	scratch_load_b64 v[128:129], v126, off
	ds_load_b64 v[130:131], v125
	s_wait_xcnt 0x0
	v_dual_add_nc_u32 v125, 8, v125 :: v_dual_add_nc_u32 v126, 8, v126
	s_wait_loadcnt_dscnt 0x0
	v_pk_mul_f32 v[132:133], v[130:131], v[128:129] op_sel:[1,1] op_sel_hi:[0,1]
	s_delay_alu instid0(VALU_DEP_1) | instskip(SKIP_2) | instid1(VALU_DEP_3)
	v_pk_fma_f32 v[134:135], v[130:131], v[128:129], v[132:133] op_sel_hi:[1,0,1]
	v_add_nc_u32_e32 v127, 1, v127
	v_pk_fma_f32 v[128:129], v[130:131], v[128:129], v[132:133] neg_lo:[0,0,1] neg_hi:[0,0,1]
	v_mov_b32_e32 v129, v135
	s_delay_alu instid0(VALU_DEP_3) | instskip(NEXT) | instid1(VALU_DEP_2)
	v_cmp_lt_u32_e32 vcc_lo, 9, v127
	v_pk_add_f32 v[122:123], v[122:123], v[128:129]
	s_or_b32 s5, vcc_lo, s5
	s_delay_alu instid0(SALU_CYCLE_1)
	s_and_not1_b32 exec_lo, exec_lo, s5
	s_cbranch_execnz .LBB122_687
; %bb.688:
	s_or_b32 exec_lo, exec_lo, s5
.LBB122_689:
	s_delay_alu instid0(SALU_CYCLE_1) | instskip(SKIP_4) | instid1(VALU_DEP_1)
	s_or_b32 exec_lo, exec_lo, s4
	v_mov_b32_e32 v125, 0
	ds_load_b64 v[126:127], v125 offset:88
	s_wait_dscnt 0x0
	v_pk_mul_f32 v[128:129], v[122:123], v[126:127] op_sel:[1,1] op_sel_hi:[0,1]
	v_pk_fma_f32 v[130:131], v[122:123], v[126:127], v[128:129] op_sel_hi:[1,0,1]
	v_pk_fma_f32 v[122:123], v[122:123], v[126:127], v[128:129] neg_lo:[0,0,1] neg_hi:[0,0,1]
	s_delay_alu instid0(VALU_DEP_2)
	v_mov_b32_e32 v123, v131
	scratch_store_b64 off, v[122:123], off offset:88
.LBB122_690:
	s_wait_xcnt 0x0
	s_or_b32 exec_lo, exec_lo, s0
	scratch_load_b64 v[122:123], off, off offset:96
	s_mov_b32 s0, exec_lo
	s_wait_loadcnt 0x0
	ds_store_b64 v1, v[122:123]
	s_wait_storecnt_dscnt 0x0
	s_barrier_signal -1
	s_barrier_wait -1
	s_wait_xcnt 0x0
	v_cmpx_gt_u32_e32 12, v0
	s_cbranch_execz .LBB122_700
; %bb.691:
	v_cmp_ne_u32_e32 vcc_lo, 1, v124
	s_cbranch_vccnz .LBB122_693
; %bb.692:
	scratch_load_b64 v[122:123], v59, off
	ds_load_b64 v[126:127], v1
	s_wait_loadcnt_dscnt 0x0
	v_pk_mul_f32 v[128:129], v[126:127], v[122:123] op_sel:[1,1] op_sel_hi:[0,1]
	s_delay_alu instid0(VALU_DEP_1) | instskip(SKIP_1) | instid1(VALU_DEP_2)
	v_pk_fma_f32 v[130:131], v[126:127], v[122:123], v[128:129] op_sel_hi:[1,0,1]
	v_pk_fma_f32 v[122:123], v[126:127], v[122:123], v[128:129] neg_lo:[0,0,1] neg_hi:[0,0,1]
	v_mov_b32_e32 v123, v131
	s_cbranch_execz .LBB122_694
	s_branch .LBB122_695
.LBB122_693:
                                        ; implicit-def: $vgpr122_vgpr123
.LBB122_694:
	ds_load_b64 v[122:123], v1
.LBB122_695:
	s_mov_b32 s4, exec_lo
	v_cmpx_ne_u32_e32 11, v0
	s_cbranch_execz .LBB122_699
; %bb.696:
	v_add_nc_u32_e32 v125, 0x1e8, v58
	v_add3_u32 v126, 0, v58, 8
	v_mov_b32_e32 v127, v0
	s_mov_b32 s5, 0
.LBB122_697:                            ; =>This Inner Loop Header: Depth=1
	scratch_load_b64 v[128:129], v126, off
	ds_load_b64 v[130:131], v125
	s_wait_xcnt 0x0
	v_dual_add_nc_u32 v125, 8, v125 :: v_dual_add_nc_u32 v126, 8, v126
	s_wait_loadcnt_dscnt 0x0
	v_pk_mul_f32 v[132:133], v[130:131], v[128:129] op_sel:[1,1] op_sel_hi:[0,1]
	s_delay_alu instid0(VALU_DEP_1) | instskip(SKIP_2) | instid1(VALU_DEP_3)
	v_pk_fma_f32 v[134:135], v[130:131], v[128:129], v[132:133] op_sel_hi:[1,0,1]
	v_add_nc_u32_e32 v127, 1, v127
	v_pk_fma_f32 v[128:129], v[130:131], v[128:129], v[132:133] neg_lo:[0,0,1] neg_hi:[0,0,1]
	v_mov_b32_e32 v129, v135
	s_delay_alu instid0(VALU_DEP_3) | instskip(NEXT) | instid1(VALU_DEP_2)
	v_cmp_lt_u32_e32 vcc_lo, 10, v127
	v_pk_add_f32 v[122:123], v[122:123], v[128:129]
	s_or_b32 s5, vcc_lo, s5
	s_delay_alu instid0(SALU_CYCLE_1)
	s_and_not1_b32 exec_lo, exec_lo, s5
	s_cbranch_execnz .LBB122_697
; %bb.698:
	s_or_b32 exec_lo, exec_lo, s5
.LBB122_699:
	s_delay_alu instid0(SALU_CYCLE_1) | instskip(SKIP_4) | instid1(VALU_DEP_1)
	s_or_b32 exec_lo, exec_lo, s4
	v_mov_b32_e32 v125, 0
	ds_load_b64 v[126:127], v125 offset:96
	s_wait_dscnt 0x0
	v_pk_mul_f32 v[128:129], v[122:123], v[126:127] op_sel:[1,1] op_sel_hi:[0,1]
	v_pk_fma_f32 v[130:131], v[122:123], v[126:127], v[128:129] op_sel_hi:[1,0,1]
	v_pk_fma_f32 v[122:123], v[122:123], v[126:127], v[128:129] neg_lo:[0,0,1] neg_hi:[0,0,1]
	s_delay_alu instid0(VALU_DEP_2)
	v_mov_b32_e32 v123, v131
	scratch_store_b64 off, v[122:123], off offset:96
.LBB122_700:
	s_wait_xcnt 0x0
	s_or_b32 exec_lo, exec_lo, s0
	scratch_load_b64 v[122:123], off, off offset:104
	s_mov_b32 s0, exec_lo
	s_wait_loadcnt 0x0
	ds_store_b64 v1, v[122:123]
	s_wait_storecnt_dscnt 0x0
	s_barrier_signal -1
	s_barrier_wait -1
	s_wait_xcnt 0x0
	v_cmpx_gt_u32_e32 13, v0
	s_cbranch_execz .LBB122_710
; %bb.701:
	v_cmp_ne_u32_e32 vcc_lo, 1, v124
	s_cbranch_vccnz .LBB122_703
; %bb.702:
	scratch_load_b64 v[122:123], v59, off
	ds_load_b64 v[126:127], v1
	s_wait_loadcnt_dscnt 0x0
	v_pk_mul_f32 v[128:129], v[126:127], v[122:123] op_sel:[1,1] op_sel_hi:[0,1]
	s_delay_alu instid0(VALU_DEP_1) | instskip(SKIP_1) | instid1(VALU_DEP_2)
	v_pk_fma_f32 v[130:131], v[126:127], v[122:123], v[128:129] op_sel_hi:[1,0,1]
	v_pk_fma_f32 v[122:123], v[126:127], v[122:123], v[128:129] neg_lo:[0,0,1] neg_hi:[0,0,1]
	v_mov_b32_e32 v123, v131
	s_cbranch_execz .LBB122_704
	s_branch .LBB122_705
.LBB122_703:
                                        ; implicit-def: $vgpr122_vgpr123
.LBB122_704:
	ds_load_b64 v[122:123], v1
.LBB122_705:
	s_mov_b32 s4, exec_lo
	v_cmpx_ne_u32_e32 12, v0
	s_cbranch_execz .LBB122_709
; %bb.706:
	v_add_nc_u32_e32 v125, 0x1e8, v58
	v_add3_u32 v126, 0, v58, 8
	v_mov_b32_e32 v127, v0
	s_mov_b32 s5, 0
.LBB122_707:                            ; =>This Inner Loop Header: Depth=1
	scratch_load_b64 v[128:129], v126, off
	ds_load_b64 v[130:131], v125
	s_wait_xcnt 0x0
	v_dual_add_nc_u32 v125, 8, v125 :: v_dual_add_nc_u32 v126, 8, v126
	s_wait_loadcnt_dscnt 0x0
	v_pk_mul_f32 v[132:133], v[130:131], v[128:129] op_sel:[1,1] op_sel_hi:[0,1]
	s_delay_alu instid0(VALU_DEP_1) | instskip(SKIP_2) | instid1(VALU_DEP_3)
	v_pk_fma_f32 v[134:135], v[130:131], v[128:129], v[132:133] op_sel_hi:[1,0,1]
	v_add_nc_u32_e32 v127, 1, v127
	v_pk_fma_f32 v[128:129], v[130:131], v[128:129], v[132:133] neg_lo:[0,0,1] neg_hi:[0,0,1]
	v_mov_b32_e32 v129, v135
	s_delay_alu instid0(VALU_DEP_3) | instskip(NEXT) | instid1(VALU_DEP_2)
	v_cmp_lt_u32_e32 vcc_lo, 11, v127
	v_pk_add_f32 v[122:123], v[122:123], v[128:129]
	s_or_b32 s5, vcc_lo, s5
	s_delay_alu instid0(SALU_CYCLE_1)
	s_and_not1_b32 exec_lo, exec_lo, s5
	s_cbranch_execnz .LBB122_707
; %bb.708:
	s_or_b32 exec_lo, exec_lo, s5
.LBB122_709:
	s_delay_alu instid0(SALU_CYCLE_1) | instskip(SKIP_4) | instid1(VALU_DEP_1)
	s_or_b32 exec_lo, exec_lo, s4
	v_mov_b32_e32 v125, 0
	ds_load_b64 v[126:127], v125 offset:104
	s_wait_dscnt 0x0
	v_pk_mul_f32 v[128:129], v[122:123], v[126:127] op_sel:[1,1] op_sel_hi:[0,1]
	v_pk_fma_f32 v[130:131], v[122:123], v[126:127], v[128:129] op_sel_hi:[1,0,1]
	v_pk_fma_f32 v[122:123], v[122:123], v[126:127], v[128:129] neg_lo:[0,0,1] neg_hi:[0,0,1]
	s_delay_alu instid0(VALU_DEP_2)
	v_mov_b32_e32 v123, v131
	scratch_store_b64 off, v[122:123], off offset:104
.LBB122_710:
	s_wait_xcnt 0x0
	s_or_b32 exec_lo, exec_lo, s0
	scratch_load_b64 v[122:123], off, off offset:112
	s_mov_b32 s0, exec_lo
	s_wait_loadcnt 0x0
	ds_store_b64 v1, v[122:123]
	s_wait_storecnt_dscnt 0x0
	s_barrier_signal -1
	s_barrier_wait -1
	s_wait_xcnt 0x0
	v_cmpx_gt_u32_e32 14, v0
	s_cbranch_execz .LBB122_720
; %bb.711:
	v_cmp_ne_u32_e32 vcc_lo, 1, v124
	s_cbranch_vccnz .LBB122_713
; %bb.712:
	scratch_load_b64 v[122:123], v59, off
	ds_load_b64 v[126:127], v1
	s_wait_loadcnt_dscnt 0x0
	v_pk_mul_f32 v[128:129], v[126:127], v[122:123] op_sel:[1,1] op_sel_hi:[0,1]
	s_delay_alu instid0(VALU_DEP_1) | instskip(SKIP_1) | instid1(VALU_DEP_2)
	v_pk_fma_f32 v[130:131], v[126:127], v[122:123], v[128:129] op_sel_hi:[1,0,1]
	v_pk_fma_f32 v[122:123], v[126:127], v[122:123], v[128:129] neg_lo:[0,0,1] neg_hi:[0,0,1]
	v_mov_b32_e32 v123, v131
	s_cbranch_execz .LBB122_714
	s_branch .LBB122_715
.LBB122_713:
                                        ; implicit-def: $vgpr122_vgpr123
.LBB122_714:
	ds_load_b64 v[122:123], v1
.LBB122_715:
	s_mov_b32 s4, exec_lo
	v_cmpx_ne_u32_e32 13, v0
	s_cbranch_execz .LBB122_719
; %bb.716:
	v_add_nc_u32_e32 v125, 0x1e8, v58
	v_add3_u32 v126, 0, v58, 8
	v_mov_b32_e32 v127, v0
	s_mov_b32 s5, 0
.LBB122_717:                            ; =>This Inner Loop Header: Depth=1
	scratch_load_b64 v[128:129], v126, off
	ds_load_b64 v[130:131], v125
	s_wait_xcnt 0x0
	v_dual_add_nc_u32 v125, 8, v125 :: v_dual_add_nc_u32 v126, 8, v126
	s_wait_loadcnt_dscnt 0x0
	v_pk_mul_f32 v[132:133], v[130:131], v[128:129] op_sel:[1,1] op_sel_hi:[0,1]
	s_delay_alu instid0(VALU_DEP_1) | instskip(SKIP_2) | instid1(VALU_DEP_3)
	v_pk_fma_f32 v[134:135], v[130:131], v[128:129], v[132:133] op_sel_hi:[1,0,1]
	v_add_nc_u32_e32 v127, 1, v127
	v_pk_fma_f32 v[128:129], v[130:131], v[128:129], v[132:133] neg_lo:[0,0,1] neg_hi:[0,0,1]
	v_mov_b32_e32 v129, v135
	s_delay_alu instid0(VALU_DEP_3) | instskip(NEXT) | instid1(VALU_DEP_2)
	v_cmp_lt_u32_e32 vcc_lo, 12, v127
	v_pk_add_f32 v[122:123], v[122:123], v[128:129]
	s_or_b32 s5, vcc_lo, s5
	s_delay_alu instid0(SALU_CYCLE_1)
	s_and_not1_b32 exec_lo, exec_lo, s5
	s_cbranch_execnz .LBB122_717
; %bb.718:
	s_or_b32 exec_lo, exec_lo, s5
.LBB122_719:
	s_delay_alu instid0(SALU_CYCLE_1) | instskip(SKIP_4) | instid1(VALU_DEP_1)
	s_or_b32 exec_lo, exec_lo, s4
	v_mov_b32_e32 v125, 0
	ds_load_b64 v[126:127], v125 offset:112
	s_wait_dscnt 0x0
	v_pk_mul_f32 v[128:129], v[122:123], v[126:127] op_sel:[1,1] op_sel_hi:[0,1]
	v_pk_fma_f32 v[130:131], v[122:123], v[126:127], v[128:129] op_sel_hi:[1,0,1]
	v_pk_fma_f32 v[122:123], v[122:123], v[126:127], v[128:129] neg_lo:[0,0,1] neg_hi:[0,0,1]
	s_delay_alu instid0(VALU_DEP_2)
	v_mov_b32_e32 v123, v131
	scratch_store_b64 off, v[122:123], off offset:112
.LBB122_720:
	s_wait_xcnt 0x0
	s_or_b32 exec_lo, exec_lo, s0
	scratch_load_b64 v[122:123], off, off offset:120
	s_mov_b32 s0, exec_lo
	s_wait_loadcnt 0x0
	ds_store_b64 v1, v[122:123]
	s_wait_storecnt_dscnt 0x0
	s_barrier_signal -1
	s_barrier_wait -1
	s_wait_xcnt 0x0
	v_cmpx_gt_u32_e32 15, v0
	s_cbranch_execz .LBB122_730
; %bb.721:
	v_cmp_ne_u32_e32 vcc_lo, 1, v124
	s_cbranch_vccnz .LBB122_723
; %bb.722:
	scratch_load_b64 v[122:123], v59, off
	ds_load_b64 v[126:127], v1
	s_wait_loadcnt_dscnt 0x0
	v_pk_mul_f32 v[128:129], v[126:127], v[122:123] op_sel:[1,1] op_sel_hi:[0,1]
	s_delay_alu instid0(VALU_DEP_1) | instskip(SKIP_1) | instid1(VALU_DEP_2)
	v_pk_fma_f32 v[130:131], v[126:127], v[122:123], v[128:129] op_sel_hi:[1,0,1]
	v_pk_fma_f32 v[122:123], v[126:127], v[122:123], v[128:129] neg_lo:[0,0,1] neg_hi:[0,0,1]
	v_mov_b32_e32 v123, v131
	s_cbranch_execz .LBB122_724
	s_branch .LBB122_725
.LBB122_723:
                                        ; implicit-def: $vgpr122_vgpr123
.LBB122_724:
	ds_load_b64 v[122:123], v1
.LBB122_725:
	s_mov_b32 s4, exec_lo
	v_cmpx_ne_u32_e32 14, v0
	s_cbranch_execz .LBB122_729
; %bb.726:
	v_add_nc_u32_e32 v125, 0x1e8, v58
	v_add3_u32 v126, 0, v58, 8
	v_mov_b32_e32 v127, v0
	s_mov_b32 s5, 0
.LBB122_727:                            ; =>This Inner Loop Header: Depth=1
	scratch_load_b64 v[128:129], v126, off
	ds_load_b64 v[130:131], v125
	s_wait_xcnt 0x0
	v_dual_add_nc_u32 v125, 8, v125 :: v_dual_add_nc_u32 v126, 8, v126
	s_wait_loadcnt_dscnt 0x0
	v_pk_mul_f32 v[132:133], v[130:131], v[128:129] op_sel:[1,1] op_sel_hi:[0,1]
	s_delay_alu instid0(VALU_DEP_1) | instskip(SKIP_2) | instid1(VALU_DEP_3)
	v_pk_fma_f32 v[134:135], v[130:131], v[128:129], v[132:133] op_sel_hi:[1,0,1]
	v_add_nc_u32_e32 v127, 1, v127
	v_pk_fma_f32 v[128:129], v[130:131], v[128:129], v[132:133] neg_lo:[0,0,1] neg_hi:[0,0,1]
	v_mov_b32_e32 v129, v135
	s_delay_alu instid0(VALU_DEP_3) | instskip(NEXT) | instid1(VALU_DEP_2)
	v_cmp_lt_u32_e32 vcc_lo, 13, v127
	v_pk_add_f32 v[122:123], v[122:123], v[128:129]
	s_or_b32 s5, vcc_lo, s5
	s_delay_alu instid0(SALU_CYCLE_1)
	s_and_not1_b32 exec_lo, exec_lo, s5
	s_cbranch_execnz .LBB122_727
; %bb.728:
	s_or_b32 exec_lo, exec_lo, s5
.LBB122_729:
	s_delay_alu instid0(SALU_CYCLE_1) | instskip(SKIP_4) | instid1(VALU_DEP_1)
	s_or_b32 exec_lo, exec_lo, s4
	v_mov_b32_e32 v125, 0
	ds_load_b64 v[126:127], v125 offset:120
	s_wait_dscnt 0x0
	v_pk_mul_f32 v[128:129], v[122:123], v[126:127] op_sel:[1,1] op_sel_hi:[0,1]
	v_pk_fma_f32 v[130:131], v[122:123], v[126:127], v[128:129] op_sel_hi:[1,0,1]
	v_pk_fma_f32 v[122:123], v[122:123], v[126:127], v[128:129] neg_lo:[0,0,1] neg_hi:[0,0,1]
	s_delay_alu instid0(VALU_DEP_2)
	v_mov_b32_e32 v123, v131
	scratch_store_b64 off, v[122:123], off offset:120
.LBB122_730:
	s_wait_xcnt 0x0
	s_or_b32 exec_lo, exec_lo, s0
	scratch_load_b64 v[122:123], off, off offset:128
	s_mov_b32 s0, exec_lo
	s_wait_loadcnt 0x0
	ds_store_b64 v1, v[122:123]
	s_wait_storecnt_dscnt 0x0
	s_barrier_signal -1
	s_barrier_wait -1
	s_wait_xcnt 0x0
	v_cmpx_gt_u32_e32 16, v0
	s_cbranch_execz .LBB122_740
; %bb.731:
	v_cmp_ne_u32_e32 vcc_lo, 1, v124
	s_cbranch_vccnz .LBB122_733
; %bb.732:
	scratch_load_b64 v[122:123], v59, off
	ds_load_b64 v[126:127], v1
	s_wait_loadcnt_dscnt 0x0
	v_pk_mul_f32 v[128:129], v[126:127], v[122:123] op_sel:[1,1] op_sel_hi:[0,1]
	s_delay_alu instid0(VALU_DEP_1) | instskip(SKIP_1) | instid1(VALU_DEP_2)
	v_pk_fma_f32 v[130:131], v[126:127], v[122:123], v[128:129] op_sel_hi:[1,0,1]
	v_pk_fma_f32 v[122:123], v[126:127], v[122:123], v[128:129] neg_lo:[0,0,1] neg_hi:[0,0,1]
	v_mov_b32_e32 v123, v131
	s_cbranch_execz .LBB122_734
	s_branch .LBB122_735
.LBB122_733:
                                        ; implicit-def: $vgpr122_vgpr123
.LBB122_734:
	ds_load_b64 v[122:123], v1
.LBB122_735:
	s_mov_b32 s4, exec_lo
	v_cmpx_ne_u32_e32 15, v0
	s_cbranch_execz .LBB122_739
; %bb.736:
	v_add_nc_u32_e32 v125, 0x1e8, v58
	v_add3_u32 v126, 0, v58, 8
	v_mov_b32_e32 v127, v0
	s_mov_b32 s5, 0
.LBB122_737:                            ; =>This Inner Loop Header: Depth=1
	scratch_load_b64 v[128:129], v126, off
	ds_load_b64 v[130:131], v125
	s_wait_xcnt 0x0
	v_dual_add_nc_u32 v125, 8, v125 :: v_dual_add_nc_u32 v126, 8, v126
	s_wait_loadcnt_dscnt 0x0
	v_pk_mul_f32 v[132:133], v[130:131], v[128:129] op_sel:[1,1] op_sel_hi:[0,1]
	s_delay_alu instid0(VALU_DEP_1) | instskip(SKIP_2) | instid1(VALU_DEP_3)
	v_pk_fma_f32 v[134:135], v[130:131], v[128:129], v[132:133] op_sel_hi:[1,0,1]
	v_add_nc_u32_e32 v127, 1, v127
	v_pk_fma_f32 v[128:129], v[130:131], v[128:129], v[132:133] neg_lo:[0,0,1] neg_hi:[0,0,1]
	v_mov_b32_e32 v129, v135
	s_delay_alu instid0(VALU_DEP_3) | instskip(NEXT) | instid1(VALU_DEP_2)
	v_cmp_lt_u32_e32 vcc_lo, 14, v127
	v_pk_add_f32 v[122:123], v[122:123], v[128:129]
	s_or_b32 s5, vcc_lo, s5
	s_delay_alu instid0(SALU_CYCLE_1)
	s_and_not1_b32 exec_lo, exec_lo, s5
	s_cbranch_execnz .LBB122_737
; %bb.738:
	s_or_b32 exec_lo, exec_lo, s5
.LBB122_739:
	s_delay_alu instid0(SALU_CYCLE_1) | instskip(SKIP_4) | instid1(VALU_DEP_1)
	s_or_b32 exec_lo, exec_lo, s4
	v_mov_b32_e32 v125, 0
	ds_load_b64 v[126:127], v125 offset:128
	s_wait_dscnt 0x0
	v_pk_mul_f32 v[128:129], v[122:123], v[126:127] op_sel:[1,1] op_sel_hi:[0,1]
	v_pk_fma_f32 v[130:131], v[122:123], v[126:127], v[128:129] op_sel_hi:[1,0,1]
	v_pk_fma_f32 v[122:123], v[122:123], v[126:127], v[128:129] neg_lo:[0,0,1] neg_hi:[0,0,1]
	s_delay_alu instid0(VALU_DEP_2)
	v_mov_b32_e32 v123, v131
	scratch_store_b64 off, v[122:123], off offset:128
.LBB122_740:
	s_wait_xcnt 0x0
	s_or_b32 exec_lo, exec_lo, s0
	scratch_load_b64 v[122:123], off, off offset:136
	s_mov_b32 s0, exec_lo
	s_wait_loadcnt 0x0
	ds_store_b64 v1, v[122:123]
	s_wait_storecnt_dscnt 0x0
	s_barrier_signal -1
	s_barrier_wait -1
	s_wait_xcnt 0x0
	v_cmpx_gt_u32_e32 17, v0
	s_cbranch_execz .LBB122_750
; %bb.741:
	v_cmp_ne_u32_e32 vcc_lo, 1, v124
	s_cbranch_vccnz .LBB122_743
; %bb.742:
	scratch_load_b64 v[122:123], v59, off
	ds_load_b64 v[126:127], v1
	s_wait_loadcnt_dscnt 0x0
	v_pk_mul_f32 v[128:129], v[126:127], v[122:123] op_sel:[1,1] op_sel_hi:[0,1]
	s_delay_alu instid0(VALU_DEP_1) | instskip(SKIP_1) | instid1(VALU_DEP_2)
	v_pk_fma_f32 v[130:131], v[126:127], v[122:123], v[128:129] op_sel_hi:[1,0,1]
	v_pk_fma_f32 v[122:123], v[126:127], v[122:123], v[128:129] neg_lo:[0,0,1] neg_hi:[0,0,1]
	v_mov_b32_e32 v123, v131
	s_cbranch_execz .LBB122_744
	s_branch .LBB122_745
.LBB122_743:
                                        ; implicit-def: $vgpr122_vgpr123
.LBB122_744:
	ds_load_b64 v[122:123], v1
.LBB122_745:
	s_mov_b32 s4, exec_lo
	v_cmpx_ne_u32_e32 16, v0
	s_cbranch_execz .LBB122_749
; %bb.746:
	v_add_nc_u32_e32 v125, 0x1e8, v58
	v_add3_u32 v126, 0, v58, 8
	v_mov_b32_e32 v127, v0
	s_mov_b32 s5, 0
.LBB122_747:                            ; =>This Inner Loop Header: Depth=1
	scratch_load_b64 v[128:129], v126, off
	ds_load_b64 v[130:131], v125
	s_wait_xcnt 0x0
	v_dual_add_nc_u32 v125, 8, v125 :: v_dual_add_nc_u32 v126, 8, v126
	s_wait_loadcnt_dscnt 0x0
	v_pk_mul_f32 v[132:133], v[130:131], v[128:129] op_sel:[1,1] op_sel_hi:[0,1]
	s_delay_alu instid0(VALU_DEP_1) | instskip(SKIP_2) | instid1(VALU_DEP_3)
	v_pk_fma_f32 v[134:135], v[130:131], v[128:129], v[132:133] op_sel_hi:[1,0,1]
	v_add_nc_u32_e32 v127, 1, v127
	v_pk_fma_f32 v[128:129], v[130:131], v[128:129], v[132:133] neg_lo:[0,0,1] neg_hi:[0,0,1]
	v_mov_b32_e32 v129, v135
	s_delay_alu instid0(VALU_DEP_3) | instskip(NEXT) | instid1(VALU_DEP_2)
	v_cmp_lt_u32_e32 vcc_lo, 15, v127
	v_pk_add_f32 v[122:123], v[122:123], v[128:129]
	s_or_b32 s5, vcc_lo, s5
	s_delay_alu instid0(SALU_CYCLE_1)
	s_and_not1_b32 exec_lo, exec_lo, s5
	s_cbranch_execnz .LBB122_747
; %bb.748:
	s_or_b32 exec_lo, exec_lo, s5
.LBB122_749:
	s_delay_alu instid0(SALU_CYCLE_1) | instskip(SKIP_4) | instid1(VALU_DEP_1)
	s_or_b32 exec_lo, exec_lo, s4
	v_mov_b32_e32 v125, 0
	ds_load_b64 v[126:127], v125 offset:136
	s_wait_dscnt 0x0
	v_pk_mul_f32 v[128:129], v[122:123], v[126:127] op_sel:[1,1] op_sel_hi:[0,1]
	v_pk_fma_f32 v[130:131], v[122:123], v[126:127], v[128:129] op_sel_hi:[1,0,1]
	v_pk_fma_f32 v[122:123], v[122:123], v[126:127], v[128:129] neg_lo:[0,0,1] neg_hi:[0,0,1]
	s_delay_alu instid0(VALU_DEP_2)
	v_mov_b32_e32 v123, v131
	scratch_store_b64 off, v[122:123], off offset:136
.LBB122_750:
	s_wait_xcnt 0x0
	s_or_b32 exec_lo, exec_lo, s0
	scratch_load_b64 v[122:123], off, off offset:144
	s_mov_b32 s0, exec_lo
	s_wait_loadcnt 0x0
	ds_store_b64 v1, v[122:123]
	s_wait_storecnt_dscnt 0x0
	s_barrier_signal -1
	s_barrier_wait -1
	s_wait_xcnt 0x0
	v_cmpx_gt_u32_e32 18, v0
	s_cbranch_execz .LBB122_760
; %bb.751:
	v_cmp_ne_u32_e32 vcc_lo, 1, v124
	s_cbranch_vccnz .LBB122_753
; %bb.752:
	scratch_load_b64 v[122:123], v59, off
	ds_load_b64 v[126:127], v1
	s_wait_loadcnt_dscnt 0x0
	v_pk_mul_f32 v[128:129], v[126:127], v[122:123] op_sel:[1,1] op_sel_hi:[0,1]
	s_delay_alu instid0(VALU_DEP_1) | instskip(SKIP_1) | instid1(VALU_DEP_2)
	v_pk_fma_f32 v[130:131], v[126:127], v[122:123], v[128:129] op_sel_hi:[1,0,1]
	v_pk_fma_f32 v[122:123], v[126:127], v[122:123], v[128:129] neg_lo:[0,0,1] neg_hi:[0,0,1]
	v_mov_b32_e32 v123, v131
	s_cbranch_execz .LBB122_754
	s_branch .LBB122_755
.LBB122_753:
                                        ; implicit-def: $vgpr122_vgpr123
.LBB122_754:
	ds_load_b64 v[122:123], v1
.LBB122_755:
	s_mov_b32 s4, exec_lo
	v_cmpx_ne_u32_e32 17, v0
	s_cbranch_execz .LBB122_759
; %bb.756:
	v_add_nc_u32_e32 v125, 0x1e8, v58
	v_add3_u32 v126, 0, v58, 8
	v_mov_b32_e32 v127, v0
	s_mov_b32 s5, 0
.LBB122_757:                            ; =>This Inner Loop Header: Depth=1
	scratch_load_b64 v[128:129], v126, off
	ds_load_b64 v[130:131], v125
	s_wait_xcnt 0x0
	v_dual_add_nc_u32 v125, 8, v125 :: v_dual_add_nc_u32 v126, 8, v126
	s_wait_loadcnt_dscnt 0x0
	v_pk_mul_f32 v[132:133], v[130:131], v[128:129] op_sel:[1,1] op_sel_hi:[0,1]
	s_delay_alu instid0(VALU_DEP_1) | instskip(SKIP_2) | instid1(VALU_DEP_3)
	v_pk_fma_f32 v[134:135], v[130:131], v[128:129], v[132:133] op_sel_hi:[1,0,1]
	v_add_nc_u32_e32 v127, 1, v127
	v_pk_fma_f32 v[128:129], v[130:131], v[128:129], v[132:133] neg_lo:[0,0,1] neg_hi:[0,0,1]
	v_mov_b32_e32 v129, v135
	s_delay_alu instid0(VALU_DEP_3) | instskip(NEXT) | instid1(VALU_DEP_2)
	v_cmp_lt_u32_e32 vcc_lo, 16, v127
	v_pk_add_f32 v[122:123], v[122:123], v[128:129]
	s_or_b32 s5, vcc_lo, s5
	s_delay_alu instid0(SALU_CYCLE_1)
	s_and_not1_b32 exec_lo, exec_lo, s5
	s_cbranch_execnz .LBB122_757
; %bb.758:
	s_or_b32 exec_lo, exec_lo, s5
.LBB122_759:
	s_delay_alu instid0(SALU_CYCLE_1) | instskip(SKIP_4) | instid1(VALU_DEP_1)
	s_or_b32 exec_lo, exec_lo, s4
	v_mov_b32_e32 v125, 0
	ds_load_b64 v[126:127], v125 offset:144
	s_wait_dscnt 0x0
	v_pk_mul_f32 v[128:129], v[122:123], v[126:127] op_sel:[1,1] op_sel_hi:[0,1]
	v_pk_fma_f32 v[130:131], v[122:123], v[126:127], v[128:129] op_sel_hi:[1,0,1]
	v_pk_fma_f32 v[122:123], v[122:123], v[126:127], v[128:129] neg_lo:[0,0,1] neg_hi:[0,0,1]
	s_delay_alu instid0(VALU_DEP_2)
	v_mov_b32_e32 v123, v131
	scratch_store_b64 off, v[122:123], off offset:144
.LBB122_760:
	s_wait_xcnt 0x0
	s_or_b32 exec_lo, exec_lo, s0
	scratch_load_b64 v[122:123], off, off offset:152
	s_mov_b32 s0, exec_lo
	s_wait_loadcnt 0x0
	ds_store_b64 v1, v[122:123]
	s_wait_storecnt_dscnt 0x0
	s_barrier_signal -1
	s_barrier_wait -1
	s_wait_xcnt 0x0
	v_cmpx_gt_u32_e32 19, v0
	s_cbranch_execz .LBB122_770
; %bb.761:
	v_cmp_ne_u32_e32 vcc_lo, 1, v124
	s_cbranch_vccnz .LBB122_763
; %bb.762:
	scratch_load_b64 v[122:123], v59, off
	ds_load_b64 v[126:127], v1
	s_wait_loadcnt_dscnt 0x0
	v_pk_mul_f32 v[128:129], v[126:127], v[122:123] op_sel:[1,1] op_sel_hi:[0,1]
	s_delay_alu instid0(VALU_DEP_1) | instskip(SKIP_1) | instid1(VALU_DEP_2)
	v_pk_fma_f32 v[130:131], v[126:127], v[122:123], v[128:129] op_sel_hi:[1,0,1]
	v_pk_fma_f32 v[122:123], v[126:127], v[122:123], v[128:129] neg_lo:[0,0,1] neg_hi:[0,0,1]
	v_mov_b32_e32 v123, v131
	s_cbranch_execz .LBB122_764
	s_branch .LBB122_765
.LBB122_763:
                                        ; implicit-def: $vgpr122_vgpr123
.LBB122_764:
	ds_load_b64 v[122:123], v1
.LBB122_765:
	s_mov_b32 s4, exec_lo
	v_cmpx_ne_u32_e32 18, v0
	s_cbranch_execz .LBB122_769
; %bb.766:
	v_add_nc_u32_e32 v125, 0x1e8, v58
	v_add3_u32 v126, 0, v58, 8
	v_mov_b32_e32 v127, v0
	s_mov_b32 s5, 0
.LBB122_767:                            ; =>This Inner Loop Header: Depth=1
	scratch_load_b64 v[128:129], v126, off
	ds_load_b64 v[130:131], v125
	s_wait_xcnt 0x0
	v_dual_add_nc_u32 v125, 8, v125 :: v_dual_add_nc_u32 v126, 8, v126
	s_wait_loadcnt_dscnt 0x0
	v_pk_mul_f32 v[132:133], v[130:131], v[128:129] op_sel:[1,1] op_sel_hi:[0,1]
	s_delay_alu instid0(VALU_DEP_1) | instskip(SKIP_2) | instid1(VALU_DEP_3)
	v_pk_fma_f32 v[134:135], v[130:131], v[128:129], v[132:133] op_sel_hi:[1,0,1]
	v_add_nc_u32_e32 v127, 1, v127
	v_pk_fma_f32 v[128:129], v[130:131], v[128:129], v[132:133] neg_lo:[0,0,1] neg_hi:[0,0,1]
	v_mov_b32_e32 v129, v135
	s_delay_alu instid0(VALU_DEP_3) | instskip(NEXT) | instid1(VALU_DEP_2)
	v_cmp_lt_u32_e32 vcc_lo, 17, v127
	v_pk_add_f32 v[122:123], v[122:123], v[128:129]
	s_or_b32 s5, vcc_lo, s5
	s_delay_alu instid0(SALU_CYCLE_1)
	s_and_not1_b32 exec_lo, exec_lo, s5
	s_cbranch_execnz .LBB122_767
; %bb.768:
	s_or_b32 exec_lo, exec_lo, s5
.LBB122_769:
	s_delay_alu instid0(SALU_CYCLE_1) | instskip(SKIP_4) | instid1(VALU_DEP_1)
	s_or_b32 exec_lo, exec_lo, s4
	v_mov_b32_e32 v125, 0
	ds_load_b64 v[126:127], v125 offset:152
	s_wait_dscnt 0x0
	v_pk_mul_f32 v[128:129], v[122:123], v[126:127] op_sel:[1,1] op_sel_hi:[0,1]
	v_pk_fma_f32 v[130:131], v[122:123], v[126:127], v[128:129] op_sel_hi:[1,0,1]
	v_pk_fma_f32 v[122:123], v[122:123], v[126:127], v[128:129] neg_lo:[0,0,1] neg_hi:[0,0,1]
	s_delay_alu instid0(VALU_DEP_2)
	v_mov_b32_e32 v123, v131
	scratch_store_b64 off, v[122:123], off offset:152
.LBB122_770:
	s_wait_xcnt 0x0
	s_or_b32 exec_lo, exec_lo, s0
	scratch_load_b64 v[122:123], off, off offset:160
	s_mov_b32 s0, exec_lo
	s_wait_loadcnt 0x0
	ds_store_b64 v1, v[122:123]
	s_wait_storecnt_dscnt 0x0
	s_barrier_signal -1
	s_barrier_wait -1
	s_wait_xcnt 0x0
	v_cmpx_gt_u32_e32 20, v0
	s_cbranch_execz .LBB122_780
; %bb.771:
	v_cmp_ne_u32_e32 vcc_lo, 1, v124
	s_cbranch_vccnz .LBB122_773
; %bb.772:
	scratch_load_b64 v[122:123], v59, off
	ds_load_b64 v[126:127], v1
	s_wait_loadcnt_dscnt 0x0
	v_pk_mul_f32 v[128:129], v[126:127], v[122:123] op_sel:[1,1] op_sel_hi:[0,1]
	s_delay_alu instid0(VALU_DEP_1) | instskip(SKIP_1) | instid1(VALU_DEP_2)
	v_pk_fma_f32 v[130:131], v[126:127], v[122:123], v[128:129] op_sel_hi:[1,0,1]
	v_pk_fma_f32 v[122:123], v[126:127], v[122:123], v[128:129] neg_lo:[0,0,1] neg_hi:[0,0,1]
	v_mov_b32_e32 v123, v131
	s_cbranch_execz .LBB122_774
	s_branch .LBB122_775
.LBB122_773:
                                        ; implicit-def: $vgpr122_vgpr123
.LBB122_774:
	ds_load_b64 v[122:123], v1
.LBB122_775:
	s_mov_b32 s4, exec_lo
	v_cmpx_ne_u32_e32 19, v0
	s_cbranch_execz .LBB122_779
; %bb.776:
	v_add_nc_u32_e32 v125, 0x1e8, v58
	v_add3_u32 v126, 0, v58, 8
	v_mov_b32_e32 v127, v0
	s_mov_b32 s5, 0
.LBB122_777:                            ; =>This Inner Loop Header: Depth=1
	scratch_load_b64 v[128:129], v126, off
	ds_load_b64 v[130:131], v125
	s_wait_xcnt 0x0
	v_dual_add_nc_u32 v125, 8, v125 :: v_dual_add_nc_u32 v126, 8, v126
	s_wait_loadcnt_dscnt 0x0
	v_pk_mul_f32 v[132:133], v[130:131], v[128:129] op_sel:[1,1] op_sel_hi:[0,1]
	s_delay_alu instid0(VALU_DEP_1) | instskip(SKIP_2) | instid1(VALU_DEP_3)
	v_pk_fma_f32 v[134:135], v[130:131], v[128:129], v[132:133] op_sel_hi:[1,0,1]
	v_add_nc_u32_e32 v127, 1, v127
	v_pk_fma_f32 v[128:129], v[130:131], v[128:129], v[132:133] neg_lo:[0,0,1] neg_hi:[0,0,1]
	v_mov_b32_e32 v129, v135
	s_delay_alu instid0(VALU_DEP_3) | instskip(NEXT) | instid1(VALU_DEP_2)
	v_cmp_lt_u32_e32 vcc_lo, 18, v127
	v_pk_add_f32 v[122:123], v[122:123], v[128:129]
	s_or_b32 s5, vcc_lo, s5
	s_delay_alu instid0(SALU_CYCLE_1)
	s_and_not1_b32 exec_lo, exec_lo, s5
	s_cbranch_execnz .LBB122_777
; %bb.778:
	s_or_b32 exec_lo, exec_lo, s5
.LBB122_779:
	s_delay_alu instid0(SALU_CYCLE_1) | instskip(SKIP_4) | instid1(VALU_DEP_1)
	s_or_b32 exec_lo, exec_lo, s4
	v_mov_b32_e32 v125, 0
	ds_load_b64 v[126:127], v125 offset:160
	s_wait_dscnt 0x0
	v_pk_mul_f32 v[128:129], v[122:123], v[126:127] op_sel:[1,1] op_sel_hi:[0,1]
	v_pk_fma_f32 v[130:131], v[122:123], v[126:127], v[128:129] op_sel_hi:[1,0,1]
	v_pk_fma_f32 v[122:123], v[122:123], v[126:127], v[128:129] neg_lo:[0,0,1] neg_hi:[0,0,1]
	s_delay_alu instid0(VALU_DEP_2)
	v_mov_b32_e32 v123, v131
	scratch_store_b64 off, v[122:123], off offset:160
.LBB122_780:
	s_wait_xcnt 0x0
	s_or_b32 exec_lo, exec_lo, s0
	scratch_load_b64 v[122:123], off, off offset:168
	s_mov_b32 s0, exec_lo
	s_wait_loadcnt 0x0
	ds_store_b64 v1, v[122:123]
	s_wait_storecnt_dscnt 0x0
	s_barrier_signal -1
	s_barrier_wait -1
	s_wait_xcnt 0x0
	v_cmpx_gt_u32_e32 21, v0
	s_cbranch_execz .LBB122_790
; %bb.781:
	v_cmp_ne_u32_e32 vcc_lo, 1, v124
	s_cbranch_vccnz .LBB122_783
; %bb.782:
	scratch_load_b64 v[122:123], v59, off
	ds_load_b64 v[126:127], v1
	s_wait_loadcnt_dscnt 0x0
	v_pk_mul_f32 v[128:129], v[126:127], v[122:123] op_sel:[1,1] op_sel_hi:[0,1]
	s_delay_alu instid0(VALU_DEP_1) | instskip(SKIP_1) | instid1(VALU_DEP_2)
	v_pk_fma_f32 v[130:131], v[126:127], v[122:123], v[128:129] op_sel_hi:[1,0,1]
	v_pk_fma_f32 v[122:123], v[126:127], v[122:123], v[128:129] neg_lo:[0,0,1] neg_hi:[0,0,1]
	v_mov_b32_e32 v123, v131
	s_cbranch_execz .LBB122_784
	s_branch .LBB122_785
.LBB122_783:
                                        ; implicit-def: $vgpr122_vgpr123
.LBB122_784:
	ds_load_b64 v[122:123], v1
.LBB122_785:
	s_mov_b32 s4, exec_lo
	v_cmpx_ne_u32_e32 20, v0
	s_cbranch_execz .LBB122_789
; %bb.786:
	v_add_nc_u32_e32 v125, 0x1e8, v58
	v_add3_u32 v126, 0, v58, 8
	v_mov_b32_e32 v127, v0
	s_mov_b32 s5, 0
.LBB122_787:                            ; =>This Inner Loop Header: Depth=1
	scratch_load_b64 v[128:129], v126, off
	ds_load_b64 v[130:131], v125
	s_wait_xcnt 0x0
	v_dual_add_nc_u32 v125, 8, v125 :: v_dual_add_nc_u32 v126, 8, v126
	s_wait_loadcnt_dscnt 0x0
	v_pk_mul_f32 v[132:133], v[130:131], v[128:129] op_sel:[1,1] op_sel_hi:[0,1]
	s_delay_alu instid0(VALU_DEP_1) | instskip(SKIP_2) | instid1(VALU_DEP_3)
	v_pk_fma_f32 v[134:135], v[130:131], v[128:129], v[132:133] op_sel_hi:[1,0,1]
	v_add_nc_u32_e32 v127, 1, v127
	v_pk_fma_f32 v[128:129], v[130:131], v[128:129], v[132:133] neg_lo:[0,0,1] neg_hi:[0,0,1]
	v_mov_b32_e32 v129, v135
	s_delay_alu instid0(VALU_DEP_3) | instskip(NEXT) | instid1(VALU_DEP_2)
	v_cmp_lt_u32_e32 vcc_lo, 19, v127
	v_pk_add_f32 v[122:123], v[122:123], v[128:129]
	s_or_b32 s5, vcc_lo, s5
	s_delay_alu instid0(SALU_CYCLE_1)
	s_and_not1_b32 exec_lo, exec_lo, s5
	s_cbranch_execnz .LBB122_787
; %bb.788:
	s_or_b32 exec_lo, exec_lo, s5
.LBB122_789:
	s_delay_alu instid0(SALU_CYCLE_1) | instskip(SKIP_4) | instid1(VALU_DEP_1)
	s_or_b32 exec_lo, exec_lo, s4
	v_mov_b32_e32 v125, 0
	ds_load_b64 v[126:127], v125 offset:168
	s_wait_dscnt 0x0
	v_pk_mul_f32 v[128:129], v[122:123], v[126:127] op_sel:[1,1] op_sel_hi:[0,1]
	v_pk_fma_f32 v[130:131], v[122:123], v[126:127], v[128:129] op_sel_hi:[1,0,1]
	v_pk_fma_f32 v[122:123], v[122:123], v[126:127], v[128:129] neg_lo:[0,0,1] neg_hi:[0,0,1]
	s_delay_alu instid0(VALU_DEP_2)
	v_mov_b32_e32 v123, v131
	scratch_store_b64 off, v[122:123], off offset:168
.LBB122_790:
	s_wait_xcnt 0x0
	s_or_b32 exec_lo, exec_lo, s0
	scratch_load_b64 v[122:123], off, off offset:176
	s_mov_b32 s0, exec_lo
	s_wait_loadcnt 0x0
	ds_store_b64 v1, v[122:123]
	s_wait_storecnt_dscnt 0x0
	s_barrier_signal -1
	s_barrier_wait -1
	s_wait_xcnt 0x0
	v_cmpx_gt_u32_e32 22, v0
	s_cbranch_execz .LBB122_800
; %bb.791:
	v_cmp_ne_u32_e32 vcc_lo, 1, v124
	s_cbranch_vccnz .LBB122_793
; %bb.792:
	scratch_load_b64 v[122:123], v59, off
	ds_load_b64 v[126:127], v1
	s_wait_loadcnt_dscnt 0x0
	v_pk_mul_f32 v[128:129], v[126:127], v[122:123] op_sel:[1,1] op_sel_hi:[0,1]
	s_delay_alu instid0(VALU_DEP_1) | instskip(SKIP_1) | instid1(VALU_DEP_2)
	v_pk_fma_f32 v[130:131], v[126:127], v[122:123], v[128:129] op_sel_hi:[1,0,1]
	v_pk_fma_f32 v[122:123], v[126:127], v[122:123], v[128:129] neg_lo:[0,0,1] neg_hi:[0,0,1]
	v_mov_b32_e32 v123, v131
	s_cbranch_execz .LBB122_794
	s_branch .LBB122_795
.LBB122_793:
                                        ; implicit-def: $vgpr122_vgpr123
.LBB122_794:
	ds_load_b64 v[122:123], v1
.LBB122_795:
	s_mov_b32 s4, exec_lo
	v_cmpx_ne_u32_e32 21, v0
	s_cbranch_execz .LBB122_799
; %bb.796:
	v_add_nc_u32_e32 v125, 0x1e8, v58
	v_add3_u32 v126, 0, v58, 8
	v_mov_b32_e32 v127, v0
	s_mov_b32 s5, 0
.LBB122_797:                            ; =>This Inner Loop Header: Depth=1
	scratch_load_b64 v[128:129], v126, off
	ds_load_b64 v[130:131], v125
	s_wait_xcnt 0x0
	v_dual_add_nc_u32 v125, 8, v125 :: v_dual_add_nc_u32 v126, 8, v126
	s_wait_loadcnt_dscnt 0x0
	v_pk_mul_f32 v[132:133], v[130:131], v[128:129] op_sel:[1,1] op_sel_hi:[0,1]
	s_delay_alu instid0(VALU_DEP_1) | instskip(SKIP_2) | instid1(VALU_DEP_3)
	v_pk_fma_f32 v[134:135], v[130:131], v[128:129], v[132:133] op_sel_hi:[1,0,1]
	v_add_nc_u32_e32 v127, 1, v127
	v_pk_fma_f32 v[128:129], v[130:131], v[128:129], v[132:133] neg_lo:[0,0,1] neg_hi:[0,0,1]
	v_mov_b32_e32 v129, v135
	s_delay_alu instid0(VALU_DEP_3) | instskip(NEXT) | instid1(VALU_DEP_2)
	v_cmp_lt_u32_e32 vcc_lo, 20, v127
	v_pk_add_f32 v[122:123], v[122:123], v[128:129]
	s_or_b32 s5, vcc_lo, s5
	s_delay_alu instid0(SALU_CYCLE_1)
	s_and_not1_b32 exec_lo, exec_lo, s5
	s_cbranch_execnz .LBB122_797
; %bb.798:
	s_or_b32 exec_lo, exec_lo, s5
.LBB122_799:
	s_delay_alu instid0(SALU_CYCLE_1) | instskip(SKIP_4) | instid1(VALU_DEP_1)
	s_or_b32 exec_lo, exec_lo, s4
	v_mov_b32_e32 v125, 0
	ds_load_b64 v[126:127], v125 offset:176
	s_wait_dscnt 0x0
	v_pk_mul_f32 v[128:129], v[122:123], v[126:127] op_sel:[1,1] op_sel_hi:[0,1]
	v_pk_fma_f32 v[130:131], v[122:123], v[126:127], v[128:129] op_sel_hi:[1,0,1]
	v_pk_fma_f32 v[122:123], v[122:123], v[126:127], v[128:129] neg_lo:[0,0,1] neg_hi:[0,0,1]
	s_delay_alu instid0(VALU_DEP_2)
	v_mov_b32_e32 v123, v131
	scratch_store_b64 off, v[122:123], off offset:176
.LBB122_800:
	s_wait_xcnt 0x0
	s_or_b32 exec_lo, exec_lo, s0
	scratch_load_b64 v[122:123], off, off offset:184
	s_mov_b32 s0, exec_lo
	s_wait_loadcnt 0x0
	ds_store_b64 v1, v[122:123]
	s_wait_storecnt_dscnt 0x0
	s_barrier_signal -1
	s_barrier_wait -1
	s_wait_xcnt 0x0
	v_cmpx_gt_u32_e32 23, v0
	s_cbranch_execz .LBB122_810
; %bb.801:
	v_cmp_ne_u32_e32 vcc_lo, 1, v124
	s_cbranch_vccnz .LBB122_803
; %bb.802:
	scratch_load_b64 v[122:123], v59, off
	ds_load_b64 v[126:127], v1
	s_wait_loadcnt_dscnt 0x0
	v_pk_mul_f32 v[128:129], v[126:127], v[122:123] op_sel:[1,1] op_sel_hi:[0,1]
	s_delay_alu instid0(VALU_DEP_1) | instskip(SKIP_1) | instid1(VALU_DEP_2)
	v_pk_fma_f32 v[130:131], v[126:127], v[122:123], v[128:129] op_sel_hi:[1,0,1]
	v_pk_fma_f32 v[122:123], v[126:127], v[122:123], v[128:129] neg_lo:[0,0,1] neg_hi:[0,0,1]
	v_mov_b32_e32 v123, v131
	s_cbranch_execz .LBB122_804
	s_branch .LBB122_805
.LBB122_803:
                                        ; implicit-def: $vgpr122_vgpr123
.LBB122_804:
	ds_load_b64 v[122:123], v1
.LBB122_805:
	s_mov_b32 s4, exec_lo
	v_cmpx_ne_u32_e32 22, v0
	s_cbranch_execz .LBB122_809
; %bb.806:
	v_add_nc_u32_e32 v125, 0x1e8, v58
	v_add3_u32 v126, 0, v58, 8
	v_mov_b32_e32 v127, v0
	s_mov_b32 s5, 0
.LBB122_807:                            ; =>This Inner Loop Header: Depth=1
	scratch_load_b64 v[128:129], v126, off
	ds_load_b64 v[130:131], v125
	s_wait_xcnt 0x0
	v_dual_add_nc_u32 v125, 8, v125 :: v_dual_add_nc_u32 v126, 8, v126
	s_wait_loadcnt_dscnt 0x0
	v_pk_mul_f32 v[132:133], v[130:131], v[128:129] op_sel:[1,1] op_sel_hi:[0,1]
	s_delay_alu instid0(VALU_DEP_1) | instskip(SKIP_2) | instid1(VALU_DEP_3)
	v_pk_fma_f32 v[134:135], v[130:131], v[128:129], v[132:133] op_sel_hi:[1,0,1]
	v_add_nc_u32_e32 v127, 1, v127
	v_pk_fma_f32 v[128:129], v[130:131], v[128:129], v[132:133] neg_lo:[0,0,1] neg_hi:[0,0,1]
	v_mov_b32_e32 v129, v135
	s_delay_alu instid0(VALU_DEP_3) | instskip(NEXT) | instid1(VALU_DEP_2)
	v_cmp_lt_u32_e32 vcc_lo, 21, v127
	v_pk_add_f32 v[122:123], v[122:123], v[128:129]
	s_or_b32 s5, vcc_lo, s5
	s_delay_alu instid0(SALU_CYCLE_1)
	s_and_not1_b32 exec_lo, exec_lo, s5
	s_cbranch_execnz .LBB122_807
; %bb.808:
	s_or_b32 exec_lo, exec_lo, s5
.LBB122_809:
	s_delay_alu instid0(SALU_CYCLE_1) | instskip(SKIP_4) | instid1(VALU_DEP_1)
	s_or_b32 exec_lo, exec_lo, s4
	v_mov_b32_e32 v125, 0
	ds_load_b64 v[126:127], v125 offset:184
	s_wait_dscnt 0x0
	v_pk_mul_f32 v[128:129], v[122:123], v[126:127] op_sel:[1,1] op_sel_hi:[0,1]
	v_pk_fma_f32 v[130:131], v[122:123], v[126:127], v[128:129] op_sel_hi:[1,0,1]
	v_pk_fma_f32 v[122:123], v[122:123], v[126:127], v[128:129] neg_lo:[0,0,1] neg_hi:[0,0,1]
	s_delay_alu instid0(VALU_DEP_2)
	v_mov_b32_e32 v123, v131
	scratch_store_b64 off, v[122:123], off offset:184
.LBB122_810:
	s_wait_xcnt 0x0
	s_or_b32 exec_lo, exec_lo, s0
	scratch_load_b64 v[122:123], off, off offset:192
	s_mov_b32 s0, exec_lo
	s_wait_loadcnt 0x0
	ds_store_b64 v1, v[122:123]
	s_wait_storecnt_dscnt 0x0
	s_barrier_signal -1
	s_barrier_wait -1
	s_wait_xcnt 0x0
	v_cmpx_gt_u32_e32 24, v0
	s_cbranch_execz .LBB122_820
; %bb.811:
	v_cmp_ne_u32_e32 vcc_lo, 1, v124
	s_cbranch_vccnz .LBB122_813
; %bb.812:
	scratch_load_b64 v[122:123], v59, off
	ds_load_b64 v[126:127], v1
	s_wait_loadcnt_dscnt 0x0
	v_pk_mul_f32 v[128:129], v[126:127], v[122:123] op_sel:[1,1] op_sel_hi:[0,1]
	s_delay_alu instid0(VALU_DEP_1) | instskip(SKIP_1) | instid1(VALU_DEP_2)
	v_pk_fma_f32 v[130:131], v[126:127], v[122:123], v[128:129] op_sel_hi:[1,0,1]
	v_pk_fma_f32 v[122:123], v[126:127], v[122:123], v[128:129] neg_lo:[0,0,1] neg_hi:[0,0,1]
	v_mov_b32_e32 v123, v131
	s_cbranch_execz .LBB122_814
	s_branch .LBB122_815
.LBB122_813:
                                        ; implicit-def: $vgpr122_vgpr123
.LBB122_814:
	ds_load_b64 v[122:123], v1
.LBB122_815:
	s_mov_b32 s4, exec_lo
	v_cmpx_ne_u32_e32 23, v0
	s_cbranch_execz .LBB122_819
; %bb.816:
	v_add_nc_u32_e32 v125, 0x1e8, v58
	v_add3_u32 v126, 0, v58, 8
	v_mov_b32_e32 v127, v0
	s_mov_b32 s5, 0
.LBB122_817:                            ; =>This Inner Loop Header: Depth=1
	scratch_load_b64 v[128:129], v126, off
	ds_load_b64 v[130:131], v125
	s_wait_xcnt 0x0
	v_dual_add_nc_u32 v125, 8, v125 :: v_dual_add_nc_u32 v126, 8, v126
	s_wait_loadcnt_dscnt 0x0
	v_pk_mul_f32 v[132:133], v[130:131], v[128:129] op_sel:[1,1] op_sel_hi:[0,1]
	s_delay_alu instid0(VALU_DEP_1) | instskip(SKIP_2) | instid1(VALU_DEP_3)
	v_pk_fma_f32 v[134:135], v[130:131], v[128:129], v[132:133] op_sel_hi:[1,0,1]
	v_add_nc_u32_e32 v127, 1, v127
	v_pk_fma_f32 v[128:129], v[130:131], v[128:129], v[132:133] neg_lo:[0,0,1] neg_hi:[0,0,1]
	v_mov_b32_e32 v129, v135
	s_delay_alu instid0(VALU_DEP_3) | instskip(NEXT) | instid1(VALU_DEP_2)
	v_cmp_lt_u32_e32 vcc_lo, 22, v127
	v_pk_add_f32 v[122:123], v[122:123], v[128:129]
	s_or_b32 s5, vcc_lo, s5
	s_delay_alu instid0(SALU_CYCLE_1)
	s_and_not1_b32 exec_lo, exec_lo, s5
	s_cbranch_execnz .LBB122_817
; %bb.818:
	s_or_b32 exec_lo, exec_lo, s5
.LBB122_819:
	s_delay_alu instid0(SALU_CYCLE_1) | instskip(SKIP_4) | instid1(VALU_DEP_1)
	s_or_b32 exec_lo, exec_lo, s4
	v_mov_b32_e32 v125, 0
	ds_load_b64 v[126:127], v125 offset:192
	s_wait_dscnt 0x0
	v_pk_mul_f32 v[128:129], v[122:123], v[126:127] op_sel:[1,1] op_sel_hi:[0,1]
	v_pk_fma_f32 v[130:131], v[122:123], v[126:127], v[128:129] op_sel_hi:[1,0,1]
	v_pk_fma_f32 v[122:123], v[122:123], v[126:127], v[128:129] neg_lo:[0,0,1] neg_hi:[0,0,1]
	s_delay_alu instid0(VALU_DEP_2)
	v_mov_b32_e32 v123, v131
	scratch_store_b64 off, v[122:123], off offset:192
.LBB122_820:
	s_wait_xcnt 0x0
	s_or_b32 exec_lo, exec_lo, s0
	scratch_load_b64 v[122:123], off, off offset:200
	s_mov_b32 s0, exec_lo
	s_wait_loadcnt 0x0
	ds_store_b64 v1, v[122:123]
	s_wait_storecnt_dscnt 0x0
	s_barrier_signal -1
	s_barrier_wait -1
	s_wait_xcnt 0x0
	v_cmpx_gt_u32_e32 25, v0
	s_cbranch_execz .LBB122_830
; %bb.821:
	v_cmp_ne_u32_e32 vcc_lo, 1, v124
	s_cbranch_vccnz .LBB122_823
; %bb.822:
	scratch_load_b64 v[122:123], v59, off
	ds_load_b64 v[126:127], v1
	s_wait_loadcnt_dscnt 0x0
	v_pk_mul_f32 v[128:129], v[126:127], v[122:123] op_sel:[1,1] op_sel_hi:[0,1]
	s_delay_alu instid0(VALU_DEP_1) | instskip(SKIP_1) | instid1(VALU_DEP_2)
	v_pk_fma_f32 v[130:131], v[126:127], v[122:123], v[128:129] op_sel_hi:[1,0,1]
	v_pk_fma_f32 v[122:123], v[126:127], v[122:123], v[128:129] neg_lo:[0,0,1] neg_hi:[0,0,1]
	v_mov_b32_e32 v123, v131
	s_cbranch_execz .LBB122_824
	s_branch .LBB122_825
.LBB122_823:
                                        ; implicit-def: $vgpr122_vgpr123
.LBB122_824:
	ds_load_b64 v[122:123], v1
.LBB122_825:
	s_mov_b32 s4, exec_lo
	v_cmpx_ne_u32_e32 24, v0
	s_cbranch_execz .LBB122_829
; %bb.826:
	v_add_nc_u32_e32 v125, 0x1e8, v58
	v_add3_u32 v126, 0, v58, 8
	v_mov_b32_e32 v127, v0
	s_mov_b32 s5, 0
.LBB122_827:                            ; =>This Inner Loop Header: Depth=1
	scratch_load_b64 v[128:129], v126, off
	ds_load_b64 v[130:131], v125
	s_wait_xcnt 0x0
	v_dual_add_nc_u32 v125, 8, v125 :: v_dual_add_nc_u32 v126, 8, v126
	s_wait_loadcnt_dscnt 0x0
	v_pk_mul_f32 v[132:133], v[130:131], v[128:129] op_sel:[1,1] op_sel_hi:[0,1]
	s_delay_alu instid0(VALU_DEP_1) | instskip(SKIP_2) | instid1(VALU_DEP_3)
	v_pk_fma_f32 v[134:135], v[130:131], v[128:129], v[132:133] op_sel_hi:[1,0,1]
	v_add_nc_u32_e32 v127, 1, v127
	v_pk_fma_f32 v[128:129], v[130:131], v[128:129], v[132:133] neg_lo:[0,0,1] neg_hi:[0,0,1]
	v_mov_b32_e32 v129, v135
	s_delay_alu instid0(VALU_DEP_3) | instskip(NEXT) | instid1(VALU_DEP_2)
	v_cmp_lt_u32_e32 vcc_lo, 23, v127
	v_pk_add_f32 v[122:123], v[122:123], v[128:129]
	s_or_b32 s5, vcc_lo, s5
	s_delay_alu instid0(SALU_CYCLE_1)
	s_and_not1_b32 exec_lo, exec_lo, s5
	s_cbranch_execnz .LBB122_827
; %bb.828:
	s_or_b32 exec_lo, exec_lo, s5
.LBB122_829:
	s_delay_alu instid0(SALU_CYCLE_1) | instskip(SKIP_4) | instid1(VALU_DEP_1)
	s_or_b32 exec_lo, exec_lo, s4
	v_mov_b32_e32 v125, 0
	ds_load_b64 v[126:127], v125 offset:200
	s_wait_dscnt 0x0
	v_pk_mul_f32 v[128:129], v[122:123], v[126:127] op_sel:[1,1] op_sel_hi:[0,1]
	v_pk_fma_f32 v[130:131], v[122:123], v[126:127], v[128:129] op_sel_hi:[1,0,1]
	v_pk_fma_f32 v[122:123], v[122:123], v[126:127], v[128:129] neg_lo:[0,0,1] neg_hi:[0,0,1]
	s_delay_alu instid0(VALU_DEP_2)
	v_mov_b32_e32 v123, v131
	scratch_store_b64 off, v[122:123], off offset:200
.LBB122_830:
	s_wait_xcnt 0x0
	s_or_b32 exec_lo, exec_lo, s0
	scratch_load_b64 v[122:123], off, off offset:208
	s_mov_b32 s0, exec_lo
	s_wait_loadcnt 0x0
	ds_store_b64 v1, v[122:123]
	s_wait_storecnt_dscnt 0x0
	s_barrier_signal -1
	s_barrier_wait -1
	s_wait_xcnt 0x0
	v_cmpx_gt_u32_e32 26, v0
	s_cbranch_execz .LBB122_840
; %bb.831:
	v_cmp_ne_u32_e32 vcc_lo, 1, v124
	s_cbranch_vccnz .LBB122_833
; %bb.832:
	scratch_load_b64 v[122:123], v59, off
	ds_load_b64 v[126:127], v1
	s_wait_loadcnt_dscnt 0x0
	v_pk_mul_f32 v[128:129], v[126:127], v[122:123] op_sel:[1,1] op_sel_hi:[0,1]
	s_delay_alu instid0(VALU_DEP_1) | instskip(SKIP_1) | instid1(VALU_DEP_2)
	v_pk_fma_f32 v[130:131], v[126:127], v[122:123], v[128:129] op_sel_hi:[1,0,1]
	v_pk_fma_f32 v[122:123], v[126:127], v[122:123], v[128:129] neg_lo:[0,0,1] neg_hi:[0,0,1]
	v_mov_b32_e32 v123, v131
	s_cbranch_execz .LBB122_834
	s_branch .LBB122_835
.LBB122_833:
                                        ; implicit-def: $vgpr122_vgpr123
.LBB122_834:
	ds_load_b64 v[122:123], v1
.LBB122_835:
	s_mov_b32 s4, exec_lo
	v_cmpx_ne_u32_e32 25, v0
	s_cbranch_execz .LBB122_839
; %bb.836:
	v_add_nc_u32_e32 v125, 0x1e8, v58
	v_add3_u32 v126, 0, v58, 8
	v_mov_b32_e32 v127, v0
	s_mov_b32 s5, 0
.LBB122_837:                            ; =>This Inner Loop Header: Depth=1
	scratch_load_b64 v[128:129], v126, off
	ds_load_b64 v[130:131], v125
	s_wait_xcnt 0x0
	v_dual_add_nc_u32 v125, 8, v125 :: v_dual_add_nc_u32 v126, 8, v126
	s_wait_loadcnt_dscnt 0x0
	v_pk_mul_f32 v[132:133], v[130:131], v[128:129] op_sel:[1,1] op_sel_hi:[0,1]
	s_delay_alu instid0(VALU_DEP_1) | instskip(SKIP_2) | instid1(VALU_DEP_3)
	v_pk_fma_f32 v[134:135], v[130:131], v[128:129], v[132:133] op_sel_hi:[1,0,1]
	v_add_nc_u32_e32 v127, 1, v127
	v_pk_fma_f32 v[128:129], v[130:131], v[128:129], v[132:133] neg_lo:[0,0,1] neg_hi:[0,0,1]
	v_mov_b32_e32 v129, v135
	s_delay_alu instid0(VALU_DEP_3) | instskip(NEXT) | instid1(VALU_DEP_2)
	v_cmp_lt_u32_e32 vcc_lo, 24, v127
	v_pk_add_f32 v[122:123], v[122:123], v[128:129]
	s_or_b32 s5, vcc_lo, s5
	s_delay_alu instid0(SALU_CYCLE_1)
	s_and_not1_b32 exec_lo, exec_lo, s5
	s_cbranch_execnz .LBB122_837
; %bb.838:
	s_or_b32 exec_lo, exec_lo, s5
.LBB122_839:
	s_delay_alu instid0(SALU_CYCLE_1) | instskip(SKIP_4) | instid1(VALU_DEP_1)
	s_or_b32 exec_lo, exec_lo, s4
	v_mov_b32_e32 v125, 0
	ds_load_b64 v[126:127], v125 offset:208
	s_wait_dscnt 0x0
	v_pk_mul_f32 v[128:129], v[122:123], v[126:127] op_sel:[1,1] op_sel_hi:[0,1]
	v_pk_fma_f32 v[130:131], v[122:123], v[126:127], v[128:129] op_sel_hi:[1,0,1]
	v_pk_fma_f32 v[122:123], v[122:123], v[126:127], v[128:129] neg_lo:[0,0,1] neg_hi:[0,0,1]
	s_delay_alu instid0(VALU_DEP_2)
	v_mov_b32_e32 v123, v131
	scratch_store_b64 off, v[122:123], off offset:208
.LBB122_840:
	s_wait_xcnt 0x0
	s_or_b32 exec_lo, exec_lo, s0
	scratch_load_b64 v[122:123], off, off offset:216
	s_mov_b32 s0, exec_lo
	s_wait_loadcnt 0x0
	ds_store_b64 v1, v[122:123]
	s_wait_storecnt_dscnt 0x0
	s_barrier_signal -1
	s_barrier_wait -1
	s_wait_xcnt 0x0
	v_cmpx_gt_u32_e32 27, v0
	s_cbranch_execz .LBB122_850
; %bb.841:
	v_cmp_ne_u32_e32 vcc_lo, 1, v124
	s_cbranch_vccnz .LBB122_843
; %bb.842:
	scratch_load_b64 v[122:123], v59, off
	ds_load_b64 v[126:127], v1
	s_wait_loadcnt_dscnt 0x0
	v_pk_mul_f32 v[128:129], v[126:127], v[122:123] op_sel:[1,1] op_sel_hi:[0,1]
	s_delay_alu instid0(VALU_DEP_1) | instskip(SKIP_1) | instid1(VALU_DEP_2)
	v_pk_fma_f32 v[130:131], v[126:127], v[122:123], v[128:129] op_sel_hi:[1,0,1]
	v_pk_fma_f32 v[122:123], v[126:127], v[122:123], v[128:129] neg_lo:[0,0,1] neg_hi:[0,0,1]
	v_mov_b32_e32 v123, v131
	s_cbranch_execz .LBB122_844
	s_branch .LBB122_845
.LBB122_843:
                                        ; implicit-def: $vgpr122_vgpr123
.LBB122_844:
	ds_load_b64 v[122:123], v1
.LBB122_845:
	s_mov_b32 s4, exec_lo
	v_cmpx_ne_u32_e32 26, v0
	s_cbranch_execz .LBB122_849
; %bb.846:
	v_add_nc_u32_e32 v125, 0x1e8, v58
	v_add3_u32 v126, 0, v58, 8
	v_mov_b32_e32 v127, v0
	s_mov_b32 s5, 0
.LBB122_847:                            ; =>This Inner Loop Header: Depth=1
	scratch_load_b64 v[128:129], v126, off
	ds_load_b64 v[130:131], v125
	s_wait_xcnt 0x0
	v_dual_add_nc_u32 v125, 8, v125 :: v_dual_add_nc_u32 v126, 8, v126
	s_wait_loadcnt_dscnt 0x0
	v_pk_mul_f32 v[132:133], v[130:131], v[128:129] op_sel:[1,1] op_sel_hi:[0,1]
	s_delay_alu instid0(VALU_DEP_1) | instskip(SKIP_2) | instid1(VALU_DEP_3)
	v_pk_fma_f32 v[134:135], v[130:131], v[128:129], v[132:133] op_sel_hi:[1,0,1]
	v_add_nc_u32_e32 v127, 1, v127
	v_pk_fma_f32 v[128:129], v[130:131], v[128:129], v[132:133] neg_lo:[0,0,1] neg_hi:[0,0,1]
	v_mov_b32_e32 v129, v135
	s_delay_alu instid0(VALU_DEP_3) | instskip(NEXT) | instid1(VALU_DEP_2)
	v_cmp_lt_u32_e32 vcc_lo, 25, v127
	v_pk_add_f32 v[122:123], v[122:123], v[128:129]
	s_or_b32 s5, vcc_lo, s5
	s_delay_alu instid0(SALU_CYCLE_1)
	s_and_not1_b32 exec_lo, exec_lo, s5
	s_cbranch_execnz .LBB122_847
; %bb.848:
	s_or_b32 exec_lo, exec_lo, s5
.LBB122_849:
	s_delay_alu instid0(SALU_CYCLE_1) | instskip(SKIP_4) | instid1(VALU_DEP_1)
	s_or_b32 exec_lo, exec_lo, s4
	v_mov_b32_e32 v125, 0
	ds_load_b64 v[126:127], v125 offset:216
	s_wait_dscnt 0x0
	v_pk_mul_f32 v[128:129], v[122:123], v[126:127] op_sel:[1,1] op_sel_hi:[0,1]
	v_pk_fma_f32 v[130:131], v[122:123], v[126:127], v[128:129] op_sel_hi:[1,0,1]
	v_pk_fma_f32 v[122:123], v[122:123], v[126:127], v[128:129] neg_lo:[0,0,1] neg_hi:[0,0,1]
	s_delay_alu instid0(VALU_DEP_2)
	v_mov_b32_e32 v123, v131
	scratch_store_b64 off, v[122:123], off offset:216
.LBB122_850:
	s_wait_xcnt 0x0
	s_or_b32 exec_lo, exec_lo, s0
	scratch_load_b64 v[122:123], off, off offset:224
	s_mov_b32 s0, exec_lo
	s_wait_loadcnt 0x0
	ds_store_b64 v1, v[122:123]
	s_wait_storecnt_dscnt 0x0
	s_barrier_signal -1
	s_barrier_wait -1
	s_wait_xcnt 0x0
	v_cmpx_gt_u32_e32 28, v0
	s_cbranch_execz .LBB122_860
; %bb.851:
	v_cmp_ne_u32_e32 vcc_lo, 1, v124
	s_cbranch_vccnz .LBB122_853
; %bb.852:
	scratch_load_b64 v[122:123], v59, off
	ds_load_b64 v[126:127], v1
	s_wait_loadcnt_dscnt 0x0
	v_pk_mul_f32 v[128:129], v[126:127], v[122:123] op_sel:[1,1] op_sel_hi:[0,1]
	s_delay_alu instid0(VALU_DEP_1) | instskip(SKIP_1) | instid1(VALU_DEP_2)
	v_pk_fma_f32 v[130:131], v[126:127], v[122:123], v[128:129] op_sel_hi:[1,0,1]
	v_pk_fma_f32 v[122:123], v[126:127], v[122:123], v[128:129] neg_lo:[0,0,1] neg_hi:[0,0,1]
	v_mov_b32_e32 v123, v131
	s_cbranch_execz .LBB122_854
	s_branch .LBB122_855
.LBB122_853:
                                        ; implicit-def: $vgpr122_vgpr123
.LBB122_854:
	ds_load_b64 v[122:123], v1
.LBB122_855:
	s_mov_b32 s4, exec_lo
	v_cmpx_ne_u32_e32 27, v0
	s_cbranch_execz .LBB122_859
; %bb.856:
	v_add_nc_u32_e32 v125, 0x1e8, v58
	v_add3_u32 v126, 0, v58, 8
	v_mov_b32_e32 v127, v0
	s_mov_b32 s5, 0
.LBB122_857:                            ; =>This Inner Loop Header: Depth=1
	scratch_load_b64 v[128:129], v126, off
	ds_load_b64 v[130:131], v125
	s_wait_xcnt 0x0
	v_dual_add_nc_u32 v125, 8, v125 :: v_dual_add_nc_u32 v126, 8, v126
	s_wait_loadcnt_dscnt 0x0
	v_pk_mul_f32 v[132:133], v[130:131], v[128:129] op_sel:[1,1] op_sel_hi:[0,1]
	s_delay_alu instid0(VALU_DEP_1) | instskip(SKIP_2) | instid1(VALU_DEP_3)
	v_pk_fma_f32 v[134:135], v[130:131], v[128:129], v[132:133] op_sel_hi:[1,0,1]
	v_add_nc_u32_e32 v127, 1, v127
	v_pk_fma_f32 v[128:129], v[130:131], v[128:129], v[132:133] neg_lo:[0,0,1] neg_hi:[0,0,1]
	v_mov_b32_e32 v129, v135
	s_delay_alu instid0(VALU_DEP_3) | instskip(NEXT) | instid1(VALU_DEP_2)
	v_cmp_lt_u32_e32 vcc_lo, 26, v127
	v_pk_add_f32 v[122:123], v[122:123], v[128:129]
	s_or_b32 s5, vcc_lo, s5
	s_delay_alu instid0(SALU_CYCLE_1)
	s_and_not1_b32 exec_lo, exec_lo, s5
	s_cbranch_execnz .LBB122_857
; %bb.858:
	s_or_b32 exec_lo, exec_lo, s5
.LBB122_859:
	s_delay_alu instid0(SALU_CYCLE_1) | instskip(SKIP_4) | instid1(VALU_DEP_1)
	s_or_b32 exec_lo, exec_lo, s4
	v_mov_b32_e32 v125, 0
	ds_load_b64 v[126:127], v125 offset:224
	s_wait_dscnt 0x0
	v_pk_mul_f32 v[128:129], v[122:123], v[126:127] op_sel:[1,1] op_sel_hi:[0,1]
	v_pk_fma_f32 v[130:131], v[122:123], v[126:127], v[128:129] op_sel_hi:[1,0,1]
	v_pk_fma_f32 v[122:123], v[122:123], v[126:127], v[128:129] neg_lo:[0,0,1] neg_hi:[0,0,1]
	s_delay_alu instid0(VALU_DEP_2)
	v_mov_b32_e32 v123, v131
	scratch_store_b64 off, v[122:123], off offset:224
.LBB122_860:
	s_wait_xcnt 0x0
	s_or_b32 exec_lo, exec_lo, s0
	scratch_load_b64 v[122:123], off, off offset:232
	s_mov_b32 s0, exec_lo
	s_wait_loadcnt 0x0
	ds_store_b64 v1, v[122:123]
	s_wait_storecnt_dscnt 0x0
	s_barrier_signal -1
	s_barrier_wait -1
	s_wait_xcnt 0x0
	v_cmpx_gt_u32_e32 29, v0
	s_cbranch_execz .LBB122_870
; %bb.861:
	v_cmp_ne_u32_e32 vcc_lo, 1, v124
	s_cbranch_vccnz .LBB122_863
; %bb.862:
	scratch_load_b64 v[122:123], v59, off
	ds_load_b64 v[126:127], v1
	s_wait_loadcnt_dscnt 0x0
	v_pk_mul_f32 v[128:129], v[126:127], v[122:123] op_sel:[1,1] op_sel_hi:[0,1]
	s_delay_alu instid0(VALU_DEP_1) | instskip(SKIP_1) | instid1(VALU_DEP_2)
	v_pk_fma_f32 v[130:131], v[126:127], v[122:123], v[128:129] op_sel_hi:[1,0,1]
	v_pk_fma_f32 v[122:123], v[126:127], v[122:123], v[128:129] neg_lo:[0,0,1] neg_hi:[0,0,1]
	v_mov_b32_e32 v123, v131
	s_cbranch_execz .LBB122_864
	s_branch .LBB122_865
.LBB122_863:
                                        ; implicit-def: $vgpr122_vgpr123
.LBB122_864:
	ds_load_b64 v[122:123], v1
.LBB122_865:
	s_mov_b32 s4, exec_lo
	v_cmpx_ne_u32_e32 28, v0
	s_cbranch_execz .LBB122_869
; %bb.866:
	v_add_nc_u32_e32 v125, 0x1e8, v58
	v_add3_u32 v126, 0, v58, 8
	v_mov_b32_e32 v127, v0
	s_mov_b32 s5, 0
.LBB122_867:                            ; =>This Inner Loop Header: Depth=1
	scratch_load_b64 v[128:129], v126, off
	ds_load_b64 v[130:131], v125
	s_wait_xcnt 0x0
	v_dual_add_nc_u32 v125, 8, v125 :: v_dual_add_nc_u32 v126, 8, v126
	s_wait_loadcnt_dscnt 0x0
	v_pk_mul_f32 v[132:133], v[130:131], v[128:129] op_sel:[1,1] op_sel_hi:[0,1]
	s_delay_alu instid0(VALU_DEP_1) | instskip(SKIP_2) | instid1(VALU_DEP_3)
	v_pk_fma_f32 v[134:135], v[130:131], v[128:129], v[132:133] op_sel_hi:[1,0,1]
	v_add_nc_u32_e32 v127, 1, v127
	v_pk_fma_f32 v[128:129], v[130:131], v[128:129], v[132:133] neg_lo:[0,0,1] neg_hi:[0,0,1]
	v_mov_b32_e32 v129, v135
	s_delay_alu instid0(VALU_DEP_3) | instskip(NEXT) | instid1(VALU_DEP_2)
	v_cmp_lt_u32_e32 vcc_lo, 27, v127
	v_pk_add_f32 v[122:123], v[122:123], v[128:129]
	s_or_b32 s5, vcc_lo, s5
	s_delay_alu instid0(SALU_CYCLE_1)
	s_and_not1_b32 exec_lo, exec_lo, s5
	s_cbranch_execnz .LBB122_867
; %bb.868:
	s_or_b32 exec_lo, exec_lo, s5
.LBB122_869:
	s_delay_alu instid0(SALU_CYCLE_1) | instskip(SKIP_4) | instid1(VALU_DEP_1)
	s_or_b32 exec_lo, exec_lo, s4
	v_mov_b32_e32 v125, 0
	ds_load_b64 v[126:127], v125 offset:232
	s_wait_dscnt 0x0
	v_pk_mul_f32 v[128:129], v[122:123], v[126:127] op_sel:[1,1] op_sel_hi:[0,1]
	v_pk_fma_f32 v[130:131], v[122:123], v[126:127], v[128:129] op_sel_hi:[1,0,1]
	v_pk_fma_f32 v[122:123], v[122:123], v[126:127], v[128:129] neg_lo:[0,0,1] neg_hi:[0,0,1]
	s_delay_alu instid0(VALU_DEP_2)
	v_mov_b32_e32 v123, v131
	scratch_store_b64 off, v[122:123], off offset:232
.LBB122_870:
	s_wait_xcnt 0x0
	s_or_b32 exec_lo, exec_lo, s0
	scratch_load_b64 v[122:123], off, off offset:240
	s_mov_b32 s0, exec_lo
	s_wait_loadcnt 0x0
	ds_store_b64 v1, v[122:123]
	s_wait_storecnt_dscnt 0x0
	s_barrier_signal -1
	s_barrier_wait -1
	s_wait_xcnt 0x0
	v_cmpx_gt_u32_e32 30, v0
	s_cbranch_execz .LBB122_880
; %bb.871:
	v_cmp_ne_u32_e32 vcc_lo, 1, v124
	s_cbranch_vccnz .LBB122_873
; %bb.872:
	scratch_load_b64 v[122:123], v59, off
	ds_load_b64 v[126:127], v1
	s_wait_loadcnt_dscnt 0x0
	v_pk_mul_f32 v[128:129], v[126:127], v[122:123] op_sel:[1,1] op_sel_hi:[0,1]
	s_delay_alu instid0(VALU_DEP_1) | instskip(SKIP_1) | instid1(VALU_DEP_2)
	v_pk_fma_f32 v[130:131], v[126:127], v[122:123], v[128:129] op_sel_hi:[1,0,1]
	v_pk_fma_f32 v[122:123], v[126:127], v[122:123], v[128:129] neg_lo:[0,0,1] neg_hi:[0,0,1]
	v_mov_b32_e32 v123, v131
	s_cbranch_execz .LBB122_874
	s_branch .LBB122_875
.LBB122_873:
                                        ; implicit-def: $vgpr122_vgpr123
.LBB122_874:
	ds_load_b64 v[122:123], v1
.LBB122_875:
	s_mov_b32 s4, exec_lo
	v_cmpx_ne_u32_e32 29, v0
	s_cbranch_execz .LBB122_879
; %bb.876:
	v_add_nc_u32_e32 v125, 0x1e8, v58
	v_add3_u32 v126, 0, v58, 8
	v_mov_b32_e32 v127, v0
	s_mov_b32 s5, 0
.LBB122_877:                            ; =>This Inner Loop Header: Depth=1
	scratch_load_b64 v[128:129], v126, off
	ds_load_b64 v[130:131], v125
	s_wait_xcnt 0x0
	v_dual_add_nc_u32 v125, 8, v125 :: v_dual_add_nc_u32 v126, 8, v126
	s_wait_loadcnt_dscnt 0x0
	v_pk_mul_f32 v[132:133], v[130:131], v[128:129] op_sel:[1,1] op_sel_hi:[0,1]
	s_delay_alu instid0(VALU_DEP_1) | instskip(SKIP_2) | instid1(VALU_DEP_3)
	v_pk_fma_f32 v[134:135], v[130:131], v[128:129], v[132:133] op_sel_hi:[1,0,1]
	v_add_nc_u32_e32 v127, 1, v127
	v_pk_fma_f32 v[128:129], v[130:131], v[128:129], v[132:133] neg_lo:[0,0,1] neg_hi:[0,0,1]
	v_mov_b32_e32 v129, v135
	s_delay_alu instid0(VALU_DEP_3) | instskip(NEXT) | instid1(VALU_DEP_2)
	v_cmp_lt_u32_e32 vcc_lo, 28, v127
	v_pk_add_f32 v[122:123], v[122:123], v[128:129]
	s_or_b32 s5, vcc_lo, s5
	s_delay_alu instid0(SALU_CYCLE_1)
	s_and_not1_b32 exec_lo, exec_lo, s5
	s_cbranch_execnz .LBB122_877
; %bb.878:
	s_or_b32 exec_lo, exec_lo, s5
.LBB122_879:
	s_delay_alu instid0(SALU_CYCLE_1) | instskip(SKIP_4) | instid1(VALU_DEP_1)
	s_or_b32 exec_lo, exec_lo, s4
	v_mov_b32_e32 v125, 0
	ds_load_b64 v[126:127], v125 offset:240
	s_wait_dscnt 0x0
	v_pk_mul_f32 v[128:129], v[122:123], v[126:127] op_sel:[1,1] op_sel_hi:[0,1]
	v_pk_fma_f32 v[130:131], v[122:123], v[126:127], v[128:129] op_sel_hi:[1,0,1]
	v_pk_fma_f32 v[122:123], v[122:123], v[126:127], v[128:129] neg_lo:[0,0,1] neg_hi:[0,0,1]
	s_delay_alu instid0(VALU_DEP_2)
	v_mov_b32_e32 v123, v131
	scratch_store_b64 off, v[122:123], off offset:240
.LBB122_880:
	s_wait_xcnt 0x0
	s_or_b32 exec_lo, exec_lo, s0
	scratch_load_b64 v[122:123], off, off offset:248
	s_mov_b32 s0, exec_lo
	s_wait_loadcnt 0x0
	ds_store_b64 v1, v[122:123]
	s_wait_storecnt_dscnt 0x0
	s_barrier_signal -1
	s_barrier_wait -1
	s_wait_xcnt 0x0
	v_cmpx_gt_u32_e32 31, v0
	s_cbranch_execz .LBB122_890
; %bb.881:
	v_cmp_ne_u32_e32 vcc_lo, 1, v124
	s_cbranch_vccnz .LBB122_883
; %bb.882:
	scratch_load_b64 v[122:123], v59, off
	ds_load_b64 v[126:127], v1
	s_wait_loadcnt_dscnt 0x0
	v_pk_mul_f32 v[128:129], v[126:127], v[122:123] op_sel:[1,1] op_sel_hi:[0,1]
	s_delay_alu instid0(VALU_DEP_1) | instskip(SKIP_1) | instid1(VALU_DEP_2)
	v_pk_fma_f32 v[130:131], v[126:127], v[122:123], v[128:129] op_sel_hi:[1,0,1]
	v_pk_fma_f32 v[122:123], v[126:127], v[122:123], v[128:129] neg_lo:[0,0,1] neg_hi:[0,0,1]
	v_mov_b32_e32 v123, v131
	s_cbranch_execz .LBB122_884
	s_branch .LBB122_885
.LBB122_883:
                                        ; implicit-def: $vgpr122_vgpr123
.LBB122_884:
	ds_load_b64 v[122:123], v1
.LBB122_885:
	s_mov_b32 s4, exec_lo
	v_cmpx_ne_u32_e32 30, v0
	s_cbranch_execz .LBB122_889
; %bb.886:
	v_add_nc_u32_e32 v125, 0x1e8, v58
	v_add3_u32 v126, 0, v58, 8
	v_mov_b32_e32 v127, v0
	s_mov_b32 s5, 0
.LBB122_887:                            ; =>This Inner Loop Header: Depth=1
	scratch_load_b64 v[128:129], v126, off
	ds_load_b64 v[130:131], v125
	s_wait_xcnt 0x0
	v_dual_add_nc_u32 v125, 8, v125 :: v_dual_add_nc_u32 v126, 8, v126
	s_wait_loadcnt_dscnt 0x0
	v_pk_mul_f32 v[132:133], v[130:131], v[128:129] op_sel:[1,1] op_sel_hi:[0,1]
	s_delay_alu instid0(VALU_DEP_1) | instskip(SKIP_2) | instid1(VALU_DEP_3)
	v_pk_fma_f32 v[134:135], v[130:131], v[128:129], v[132:133] op_sel_hi:[1,0,1]
	v_add_nc_u32_e32 v127, 1, v127
	v_pk_fma_f32 v[128:129], v[130:131], v[128:129], v[132:133] neg_lo:[0,0,1] neg_hi:[0,0,1]
	v_mov_b32_e32 v129, v135
	s_delay_alu instid0(VALU_DEP_3) | instskip(NEXT) | instid1(VALU_DEP_2)
	v_cmp_lt_u32_e32 vcc_lo, 29, v127
	v_pk_add_f32 v[122:123], v[122:123], v[128:129]
	s_or_b32 s5, vcc_lo, s5
	s_delay_alu instid0(SALU_CYCLE_1)
	s_and_not1_b32 exec_lo, exec_lo, s5
	s_cbranch_execnz .LBB122_887
; %bb.888:
	s_or_b32 exec_lo, exec_lo, s5
.LBB122_889:
	s_delay_alu instid0(SALU_CYCLE_1) | instskip(SKIP_4) | instid1(VALU_DEP_1)
	s_or_b32 exec_lo, exec_lo, s4
	v_mov_b32_e32 v125, 0
	ds_load_b64 v[126:127], v125 offset:248
	s_wait_dscnt 0x0
	v_pk_mul_f32 v[128:129], v[122:123], v[126:127] op_sel:[1,1] op_sel_hi:[0,1]
	v_pk_fma_f32 v[130:131], v[122:123], v[126:127], v[128:129] op_sel_hi:[1,0,1]
	v_pk_fma_f32 v[122:123], v[122:123], v[126:127], v[128:129] neg_lo:[0,0,1] neg_hi:[0,0,1]
	s_delay_alu instid0(VALU_DEP_2)
	v_mov_b32_e32 v123, v131
	scratch_store_b64 off, v[122:123], off offset:248
.LBB122_890:
	s_wait_xcnt 0x0
	s_or_b32 exec_lo, exec_lo, s0
	scratch_load_b64 v[122:123], off, off offset:256
	s_mov_b32 s0, exec_lo
	s_wait_loadcnt 0x0
	ds_store_b64 v1, v[122:123]
	s_wait_storecnt_dscnt 0x0
	s_barrier_signal -1
	s_barrier_wait -1
	s_wait_xcnt 0x0
	v_cmpx_gt_u32_e32 32, v0
	s_cbranch_execz .LBB122_900
; %bb.891:
	v_cmp_ne_u32_e32 vcc_lo, 1, v124
	s_cbranch_vccnz .LBB122_893
; %bb.892:
	scratch_load_b64 v[122:123], v59, off
	ds_load_b64 v[126:127], v1
	s_wait_loadcnt_dscnt 0x0
	v_pk_mul_f32 v[128:129], v[126:127], v[122:123] op_sel:[1,1] op_sel_hi:[0,1]
	s_delay_alu instid0(VALU_DEP_1) | instskip(SKIP_1) | instid1(VALU_DEP_2)
	v_pk_fma_f32 v[130:131], v[126:127], v[122:123], v[128:129] op_sel_hi:[1,0,1]
	v_pk_fma_f32 v[122:123], v[126:127], v[122:123], v[128:129] neg_lo:[0,0,1] neg_hi:[0,0,1]
	v_mov_b32_e32 v123, v131
	s_cbranch_execz .LBB122_894
	s_branch .LBB122_895
.LBB122_893:
                                        ; implicit-def: $vgpr122_vgpr123
.LBB122_894:
	ds_load_b64 v[122:123], v1
.LBB122_895:
	s_mov_b32 s4, exec_lo
	v_cmpx_ne_u32_e32 31, v0
	s_cbranch_execz .LBB122_899
; %bb.896:
	v_add_nc_u32_e32 v125, 0x1e8, v58
	v_add3_u32 v126, 0, v58, 8
	v_mov_b32_e32 v127, v0
	s_mov_b32 s5, 0
.LBB122_897:                            ; =>This Inner Loop Header: Depth=1
	scratch_load_b64 v[128:129], v126, off
	ds_load_b64 v[130:131], v125
	s_wait_xcnt 0x0
	v_dual_add_nc_u32 v125, 8, v125 :: v_dual_add_nc_u32 v126, 8, v126
	s_wait_loadcnt_dscnt 0x0
	v_pk_mul_f32 v[132:133], v[130:131], v[128:129] op_sel:[1,1] op_sel_hi:[0,1]
	s_delay_alu instid0(VALU_DEP_1) | instskip(SKIP_2) | instid1(VALU_DEP_3)
	v_pk_fma_f32 v[134:135], v[130:131], v[128:129], v[132:133] op_sel_hi:[1,0,1]
	v_add_nc_u32_e32 v127, 1, v127
	v_pk_fma_f32 v[128:129], v[130:131], v[128:129], v[132:133] neg_lo:[0,0,1] neg_hi:[0,0,1]
	v_mov_b32_e32 v129, v135
	s_delay_alu instid0(VALU_DEP_3) | instskip(NEXT) | instid1(VALU_DEP_2)
	v_cmp_lt_u32_e32 vcc_lo, 30, v127
	v_pk_add_f32 v[122:123], v[122:123], v[128:129]
	s_or_b32 s5, vcc_lo, s5
	s_delay_alu instid0(SALU_CYCLE_1)
	s_and_not1_b32 exec_lo, exec_lo, s5
	s_cbranch_execnz .LBB122_897
; %bb.898:
	s_or_b32 exec_lo, exec_lo, s5
.LBB122_899:
	s_delay_alu instid0(SALU_CYCLE_1) | instskip(SKIP_4) | instid1(VALU_DEP_1)
	s_or_b32 exec_lo, exec_lo, s4
	v_mov_b32_e32 v125, 0
	ds_load_b64 v[126:127], v125 offset:256
	s_wait_dscnt 0x0
	v_pk_mul_f32 v[128:129], v[122:123], v[126:127] op_sel:[1,1] op_sel_hi:[0,1]
	v_pk_fma_f32 v[130:131], v[122:123], v[126:127], v[128:129] op_sel_hi:[1,0,1]
	v_pk_fma_f32 v[122:123], v[122:123], v[126:127], v[128:129] neg_lo:[0,0,1] neg_hi:[0,0,1]
	s_delay_alu instid0(VALU_DEP_2)
	v_mov_b32_e32 v123, v131
	scratch_store_b64 off, v[122:123], off offset:256
.LBB122_900:
	s_wait_xcnt 0x0
	s_or_b32 exec_lo, exec_lo, s0
	scratch_load_b64 v[122:123], off, off offset:264
	s_mov_b32 s0, exec_lo
	s_wait_loadcnt 0x0
	ds_store_b64 v1, v[122:123]
	s_wait_storecnt_dscnt 0x0
	s_barrier_signal -1
	s_barrier_wait -1
	s_wait_xcnt 0x0
	v_cmpx_gt_u32_e32 33, v0
	s_cbranch_execz .LBB122_910
; %bb.901:
	v_cmp_ne_u32_e32 vcc_lo, 1, v124
	s_cbranch_vccnz .LBB122_903
; %bb.902:
	scratch_load_b64 v[122:123], v59, off
	ds_load_b64 v[126:127], v1
	s_wait_loadcnt_dscnt 0x0
	v_pk_mul_f32 v[128:129], v[126:127], v[122:123] op_sel:[1,1] op_sel_hi:[0,1]
	s_delay_alu instid0(VALU_DEP_1) | instskip(SKIP_1) | instid1(VALU_DEP_2)
	v_pk_fma_f32 v[130:131], v[126:127], v[122:123], v[128:129] op_sel_hi:[1,0,1]
	v_pk_fma_f32 v[122:123], v[126:127], v[122:123], v[128:129] neg_lo:[0,0,1] neg_hi:[0,0,1]
	v_mov_b32_e32 v123, v131
	s_cbranch_execz .LBB122_904
	s_branch .LBB122_905
.LBB122_903:
                                        ; implicit-def: $vgpr122_vgpr123
.LBB122_904:
	ds_load_b64 v[122:123], v1
.LBB122_905:
	s_mov_b32 s4, exec_lo
	v_cmpx_ne_u32_e32 32, v0
	s_cbranch_execz .LBB122_909
; %bb.906:
	v_add_nc_u32_e32 v125, 0x1e8, v58
	v_add3_u32 v126, 0, v58, 8
	v_mov_b32_e32 v127, v0
	s_mov_b32 s5, 0
.LBB122_907:                            ; =>This Inner Loop Header: Depth=1
	scratch_load_b64 v[128:129], v126, off
	ds_load_b64 v[130:131], v125
	s_wait_xcnt 0x0
	v_dual_add_nc_u32 v125, 8, v125 :: v_dual_add_nc_u32 v126, 8, v126
	s_wait_loadcnt_dscnt 0x0
	v_pk_mul_f32 v[132:133], v[130:131], v[128:129] op_sel:[1,1] op_sel_hi:[0,1]
	s_delay_alu instid0(VALU_DEP_1) | instskip(SKIP_2) | instid1(VALU_DEP_3)
	v_pk_fma_f32 v[134:135], v[130:131], v[128:129], v[132:133] op_sel_hi:[1,0,1]
	v_add_nc_u32_e32 v127, 1, v127
	v_pk_fma_f32 v[128:129], v[130:131], v[128:129], v[132:133] neg_lo:[0,0,1] neg_hi:[0,0,1]
	v_mov_b32_e32 v129, v135
	s_delay_alu instid0(VALU_DEP_3) | instskip(NEXT) | instid1(VALU_DEP_2)
	v_cmp_lt_u32_e32 vcc_lo, 31, v127
	v_pk_add_f32 v[122:123], v[122:123], v[128:129]
	s_or_b32 s5, vcc_lo, s5
	s_delay_alu instid0(SALU_CYCLE_1)
	s_and_not1_b32 exec_lo, exec_lo, s5
	s_cbranch_execnz .LBB122_907
; %bb.908:
	s_or_b32 exec_lo, exec_lo, s5
.LBB122_909:
	s_delay_alu instid0(SALU_CYCLE_1) | instskip(SKIP_4) | instid1(VALU_DEP_1)
	s_or_b32 exec_lo, exec_lo, s4
	v_mov_b32_e32 v125, 0
	ds_load_b64 v[126:127], v125 offset:264
	s_wait_dscnt 0x0
	v_pk_mul_f32 v[128:129], v[122:123], v[126:127] op_sel:[1,1] op_sel_hi:[0,1]
	v_pk_fma_f32 v[130:131], v[122:123], v[126:127], v[128:129] op_sel_hi:[1,0,1]
	v_pk_fma_f32 v[122:123], v[122:123], v[126:127], v[128:129] neg_lo:[0,0,1] neg_hi:[0,0,1]
	s_delay_alu instid0(VALU_DEP_2)
	v_mov_b32_e32 v123, v131
	scratch_store_b64 off, v[122:123], off offset:264
.LBB122_910:
	s_wait_xcnt 0x0
	s_or_b32 exec_lo, exec_lo, s0
	scratch_load_b64 v[122:123], off, off offset:272
	s_mov_b32 s0, exec_lo
	s_wait_loadcnt 0x0
	ds_store_b64 v1, v[122:123]
	s_wait_storecnt_dscnt 0x0
	s_barrier_signal -1
	s_barrier_wait -1
	s_wait_xcnt 0x0
	v_cmpx_gt_u32_e32 34, v0
	s_cbranch_execz .LBB122_920
; %bb.911:
	v_cmp_ne_u32_e32 vcc_lo, 1, v124
	s_cbranch_vccnz .LBB122_913
; %bb.912:
	scratch_load_b64 v[122:123], v59, off
	ds_load_b64 v[126:127], v1
	s_wait_loadcnt_dscnt 0x0
	v_pk_mul_f32 v[128:129], v[126:127], v[122:123] op_sel:[1,1] op_sel_hi:[0,1]
	s_delay_alu instid0(VALU_DEP_1) | instskip(SKIP_1) | instid1(VALU_DEP_2)
	v_pk_fma_f32 v[130:131], v[126:127], v[122:123], v[128:129] op_sel_hi:[1,0,1]
	v_pk_fma_f32 v[122:123], v[126:127], v[122:123], v[128:129] neg_lo:[0,0,1] neg_hi:[0,0,1]
	v_mov_b32_e32 v123, v131
	s_cbranch_execz .LBB122_914
	s_branch .LBB122_915
.LBB122_913:
                                        ; implicit-def: $vgpr122_vgpr123
.LBB122_914:
	ds_load_b64 v[122:123], v1
.LBB122_915:
	s_mov_b32 s4, exec_lo
	v_cmpx_ne_u32_e32 33, v0
	s_cbranch_execz .LBB122_919
; %bb.916:
	v_add_nc_u32_e32 v125, 0x1e8, v58
	v_add3_u32 v126, 0, v58, 8
	v_mov_b32_e32 v127, v0
	s_mov_b32 s5, 0
.LBB122_917:                            ; =>This Inner Loop Header: Depth=1
	scratch_load_b64 v[128:129], v126, off
	ds_load_b64 v[130:131], v125
	s_wait_xcnt 0x0
	v_dual_add_nc_u32 v125, 8, v125 :: v_dual_add_nc_u32 v126, 8, v126
	s_wait_loadcnt_dscnt 0x0
	v_pk_mul_f32 v[132:133], v[130:131], v[128:129] op_sel:[1,1] op_sel_hi:[0,1]
	s_delay_alu instid0(VALU_DEP_1) | instskip(SKIP_2) | instid1(VALU_DEP_3)
	v_pk_fma_f32 v[134:135], v[130:131], v[128:129], v[132:133] op_sel_hi:[1,0,1]
	v_add_nc_u32_e32 v127, 1, v127
	v_pk_fma_f32 v[128:129], v[130:131], v[128:129], v[132:133] neg_lo:[0,0,1] neg_hi:[0,0,1]
	v_mov_b32_e32 v129, v135
	s_delay_alu instid0(VALU_DEP_3) | instskip(NEXT) | instid1(VALU_DEP_2)
	v_cmp_lt_u32_e32 vcc_lo, 32, v127
	v_pk_add_f32 v[122:123], v[122:123], v[128:129]
	s_or_b32 s5, vcc_lo, s5
	s_delay_alu instid0(SALU_CYCLE_1)
	s_and_not1_b32 exec_lo, exec_lo, s5
	s_cbranch_execnz .LBB122_917
; %bb.918:
	s_or_b32 exec_lo, exec_lo, s5
.LBB122_919:
	s_delay_alu instid0(SALU_CYCLE_1) | instskip(SKIP_4) | instid1(VALU_DEP_1)
	s_or_b32 exec_lo, exec_lo, s4
	v_mov_b32_e32 v125, 0
	ds_load_b64 v[126:127], v125 offset:272
	s_wait_dscnt 0x0
	v_pk_mul_f32 v[128:129], v[122:123], v[126:127] op_sel:[1,1] op_sel_hi:[0,1]
	v_pk_fma_f32 v[130:131], v[122:123], v[126:127], v[128:129] op_sel_hi:[1,0,1]
	v_pk_fma_f32 v[122:123], v[122:123], v[126:127], v[128:129] neg_lo:[0,0,1] neg_hi:[0,0,1]
	s_delay_alu instid0(VALU_DEP_2)
	v_mov_b32_e32 v123, v131
	scratch_store_b64 off, v[122:123], off offset:272
.LBB122_920:
	s_wait_xcnt 0x0
	s_or_b32 exec_lo, exec_lo, s0
	scratch_load_b64 v[122:123], off, off offset:280
	s_mov_b32 s0, exec_lo
	s_wait_loadcnt 0x0
	ds_store_b64 v1, v[122:123]
	s_wait_storecnt_dscnt 0x0
	s_barrier_signal -1
	s_barrier_wait -1
	s_wait_xcnt 0x0
	v_cmpx_gt_u32_e32 35, v0
	s_cbranch_execz .LBB122_930
; %bb.921:
	v_cmp_ne_u32_e32 vcc_lo, 1, v124
	s_cbranch_vccnz .LBB122_923
; %bb.922:
	scratch_load_b64 v[122:123], v59, off
	ds_load_b64 v[126:127], v1
	s_wait_loadcnt_dscnt 0x0
	v_pk_mul_f32 v[128:129], v[126:127], v[122:123] op_sel:[1,1] op_sel_hi:[0,1]
	s_delay_alu instid0(VALU_DEP_1) | instskip(SKIP_1) | instid1(VALU_DEP_2)
	v_pk_fma_f32 v[130:131], v[126:127], v[122:123], v[128:129] op_sel_hi:[1,0,1]
	v_pk_fma_f32 v[122:123], v[126:127], v[122:123], v[128:129] neg_lo:[0,0,1] neg_hi:[0,0,1]
	v_mov_b32_e32 v123, v131
	s_cbranch_execz .LBB122_924
	s_branch .LBB122_925
.LBB122_923:
                                        ; implicit-def: $vgpr122_vgpr123
.LBB122_924:
	ds_load_b64 v[122:123], v1
.LBB122_925:
	s_mov_b32 s4, exec_lo
	v_cmpx_ne_u32_e32 34, v0
	s_cbranch_execz .LBB122_929
; %bb.926:
	v_add_nc_u32_e32 v125, 0x1e8, v58
	v_add3_u32 v126, 0, v58, 8
	v_mov_b32_e32 v127, v0
	s_mov_b32 s5, 0
.LBB122_927:                            ; =>This Inner Loop Header: Depth=1
	scratch_load_b64 v[128:129], v126, off
	ds_load_b64 v[130:131], v125
	s_wait_xcnt 0x0
	v_dual_add_nc_u32 v125, 8, v125 :: v_dual_add_nc_u32 v126, 8, v126
	s_wait_loadcnt_dscnt 0x0
	v_pk_mul_f32 v[132:133], v[130:131], v[128:129] op_sel:[1,1] op_sel_hi:[0,1]
	s_delay_alu instid0(VALU_DEP_1) | instskip(SKIP_2) | instid1(VALU_DEP_3)
	v_pk_fma_f32 v[134:135], v[130:131], v[128:129], v[132:133] op_sel_hi:[1,0,1]
	v_add_nc_u32_e32 v127, 1, v127
	v_pk_fma_f32 v[128:129], v[130:131], v[128:129], v[132:133] neg_lo:[0,0,1] neg_hi:[0,0,1]
	v_mov_b32_e32 v129, v135
	s_delay_alu instid0(VALU_DEP_3) | instskip(NEXT) | instid1(VALU_DEP_2)
	v_cmp_lt_u32_e32 vcc_lo, 33, v127
	v_pk_add_f32 v[122:123], v[122:123], v[128:129]
	s_or_b32 s5, vcc_lo, s5
	s_delay_alu instid0(SALU_CYCLE_1)
	s_and_not1_b32 exec_lo, exec_lo, s5
	s_cbranch_execnz .LBB122_927
; %bb.928:
	s_or_b32 exec_lo, exec_lo, s5
.LBB122_929:
	s_delay_alu instid0(SALU_CYCLE_1) | instskip(SKIP_4) | instid1(VALU_DEP_1)
	s_or_b32 exec_lo, exec_lo, s4
	v_mov_b32_e32 v125, 0
	ds_load_b64 v[126:127], v125 offset:280
	s_wait_dscnt 0x0
	v_pk_mul_f32 v[128:129], v[122:123], v[126:127] op_sel:[1,1] op_sel_hi:[0,1]
	v_pk_fma_f32 v[130:131], v[122:123], v[126:127], v[128:129] op_sel_hi:[1,0,1]
	v_pk_fma_f32 v[122:123], v[122:123], v[126:127], v[128:129] neg_lo:[0,0,1] neg_hi:[0,0,1]
	s_delay_alu instid0(VALU_DEP_2)
	v_mov_b32_e32 v123, v131
	scratch_store_b64 off, v[122:123], off offset:280
.LBB122_930:
	s_wait_xcnt 0x0
	s_or_b32 exec_lo, exec_lo, s0
	scratch_load_b64 v[122:123], off, off offset:288
	s_mov_b32 s0, exec_lo
	s_wait_loadcnt 0x0
	ds_store_b64 v1, v[122:123]
	s_wait_storecnt_dscnt 0x0
	s_barrier_signal -1
	s_barrier_wait -1
	s_wait_xcnt 0x0
	v_cmpx_gt_u32_e32 36, v0
	s_cbranch_execz .LBB122_940
; %bb.931:
	v_cmp_ne_u32_e32 vcc_lo, 1, v124
	s_cbranch_vccnz .LBB122_933
; %bb.932:
	scratch_load_b64 v[122:123], v59, off
	ds_load_b64 v[126:127], v1
	s_wait_loadcnt_dscnt 0x0
	v_pk_mul_f32 v[128:129], v[126:127], v[122:123] op_sel:[1,1] op_sel_hi:[0,1]
	s_delay_alu instid0(VALU_DEP_1) | instskip(SKIP_1) | instid1(VALU_DEP_2)
	v_pk_fma_f32 v[130:131], v[126:127], v[122:123], v[128:129] op_sel_hi:[1,0,1]
	v_pk_fma_f32 v[122:123], v[126:127], v[122:123], v[128:129] neg_lo:[0,0,1] neg_hi:[0,0,1]
	v_mov_b32_e32 v123, v131
	s_cbranch_execz .LBB122_934
	s_branch .LBB122_935
.LBB122_933:
                                        ; implicit-def: $vgpr122_vgpr123
.LBB122_934:
	ds_load_b64 v[122:123], v1
.LBB122_935:
	s_mov_b32 s4, exec_lo
	v_cmpx_ne_u32_e32 35, v0
	s_cbranch_execz .LBB122_939
; %bb.936:
	v_add_nc_u32_e32 v125, 0x1e8, v58
	v_add3_u32 v126, 0, v58, 8
	v_mov_b32_e32 v127, v0
	s_mov_b32 s5, 0
.LBB122_937:                            ; =>This Inner Loop Header: Depth=1
	scratch_load_b64 v[128:129], v126, off
	ds_load_b64 v[130:131], v125
	s_wait_xcnt 0x0
	v_dual_add_nc_u32 v125, 8, v125 :: v_dual_add_nc_u32 v126, 8, v126
	s_wait_loadcnt_dscnt 0x0
	v_pk_mul_f32 v[132:133], v[130:131], v[128:129] op_sel:[1,1] op_sel_hi:[0,1]
	s_delay_alu instid0(VALU_DEP_1) | instskip(SKIP_2) | instid1(VALU_DEP_3)
	v_pk_fma_f32 v[134:135], v[130:131], v[128:129], v[132:133] op_sel_hi:[1,0,1]
	v_add_nc_u32_e32 v127, 1, v127
	v_pk_fma_f32 v[128:129], v[130:131], v[128:129], v[132:133] neg_lo:[0,0,1] neg_hi:[0,0,1]
	v_mov_b32_e32 v129, v135
	s_delay_alu instid0(VALU_DEP_3) | instskip(NEXT) | instid1(VALU_DEP_2)
	v_cmp_lt_u32_e32 vcc_lo, 34, v127
	v_pk_add_f32 v[122:123], v[122:123], v[128:129]
	s_or_b32 s5, vcc_lo, s5
	s_delay_alu instid0(SALU_CYCLE_1)
	s_and_not1_b32 exec_lo, exec_lo, s5
	s_cbranch_execnz .LBB122_937
; %bb.938:
	s_or_b32 exec_lo, exec_lo, s5
.LBB122_939:
	s_delay_alu instid0(SALU_CYCLE_1) | instskip(SKIP_4) | instid1(VALU_DEP_1)
	s_or_b32 exec_lo, exec_lo, s4
	v_mov_b32_e32 v125, 0
	ds_load_b64 v[126:127], v125 offset:288
	s_wait_dscnt 0x0
	v_pk_mul_f32 v[128:129], v[122:123], v[126:127] op_sel:[1,1] op_sel_hi:[0,1]
	v_pk_fma_f32 v[130:131], v[122:123], v[126:127], v[128:129] op_sel_hi:[1,0,1]
	v_pk_fma_f32 v[122:123], v[122:123], v[126:127], v[128:129] neg_lo:[0,0,1] neg_hi:[0,0,1]
	s_delay_alu instid0(VALU_DEP_2)
	v_mov_b32_e32 v123, v131
	scratch_store_b64 off, v[122:123], off offset:288
.LBB122_940:
	s_wait_xcnt 0x0
	s_or_b32 exec_lo, exec_lo, s0
	scratch_load_b64 v[122:123], off, off offset:296
	s_mov_b32 s0, exec_lo
	s_wait_loadcnt 0x0
	ds_store_b64 v1, v[122:123]
	s_wait_storecnt_dscnt 0x0
	s_barrier_signal -1
	s_barrier_wait -1
	s_wait_xcnt 0x0
	v_cmpx_gt_u32_e32 37, v0
	s_cbranch_execz .LBB122_950
; %bb.941:
	v_cmp_ne_u32_e32 vcc_lo, 1, v124
	s_cbranch_vccnz .LBB122_943
; %bb.942:
	scratch_load_b64 v[122:123], v59, off
	ds_load_b64 v[126:127], v1
	s_wait_loadcnt_dscnt 0x0
	v_pk_mul_f32 v[128:129], v[126:127], v[122:123] op_sel:[1,1] op_sel_hi:[0,1]
	s_delay_alu instid0(VALU_DEP_1) | instskip(SKIP_1) | instid1(VALU_DEP_2)
	v_pk_fma_f32 v[130:131], v[126:127], v[122:123], v[128:129] op_sel_hi:[1,0,1]
	v_pk_fma_f32 v[122:123], v[126:127], v[122:123], v[128:129] neg_lo:[0,0,1] neg_hi:[0,0,1]
	v_mov_b32_e32 v123, v131
	s_cbranch_execz .LBB122_944
	s_branch .LBB122_945
.LBB122_943:
                                        ; implicit-def: $vgpr122_vgpr123
.LBB122_944:
	ds_load_b64 v[122:123], v1
.LBB122_945:
	s_mov_b32 s4, exec_lo
	v_cmpx_ne_u32_e32 36, v0
	s_cbranch_execz .LBB122_949
; %bb.946:
	v_add_nc_u32_e32 v125, 0x1e8, v58
	v_add3_u32 v126, 0, v58, 8
	v_mov_b32_e32 v127, v0
	s_mov_b32 s5, 0
.LBB122_947:                            ; =>This Inner Loop Header: Depth=1
	scratch_load_b64 v[128:129], v126, off
	ds_load_b64 v[130:131], v125
	s_wait_xcnt 0x0
	v_dual_add_nc_u32 v125, 8, v125 :: v_dual_add_nc_u32 v126, 8, v126
	s_wait_loadcnt_dscnt 0x0
	v_pk_mul_f32 v[132:133], v[130:131], v[128:129] op_sel:[1,1] op_sel_hi:[0,1]
	s_delay_alu instid0(VALU_DEP_1) | instskip(SKIP_2) | instid1(VALU_DEP_3)
	v_pk_fma_f32 v[134:135], v[130:131], v[128:129], v[132:133] op_sel_hi:[1,0,1]
	v_add_nc_u32_e32 v127, 1, v127
	v_pk_fma_f32 v[128:129], v[130:131], v[128:129], v[132:133] neg_lo:[0,0,1] neg_hi:[0,0,1]
	v_mov_b32_e32 v129, v135
	s_delay_alu instid0(VALU_DEP_3) | instskip(NEXT) | instid1(VALU_DEP_2)
	v_cmp_lt_u32_e32 vcc_lo, 35, v127
	v_pk_add_f32 v[122:123], v[122:123], v[128:129]
	s_or_b32 s5, vcc_lo, s5
	s_delay_alu instid0(SALU_CYCLE_1)
	s_and_not1_b32 exec_lo, exec_lo, s5
	s_cbranch_execnz .LBB122_947
; %bb.948:
	s_or_b32 exec_lo, exec_lo, s5
.LBB122_949:
	s_delay_alu instid0(SALU_CYCLE_1) | instskip(SKIP_4) | instid1(VALU_DEP_1)
	s_or_b32 exec_lo, exec_lo, s4
	v_mov_b32_e32 v125, 0
	ds_load_b64 v[126:127], v125 offset:296
	s_wait_dscnt 0x0
	v_pk_mul_f32 v[128:129], v[122:123], v[126:127] op_sel:[1,1] op_sel_hi:[0,1]
	v_pk_fma_f32 v[130:131], v[122:123], v[126:127], v[128:129] op_sel_hi:[1,0,1]
	v_pk_fma_f32 v[122:123], v[122:123], v[126:127], v[128:129] neg_lo:[0,0,1] neg_hi:[0,0,1]
	s_delay_alu instid0(VALU_DEP_2)
	v_mov_b32_e32 v123, v131
	scratch_store_b64 off, v[122:123], off offset:296
.LBB122_950:
	s_wait_xcnt 0x0
	s_or_b32 exec_lo, exec_lo, s0
	scratch_load_b64 v[122:123], off, off offset:304
	s_mov_b32 s0, exec_lo
	s_wait_loadcnt 0x0
	ds_store_b64 v1, v[122:123]
	s_wait_storecnt_dscnt 0x0
	s_barrier_signal -1
	s_barrier_wait -1
	s_wait_xcnt 0x0
	v_cmpx_gt_u32_e32 38, v0
	s_cbranch_execz .LBB122_960
; %bb.951:
	v_cmp_ne_u32_e32 vcc_lo, 1, v124
	s_cbranch_vccnz .LBB122_953
; %bb.952:
	scratch_load_b64 v[122:123], v59, off
	ds_load_b64 v[126:127], v1
	s_wait_loadcnt_dscnt 0x0
	v_pk_mul_f32 v[128:129], v[126:127], v[122:123] op_sel:[1,1] op_sel_hi:[0,1]
	s_delay_alu instid0(VALU_DEP_1) | instskip(SKIP_1) | instid1(VALU_DEP_2)
	v_pk_fma_f32 v[130:131], v[126:127], v[122:123], v[128:129] op_sel_hi:[1,0,1]
	v_pk_fma_f32 v[122:123], v[126:127], v[122:123], v[128:129] neg_lo:[0,0,1] neg_hi:[0,0,1]
	v_mov_b32_e32 v123, v131
	s_cbranch_execz .LBB122_954
	s_branch .LBB122_955
.LBB122_953:
                                        ; implicit-def: $vgpr122_vgpr123
.LBB122_954:
	ds_load_b64 v[122:123], v1
.LBB122_955:
	s_mov_b32 s4, exec_lo
	v_cmpx_ne_u32_e32 37, v0
	s_cbranch_execz .LBB122_959
; %bb.956:
	v_add_nc_u32_e32 v125, 0x1e8, v58
	v_add3_u32 v126, 0, v58, 8
	v_mov_b32_e32 v127, v0
	s_mov_b32 s5, 0
.LBB122_957:                            ; =>This Inner Loop Header: Depth=1
	scratch_load_b64 v[128:129], v126, off
	ds_load_b64 v[130:131], v125
	s_wait_xcnt 0x0
	v_dual_add_nc_u32 v125, 8, v125 :: v_dual_add_nc_u32 v126, 8, v126
	s_wait_loadcnt_dscnt 0x0
	v_pk_mul_f32 v[132:133], v[130:131], v[128:129] op_sel:[1,1] op_sel_hi:[0,1]
	s_delay_alu instid0(VALU_DEP_1) | instskip(SKIP_2) | instid1(VALU_DEP_3)
	v_pk_fma_f32 v[134:135], v[130:131], v[128:129], v[132:133] op_sel_hi:[1,0,1]
	v_add_nc_u32_e32 v127, 1, v127
	v_pk_fma_f32 v[128:129], v[130:131], v[128:129], v[132:133] neg_lo:[0,0,1] neg_hi:[0,0,1]
	v_mov_b32_e32 v129, v135
	s_delay_alu instid0(VALU_DEP_3) | instskip(NEXT) | instid1(VALU_DEP_2)
	v_cmp_lt_u32_e32 vcc_lo, 36, v127
	v_pk_add_f32 v[122:123], v[122:123], v[128:129]
	s_or_b32 s5, vcc_lo, s5
	s_delay_alu instid0(SALU_CYCLE_1)
	s_and_not1_b32 exec_lo, exec_lo, s5
	s_cbranch_execnz .LBB122_957
; %bb.958:
	s_or_b32 exec_lo, exec_lo, s5
.LBB122_959:
	s_delay_alu instid0(SALU_CYCLE_1) | instskip(SKIP_4) | instid1(VALU_DEP_1)
	s_or_b32 exec_lo, exec_lo, s4
	v_mov_b32_e32 v125, 0
	ds_load_b64 v[126:127], v125 offset:304
	s_wait_dscnt 0x0
	v_pk_mul_f32 v[128:129], v[122:123], v[126:127] op_sel:[1,1] op_sel_hi:[0,1]
	v_pk_fma_f32 v[130:131], v[122:123], v[126:127], v[128:129] op_sel_hi:[1,0,1]
	v_pk_fma_f32 v[122:123], v[122:123], v[126:127], v[128:129] neg_lo:[0,0,1] neg_hi:[0,0,1]
	s_delay_alu instid0(VALU_DEP_2)
	v_mov_b32_e32 v123, v131
	scratch_store_b64 off, v[122:123], off offset:304
.LBB122_960:
	s_wait_xcnt 0x0
	s_or_b32 exec_lo, exec_lo, s0
	scratch_load_b64 v[122:123], off, off offset:312
	s_mov_b32 s0, exec_lo
	s_wait_loadcnt 0x0
	ds_store_b64 v1, v[122:123]
	s_wait_storecnt_dscnt 0x0
	s_barrier_signal -1
	s_barrier_wait -1
	s_wait_xcnt 0x0
	v_cmpx_gt_u32_e32 39, v0
	s_cbranch_execz .LBB122_970
; %bb.961:
	v_cmp_ne_u32_e32 vcc_lo, 1, v124
	s_cbranch_vccnz .LBB122_963
; %bb.962:
	scratch_load_b64 v[122:123], v59, off
	ds_load_b64 v[126:127], v1
	s_wait_loadcnt_dscnt 0x0
	v_pk_mul_f32 v[128:129], v[126:127], v[122:123] op_sel:[1,1] op_sel_hi:[0,1]
	s_delay_alu instid0(VALU_DEP_1) | instskip(SKIP_1) | instid1(VALU_DEP_2)
	v_pk_fma_f32 v[130:131], v[126:127], v[122:123], v[128:129] op_sel_hi:[1,0,1]
	v_pk_fma_f32 v[122:123], v[126:127], v[122:123], v[128:129] neg_lo:[0,0,1] neg_hi:[0,0,1]
	v_mov_b32_e32 v123, v131
	s_cbranch_execz .LBB122_964
	s_branch .LBB122_965
.LBB122_963:
                                        ; implicit-def: $vgpr122_vgpr123
.LBB122_964:
	ds_load_b64 v[122:123], v1
.LBB122_965:
	s_mov_b32 s4, exec_lo
	v_cmpx_ne_u32_e32 38, v0
	s_cbranch_execz .LBB122_969
; %bb.966:
	v_add_nc_u32_e32 v125, 0x1e8, v58
	v_add3_u32 v126, 0, v58, 8
	v_mov_b32_e32 v127, v0
	s_mov_b32 s5, 0
.LBB122_967:                            ; =>This Inner Loop Header: Depth=1
	scratch_load_b64 v[128:129], v126, off
	ds_load_b64 v[130:131], v125
	s_wait_xcnt 0x0
	v_dual_add_nc_u32 v125, 8, v125 :: v_dual_add_nc_u32 v126, 8, v126
	s_wait_loadcnt_dscnt 0x0
	v_pk_mul_f32 v[132:133], v[130:131], v[128:129] op_sel:[1,1] op_sel_hi:[0,1]
	s_delay_alu instid0(VALU_DEP_1) | instskip(SKIP_2) | instid1(VALU_DEP_3)
	v_pk_fma_f32 v[134:135], v[130:131], v[128:129], v[132:133] op_sel_hi:[1,0,1]
	v_add_nc_u32_e32 v127, 1, v127
	v_pk_fma_f32 v[128:129], v[130:131], v[128:129], v[132:133] neg_lo:[0,0,1] neg_hi:[0,0,1]
	v_mov_b32_e32 v129, v135
	s_delay_alu instid0(VALU_DEP_3) | instskip(NEXT) | instid1(VALU_DEP_2)
	v_cmp_lt_u32_e32 vcc_lo, 37, v127
	v_pk_add_f32 v[122:123], v[122:123], v[128:129]
	s_or_b32 s5, vcc_lo, s5
	s_delay_alu instid0(SALU_CYCLE_1)
	s_and_not1_b32 exec_lo, exec_lo, s5
	s_cbranch_execnz .LBB122_967
; %bb.968:
	s_or_b32 exec_lo, exec_lo, s5
.LBB122_969:
	s_delay_alu instid0(SALU_CYCLE_1) | instskip(SKIP_4) | instid1(VALU_DEP_1)
	s_or_b32 exec_lo, exec_lo, s4
	v_mov_b32_e32 v125, 0
	ds_load_b64 v[126:127], v125 offset:312
	s_wait_dscnt 0x0
	v_pk_mul_f32 v[128:129], v[122:123], v[126:127] op_sel:[1,1] op_sel_hi:[0,1]
	v_pk_fma_f32 v[130:131], v[122:123], v[126:127], v[128:129] op_sel_hi:[1,0,1]
	v_pk_fma_f32 v[122:123], v[122:123], v[126:127], v[128:129] neg_lo:[0,0,1] neg_hi:[0,0,1]
	s_delay_alu instid0(VALU_DEP_2)
	v_mov_b32_e32 v123, v131
	scratch_store_b64 off, v[122:123], off offset:312
.LBB122_970:
	s_wait_xcnt 0x0
	s_or_b32 exec_lo, exec_lo, s0
	scratch_load_b64 v[122:123], off, off offset:320
	s_mov_b32 s0, exec_lo
	s_wait_loadcnt 0x0
	ds_store_b64 v1, v[122:123]
	s_wait_storecnt_dscnt 0x0
	s_barrier_signal -1
	s_barrier_wait -1
	s_wait_xcnt 0x0
	v_cmpx_gt_u32_e32 40, v0
	s_cbranch_execz .LBB122_980
; %bb.971:
	v_cmp_ne_u32_e32 vcc_lo, 1, v124
	s_cbranch_vccnz .LBB122_973
; %bb.972:
	scratch_load_b64 v[122:123], v59, off
	ds_load_b64 v[126:127], v1
	s_wait_loadcnt_dscnt 0x0
	v_pk_mul_f32 v[128:129], v[126:127], v[122:123] op_sel:[1,1] op_sel_hi:[0,1]
	s_delay_alu instid0(VALU_DEP_1) | instskip(SKIP_1) | instid1(VALU_DEP_2)
	v_pk_fma_f32 v[130:131], v[126:127], v[122:123], v[128:129] op_sel_hi:[1,0,1]
	v_pk_fma_f32 v[122:123], v[126:127], v[122:123], v[128:129] neg_lo:[0,0,1] neg_hi:[0,0,1]
	v_mov_b32_e32 v123, v131
	s_cbranch_execz .LBB122_974
	s_branch .LBB122_975
.LBB122_973:
                                        ; implicit-def: $vgpr122_vgpr123
.LBB122_974:
	ds_load_b64 v[122:123], v1
.LBB122_975:
	s_mov_b32 s4, exec_lo
	v_cmpx_ne_u32_e32 39, v0
	s_cbranch_execz .LBB122_979
; %bb.976:
	v_add_nc_u32_e32 v125, 0x1e8, v58
	v_add3_u32 v126, 0, v58, 8
	v_mov_b32_e32 v127, v0
	s_mov_b32 s5, 0
.LBB122_977:                            ; =>This Inner Loop Header: Depth=1
	scratch_load_b64 v[128:129], v126, off
	ds_load_b64 v[130:131], v125
	s_wait_xcnt 0x0
	v_dual_add_nc_u32 v125, 8, v125 :: v_dual_add_nc_u32 v126, 8, v126
	s_wait_loadcnt_dscnt 0x0
	v_pk_mul_f32 v[132:133], v[130:131], v[128:129] op_sel:[1,1] op_sel_hi:[0,1]
	s_delay_alu instid0(VALU_DEP_1) | instskip(SKIP_2) | instid1(VALU_DEP_3)
	v_pk_fma_f32 v[134:135], v[130:131], v[128:129], v[132:133] op_sel_hi:[1,0,1]
	v_add_nc_u32_e32 v127, 1, v127
	v_pk_fma_f32 v[128:129], v[130:131], v[128:129], v[132:133] neg_lo:[0,0,1] neg_hi:[0,0,1]
	v_mov_b32_e32 v129, v135
	s_delay_alu instid0(VALU_DEP_3) | instskip(NEXT) | instid1(VALU_DEP_2)
	v_cmp_lt_u32_e32 vcc_lo, 38, v127
	v_pk_add_f32 v[122:123], v[122:123], v[128:129]
	s_or_b32 s5, vcc_lo, s5
	s_delay_alu instid0(SALU_CYCLE_1)
	s_and_not1_b32 exec_lo, exec_lo, s5
	s_cbranch_execnz .LBB122_977
; %bb.978:
	s_or_b32 exec_lo, exec_lo, s5
.LBB122_979:
	s_delay_alu instid0(SALU_CYCLE_1) | instskip(SKIP_4) | instid1(VALU_DEP_1)
	s_or_b32 exec_lo, exec_lo, s4
	v_mov_b32_e32 v125, 0
	ds_load_b64 v[126:127], v125 offset:320
	s_wait_dscnt 0x0
	v_pk_mul_f32 v[128:129], v[122:123], v[126:127] op_sel:[1,1] op_sel_hi:[0,1]
	v_pk_fma_f32 v[130:131], v[122:123], v[126:127], v[128:129] op_sel_hi:[1,0,1]
	v_pk_fma_f32 v[122:123], v[122:123], v[126:127], v[128:129] neg_lo:[0,0,1] neg_hi:[0,0,1]
	s_delay_alu instid0(VALU_DEP_2)
	v_mov_b32_e32 v123, v131
	scratch_store_b64 off, v[122:123], off offset:320
.LBB122_980:
	s_wait_xcnt 0x0
	s_or_b32 exec_lo, exec_lo, s0
	scratch_load_b64 v[122:123], off, off offset:328
	s_mov_b32 s0, exec_lo
	s_wait_loadcnt 0x0
	ds_store_b64 v1, v[122:123]
	s_wait_storecnt_dscnt 0x0
	s_barrier_signal -1
	s_barrier_wait -1
	s_wait_xcnt 0x0
	v_cmpx_gt_u32_e32 41, v0
	s_cbranch_execz .LBB122_990
; %bb.981:
	v_cmp_ne_u32_e32 vcc_lo, 1, v124
	s_cbranch_vccnz .LBB122_983
; %bb.982:
	scratch_load_b64 v[122:123], v59, off
	ds_load_b64 v[126:127], v1
	s_wait_loadcnt_dscnt 0x0
	v_pk_mul_f32 v[128:129], v[126:127], v[122:123] op_sel:[1,1] op_sel_hi:[0,1]
	s_delay_alu instid0(VALU_DEP_1) | instskip(SKIP_1) | instid1(VALU_DEP_2)
	v_pk_fma_f32 v[130:131], v[126:127], v[122:123], v[128:129] op_sel_hi:[1,0,1]
	v_pk_fma_f32 v[122:123], v[126:127], v[122:123], v[128:129] neg_lo:[0,0,1] neg_hi:[0,0,1]
	v_mov_b32_e32 v123, v131
	s_cbranch_execz .LBB122_984
	s_branch .LBB122_985
.LBB122_983:
                                        ; implicit-def: $vgpr122_vgpr123
.LBB122_984:
	ds_load_b64 v[122:123], v1
.LBB122_985:
	s_mov_b32 s4, exec_lo
	v_cmpx_ne_u32_e32 40, v0
	s_cbranch_execz .LBB122_989
; %bb.986:
	v_add_nc_u32_e32 v125, 0x1e8, v58
	v_add3_u32 v126, 0, v58, 8
	v_mov_b32_e32 v127, v0
	s_mov_b32 s5, 0
.LBB122_987:                            ; =>This Inner Loop Header: Depth=1
	scratch_load_b64 v[128:129], v126, off
	ds_load_b64 v[130:131], v125
	s_wait_xcnt 0x0
	v_dual_add_nc_u32 v125, 8, v125 :: v_dual_add_nc_u32 v126, 8, v126
	s_wait_loadcnt_dscnt 0x0
	v_pk_mul_f32 v[132:133], v[130:131], v[128:129] op_sel:[1,1] op_sel_hi:[0,1]
	s_delay_alu instid0(VALU_DEP_1) | instskip(SKIP_2) | instid1(VALU_DEP_3)
	v_pk_fma_f32 v[134:135], v[130:131], v[128:129], v[132:133] op_sel_hi:[1,0,1]
	v_add_nc_u32_e32 v127, 1, v127
	v_pk_fma_f32 v[128:129], v[130:131], v[128:129], v[132:133] neg_lo:[0,0,1] neg_hi:[0,0,1]
	v_mov_b32_e32 v129, v135
	s_delay_alu instid0(VALU_DEP_3) | instskip(NEXT) | instid1(VALU_DEP_2)
	v_cmp_lt_u32_e32 vcc_lo, 39, v127
	v_pk_add_f32 v[122:123], v[122:123], v[128:129]
	s_or_b32 s5, vcc_lo, s5
	s_delay_alu instid0(SALU_CYCLE_1)
	s_and_not1_b32 exec_lo, exec_lo, s5
	s_cbranch_execnz .LBB122_987
; %bb.988:
	s_or_b32 exec_lo, exec_lo, s5
.LBB122_989:
	s_delay_alu instid0(SALU_CYCLE_1) | instskip(SKIP_4) | instid1(VALU_DEP_1)
	s_or_b32 exec_lo, exec_lo, s4
	v_mov_b32_e32 v125, 0
	ds_load_b64 v[126:127], v125 offset:328
	s_wait_dscnt 0x0
	v_pk_mul_f32 v[128:129], v[122:123], v[126:127] op_sel:[1,1] op_sel_hi:[0,1]
	v_pk_fma_f32 v[130:131], v[122:123], v[126:127], v[128:129] op_sel_hi:[1,0,1]
	v_pk_fma_f32 v[122:123], v[122:123], v[126:127], v[128:129] neg_lo:[0,0,1] neg_hi:[0,0,1]
	s_delay_alu instid0(VALU_DEP_2)
	v_mov_b32_e32 v123, v131
	scratch_store_b64 off, v[122:123], off offset:328
.LBB122_990:
	s_wait_xcnt 0x0
	s_or_b32 exec_lo, exec_lo, s0
	scratch_load_b64 v[122:123], off, off offset:336
	s_mov_b32 s0, exec_lo
	s_wait_loadcnt 0x0
	ds_store_b64 v1, v[122:123]
	s_wait_storecnt_dscnt 0x0
	s_barrier_signal -1
	s_barrier_wait -1
	s_wait_xcnt 0x0
	v_cmpx_gt_u32_e32 42, v0
	s_cbranch_execz .LBB122_1000
; %bb.991:
	v_cmp_ne_u32_e32 vcc_lo, 1, v124
	s_cbranch_vccnz .LBB122_993
; %bb.992:
	scratch_load_b64 v[122:123], v59, off
	ds_load_b64 v[126:127], v1
	s_wait_loadcnt_dscnt 0x0
	v_pk_mul_f32 v[128:129], v[126:127], v[122:123] op_sel:[1,1] op_sel_hi:[0,1]
	s_delay_alu instid0(VALU_DEP_1) | instskip(SKIP_1) | instid1(VALU_DEP_2)
	v_pk_fma_f32 v[130:131], v[126:127], v[122:123], v[128:129] op_sel_hi:[1,0,1]
	v_pk_fma_f32 v[122:123], v[126:127], v[122:123], v[128:129] neg_lo:[0,0,1] neg_hi:[0,0,1]
	v_mov_b32_e32 v123, v131
	s_cbranch_execz .LBB122_994
	s_branch .LBB122_995
.LBB122_993:
                                        ; implicit-def: $vgpr122_vgpr123
.LBB122_994:
	ds_load_b64 v[122:123], v1
.LBB122_995:
	s_mov_b32 s4, exec_lo
	v_cmpx_ne_u32_e32 41, v0
	s_cbranch_execz .LBB122_999
; %bb.996:
	v_add_nc_u32_e32 v125, 0x1e8, v58
	v_add3_u32 v126, 0, v58, 8
	v_mov_b32_e32 v127, v0
	s_mov_b32 s5, 0
.LBB122_997:                            ; =>This Inner Loop Header: Depth=1
	scratch_load_b64 v[128:129], v126, off
	ds_load_b64 v[130:131], v125
	s_wait_xcnt 0x0
	v_dual_add_nc_u32 v125, 8, v125 :: v_dual_add_nc_u32 v126, 8, v126
	s_wait_loadcnt_dscnt 0x0
	v_pk_mul_f32 v[132:133], v[130:131], v[128:129] op_sel:[1,1] op_sel_hi:[0,1]
	s_delay_alu instid0(VALU_DEP_1) | instskip(SKIP_2) | instid1(VALU_DEP_3)
	v_pk_fma_f32 v[134:135], v[130:131], v[128:129], v[132:133] op_sel_hi:[1,0,1]
	v_add_nc_u32_e32 v127, 1, v127
	v_pk_fma_f32 v[128:129], v[130:131], v[128:129], v[132:133] neg_lo:[0,0,1] neg_hi:[0,0,1]
	v_mov_b32_e32 v129, v135
	s_delay_alu instid0(VALU_DEP_3) | instskip(NEXT) | instid1(VALU_DEP_2)
	v_cmp_lt_u32_e32 vcc_lo, 40, v127
	v_pk_add_f32 v[122:123], v[122:123], v[128:129]
	s_or_b32 s5, vcc_lo, s5
	s_delay_alu instid0(SALU_CYCLE_1)
	s_and_not1_b32 exec_lo, exec_lo, s5
	s_cbranch_execnz .LBB122_997
; %bb.998:
	s_or_b32 exec_lo, exec_lo, s5
.LBB122_999:
	s_delay_alu instid0(SALU_CYCLE_1) | instskip(SKIP_4) | instid1(VALU_DEP_1)
	s_or_b32 exec_lo, exec_lo, s4
	v_mov_b32_e32 v125, 0
	ds_load_b64 v[126:127], v125 offset:336
	s_wait_dscnt 0x0
	v_pk_mul_f32 v[128:129], v[122:123], v[126:127] op_sel:[1,1] op_sel_hi:[0,1]
	v_pk_fma_f32 v[130:131], v[122:123], v[126:127], v[128:129] op_sel_hi:[1,0,1]
	v_pk_fma_f32 v[122:123], v[122:123], v[126:127], v[128:129] neg_lo:[0,0,1] neg_hi:[0,0,1]
	s_delay_alu instid0(VALU_DEP_2)
	v_mov_b32_e32 v123, v131
	scratch_store_b64 off, v[122:123], off offset:336
.LBB122_1000:
	s_wait_xcnt 0x0
	s_or_b32 exec_lo, exec_lo, s0
	scratch_load_b64 v[122:123], off, off offset:344
	s_mov_b32 s0, exec_lo
	s_wait_loadcnt 0x0
	ds_store_b64 v1, v[122:123]
	s_wait_storecnt_dscnt 0x0
	s_barrier_signal -1
	s_barrier_wait -1
	s_wait_xcnt 0x0
	v_cmpx_gt_u32_e32 43, v0
	s_cbranch_execz .LBB122_1010
; %bb.1001:
	v_cmp_ne_u32_e32 vcc_lo, 1, v124
	s_cbranch_vccnz .LBB122_1003
; %bb.1002:
	scratch_load_b64 v[122:123], v59, off
	ds_load_b64 v[126:127], v1
	s_wait_loadcnt_dscnt 0x0
	v_pk_mul_f32 v[128:129], v[126:127], v[122:123] op_sel:[1,1] op_sel_hi:[0,1]
	s_delay_alu instid0(VALU_DEP_1) | instskip(SKIP_1) | instid1(VALU_DEP_2)
	v_pk_fma_f32 v[130:131], v[126:127], v[122:123], v[128:129] op_sel_hi:[1,0,1]
	v_pk_fma_f32 v[122:123], v[126:127], v[122:123], v[128:129] neg_lo:[0,0,1] neg_hi:[0,0,1]
	v_mov_b32_e32 v123, v131
	s_cbranch_execz .LBB122_1004
	s_branch .LBB122_1005
.LBB122_1003:
                                        ; implicit-def: $vgpr122_vgpr123
.LBB122_1004:
	ds_load_b64 v[122:123], v1
.LBB122_1005:
	s_mov_b32 s4, exec_lo
	v_cmpx_ne_u32_e32 42, v0
	s_cbranch_execz .LBB122_1009
; %bb.1006:
	v_add_nc_u32_e32 v125, 0x1e8, v58
	v_add3_u32 v126, 0, v58, 8
	v_mov_b32_e32 v127, v0
	s_mov_b32 s5, 0
.LBB122_1007:                           ; =>This Inner Loop Header: Depth=1
	scratch_load_b64 v[128:129], v126, off
	ds_load_b64 v[130:131], v125
	s_wait_xcnt 0x0
	v_dual_add_nc_u32 v125, 8, v125 :: v_dual_add_nc_u32 v126, 8, v126
	s_wait_loadcnt_dscnt 0x0
	v_pk_mul_f32 v[132:133], v[130:131], v[128:129] op_sel:[1,1] op_sel_hi:[0,1]
	s_delay_alu instid0(VALU_DEP_1) | instskip(SKIP_2) | instid1(VALU_DEP_3)
	v_pk_fma_f32 v[134:135], v[130:131], v[128:129], v[132:133] op_sel_hi:[1,0,1]
	v_add_nc_u32_e32 v127, 1, v127
	v_pk_fma_f32 v[128:129], v[130:131], v[128:129], v[132:133] neg_lo:[0,0,1] neg_hi:[0,0,1]
	v_mov_b32_e32 v129, v135
	s_delay_alu instid0(VALU_DEP_3) | instskip(NEXT) | instid1(VALU_DEP_2)
	v_cmp_lt_u32_e32 vcc_lo, 41, v127
	v_pk_add_f32 v[122:123], v[122:123], v[128:129]
	s_or_b32 s5, vcc_lo, s5
	s_delay_alu instid0(SALU_CYCLE_1)
	s_and_not1_b32 exec_lo, exec_lo, s5
	s_cbranch_execnz .LBB122_1007
; %bb.1008:
	s_or_b32 exec_lo, exec_lo, s5
.LBB122_1009:
	s_delay_alu instid0(SALU_CYCLE_1) | instskip(SKIP_4) | instid1(VALU_DEP_1)
	s_or_b32 exec_lo, exec_lo, s4
	v_mov_b32_e32 v125, 0
	ds_load_b64 v[126:127], v125 offset:344
	s_wait_dscnt 0x0
	v_pk_mul_f32 v[128:129], v[122:123], v[126:127] op_sel:[1,1] op_sel_hi:[0,1]
	v_pk_fma_f32 v[130:131], v[122:123], v[126:127], v[128:129] op_sel_hi:[1,0,1]
	v_pk_fma_f32 v[122:123], v[122:123], v[126:127], v[128:129] neg_lo:[0,0,1] neg_hi:[0,0,1]
	s_delay_alu instid0(VALU_DEP_2)
	v_mov_b32_e32 v123, v131
	scratch_store_b64 off, v[122:123], off offset:344
.LBB122_1010:
	s_wait_xcnt 0x0
	s_or_b32 exec_lo, exec_lo, s0
	scratch_load_b64 v[122:123], off, off offset:352
	s_mov_b32 s0, exec_lo
	s_wait_loadcnt 0x0
	ds_store_b64 v1, v[122:123]
	s_wait_storecnt_dscnt 0x0
	s_barrier_signal -1
	s_barrier_wait -1
	s_wait_xcnt 0x0
	v_cmpx_gt_u32_e32 44, v0
	s_cbranch_execz .LBB122_1020
; %bb.1011:
	v_cmp_ne_u32_e32 vcc_lo, 1, v124
	s_cbranch_vccnz .LBB122_1013
; %bb.1012:
	scratch_load_b64 v[122:123], v59, off
	ds_load_b64 v[126:127], v1
	s_wait_loadcnt_dscnt 0x0
	v_pk_mul_f32 v[128:129], v[126:127], v[122:123] op_sel:[1,1] op_sel_hi:[0,1]
	s_delay_alu instid0(VALU_DEP_1) | instskip(SKIP_1) | instid1(VALU_DEP_2)
	v_pk_fma_f32 v[130:131], v[126:127], v[122:123], v[128:129] op_sel_hi:[1,0,1]
	v_pk_fma_f32 v[122:123], v[126:127], v[122:123], v[128:129] neg_lo:[0,0,1] neg_hi:[0,0,1]
	v_mov_b32_e32 v123, v131
	s_cbranch_execz .LBB122_1014
	s_branch .LBB122_1015
.LBB122_1013:
                                        ; implicit-def: $vgpr122_vgpr123
.LBB122_1014:
	ds_load_b64 v[122:123], v1
.LBB122_1015:
	s_mov_b32 s4, exec_lo
	v_cmpx_ne_u32_e32 43, v0
	s_cbranch_execz .LBB122_1019
; %bb.1016:
	v_add_nc_u32_e32 v125, 0x1e8, v58
	v_add3_u32 v126, 0, v58, 8
	v_mov_b32_e32 v127, v0
	s_mov_b32 s5, 0
.LBB122_1017:                           ; =>This Inner Loop Header: Depth=1
	scratch_load_b64 v[128:129], v126, off
	ds_load_b64 v[130:131], v125
	s_wait_xcnt 0x0
	v_dual_add_nc_u32 v125, 8, v125 :: v_dual_add_nc_u32 v126, 8, v126
	s_wait_loadcnt_dscnt 0x0
	v_pk_mul_f32 v[132:133], v[130:131], v[128:129] op_sel:[1,1] op_sel_hi:[0,1]
	s_delay_alu instid0(VALU_DEP_1) | instskip(SKIP_2) | instid1(VALU_DEP_3)
	v_pk_fma_f32 v[134:135], v[130:131], v[128:129], v[132:133] op_sel_hi:[1,0,1]
	v_add_nc_u32_e32 v127, 1, v127
	v_pk_fma_f32 v[128:129], v[130:131], v[128:129], v[132:133] neg_lo:[0,0,1] neg_hi:[0,0,1]
	v_mov_b32_e32 v129, v135
	s_delay_alu instid0(VALU_DEP_3) | instskip(NEXT) | instid1(VALU_DEP_2)
	v_cmp_lt_u32_e32 vcc_lo, 42, v127
	v_pk_add_f32 v[122:123], v[122:123], v[128:129]
	s_or_b32 s5, vcc_lo, s5
	s_delay_alu instid0(SALU_CYCLE_1)
	s_and_not1_b32 exec_lo, exec_lo, s5
	s_cbranch_execnz .LBB122_1017
; %bb.1018:
	s_or_b32 exec_lo, exec_lo, s5
.LBB122_1019:
	s_delay_alu instid0(SALU_CYCLE_1) | instskip(SKIP_4) | instid1(VALU_DEP_1)
	s_or_b32 exec_lo, exec_lo, s4
	v_mov_b32_e32 v125, 0
	ds_load_b64 v[126:127], v125 offset:352
	s_wait_dscnt 0x0
	v_pk_mul_f32 v[128:129], v[122:123], v[126:127] op_sel:[1,1] op_sel_hi:[0,1]
	v_pk_fma_f32 v[130:131], v[122:123], v[126:127], v[128:129] op_sel_hi:[1,0,1]
	v_pk_fma_f32 v[122:123], v[122:123], v[126:127], v[128:129] neg_lo:[0,0,1] neg_hi:[0,0,1]
	s_delay_alu instid0(VALU_DEP_2)
	v_mov_b32_e32 v123, v131
	scratch_store_b64 off, v[122:123], off offset:352
.LBB122_1020:
	s_wait_xcnt 0x0
	s_or_b32 exec_lo, exec_lo, s0
	scratch_load_b64 v[122:123], off, off offset:360
	s_mov_b32 s0, exec_lo
	s_wait_loadcnt 0x0
	ds_store_b64 v1, v[122:123]
	s_wait_storecnt_dscnt 0x0
	s_barrier_signal -1
	s_barrier_wait -1
	s_wait_xcnt 0x0
	v_cmpx_gt_u32_e32 45, v0
	s_cbranch_execz .LBB122_1030
; %bb.1021:
	v_cmp_ne_u32_e32 vcc_lo, 1, v124
	s_cbranch_vccnz .LBB122_1023
; %bb.1022:
	scratch_load_b64 v[122:123], v59, off
	ds_load_b64 v[126:127], v1
	s_wait_loadcnt_dscnt 0x0
	v_pk_mul_f32 v[128:129], v[126:127], v[122:123] op_sel:[1,1] op_sel_hi:[0,1]
	s_delay_alu instid0(VALU_DEP_1) | instskip(SKIP_1) | instid1(VALU_DEP_2)
	v_pk_fma_f32 v[130:131], v[126:127], v[122:123], v[128:129] op_sel_hi:[1,0,1]
	v_pk_fma_f32 v[122:123], v[126:127], v[122:123], v[128:129] neg_lo:[0,0,1] neg_hi:[0,0,1]
	v_mov_b32_e32 v123, v131
	s_cbranch_execz .LBB122_1024
	s_branch .LBB122_1025
.LBB122_1023:
                                        ; implicit-def: $vgpr122_vgpr123
.LBB122_1024:
	ds_load_b64 v[122:123], v1
.LBB122_1025:
	s_mov_b32 s4, exec_lo
	v_cmpx_ne_u32_e32 44, v0
	s_cbranch_execz .LBB122_1029
; %bb.1026:
	v_add_nc_u32_e32 v125, 0x1e8, v58
	v_add3_u32 v126, 0, v58, 8
	v_mov_b32_e32 v127, v0
	s_mov_b32 s5, 0
.LBB122_1027:                           ; =>This Inner Loop Header: Depth=1
	scratch_load_b64 v[128:129], v126, off
	ds_load_b64 v[130:131], v125
	s_wait_xcnt 0x0
	v_dual_add_nc_u32 v125, 8, v125 :: v_dual_add_nc_u32 v126, 8, v126
	s_wait_loadcnt_dscnt 0x0
	v_pk_mul_f32 v[132:133], v[130:131], v[128:129] op_sel:[1,1] op_sel_hi:[0,1]
	s_delay_alu instid0(VALU_DEP_1) | instskip(SKIP_2) | instid1(VALU_DEP_3)
	v_pk_fma_f32 v[134:135], v[130:131], v[128:129], v[132:133] op_sel_hi:[1,0,1]
	v_add_nc_u32_e32 v127, 1, v127
	v_pk_fma_f32 v[128:129], v[130:131], v[128:129], v[132:133] neg_lo:[0,0,1] neg_hi:[0,0,1]
	v_mov_b32_e32 v129, v135
	s_delay_alu instid0(VALU_DEP_3) | instskip(NEXT) | instid1(VALU_DEP_2)
	v_cmp_lt_u32_e32 vcc_lo, 43, v127
	v_pk_add_f32 v[122:123], v[122:123], v[128:129]
	s_or_b32 s5, vcc_lo, s5
	s_delay_alu instid0(SALU_CYCLE_1)
	s_and_not1_b32 exec_lo, exec_lo, s5
	s_cbranch_execnz .LBB122_1027
; %bb.1028:
	s_or_b32 exec_lo, exec_lo, s5
.LBB122_1029:
	s_delay_alu instid0(SALU_CYCLE_1) | instskip(SKIP_4) | instid1(VALU_DEP_1)
	s_or_b32 exec_lo, exec_lo, s4
	v_mov_b32_e32 v125, 0
	ds_load_b64 v[126:127], v125 offset:360
	s_wait_dscnt 0x0
	v_pk_mul_f32 v[128:129], v[122:123], v[126:127] op_sel:[1,1] op_sel_hi:[0,1]
	v_pk_fma_f32 v[130:131], v[122:123], v[126:127], v[128:129] op_sel_hi:[1,0,1]
	v_pk_fma_f32 v[122:123], v[122:123], v[126:127], v[128:129] neg_lo:[0,0,1] neg_hi:[0,0,1]
	s_delay_alu instid0(VALU_DEP_2)
	v_mov_b32_e32 v123, v131
	scratch_store_b64 off, v[122:123], off offset:360
.LBB122_1030:
	s_wait_xcnt 0x0
	s_or_b32 exec_lo, exec_lo, s0
	scratch_load_b64 v[122:123], off, off offset:368
	s_mov_b32 s0, exec_lo
	s_wait_loadcnt 0x0
	ds_store_b64 v1, v[122:123]
	s_wait_storecnt_dscnt 0x0
	s_barrier_signal -1
	s_barrier_wait -1
	s_wait_xcnt 0x0
	v_cmpx_gt_u32_e32 46, v0
	s_cbranch_execz .LBB122_1040
; %bb.1031:
	v_cmp_ne_u32_e32 vcc_lo, 1, v124
	s_cbranch_vccnz .LBB122_1033
; %bb.1032:
	scratch_load_b64 v[122:123], v59, off
	ds_load_b64 v[126:127], v1
	s_wait_loadcnt_dscnt 0x0
	v_pk_mul_f32 v[128:129], v[126:127], v[122:123] op_sel:[1,1] op_sel_hi:[0,1]
	s_delay_alu instid0(VALU_DEP_1) | instskip(SKIP_1) | instid1(VALU_DEP_2)
	v_pk_fma_f32 v[130:131], v[126:127], v[122:123], v[128:129] op_sel_hi:[1,0,1]
	v_pk_fma_f32 v[122:123], v[126:127], v[122:123], v[128:129] neg_lo:[0,0,1] neg_hi:[0,0,1]
	v_mov_b32_e32 v123, v131
	s_cbranch_execz .LBB122_1034
	s_branch .LBB122_1035
.LBB122_1033:
                                        ; implicit-def: $vgpr122_vgpr123
.LBB122_1034:
	ds_load_b64 v[122:123], v1
.LBB122_1035:
	s_mov_b32 s4, exec_lo
	v_cmpx_ne_u32_e32 45, v0
	s_cbranch_execz .LBB122_1039
; %bb.1036:
	v_add_nc_u32_e32 v125, 0x1e8, v58
	v_add3_u32 v126, 0, v58, 8
	v_mov_b32_e32 v127, v0
	s_mov_b32 s5, 0
.LBB122_1037:                           ; =>This Inner Loop Header: Depth=1
	scratch_load_b64 v[128:129], v126, off
	ds_load_b64 v[130:131], v125
	s_wait_xcnt 0x0
	v_dual_add_nc_u32 v125, 8, v125 :: v_dual_add_nc_u32 v126, 8, v126
	s_wait_loadcnt_dscnt 0x0
	v_pk_mul_f32 v[132:133], v[130:131], v[128:129] op_sel:[1,1] op_sel_hi:[0,1]
	s_delay_alu instid0(VALU_DEP_1) | instskip(SKIP_2) | instid1(VALU_DEP_3)
	v_pk_fma_f32 v[134:135], v[130:131], v[128:129], v[132:133] op_sel_hi:[1,0,1]
	v_add_nc_u32_e32 v127, 1, v127
	v_pk_fma_f32 v[128:129], v[130:131], v[128:129], v[132:133] neg_lo:[0,0,1] neg_hi:[0,0,1]
	v_mov_b32_e32 v129, v135
	s_delay_alu instid0(VALU_DEP_3) | instskip(NEXT) | instid1(VALU_DEP_2)
	v_cmp_lt_u32_e32 vcc_lo, 44, v127
	v_pk_add_f32 v[122:123], v[122:123], v[128:129]
	s_or_b32 s5, vcc_lo, s5
	s_delay_alu instid0(SALU_CYCLE_1)
	s_and_not1_b32 exec_lo, exec_lo, s5
	s_cbranch_execnz .LBB122_1037
; %bb.1038:
	s_or_b32 exec_lo, exec_lo, s5
.LBB122_1039:
	s_delay_alu instid0(SALU_CYCLE_1) | instskip(SKIP_4) | instid1(VALU_DEP_1)
	s_or_b32 exec_lo, exec_lo, s4
	v_mov_b32_e32 v125, 0
	ds_load_b64 v[126:127], v125 offset:368
	s_wait_dscnt 0x0
	v_pk_mul_f32 v[128:129], v[122:123], v[126:127] op_sel:[1,1] op_sel_hi:[0,1]
	v_pk_fma_f32 v[130:131], v[122:123], v[126:127], v[128:129] op_sel_hi:[1,0,1]
	v_pk_fma_f32 v[122:123], v[122:123], v[126:127], v[128:129] neg_lo:[0,0,1] neg_hi:[0,0,1]
	s_delay_alu instid0(VALU_DEP_2)
	v_mov_b32_e32 v123, v131
	scratch_store_b64 off, v[122:123], off offset:368
.LBB122_1040:
	s_wait_xcnt 0x0
	s_or_b32 exec_lo, exec_lo, s0
	scratch_load_b64 v[122:123], off, off offset:376
	s_mov_b32 s0, exec_lo
	s_wait_loadcnt 0x0
	ds_store_b64 v1, v[122:123]
	s_wait_storecnt_dscnt 0x0
	s_barrier_signal -1
	s_barrier_wait -1
	s_wait_xcnt 0x0
	v_cmpx_gt_u32_e32 47, v0
	s_cbranch_execz .LBB122_1050
; %bb.1041:
	v_cmp_ne_u32_e32 vcc_lo, 1, v124
	s_cbranch_vccnz .LBB122_1043
; %bb.1042:
	scratch_load_b64 v[122:123], v59, off
	ds_load_b64 v[126:127], v1
	s_wait_loadcnt_dscnt 0x0
	v_pk_mul_f32 v[128:129], v[126:127], v[122:123] op_sel:[1,1] op_sel_hi:[0,1]
	s_delay_alu instid0(VALU_DEP_1) | instskip(SKIP_1) | instid1(VALU_DEP_2)
	v_pk_fma_f32 v[130:131], v[126:127], v[122:123], v[128:129] op_sel_hi:[1,0,1]
	v_pk_fma_f32 v[122:123], v[126:127], v[122:123], v[128:129] neg_lo:[0,0,1] neg_hi:[0,0,1]
	v_mov_b32_e32 v123, v131
	s_cbranch_execz .LBB122_1044
	s_branch .LBB122_1045
.LBB122_1043:
                                        ; implicit-def: $vgpr122_vgpr123
.LBB122_1044:
	ds_load_b64 v[122:123], v1
.LBB122_1045:
	s_mov_b32 s4, exec_lo
	v_cmpx_ne_u32_e32 46, v0
	s_cbranch_execz .LBB122_1049
; %bb.1046:
	v_add_nc_u32_e32 v125, 0x1e8, v58
	v_add3_u32 v126, 0, v58, 8
	v_mov_b32_e32 v127, v0
	s_mov_b32 s5, 0
.LBB122_1047:                           ; =>This Inner Loop Header: Depth=1
	scratch_load_b64 v[128:129], v126, off
	ds_load_b64 v[130:131], v125
	s_wait_xcnt 0x0
	v_dual_add_nc_u32 v125, 8, v125 :: v_dual_add_nc_u32 v126, 8, v126
	s_wait_loadcnt_dscnt 0x0
	v_pk_mul_f32 v[132:133], v[130:131], v[128:129] op_sel:[1,1] op_sel_hi:[0,1]
	s_delay_alu instid0(VALU_DEP_1) | instskip(SKIP_2) | instid1(VALU_DEP_3)
	v_pk_fma_f32 v[134:135], v[130:131], v[128:129], v[132:133] op_sel_hi:[1,0,1]
	v_add_nc_u32_e32 v127, 1, v127
	v_pk_fma_f32 v[128:129], v[130:131], v[128:129], v[132:133] neg_lo:[0,0,1] neg_hi:[0,0,1]
	v_mov_b32_e32 v129, v135
	s_delay_alu instid0(VALU_DEP_3) | instskip(NEXT) | instid1(VALU_DEP_2)
	v_cmp_lt_u32_e32 vcc_lo, 45, v127
	v_pk_add_f32 v[122:123], v[122:123], v[128:129]
	s_or_b32 s5, vcc_lo, s5
	s_delay_alu instid0(SALU_CYCLE_1)
	s_and_not1_b32 exec_lo, exec_lo, s5
	s_cbranch_execnz .LBB122_1047
; %bb.1048:
	s_or_b32 exec_lo, exec_lo, s5
.LBB122_1049:
	s_delay_alu instid0(SALU_CYCLE_1) | instskip(SKIP_4) | instid1(VALU_DEP_1)
	s_or_b32 exec_lo, exec_lo, s4
	v_mov_b32_e32 v125, 0
	ds_load_b64 v[126:127], v125 offset:376
	s_wait_dscnt 0x0
	v_pk_mul_f32 v[128:129], v[122:123], v[126:127] op_sel:[1,1] op_sel_hi:[0,1]
	v_pk_fma_f32 v[130:131], v[122:123], v[126:127], v[128:129] op_sel_hi:[1,0,1]
	v_pk_fma_f32 v[122:123], v[122:123], v[126:127], v[128:129] neg_lo:[0,0,1] neg_hi:[0,0,1]
	s_delay_alu instid0(VALU_DEP_2)
	v_mov_b32_e32 v123, v131
	scratch_store_b64 off, v[122:123], off offset:376
.LBB122_1050:
	s_wait_xcnt 0x0
	s_or_b32 exec_lo, exec_lo, s0
	scratch_load_b64 v[122:123], off, off offset:384
	s_mov_b32 s0, exec_lo
	s_wait_loadcnt 0x0
	ds_store_b64 v1, v[122:123]
	s_wait_storecnt_dscnt 0x0
	s_barrier_signal -1
	s_barrier_wait -1
	s_wait_xcnt 0x0
	v_cmpx_gt_u32_e32 48, v0
	s_cbranch_execz .LBB122_1060
; %bb.1051:
	v_cmp_ne_u32_e32 vcc_lo, 1, v124
	s_cbranch_vccnz .LBB122_1053
; %bb.1052:
	scratch_load_b64 v[122:123], v59, off
	ds_load_b64 v[126:127], v1
	s_wait_loadcnt_dscnt 0x0
	v_pk_mul_f32 v[128:129], v[126:127], v[122:123] op_sel:[1,1] op_sel_hi:[0,1]
	s_delay_alu instid0(VALU_DEP_1) | instskip(SKIP_1) | instid1(VALU_DEP_2)
	v_pk_fma_f32 v[130:131], v[126:127], v[122:123], v[128:129] op_sel_hi:[1,0,1]
	v_pk_fma_f32 v[122:123], v[126:127], v[122:123], v[128:129] neg_lo:[0,0,1] neg_hi:[0,0,1]
	v_mov_b32_e32 v123, v131
	s_cbranch_execz .LBB122_1054
	s_branch .LBB122_1055
.LBB122_1053:
                                        ; implicit-def: $vgpr122_vgpr123
.LBB122_1054:
	ds_load_b64 v[122:123], v1
.LBB122_1055:
	s_mov_b32 s4, exec_lo
	v_cmpx_ne_u32_e32 47, v0
	s_cbranch_execz .LBB122_1059
; %bb.1056:
	v_add_nc_u32_e32 v125, 0x1e8, v58
	v_add3_u32 v126, 0, v58, 8
	v_mov_b32_e32 v127, v0
	s_mov_b32 s5, 0
.LBB122_1057:                           ; =>This Inner Loop Header: Depth=1
	scratch_load_b64 v[128:129], v126, off
	ds_load_b64 v[130:131], v125
	s_wait_xcnt 0x0
	v_dual_add_nc_u32 v125, 8, v125 :: v_dual_add_nc_u32 v126, 8, v126
	s_wait_loadcnt_dscnt 0x0
	v_pk_mul_f32 v[132:133], v[130:131], v[128:129] op_sel:[1,1] op_sel_hi:[0,1]
	s_delay_alu instid0(VALU_DEP_1) | instskip(SKIP_2) | instid1(VALU_DEP_3)
	v_pk_fma_f32 v[134:135], v[130:131], v[128:129], v[132:133] op_sel_hi:[1,0,1]
	v_add_nc_u32_e32 v127, 1, v127
	v_pk_fma_f32 v[128:129], v[130:131], v[128:129], v[132:133] neg_lo:[0,0,1] neg_hi:[0,0,1]
	v_mov_b32_e32 v129, v135
	s_delay_alu instid0(VALU_DEP_3) | instskip(NEXT) | instid1(VALU_DEP_2)
	v_cmp_lt_u32_e32 vcc_lo, 46, v127
	v_pk_add_f32 v[122:123], v[122:123], v[128:129]
	s_or_b32 s5, vcc_lo, s5
	s_delay_alu instid0(SALU_CYCLE_1)
	s_and_not1_b32 exec_lo, exec_lo, s5
	s_cbranch_execnz .LBB122_1057
; %bb.1058:
	s_or_b32 exec_lo, exec_lo, s5
.LBB122_1059:
	s_delay_alu instid0(SALU_CYCLE_1) | instskip(SKIP_4) | instid1(VALU_DEP_1)
	s_or_b32 exec_lo, exec_lo, s4
	v_mov_b32_e32 v125, 0
	ds_load_b64 v[126:127], v125 offset:384
	s_wait_dscnt 0x0
	v_pk_mul_f32 v[128:129], v[122:123], v[126:127] op_sel:[1,1] op_sel_hi:[0,1]
	v_pk_fma_f32 v[130:131], v[122:123], v[126:127], v[128:129] op_sel_hi:[1,0,1]
	v_pk_fma_f32 v[122:123], v[122:123], v[126:127], v[128:129] neg_lo:[0,0,1] neg_hi:[0,0,1]
	s_delay_alu instid0(VALU_DEP_2)
	v_mov_b32_e32 v123, v131
	scratch_store_b64 off, v[122:123], off offset:384
.LBB122_1060:
	s_wait_xcnt 0x0
	s_or_b32 exec_lo, exec_lo, s0
	scratch_load_b64 v[122:123], off, off offset:392
	s_mov_b32 s0, exec_lo
	s_wait_loadcnt 0x0
	ds_store_b64 v1, v[122:123]
	s_wait_storecnt_dscnt 0x0
	s_barrier_signal -1
	s_barrier_wait -1
	s_wait_xcnt 0x0
	v_cmpx_gt_u32_e32 49, v0
	s_cbranch_execz .LBB122_1070
; %bb.1061:
	v_cmp_ne_u32_e32 vcc_lo, 1, v124
	s_cbranch_vccnz .LBB122_1063
; %bb.1062:
	scratch_load_b64 v[122:123], v59, off
	ds_load_b64 v[126:127], v1
	s_wait_loadcnt_dscnt 0x0
	v_pk_mul_f32 v[128:129], v[126:127], v[122:123] op_sel:[1,1] op_sel_hi:[0,1]
	s_delay_alu instid0(VALU_DEP_1) | instskip(SKIP_1) | instid1(VALU_DEP_2)
	v_pk_fma_f32 v[130:131], v[126:127], v[122:123], v[128:129] op_sel_hi:[1,0,1]
	v_pk_fma_f32 v[122:123], v[126:127], v[122:123], v[128:129] neg_lo:[0,0,1] neg_hi:[0,0,1]
	v_mov_b32_e32 v123, v131
	s_cbranch_execz .LBB122_1064
	s_branch .LBB122_1065
.LBB122_1063:
                                        ; implicit-def: $vgpr122_vgpr123
.LBB122_1064:
	ds_load_b64 v[122:123], v1
.LBB122_1065:
	s_mov_b32 s4, exec_lo
	v_cmpx_ne_u32_e32 48, v0
	s_cbranch_execz .LBB122_1069
; %bb.1066:
	v_add_nc_u32_e32 v125, 0x1e8, v58
	v_add3_u32 v126, 0, v58, 8
	v_mov_b32_e32 v127, v0
	s_mov_b32 s5, 0
.LBB122_1067:                           ; =>This Inner Loop Header: Depth=1
	scratch_load_b64 v[128:129], v126, off
	ds_load_b64 v[130:131], v125
	s_wait_xcnt 0x0
	v_dual_add_nc_u32 v125, 8, v125 :: v_dual_add_nc_u32 v126, 8, v126
	s_wait_loadcnt_dscnt 0x0
	v_pk_mul_f32 v[132:133], v[130:131], v[128:129] op_sel:[1,1] op_sel_hi:[0,1]
	s_delay_alu instid0(VALU_DEP_1) | instskip(SKIP_2) | instid1(VALU_DEP_3)
	v_pk_fma_f32 v[134:135], v[130:131], v[128:129], v[132:133] op_sel_hi:[1,0,1]
	v_add_nc_u32_e32 v127, 1, v127
	v_pk_fma_f32 v[128:129], v[130:131], v[128:129], v[132:133] neg_lo:[0,0,1] neg_hi:[0,0,1]
	v_mov_b32_e32 v129, v135
	s_delay_alu instid0(VALU_DEP_3) | instskip(NEXT) | instid1(VALU_DEP_2)
	v_cmp_lt_u32_e32 vcc_lo, 47, v127
	v_pk_add_f32 v[122:123], v[122:123], v[128:129]
	s_or_b32 s5, vcc_lo, s5
	s_delay_alu instid0(SALU_CYCLE_1)
	s_and_not1_b32 exec_lo, exec_lo, s5
	s_cbranch_execnz .LBB122_1067
; %bb.1068:
	s_or_b32 exec_lo, exec_lo, s5
.LBB122_1069:
	s_delay_alu instid0(SALU_CYCLE_1) | instskip(SKIP_4) | instid1(VALU_DEP_1)
	s_or_b32 exec_lo, exec_lo, s4
	v_mov_b32_e32 v125, 0
	ds_load_b64 v[126:127], v125 offset:392
	s_wait_dscnt 0x0
	v_pk_mul_f32 v[128:129], v[122:123], v[126:127] op_sel:[1,1] op_sel_hi:[0,1]
	v_pk_fma_f32 v[130:131], v[122:123], v[126:127], v[128:129] op_sel_hi:[1,0,1]
	v_pk_fma_f32 v[122:123], v[122:123], v[126:127], v[128:129] neg_lo:[0,0,1] neg_hi:[0,0,1]
	s_delay_alu instid0(VALU_DEP_2)
	v_mov_b32_e32 v123, v131
	scratch_store_b64 off, v[122:123], off offset:392
.LBB122_1070:
	s_wait_xcnt 0x0
	s_or_b32 exec_lo, exec_lo, s0
	scratch_load_b64 v[122:123], off, off offset:400
	s_mov_b32 s0, exec_lo
	s_wait_loadcnt 0x0
	ds_store_b64 v1, v[122:123]
	s_wait_storecnt_dscnt 0x0
	s_barrier_signal -1
	s_barrier_wait -1
	s_wait_xcnt 0x0
	v_cmpx_gt_u32_e32 50, v0
	s_cbranch_execz .LBB122_1080
; %bb.1071:
	v_cmp_ne_u32_e32 vcc_lo, 1, v124
	s_cbranch_vccnz .LBB122_1073
; %bb.1072:
	scratch_load_b64 v[122:123], v59, off
	ds_load_b64 v[126:127], v1
	s_wait_loadcnt_dscnt 0x0
	v_pk_mul_f32 v[128:129], v[126:127], v[122:123] op_sel:[1,1] op_sel_hi:[0,1]
	s_delay_alu instid0(VALU_DEP_1) | instskip(SKIP_1) | instid1(VALU_DEP_2)
	v_pk_fma_f32 v[130:131], v[126:127], v[122:123], v[128:129] op_sel_hi:[1,0,1]
	v_pk_fma_f32 v[122:123], v[126:127], v[122:123], v[128:129] neg_lo:[0,0,1] neg_hi:[0,0,1]
	v_mov_b32_e32 v123, v131
	s_cbranch_execz .LBB122_1074
	s_branch .LBB122_1075
.LBB122_1073:
                                        ; implicit-def: $vgpr122_vgpr123
.LBB122_1074:
	ds_load_b64 v[122:123], v1
.LBB122_1075:
	s_mov_b32 s4, exec_lo
	v_cmpx_ne_u32_e32 49, v0
	s_cbranch_execz .LBB122_1079
; %bb.1076:
	v_add_nc_u32_e32 v125, 0x1e8, v58
	v_add3_u32 v126, 0, v58, 8
	v_mov_b32_e32 v127, v0
	s_mov_b32 s5, 0
.LBB122_1077:                           ; =>This Inner Loop Header: Depth=1
	scratch_load_b64 v[128:129], v126, off
	ds_load_b64 v[130:131], v125
	s_wait_xcnt 0x0
	v_dual_add_nc_u32 v125, 8, v125 :: v_dual_add_nc_u32 v126, 8, v126
	s_wait_loadcnt_dscnt 0x0
	v_pk_mul_f32 v[132:133], v[130:131], v[128:129] op_sel:[1,1] op_sel_hi:[0,1]
	s_delay_alu instid0(VALU_DEP_1) | instskip(SKIP_2) | instid1(VALU_DEP_3)
	v_pk_fma_f32 v[134:135], v[130:131], v[128:129], v[132:133] op_sel_hi:[1,0,1]
	v_add_nc_u32_e32 v127, 1, v127
	v_pk_fma_f32 v[128:129], v[130:131], v[128:129], v[132:133] neg_lo:[0,0,1] neg_hi:[0,0,1]
	v_mov_b32_e32 v129, v135
	s_delay_alu instid0(VALU_DEP_3) | instskip(NEXT) | instid1(VALU_DEP_2)
	v_cmp_lt_u32_e32 vcc_lo, 48, v127
	v_pk_add_f32 v[122:123], v[122:123], v[128:129]
	s_or_b32 s5, vcc_lo, s5
	s_delay_alu instid0(SALU_CYCLE_1)
	s_and_not1_b32 exec_lo, exec_lo, s5
	s_cbranch_execnz .LBB122_1077
; %bb.1078:
	s_or_b32 exec_lo, exec_lo, s5
.LBB122_1079:
	s_delay_alu instid0(SALU_CYCLE_1) | instskip(SKIP_4) | instid1(VALU_DEP_1)
	s_or_b32 exec_lo, exec_lo, s4
	v_mov_b32_e32 v125, 0
	ds_load_b64 v[126:127], v125 offset:400
	s_wait_dscnt 0x0
	v_pk_mul_f32 v[128:129], v[122:123], v[126:127] op_sel:[1,1] op_sel_hi:[0,1]
	v_pk_fma_f32 v[130:131], v[122:123], v[126:127], v[128:129] op_sel_hi:[1,0,1]
	v_pk_fma_f32 v[122:123], v[122:123], v[126:127], v[128:129] neg_lo:[0,0,1] neg_hi:[0,0,1]
	s_delay_alu instid0(VALU_DEP_2)
	v_mov_b32_e32 v123, v131
	scratch_store_b64 off, v[122:123], off offset:400
.LBB122_1080:
	s_wait_xcnt 0x0
	s_or_b32 exec_lo, exec_lo, s0
	scratch_load_b64 v[122:123], off, off offset:408
	s_mov_b32 s0, exec_lo
	s_wait_loadcnt 0x0
	ds_store_b64 v1, v[122:123]
	s_wait_storecnt_dscnt 0x0
	s_barrier_signal -1
	s_barrier_wait -1
	s_wait_xcnt 0x0
	v_cmpx_gt_u32_e32 51, v0
	s_cbranch_execz .LBB122_1090
; %bb.1081:
	v_cmp_ne_u32_e32 vcc_lo, 1, v124
	s_cbranch_vccnz .LBB122_1083
; %bb.1082:
	scratch_load_b64 v[122:123], v59, off
	ds_load_b64 v[126:127], v1
	s_wait_loadcnt_dscnt 0x0
	v_pk_mul_f32 v[128:129], v[126:127], v[122:123] op_sel:[1,1] op_sel_hi:[0,1]
	s_delay_alu instid0(VALU_DEP_1) | instskip(SKIP_1) | instid1(VALU_DEP_2)
	v_pk_fma_f32 v[130:131], v[126:127], v[122:123], v[128:129] op_sel_hi:[1,0,1]
	v_pk_fma_f32 v[122:123], v[126:127], v[122:123], v[128:129] neg_lo:[0,0,1] neg_hi:[0,0,1]
	v_mov_b32_e32 v123, v131
	s_cbranch_execz .LBB122_1084
	s_branch .LBB122_1085
.LBB122_1083:
                                        ; implicit-def: $vgpr122_vgpr123
.LBB122_1084:
	ds_load_b64 v[122:123], v1
.LBB122_1085:
	s_mov_b32 s4, exec_lo
	v_cmpx_ne_u32_e32 50, v0
	s_cbranch_execz .LBB122_1089
; %bb.1086:
	v_add_nc_u32_e32 v125, 0x1e8, v58
	v_add3_u32 v126, 0, v58, 8
	v_mov_b32_e32 v127, v0
	s_mov_b32 s5, 0
.LBB122_1087:                           ; =>This Inner Loop Header: Depth=1
	scratch_load_b64 v[128:129], v126, off
	ds_load_b64 v[130:131], v125
	s_wait_xcnt 0x0
	v_dual_add_nc_u32 v125, 8, v125 :: v_dual_add_nc_u32 v126, 8, v126
	s_wait_loadcnt_dscnt 0x0
	v_pk_mul_f32 v[132:133], v[130:131], v[128:129] op_sel:[1,1] op_sel_hi:[0,1]
	s_delay_alu instid0(VALU_DEP_1) | instskip(SKIP_2) | instid1(VALU_DEP_3)
	v_pk_fma_f32 v[134:135], v[130:131], v[128:129], v[132:133] op_sel_hi:[1,0,1]
	v_add_nc_u32_e32 v127, 1, v127
	v_pk_fma_f32 v[128:129], v[130:131], v[128:129], v[132:133] neg_lo:[0,0,1] neg_hi:[0,0,1]
	v_mov_b32_e32 v129, v135
	s_delay_alu instid0(VALU_DEP_3) | instskip(NEXT) | instid1(VALU_DEP_2)
	v_cmp_lt_u32_e32 vcc_lo, 49, v127
	v_pk_add_f32 v[122:123], v[122:123], v[128:129]
	s_or_b32 s5, vcc_lo, s5
	s_delay_alu instid0(SALU_CYCLE_1)
	s_and_not1_b32 exec_lo, exec_lo, s5
	s_cbranch_execnz .LBB122_1087
; %bb.1088:
	s_or_b32 exec_lo, exec_lo, s5
.LBB122_1089:
	s_delay_alu instid0(SALU_CYCLE_1) | instskip(SKIP_4) | instid1(VALU_DEP_1)
	s_or_b32 exec_lo, exec_lo, s4
	v_mov_b32_e32 v125, 0
	ds_load_b64 v[126:127], v125 offset:408
	s_wait_dscnt 0x0
	v_pk_mul_f32 v[128:129], v[122:123], v[126:127] op_sel:[1,1] op_sel_hi:[0,1]
	v_pk_fma_f32 v[130:131], v[122:123], v[126:127], v[128:129] op_sel_hi:[1,0,1]
	v_pk_fma_f32 v[122:123], v[122:123], v[126:127], v[128:129] neg_lo:[0,0,1] neg_hi:[0,0,1]
	s_delay_alu instid0(VALU_DEP_2)
	v_mov_b32_e32 v123, v131
	scratch_store_b64 off, v[122:123], off offset:408
.LBB122_1090:
	s_wait_xcnt 0x0
	s_or_b32 exec_lo, exec_lo, s0
	scratch_load_b64 v[122:123], off, off offset:416
	s_mov_b32 s0, exec_lo
	s_wait_loadcnt 0x0
	ds_store_b64 v1, v[122:123]
	s_wait_storecnt_dscnt 0x0
	s_barrier_signal -1
	s_barrier_wait -1
	s_wait_xcnt 0x0
	v_cmpx_gt_u32_e32 52, v0
	s_cbranch_execz .LBB122_1100
; %bb.1091:
	v_cmp_ne_u32_e32 vcc_lo, 1, v124
	s_cbranch_vccnz .LBB122_1093
; %bb.1092:
	scratch_load_b64 v[122:123], v59, off
	ds_load_b64 v[126:127], v1
	s_wait_loadcnt_dscnt 0x0
	v_pk_mul_f32 v[128:129], v[126:127], v[122:123] op_sel:[1,1] op_sel_hi:[0,1]
	s_delay_alu instid0(VALU_DEP_1) | instskip(SKIP_1) | instid1(VALU_DEP_2)
	v_pk_fma_f32 v[130:131], v[126:127], v[122:123], v[128:129] op_sel_hi:[1,0,1]
	v_pk_fma_f32 v[122:123], v[126:127], v[122:123], v[128:129] neg_lo:[0,0,1] neg_hi:[0,0,1]
	v_mov_b32_e32 v123, v131
	s_cbranch_execz .LBB122_1094
	s_branch .LBB122_1095
.LBB122_1093:
                                        ; implicit-def: $vgpr122_vgpr123
.LBB122_1094:
	ds_load_b64 v[122:123], v1
.LBB122_1095:
	s_mov_b32 s4, exec_lo
	v_cmpx_ne_u32_e32 51, v0
	s_cbranch_execz .LBB122_1099
; %bb.1096:
	v_add_nc_u32_e32 v125, 0x1e8, v58
	v_add3_u32 v126, 0, v58, 8
	v_mov_b32_e32 v127, v0
	s_mov_b32 s5, 0
.LBB122_1097:                           ; =>This Inner Loop Header: Depth=1
	scratch_load_b64 v[128:129], v126, off
	ds_load_b64 v[130:131], v125
	s_wait_xcnt 0x0
	v_dual_add_nc_u32 v125, 8, v125 :: v_dual_add_nc_u32 v126, 8, v126
	s_wait_loadcnt_dscnt 0x0
	v_pk_mul_f32 v[132:133], v[130:131], v[128:129] op_sel:[1,1] op_sel_hi:[0,1]
	s_delay_alu instid0(VALU_DEP_1) | instskip(SKIP_2) | instid1(VALU_DEP_3)
	v_pk_fma_f32 v[134:135], v[130:131], v[128:129], v[132:133] op_sel_hi:[1,0,1]
	v_add_nc_u32_e32 v127, 1, v127
	v_pk_fma_f32 v[128:129], v[130:131], v[128:129], v[132:133] neg_lo:[0,0,1] neg_hi:[0,0,1]
	v_mov_b32_e32 v129, v135
	s_delay_alu instid0(VALU_DEP_3) | instskip(NEXT) | instid1(VALU_DEP_2)
	v_cmp_lt_u32_e32 vcc_lo, 50, v127
	v_pk_add_f32 v[122:123], v[122:123], v[128:129]
	s_or_b32 s5, vcc_lo, s5
	s_delay_alu instid0(SALU_CYCLE_1)
	s_and_not1_b32 exec_lo, exec_lo, s5
	s_cbranch_execnz .LBB122_1097
; %bb.1098:
	s_or_b32 exec_lo, exec_lo, s5
.LBB122_1099:
	s_delay_alu instid0(SALU_CYCLE_1) | instskip(SKIP_4) | instid1(VALU_DEP_1)
	s_or_b32 exec_lo, exec_lo, s4
	v_mov_b32_e32 v125, 0
	ds_load_b64 v[126:127], v125 offset:416
	s_wait_dscnt 0x0
	v_pk_mul_f32 v[128:129], v[122:123], v[126:127] op_sel:[1,1] op_sel_hi:[0,1]
	v_pk_fma_f32 v[130:131], v[122:123], v[126:127], v[128:129] op_sel_hi:[1,0,1]
	v_pk_fma_f32 v[122:123], v[122:123], v[126:127], v[128:129] neg_lo:[0,0,1] neg_hi:[0,0,1]
	s_delay_alu instid0(VALU_DEP_2)
	v_mov_b32_e32 v123, v131
	scratch_store_b64 off, v[122:123], off offset:416
.LBB122_1100:
	s_wait_xcnt 0x0
	s_or_b32 exec_lo, exec_lo, s0
	scratch_load_b64 v[122:123], off, off offset:424
	s_mov_b32 s0, exec_lo
	s_wait_loadcnt 0x0
	ds_store_b64 v1, v[122:123]
	s_wait_storecnt_dscnt 0x0
	s_barrier_signal -1
	s_barrier_wait -1
	s_wait_xcnt 0x0
	v_cmpx_gt_u32_e32 53, v0
	s_cbranch_execz .LBB122_1110
; %bb.1101:
	v_cmp_ne_u32_e32 vcc_lo, 1, v124
	s_cbranch_vccnz .LBB122_1103
; %bb.1102:
	scratch_load_b64 v[122:123], v59, off
	ds_load_b64 v[126:127], v1
	s_wait_loadcnt_dscnt 0x0
	v_pk_mul_f32 v[128:129], v[126:127], v[122:123] op_sel:[1,1] op_sel_hi:[0,1]
	s_delay_alu instid0(VALU_DEP_1) | instskip(SKIP_1) | instid1(VALU_DEP_2)
	v_pk_fma_f32 v[130:131], v[126:127], v[122:123], v[128:129] op_sel_hi:[1,0,1]
	v_pk_fma_f32 v[122:123], v[126:127], v[122:123], v[128:129] neg_lo:[0,0,1] neg_hi:[0,0,1]
	v_mov_b32_e32 v123, v131
	s_cbranch_execz .LBB122_1104
	s_branch .LBB122_1105
.LBB122_1103:
                                        ; implicit-def: $vgpr122_vgpr123
.LBB122_1104:
	ds_load_b64 v[122:123], v1
.LBB122_1105:
	s_mov_b32 s4, exec_lo
	v_cmpx_ne_u32_e32 52, v0
	s_cbranch_execz .LBB122_1109
; %bb.1106:
	v_add_nc_u32_e32 v125, 0x1e8, v58
	v_add3_u32 v126, 0, v58, 8
	v_mov_b32_e32 v127, v0
	s_mov_b32 s5, 0
.LBB122_1107:                           ; =>This Inner Loop Header: Depth=1
	scratch_load_b64 v[128:129], v126, off
	ds_load_b64 v[130:131], v125
	s_wait_xcnt 0x0
	v_dual_add_nc_u32 v125, 8, v125 :: v_dual_add_nc_u32 v126, 8, v126
	s_wait_loadcnt_dscnt 0x0
	v_pk_mul_f32 v[132:133], v[130:131], v[128:129] op_sel:[1,1] op_sel_hi:[0,1]
	s_delay_alu instid0(VALU_DEP_1) | instskip(SKIP_2) | instid1(VALU_DEP_3)
	v_pk_fma_f32 v[134:135], v[130:131], v[128:129], v[132:133] op_sel_hi:[1,0,1]
	v_add_nc_u32_e32 v127, 1, v127
	v_pk_fma_f32 v[128:129], v[130:131], v[128:129], v[132:133] neg_lo:[0,0,1] neg_hi:[0,0,1]
	v_mov_b32_e32 v129, v135
	s_delay_alu instid0(VALU_DEP_3) | instskip(NEXT) | instid1(VALU_DEP_2)
	v_cmp_lt_u32_e32 vcc_lo, 51, v127
	v_pk_add_f32 v[122:123], v[122:123], v[128:129]
	s_or_b32 s5, vcc_lo, s5
	s_delay_alu instid0(SALU_CYCLE_1)
	s_and_not1_b32 exec_lo, exec_lo, s5
	s_cbranch_execnz .LBB122_1107
; %bb.1108:
	s_or_b32 exec_lo, exec_lo, s5
.LBB122_1109:
	s_delay_alu instid0(SALU_CYCLE_1) | instskip(SKIP_4) | instid1(VALU_DEP_1)
	s_or_b32 exec_lo, exec_lo, s4
	v_mov_b32_e32 v125, 0
	ds_load_b64 v[126:127], v125 offset:424
	s_wait_dscnt 0x0
	v_pk_mul_f32 v[128:129], v[122:123], v[126:127] op_sel:[1,1] op_sel_hi:[0,1]
	v_pk_fma_f32 v[130:131], v[122:123], v[126:127], v[128:129] op_sel_hi:[1,0,1]
	v_pk_fma_f32 v[122:123], v[122:123], v[126:127], v[128:129] neg_lo:[0,0,1] neg_hi:[0,0,1]
	s_delay_alu instid0(VALU_DEP_2)
	v_mov_b32_e32 v123, v131
	scratch_store_b64 off, v[122:123], off offset:424
.LBB122_1110:
	s_wait_xcnt 0x0
	s_or_b32 exec_lo, exec_lo, s0
	scratch_load_b64 v[122:123], off, off offset:432
	s_mov_b32 s0, exec_lo
	s_wait_loadcnt 0x0
	ds_store_b64 v1, v[122:123]
	s_wait_storecnt_dscnt 0x0
	s_barrier_signal -1
	s_barrier_wait -1
	s_wait_xcnt 0x0
	v_cmpx_gt_u32_e32 54, v0
	s_cbranch_execz .LBB122_1120
; %bb.1111:
	v_cmp_ne_u32_e32 vcc_lo, 1, v124
	s_cbranch_vccnz .LBB122_1113
; %bb.1112:
	scratch_load_b64 v[122:123], v59, off
	ds_load_b64 v[126:127], v1
	s_wait_loadcnt_dscnt 0x0
	v_pk_mul_f32 v[128:129], v[126:127], v[122:123] op_sel:[1,1] op_sel_hi:[0,1]
	s_delay_alu instid0(VALU_DEP_1) | instskip(SKIP_1) | instid1(VALU_DEP_2)
	v_pk_fma_f32 v[130:131], v[126:127], v[122:123], v[128:129] op_sel_hi:[1,0,1]
	v_pk_fma_f32 v[122:123], v[126:127], v[122:123], v[128:129] neg_lo:[0,0,1] neg_hi:[0,0,1]
	v_mov_b32_e32 v123, v131
	s_cbranch_execz .LBB122_1114
	s_branch .LBB122_1115
.LBB122_1113:
                                        ; implicit-def: $vgpr122_vgpr123
.LBB122_1114:
	ds_load_b64 v[122:123], v1
.LBB122_1115:
	s_mov_b32 s4, exec_lo
	v_cmpx_ne_u32_e32 53, v0
	s_cbranch_execz .LBB122_1119
; %bb.1116:
	v_add_nc_u32_e32 v125, 0x1e8, v58
	v_add3_u32 v126, 0, v58, 8
	v_mov_b32_e32 v127, v0
	s_mov_b32 s5, 0
.LBB122_1117:                           ; =>This Inner Loop Header: Depth=1
	scratch_load_b64 v[128:129], v126, off
	ds_load_b64 v[130:131], v125
	s_wait_xcnt 0x0
	v_dual_add_nc_u32 v125, 8, v125 :: v_dual_add_nc_u32 v126, 8, v126
	s_wait_loadcnt_dscnt 0x0
	v_pk_mul_f32 v[132:133], v[130:131], v[128:129] op_sel:[1,1] op_sel_hi:[0,1]
	s_delay_alu instid0(VALU_DEP_1) | instskip(SKIP_2) | instid1(VALU_DEP_3)
	v_pk_fma_f32 v[134:135], v[130:131], v[128:129], v[132:133] op_sel_hi:[1,0,1]
	v_add_nc_u32_e32 v127, 1, v127
	v_pk_fma_f32 v[128:129], v[130:131], v[128:129], v[132:133] neg_lo:[0,0,1] neg_hi:[0,0,1]
	v_mov_b32_e32 v129, v135
	s_delay_alu instid0(VALU_DEP_3) | instskip(NEXT) | instid1(VALU_DEP_2)
	v_cmp_lt_u32_e32 vcc_lo, 52, v127
	v_pk_add_f32 v[122:123], v[122:123], v[128:129]
	s_or_b32 s5, vcc_lo, s5
	s_delay_alu instid0(SALU_CYCLE_1)
	s_and_not1_b32 exec_lo, exec_lo, s5
	s_cbranch_execnz .LBB122_1117
; %bb.1118:
	s_or_b32 exec_lo, exec_lo, s5
.LBB122_1119:
	s_delay_alu instid0(SALU_CYCLE_1) | instskip(SKIP_4) | instid1(VALU_DEP_1)
	s_or_b32 exec_lo, exec_lo, s4
	v_mov_b32_e32 v125, 0
	ds_load_b64 v[126:127], v125 offset:432
	s_wait_dscnt 0x0
	v_pk_mul_f32 v[128:129], v[122:123], v[126:127] op_sel:[1,1] op_sel_hi:[0,1]
	v_pk_fma_f32 v[130:131], v[122:123], v[126:127], v[128:129] op_sel_hi:[1,0,1]
	v_pk_fma_f32 v[122:123], v[122:123], v[126:127], v[128:129] neg_lo:[0,0,1] neg_hi:[0,0,1]
	s_delay_alu instid0(VALU_DEP_2)
	v_mov_b32_e32 v123, v131
	scratch_store_b64 off, v[122:123], off offset:432
.LBB122_1120:
	s_wait_xcnt 0x0
	s_or_b32 exec_lo, exec_lo, s0
	scratch_load_b64 v[122:123], off, off offset:440
	s_mov_b32 s0, exec_lo
	s_wait_loadcnt 0x0
	ds_store_b64 v1, v[122:123]
	s_wait_storecnt_dscnt 0x0
	s_barrier_signal -1
	s_barrier_wait -1
	s_wait_xcnt 0x0
	v_cmpx_gt_u32_e32 55, v0
	s_cbranch_execz .LBB122_1130
; %bb.1121:
	v_cmp_ne_u32_e32 vcc_lo, 1, v124
	s_cbranch_vccnz .LBB122_1123
; %bb.1122:
	scratch_load_b64 v[122:123], v59, off
	ds_load_b64 v[126:127], v1
	s_wait_loadcnt_dscnt 0x0
	v_pk_mul_f32 v[128:129], v[126:127], v[122:123] op_sel:[1,1] op_sel_hi:[0,1]
	s_delay_alu instid0(VALU_DEP_1) | instskip(SKIP_1) | instid1(VALU_DEP_2)
	v_pk_fma_f32 v[130:131], v[126:127], v[122:123], v[128:129] op_sel_hi:[1,0,1]
	v_pk_fma_f32 v[122:123], v[126:127], v[122:123], v[128:129] neg_lo:[0,0,1] neg_hi:[0,0,1]
	v_mov_b32_e32 v123, v131
	s_cbranch_execz .LBB122_1124
	s_branch .LBB122_1125
.LBB122_1123:
                                        ; implicit-def: $vgpr122_vgpr123
.LBB122_1124:
	ds_load_b64 v[122:123], v1
.LBB122_1125:
	s_mov_b32 s4, exec_lo
	v_cmpx_ne_u32_e32 54, v0
	s_cbranch_execz .LBB122_1129
; %bb.1126:
	v_add_nc_u32_e32 v125, 0x1e8, v58
	v_add3_u32 v126, 0, v58, 8
	v_mov_b32_e32 v127, v0
	s_mov_b32 s5, 0
.LBB122_1127:                           ; =>This Inner Loop Header: Depth=1
	scratch_load_b64 v[128:129], v126, off
	ds_load_b64 v[130:131], v125
	s_wait_xcnt 0x0
	v_dual_add_nc_u32 v125, 8, v125 :: v_dual_add_nc_u32 v126, 8, v126
	s_wait_loadcnt_dscnt 0x0
	v_pk_mul_f32 v[132:133], v[130:131], v[128:129] op_sel:[1,1] op_sel_hi:[0,1]
	s_delay_alu instid0(VALU_DEP_1) | instskip(SKIP_2) | instid1(VALU_DEP_3)
	v_pk_fma_f32 v[134:135], v[130:131], v[128:129], v[132:133] op_sel_hi:[1,0,1]
	v_add_nc_u32_e32 v127, 1, v127
	v_pk_fma_f32 v[128:129], v[130:131], v[128:129], v[132:133] neg_lo:[0,0,1] neg_hi:[0,0,1]
	v_mov_b32_e32 v129, v135
	s_delay_alu instid0(VALU_DEP_3) | instskip(NEXT) | instid1(VALU_DEP_2)
	v_cmp_lt_u32_e32 vcc_lo, 53, v127
	v_pk_add_f32 v[122:123], v[122:123], v[128:129]
	s_or_b32 s5, vcc_lo, s5
	s_delay_alu instid0(SALU_CYCLE_1)
	s_and_not1_b32 exec_lo, exec_lo, s5
	s_cbranch_execnz .LBB122_1127
; %bb.1128:
	s_or_b32 exec_lo, exec_lo, s5
.LBB122_1129:
	s_delay_alu instid0(SALU_CYCLE_1) | instskip(SKIP_4) | instid1(VALU_DEP_1)
	s_or_b32 exec_lo, exec_lo, s4
	v_mov_b32_e32 v125, 0
	ds_load_b64 v[126:127], v125 offset:440
	s_wait_dscnt 0x0
	v_pk_mul_f32 v[128:129], v[122:123], v[126:127] op_sel:[1,1] op_sel_hi:[0,1]
	v_pk_fma_f32 v[130:131], v[122:123], v[126:127], v[128:129] op_sel_hi:[1,0,1]
	v_pk_fma_f32 v[122:123], v[122:123], v[126:127], v[128:129] neg_lo:[0,0,1] neg_hi:[0,0,1]
	s_delay_alu instid0(VALU_DEP_2)
	v_mov_b32_e32 v123, v131
	scratch_store_b64 off, v[122:123], off offset:440
.LBB122_1130:
	s_wait_xcnt 0x0
	s_or_b32 exec_lo, exec_lo, s0
	scratch_load_b64 v[122:123], off, off offset:448
	s_mov_b32 s0, exec_lo
	s_wait_loadcnt 0x0
	ds_store_b64 v1, v[122:123]
	s_wait_storecnt_dscnt 0x0
	s_barrier_signal -1
	s_barrier_wait -1
	s_wait_xcnt 0x0
	v_cmpx_gt_u32_e32 56, v0
	s_cbranch_execz .LBB122_1140
; %bb.1131:
	v_cmp_ne_u32_e32 vcc_lo, 1, v124
	s_cbranch_vccnz .LBB122_1133
; %bb.1132:
	scratch_load_b64 v[122:123], v59, off
	ds_load_b64 v[126:127], v1
	s_wait_loadcnt_dscnt 0x0
	v_pk_mul_f32 v[128:129], v[126:127], v[122:123] op_sel:[1,1] op_sel_hi:[0,1]
	s_delay_alu instid0(VALU_DEP_1) | instskip(SKIP_1) | instid1(VALU_DEP_2)
	v_pk_fma_f32 v[130:131], v[126:127], v[122:123], v[128:129] op_sel_hi:[1,0,1]
	v_pk_fma_f32 v[122:123], v[126:127], v[122:123], v[128:129] neg_lo:[0,0,1] neg_hi:[0,0,1]
	v_mov_b32_e32 v123, v131
	s_cbranch_execz .LBB122_1134
	s_branch .LBB122_1135
.LBB122_1133:
                                        ; implicit-def: $vgpr122_vgpr123
.LBB122_1134:
	ds_load_b64 v[122:123], v1
.LBB122_1135:
	s_mov_b32 s4, exec_lo
	v_cmpx_ne_u32_e32 55, v0
	s_cbranch_execz .LBB122_1139
; %bb.1136:
	v_add_nc_u32_e32 v125, 0x1e8, v58
	v_add3_u32 v126, 0, v58, 8
	v_mov_b32_e32 v127, v0
	s_mov_b32 s5, 0
.LBB122_1137:                           ; =>This Inner Loop Header: Depth=1
	scratch_load_b64 v[128:129], v126, off
	ds_load_b64 v[130:131], v125
	s_wait_xcnt 0x0
	v_dual_add_nc_u32 v125, 8, v125 :: v_dual_add_nc_u32 v126, 8, v126
	s_wait_loadcnt_dscnt 0x0
	v_pk_mul_f32 v[132:133], v[130:131], v[128:129] op_sel:[1,1] op_sel_hi:[0,1]
	s_delay_alu instid0(VALU_DEP_1) | instskip(SKIP_2) | instid1(VALU_DEP_3)
	v_pk_fma_f32 v[134:135], v[130:131], v[128:129], v[132:133] op_sel_hi:[1,0,1]
	v_add_nc_u32_e32 v127, 1, v127
	v_pk_fma_f32 v[128:129], v[130:131], v[128:129], v[132:133] neg_lo:[0,0,1] neg_hi:[0,0,1]
	v_mov_b32_e32 v129, v135
	s_delay_alu instid0(VALU_DEP_3) | instskip(NEXT) | instid1(VALU_DEP_2)
	v_cmp_lt_u32_e32 vcc_lo, 54, v127
	v_pk_add_f32 v[122:123], v[122:123], v[128:129]
	s_or_b32 s5, vcc_lo, s5
	s_delay_alu instid0(SALU_CYCLE_1)
	s_and_not1_b32 exec_lo, exec_lo, s5
	s_cbranch_execnz .LBB122_1137
; %bb.1138:
	s_or_b32 exec_lo, exec_lo, s5
.LBB122_1139:
	s_delay_alu instid0(SALU_CYCLE_1) | instskip(SKIP_4) | instid1(VALU_DEP_1)
	s_or_b32 exec_lo, exec_lo, s4
	v_mov_b32_e32 v125, 0
	ds_load_b64 v[126:127], v125 offset:448
	s_wait_dscnt 0x0
	v_pk_mul_f32 v[128:129], v[122:123], v[126:127] op_sel:[1,1] op_sel_hi:[0,1]
	v_pk_fma_f32 v[130:131], v[122:123], v[126:127], v[128:129] op_sel_hi:[1,0,1]
	v_pk_fma_f32 v[122:123], v[122:123], v[126:127], v[128:129] neg_lo:[0,0,1] neg_hi:[0,0,1]
	s_delay_alu instid0(VALU_DEP_2)
	v_mov_b32_e32 v123, v131
	scratch_store_b64 off, v[122:123], off offset:448
.LBB122_1140:
	s_wait_xcnt 0x0
	s_or_b32 exec_lo, exec_lo, s0
	scratch_load_b64 v[122:123], off, off offset:456
	v_cmp_gt_u32_e64 s0, 57, v0
	s_wait_loadcnt 0x0
	ds_store_b64 v1, v[122:123]
	s_wait_storecnt_dscnt 0x0
	s_barrier_signal -1
	s_barrier_wait -1
	s_wait_xcnt 0x0
	s_and_saveexec_b32 s4, s0
	s_cbranch_execz .LBB122_1150
; %bb.1141:
	v_cmp_ne_u32_e32 vcc_lo, 1, v124
	s_cbranch_vccnz .LBB122_1143
; %bb.1142:
	scratch_load_b64 v[122:123], v59, off
	ds_load_b64 v[126:127], v1
	s_wait_loadcnt_dscnt 0x0
	v_pk_mul_f32 v[128:129], v[126:127], v[122:123] op_sel:[1,1] op_sel_hi:[0,1]
	s_delay_alu instid0(VALU_DEP_1) | instskip(SKIP_1) | instid1(VALU_DEP_2)
	v_pk_fma_f32 v[130:131], v[126:127], v[122:123], v[128:129] op_sel_hi:[1,0,1]
	v_pk_fma_f32 v[122:123], v[126:127], v[122:123], v[128:129] neg_lo:[0,0,1] neg_hi:[0,0,1]
	v_mov_b32_e32 v123, v131
	s_cbranch_execz .LBB122_1144
	s_branch .LBB122_1145
.LBB122_1143:
                                        ; implicit-def: $vgpr122_vgpr123
.LBB122_1144:
	ds_load_b64 v[122:123], v1
.LBB122_1145:
	s_mov_b32 s5, exec_lo
	v_cmpx_ne_u32_e32 56, v0
	s_cbranch_execz .LBB122_1149
; %bb.1146:
	v_add_nc_u32_e32 v125, 0x1e8, v58
	v_add3_u32 v126, 0, v58, 8
	v_mov_b32_e32 v127, v0
	s_mov_b32 s6, 0
.LBB122_1147:                           ; =>This Inner Loop Header: Depth=1
	scratch_load_b64 v[128:129], v126, off
	ds_load_b64 v[130:131], v125
	s_wait_xcnt 0x0
	v_dual_add_nc_u32 v125, 8, v125 :: v_dual_add_nc_u32 v126, 8, v126
	s_wait_loadcnt_dscnt 0x0
	v_pk_mul_f32 v[132:133], v[130:131], v[128:129] op_sel:[1,1] op_sel_hi:[0,1]
	s_delay_alu instid0(VALU_DEP_1) | instskip(SKIP_2) | instid1(VALU_DEP_3)
	v_pk_fma_f32 v[134:135], v[130:131], v[128:129], v[132:133] op_sel_hi:[1,0,1]
	v_add_nc_u32_e32 v127, 1, v127
	v_pk_fma_f32 v[128:129], v[130:131], v[128:129], v[132:133] neg_lo:[0,0,1] neg_hi:[0,0,1]
	v_mov_b32_e32 v129, v135
	s_delay_alu instid0(VALU_DEP_3) | instskip(NEXT) | instid1(VALU_DEP_2)
	v_cmp_lt_u32_e32 vcc_lo, 55, v127
	v_pk_add_f32 v[122:123], v[122:123], v[128:129]
	s_or_b32 s6, vcc_lo, s6
	s_delay_alu instid0(SALU_CYCLE_1)
	s_and_not1_b32 exec_lo, exec_lo, s6
	s_cbranch_execnz .LBB122_1147
; %bb.1148:
	s_or_b32 exec_lo, exec_lo, s6
.LBB122_1149:
	s_delay_alu instid0(SALU_CYCLE_1) | instskip(SKIP_4) | instid1(VALU_DEP_1)
	s_or_b32 exec_lo, exec_lo, s5
	v_mov_b32_e32 v125, 0
	ds_load_b64 v[126:127], v125 offset:456
	s_wait_dscnt 0x0
	v_pk_mul_f32 v[128:129], v[122:123], v[126:127] op_sel:[1,1] op_sel_hi:[0,1]
	v_pk_fma_f32 v[130:131], v[122:123], v[126:127], v[128:129] op_sel_hi:[1,0,1]
	v_pk_fma_f32 v[122:123], v[122:123], v[126:127], v[128:129] neg_lo:[0,0,1] neg_hi:[0,0,1]
	s_delay_alu instid0(VALU_DEP_2)
	v_mov_b32_e32 v123, v131
	scratch_store_b64 off, v[122:123], off offset:456
.LBB122_1150:
	s_wait_xcnt 0x0
	s_or_b32 exec_lo, exec_lo, s4
	scratch_load_b64 v[122:123], off, off offset:464
	s_mov_b32 s4, exec_lo
                                        ; implicit-def: $vgpr176
                                        ; implicit-def: $sgpr7
	s_wait_loadcnt 0x0
	ds_store_b64 v1, v[122:123]
	s_wait_storecnt_dscnt 0x0
	s_barrier_signal -1
	s_barrier_wait -1
	s_wait_xcnt 0x0
	v_cmpx_ne_u32_e32 58, v0
	s_cbranch_execz .LBB122_1160
; %bb.1151:
	v_cmp_ne_u32_e32 vcc_lo, 1, v124
	s_cbranch_vccnz .LBB122_1153
; %bb.1152:
	scratch_load_b64 v[124:125], v59, off
	ds_load_b64 v[126:127], v1
	s_wait_loadcnt_dscnt 0x0
	v_dual_mul_f32 v59, v127, v125 :: v_dual_mul_f32 v123, v126, v125
	s_delay_alu instid0(VALU_DEP_1) | instskip(NEXT) | instid1(VALU_DEP_2)
	v_fma_f32 v122, v126, v124, -v59
	v_fmac_f32_e32 v123, v127, v124
	s_cbranch_execz .LBB122_1154
	s_branch .LBB122_1155
.LBB122_1153:
                                        ; implicit-def: $vgpr123
.LBB122_1154:
	ds_load_b64 v[122:123], v1
.LBB122_1155:
	s_and_saveexec_b32 s5, s0
	s_cbranch_execz .LBB122_1159
; %bb.1156:
	v_add_nc_u32_e32 v1, 0x1e8, v58
	v_add3_u32 v58, 0, v58, 8
	s_mov_b32 s0, 0
.LBB122_1157:                           ; =>This Inner Loop Header: Depth=1
	scratch_load_b64 v[124:125], v58, off
	ds_load_b64 v[126:127], v1
	v_dual_add_nc_u32 v0, 1, v0 :: v_dual_add_nc_u32 v1, 8, v1
	s_delay_alu instid0(VALU_DEP_1) | instskip(SKIP_3) | instid1(VALU_DEP_1)
	v_cmp_lt_u32_e32 vcc_lo, 56, v0
	s_or_b32 s0, vcc_lo, s0
	s_wait_loadcnt_dscnt 0x0
	v_dual_mul_f32 v59, v127, v125 :: v_dual_mul_f32 v125, v126, v125
	v_dual_fma_f32 v59, v126, v124, -v59 :: v_dual_fmac_f32 v125, v127, v124
	s_delay_alu instid0(VALU_DEP_1) | instskip(NEXT) | instid1(VALU_DEP_2)
	v_dual_add_nc_u32 v58, 8, v58 :: v_dual_add_f32 v122, v122, v59
	v_add_f32_e32 v123, v123, v125
	s_and_not1_b32 exec_lo, exec_lo, s0
	s_cbranch_execnz .LBB122_1157
; %bb.1158:
	s_or_b32 exec_lo, exec_lo, s0
.LBB122_1159:
	s_delay_alu instid0(SALU_CYCLE_1)
	s_or_b32 exec_lo, exec_lo, s5
	v_mov_b32_e32 v0, 0
	s_movk_i32 s7, 0x1d4
	s_or_b32 s1, s1, exec_lo
	ds_load_b64 v[0:1], v0 offset:464
	s_wait_dscnt 0x0
	v_dual_mul_f32 v58, v123, v1 :: v_dual_mul_f32 v176, v122, v1
	s_delay_alu instid0(VALU_DEP_1)
	v_dual_fma_f32 v1, v122, v0, -v58 :: v_dual_fmac_f32 v176, v123, v0
	scratch_store_b32 off, v1, off offset:464
.LBB122_1160:
	s_wait_xcnt 0x0
	s_or_b32 exec_lo, exec_lo, s4
.LBB122_1161:
	v_lshl_add_u64 v[174:175], v[6:7], 3, s[2:3]
	v_lshl_add_u64 v[172:173], v[8:9], 3, s[2:3]
	;; [unrolled: 1-line block ×57, first 2 shown]
	s_and_saveexec_b32 s0, s1
	s_cbranch_execz .LBB122_1163
; %bb.1162:
	scratch_store_b32 off, v176, s7
.LBB122_1163:
	s_wait_xcnt 0x0
	s_or_b32 exec_lo, exec_lo, s0
	scratch_load_b64 v[64:65], off, off
	s_wait_loadcnt 0x0
	flat_store_b64 v[2:3], v[64:65]
	scratch_load_b64 v[2:3], off, off offset:8
	s_wait_loadcnt 0x0
	flat_store_b64 v[4:5], v[2:3]
	scratch_load_b64 v[2:3], off, off offset:16
	;; [unrolled: 3-line block ×58, first 2 shown]
	s_wait_loadcnt 0x0
	flat_store_b64 v[0:1], v[2:3]
.LBB122_1164:
	s_sendmsg sendmsg(MSG_DEALLOC_VGPRS)
	s_endpgm
	.section	.rodata,"a",@progbits
	.p2align	6, 0x0
	.amdhsa_kernel _ZN9rocsolver6v33100L18trti2_kernel_smallILi59E19rocblas_complex_numIfEPKPS3_EEv13rocblas_fill_17rocblas_diagonal_T1_iil
		.amdhsa_group_segment_fixed_size 952
		.amdhsa_private_segment_fixed_size 480
		.amdhsa_kernarg_size 32
		.amdhsa_user_sgpr_count 2
		.amdhsa_user_sgpr_dispatch_ptr 0
		.amdhsa_user_sgpr_queue_ptr 0
		.amdhsa_user_sgpr_kernarg_segment_ptr 1
		.amdhsa_user_sgpr_dispatch_id 0
		.amdhsa_user_sgpr_kernarg_preload_length 0
		.amdhsa_user_sgpr_kernarg_preload_offset 0
		.amdhsa_user_sgpr_private_segment_size 0
		.amdhsa_wavefront_size32 1
		.amdhsa_uses_dynamic_stack 0
		.amdhsa_enable_private_segment 1
		.amdhsa_system_sgpr_workgroup_id_x 1
		.amdhsa_system_sgpr_workgroup_id_y 0
		.amdhsa_system_sgpr_workgroup_id_z 0
		.amdhsa_system_sgpr_workgroup_info 0
		.amdhsa_system_vgpr_workitem_id 0
		.amdhsa_next_free_vgpr 177
		.amdhsa_next_free_sgpr 65
		.amdhsa_named_barrier_count 0
		.amdhsa_reserve_vcc 1
		.amdhsa_float_round_mode_32 0
		.amdhsa_float_round_mode_16_64 0
		.amdhsa_float_denorm_mode_32 3
		.amdhsa_float_denorm_mode_16_64 3
		.amdhsa_fp16_overflow 0
		.amdhsa_memory_ordered 1
		.amdhsa_forward_progress 1
		.amdhsa_inst_pref_size 255
		.amdhsa_round_robin_scheduling 0
		.amdhsa_exception_fp_ieee_invalid_op 0
		.amdhsa_exception_fp_denorm_src 0
		.amdhsa_exception_fp_ieee_div_zero 0
		.amdhsa_exception_fp_ieee_overflow 0
		.amdhsa_exception_fp_ieee_underflow 0
		.amdhsa_exception_fp_ieee_inexact 0
		.amdhsa_exception_int_div_zero 0
	.end_amdhsa_kernel
	.section	.text._ZN9rocsolver6v33100L18trti2_kernel_smallILi59E19rocblas_complex_numIfEPKPS3_EEv13rocblas_fill_17rocblas_diagonal_T1_iil,"axG",@progbits,_ZN9rocsolver6v33100L18trti2_kernel_smallILi59E19rocblas_complex_numIfEPKPS3_EEv13rocblas_fill_17rocblas_diagonal_T1_iil,comdat
.Lfunc_end122:
	.size	_ZN9rocsolver6v33100L18trti2_kernel_smallILi59E19rocblas_complex_numIfEPKPS3_EEv13rocblas_fill_17rocblas_diagonal_T1_iil, .Lfunc_end122-_ZN9rocsolver6v33100L18trti2_kernel_smallILi59E19rocblas_complex_numIfEPKPS3_EEv13rocblas_fill_17rocblas_diagonal_T1_iil
                                        ; -- End function
	.set _ZN9rocsolver6v33100L18trti2_kernel_smallILi59E19rocblas_complex_numIfEPKPS3_EEv13rocblas_fill_17rocblas_diagonal_T1_iil.num_vgpr, 177
	.set _ZN9rocsolver6v33100L18trti2_kernel_smallILi59E19rocblas_complex_numIfEPKPS3_EEv13rocblas_fill_17rocblas_diagonal_T1_iil.num_agpr, 0
	.set _ZN9rocsolver6v33100L18trti2_kernel_smallILi59E19rocblas_complex_numIfEPKPS3_EEv13rocblas_fill_17rocblas_diagonal_T1_iil.numbered_sgpr, 65
	.set _ZN9rocsolver6v33100L18trti2_kernel_smallILi59E19rocblas_complex_numIfEPKPS3_EEv13rocblas_fill_17rocblas_diagonal_T1_iil.num_named_barrier, 0
	.set _ZN9rocsolver6v33100L18trti2_kernel_smallILi59E19rocblas_complex_numIfEPKPS3_EEv13rocblas_fill_17rocblas_diagonal_T1_iil.private_seg_size, 480
	.set _ZN9rocsolver6v33100L18trti2_kernel_smallILi59E19rocblas_complex_numIfEPKPS3_EEv13rocblas_fill_17rocblas_diagonal_T1_iil.uses_vcc, 1
	.set _ZN9rocsolver6v33100L18trti2_kernel_smallILi59E19rocblas_complex_numIfEPKPS3_EEv13rocblas_fill_17rocblas_diagonal_T1_iil.uses_flat_scratch, 0
	.set _ZN9rocsolver6v33100L18trti2_kernel_smallILi59E19rocblas_complex_numIfEPKPS3_EEv13rocblas_fill_17rocblas_diagonal_T1_iil.has_dyn_sized_stack, 0
	.set _ZN9rocsolver6v33100L18trti2_kernel_smallILi59E19rocblas_complex_numIfEPKPS3_EEv13rocblas_fill_17rocblas_diagonal_T1_iil.has_recursion, 0
	.set _ZN9rocsolver6v33100L18trti2_kernel_smallILi59E19rocblas_complex_numIfEPKPS3_EEv13rocblas_fill_17rocblas_diagonal_T1_iil.has_indirect_call, 0
	.section	.AMDGPU.csdata,"",@progbits
; Kernel info:
; codeLenInByte = 45616
; TotalNumSgprs: 67
; NumVgprs: 177
; ScratchSize: 480
; MemoryBound: 0
; FloatMode: 240
; IeeeMode: 1
; LDSByteSize: 952 bytes/workgroup (compile time only)
; SGPRBlocks: 0
; VGPRBlocks: 11
; NumSGPRsForWavesPerEU: 67
; NumVGPRsForWavesPerEU: 177
; NamedBarCnt: 0
; Occupancy: 5
; WaveLimiterHint : 1
; COMPUTE_PGM_RSRC2:SCRATCH_EN: 1
; COMPUTE_PGM_RSRC2:USER_SGPR: 2
; COMPUTE_PGM_RSRC2:TRAP_HANDLER: 0
; COMPUTE_PGM_RSRC2:TGID_X_EN: 1
; COMPUTE_PGM_RSRC2:TGID_Y_EN: 0
; COMPUTE_PGM_RSRC2:TGID_Z_EN: 0
; COMPUTE_PGM_RSRC2:TIDIG_COMP_CNT: 0
	.section	.text._ZN9rocsolver6v33100L18trti2_kernel_smallILi60E19rocblas_complex_numIfEPKPS3_EEv13rocblas_fill_17rocblas_diagonal_T1_iil,"axG",@progbits,_ZN9rocsolver6v33100L18trti2_kernel_smallILi60E19rocblas_complex_numIfEPKPS3_EEv13rocblas_fill_17rocblas_diagonal_T1_iil,comdat
	.globl	_ZN9rocsolver6v33100L18trti2_kernel_smallILi60E19rocblas_complex_numIfEPKPS3_EEv13rocblas_fill_17rocblas_diagonal_T1_iil ; -- Begin function _ZN9rocsolver6v33100L18trti2_kernel_smallILi60E19rocblas_complex_numIfEPKPS3_EEv13rocblas_fill_17rocblas_diagonal_T1_iil
	.p2align	8
	.type	_ZN9rocsolver6v33100L18trti2_kernel_smallILi60E19rocblas_complex_numIfEPKPS3_EEv13rocblas_fill_17rocblas_diagonal_T1_iil,@function
_ZN9rocsolver6v33100L18trti2_kernel_smallILi60E19rocblas_complex_numIfEPKPS3_EEv13rocblas_fill_17rocblas_diagonal_T1_iil: ; @_ZN9rocsolver6v33100L18trti2_kernel_smallILi60E19rocblas_complex_numIfEPKPS3_EEv13rocblas_fill_17rocblas_diagonal_T1_iil
; %bb.0:
	s_mov_b32 s2, exec_lo
	v_cmpx_gt_u32_e32 60, v0
	s_cbranch_execz .LBB123_1184
; %bb.1:
	s_clause 0x1
	s_load_b64 s[2:3], s[0:1], 0x10
	s_load_b128 s[4:7], s[0:1], 0x0
	s_wait_xcnt 0x0
	s_bfe_u32 s0, ttmp6, 0x4000c
	s_and_b32 s1, ttmp6, 15
	s_add_co_i32 s0, s0, 1
	s_getreg_b32 s8, hwreg(HW_REG_IB_STS2, 6, 4)
	s_mul_i32 s0, ttmp9, s0
	v_dual_mov_b32 v59, 0 :: v_dual_lshlrev_b32 v58, 3, v0
	s_add_co_i32 s0, s1, s0
	s_wait_kmcnt 0x0
	s_ashr_i32 s1, s2, 31
	s_cmp_eq_u32 s8, 0
	s_cselect_b32 s8, ttmp9, s0
	s_mov_b32 s0, s2
	s_ashr_i32 s9, s8, 31
	s_lshl_b64 s[0:1], s[0:1], 3
	s_lshl_b64 s[8:9], s[8:9], 3
	s_delay_alu instid0(SALU_CYCLE_1)
	s_add_nc_u64 s[6:7], s[6:7], s[8:9]
	s_load_b64 s[6:7], s[6:7], 0x0
	s_wait_kmcnt 0x0
	s_add_nc_u64 s[6:7], s[6:7], s[0:1]
	s_mov_b32 s0, s3
	flat_load_b64 v[6:7], v0, s[6:7] scale_offset
	v_add_nc_u64_e32 v[2:3], s[6:7], v[58:59]
	s_ashr_i32 s1, s3, 31
	s_cmp_lg_u32 s5, 0x84
	s_delay_alu instid0(VALU_DEP_1)
	v_lshl_add_u64 v[4:5], s[0:1], 3, v[2:3]
	s_mov_b32 s0, -1
	s_wait_loadcnt_dscnt 0x0
	scratch_store_b64 off, v[6:7], off
	flat_load_b64 v[8:9], v[4:5]
	s_wait_xcnt 0x1
	v_add3_u32 v6, s3, s3, v0
	s_wait_loadcnt_dscnt 0x0
	scratch_store_b64 off, v[8:9], off offset:8
	flat_load_b64 v[10:11], v6, s[6:7] scale_offset
	s_wait_xcnt 0x1
	v_add_nc_u32_e32 v8, s3, v6
	s_wait_loadcnt_dscnt 0x0
	scratch_store_b64 off, v[10:11], off offset:16
	flat_load_b64 v[12:13], v8, s[6:7] scale_offset
	s_wait_xcnt 0x1
	v_add_nc_u32_e32 v10, s3, v8
	s_wait_loadcnt_dscnt 0x0
	scratch_store_b64 off, v[12:13], off offset:24
	flat_load_b64 v[14:15], v10, s[6:7] scale_offset
	s_wait_xcnt 0x1
	v_add_nc_u32_e32 v12, s3, v10
	s_wait_loadcnt_dscnt 0x0
	scratch_store_b64 off, v[14:15], off offset:32
	flat_load_b64 v[16:17], v12, s[6:7] scale_offset
	s_wait_xcnt 0x1
	v_add_nc_u32_e32 v14, s3, v12
	s_wait_loadcnt_dscnt 0x0
	scratch_store_b64 off, v[16:17], off offset:40
	flat_load_b64 v[18:19], v14, s[6:7] scale_offset
	s_wait_xcnt 0x1
	v_add_nc_u32_e32 v16, s3, v14
	s_wait_loadcnt_dscnt 0x0
	scratch_store_b64 off, v[18:19], off offset:48
	flat_load_b64 v[20:21], v16, s[6:7] scale_offset
	s_wait_xcnt 0x1
	v_add_nc_u32_e32 v18, s3, v16
	s_wait_loadcnt_dscnt 0x0
	scratch_store_b64 off, v[20:21], off offset:56
	flat_load_b64 v[22:23], v18, s[6:7] scale_offset
	s_wait_xcnt 0x1
	v_add_nc_u32_e32 v20, s3, v18
	s_wait_loadcnt_dscnt 0x0
	scratch_store_b64 off, v[22:23], off offset:64
	flat_load_b64 v[24:25], v20, s[6:7] scale_offset
	s_wait_xcnt 0x1
	v_add_nc_u32_e32 v22, s3, v20
	s_wait_loadcnt_dscnt 0x0
	scratch_store_b64 off, v[24:25], off offset:72
	flat_load_b64 v[26:27], v22, s[6:7] scale_offset
	s_wait_xcnt 0x1
	v_add_nc_u32_e32 v24, s3, v22
	s_wait_loadcnt_dscnt 0x0
	scratch_store_b64 off, v[26:27], off offset:80
	flat_load_b64 v[28:29], v24, s[6:7] scale_offset
	s_wait_xcnt 0x1
	v_add_nc_u32_e32 v26, s3, v24
	s_wait_loadcnt_dscnt 0x0
	scratch_store_b64 off, v[28:29], off offset:88
	flat_load_b64 v[30:31], v26, s[6:7] scale_offset
	s_wait_xcnt 0x1
	v_add_nc_u32_e32 v28, s3, v26
	s_wait_loadcnt_dscnt 0x0
	scratch_store_b64 off, v[30:31], off offset:96
	flat_load_b64 v[32:33], v28, s[6:7] scale_offset
	s_wait_xcnt 0x1
	v_add_nc_u32_e32 v30, s3, v28
	s_wait_loadcnt_dscnt 0x0
	scratch_store_b64 off, v[32:33], off offset:104
	flat_load_b64 v[34:35], v30, s[6:7] scale_offset
	s_wait_xcnt 0x1
	v_add_nc_u32_e32 v32, s3, v30
	s_wait_loadcnt_dscnt 0x0
	scratch_store_b64 off, v[34:35], off offset:112
	flat_load_b64 v[36:37], v32, s[6:7] scale_offset
	s_wait_xcnt 0x1
	v_add_nc_u32_e32 v34, s3, v32
	s_wait_loadcnt_dscnt 0x0
	scratch_store_b64 off, v[36:37], off offset:120
	flat_load_b64 v[38:39], v34, s[6:7] scale_offset
	s_wait_xcnt 0x1
	v_add_nc_u32_e32 v36, s3, v34
	s_wait_loadcnt_dscnt 0x0
	scratch_store_b64 off, v[38:39], off offset:128
	flat_load_b64 v[40:41], v36, s[6:7] scale_offset
	s_wait_xcnt 0x1
	v_add_nc_u32_e32 v38, s3, v36
	s_wait_loadcnt_dscnt 0x0
	scratch_store_b64 off, v[40:41], off offset:136
	flat_load_b64 v[42:43], v38, s[6:7] scale_offset
	s_wait_xcnt 0x1
	v_add_nc_u32_e32 v40, s3, v38
	s_wait_loadcnt_dscnt 0x0
	scratch_store_b64 off, v[42:43], off offset:144
	flat_load_b64 v[44:45], v40, s[6:7] scale_offset
	s_wait_xcnt 0x1
	v_add_nc_u32_e32 v42, s3, v40
	s_wait_loadcnt_dscnt 0x0
	scratch_store_b64 off, v[44:45], off offset:152
	flat_load_b64 v[46:47], v42, s[6:7] scale_offset
	s_wait_xcnt 0x1
	v_add_nc_u32_e32 v44, s3, v42
	s_wait_loadcnt_dscnt 0x0
	scratch_store_b64 off, v[46:47], off offset:160
	flat_load_b64 v[48:49], v44, s[6:7] scale_offset
	s_wait_xcnt 0x1
	v_add_nc_u32_e32 v46, s3, v44
	s_wait_loadcnt_dscnt 0x0
	scratch_store_b64 off, v[48:49], off offset:168
	flat_load_b64 v[50:51], v46, s[6:7] scale_offset
	s_wait_xcnt 0x1
	v_add_nc_u32_e32 v48, s3, v46
	s_wait_loadcnt_dscnt 0x0
	scratch_store_b64 off, v[50:51], off offset:176
	flat_load_b64 v[52:53], v48, s[6:7] scale_offset
	s_wait_xcnt 0x1
	v_add_nc_u32_e32 v50, s3, v48
	s_wait_loadcnt_dscnt 0x0
	scratch_store_b64 off, v[52:53], off offset:184
	flat_load_b64 v[54:55], v50, s[6:7] scale_offset
	s_wait_xcnt 0x1
	v_add_nc_u32_e32 v52, s3, v50
	s_wait_loadcnt_dscnt 0x0
	scratch_store_b64 off, v[54:55], off offset:192
	flat_load_b64 v[56:57], v52, s[6:7] scale_offset
	s_wait_xcnt 0x1
	v_add_nc_u32_e32 v54, s3, v52
	s_wait_loadcnt_dscnt 0x0
	scratch_store_b64 off, v[56:57], off offset:200
	flat_load_b64 v[60:61], v54, s[6:7] scale_offset
	s_wait_xcnt 0x1
	v_add_nc_u32_e32 v56, s3, v54
	s_wait_loadcnt_dscnt 0x0
	scratch_store_b64 off, v[60:61], off offset:208
	flat_load_b64 v[62:63], v56, s[6:7] scale_offset
	s_wait_xcnt 0x1
	v_add_nc_u32_e32 v60, s3, v56
	s_wait_loadcnt_dscnt 0x0
	scratch_store_b64 off, v[62:63], off offset:216
	flat_load_b64 v[64:65], v60, s[6:7] scale_offset
	s_wait_xcnt 0x1
	v_add_nc_u32_e32 v62, s3, v60
	s_wait_loadcnt_dscnt 0x0
	scratch_store_b64 off, v[64:65], off offset:224
	flat_load_b64 v[66:67], v62, s[6:7] scale_offset
	s_wait_xcnt 0x1
	v_add_nc_u32_e32 v64, s3, v62
	s_wait_loadcnt_dscnt 0x0
	scratch_store_b64 off, v[66:67], off offset:232
	flat_load_b64 v[68:69], v64, s[6:7] scale_offset
	s_wait_xcnt 0x1
	v_add_nc_u32_e32 v66, s3, v64
	s_wait_loadcnt_dscnt 0x0
	scratch_store_b64 off, v[68:69], off offset:240
	flat_load_b64 v[70:71], v66, s[6:7] scale_offset
	s_wait_xcnt 0x1
	v_add_nc_u32_e32 v68, s3, v66
	s_wait_loadcnt_dscnt 0x0
	scratch_store_b64 off, v[70:71], off offset:248
	flat_load_b64 v[72:73], v68, s[6:7] scale_offset
	s_wait_xcnt 0x1
	v_add_nc_u32_e32 v70, s3, v68
	s_wait_loadcnt_dscnt 0x0
	scratch_store_b64 off, v[72:73], off offset:256
	flat_load_b64 v[74:75], v70, s[6:7] scale_offset
	s_wait_xcnt 0x1
	v_add_nc_u32_e32 v72, s3, v70
	s_wait_loadcnt_dscnt 0x0
	scratch_store_b64 off, v[74:75], off offset:264
	flat_load_b64 v[76:77], v72, s[6:7] scale_offset
	s_wait_xcnt 0x1
	v_add_nc_u32_e32 v74, s3, v72
	s_wait_loadcnt_dscnt 0x0
	scratch_store_b64 off, v[76:77], off offset:272
	flat_load_b64 v[78:79], v74, s[6:7] scale_offset
	s_wait_xcnt 0x1
	v_add_nc_u32_e32 v76, s3, v74
	s_wait_loadcnt_dscnt 0x0
	scratch_store_b64 off, v[78:79], off offset:280
	flat_load_b64 v[80:81], v76, s[6:7] scale_offset
	s_wait_xcnt 0x1
	v_add_nc_u32_e32 v78, s3, v76
	s_wait_loadcnt_dscnt 0x0
	scratch_store_b64 off, v[80:81], off offset:288
	flat_load_b64 v[82:83], v78, s[6:7] scale_offset
	s_wait_xcnt 0x1
	v_add_nc_u32_e32 v80, s3, v78
	s_wait_loadcnt_dscnt 0x0
	scratch_store_b64 off, v[82:83], off offset:296
	flat_load_b64 v[84:85], v80, s[6:7] scale_offset
	s_wait_xcnt 0x1
	v_add_nc_u32_e32 v82, s3, v80
	s_wait_loadcnt_dscnt 0x0
	scratch_store_b64 off, v[84:85], off offset:304
	flat_load_b64 v[86:87], v82, s[6:7] scale_offset
	s_wait_xcnt 0x1
	v_add_nc_u32_e32 v84, s3, v82
	s_wait_loadcnt_dscnt 0x0
	scratch_store_b64 off, v[86:87], off offset:312
	flat_load_b64 v[88:89], v84, s[6:7] scale_offset
	s_wait_xcnt 0x1
	v_add_nc_u32_e32 v86, s3, v84
	s_wait_loadcnt_dscnt 0x0
	scratch_store_b64 off, v[88:89], off offset:320
	flat_load_b64 v[90:91], v86, s[6:7] scale_offset
	s_wait_xcnt 0x1
	v_add_nc_u32_e32 v88, s3, v86
	s_wait_loadcnt_dscnt 0x0
	scratch_store_b64 off, v[90:91], off offset:328
	flat_load_b64 v[92:93], v88, s[6:7] scale_offset
	s_wait_xcnt 0x1
	v_add_nc_u32_e32 v90, s3, v88
	s_wait_loadcnt_dscnt 0x0
	scratch_store_b64 off, v[92:93], off offset:336
	flat_load_b64 v[94:95], v90, s[6:7] scale_offset
	s_wait_xcnt 0x1
	v_add_nc_u32_e32 v92, s3, v90
	s_wait_loadcnt_dscnt 0x0
	scratch_store_b64 off, v[94:95], off offset:344
	flat_load_b64 v[96:97], v92, s[6:7] scale_offset
	s_wait_xcnt 0x1
	v_add_nc_u32_e32 v94, s3, v92
	s_wait_loadcnt_dscnt 0x0
	scratch_store_b64 off, v[96:97], off offset:352
	flat_load_b64 v[98:99], v94, s[6:7] scale_offset
	s_wait_xcnt 0x1
	v_add_nc_u32_e32 v96, s3, v94
	s_wait_loadcnt_dscnt 0x0
	scratch_store_b64 off, v[98:99], off offset:360
	flat_load_b64 v[100:101], v96, s[6:7] scale_offset
	s_wait_xcnt 0x1
	v_add_nc_u32_e32 v98, s3, v96
	s_wait_loadcnt_dscnt 0x0
	scratch_store_b64 off, v[100:101], off offset:368
	flat_load_b64 v[102:103], v98, s[6:7] scale_offset
	s_wait_xcnt 0x1
	v_add_nc_u32_e32 v100, s3, v98
	s_wait_loadcnt_dscnt 0x0
	scratch_store_b64 off, v[102:103], off offset:376
	flat_load_b64 v[104:105], v100, s[6:7] scale_offset
	s_wait_xcnt 0x1
	v_add_nc_u32_e32 v102, s3, v100
	s_wait_loadcnt_dscnt 0x0
	scratch_store_b64 off, v[104:105], off offset:384
	flat_load_b64 v[106:107], v102, s[6:7] scale_offset
	s_wait_xcnt 0x1
	v_add_nc_u32_e32 v104, s3, v102
	s_wait_loadcnt_dscnt 0x0
	scratch_store_b64 off, v[106:107], off offset:392
	flat_load_b64 v[108:109], v104, s[6:7] scale_offset
	s_wait_xcnt 0x1
	v_add_nc_u32_e32 v106, s3, v104
	s_wait_loadcnt_dscnt 0x0
	scratch_store_b64 off, v[108:109], off offset:400
	flat_load_b64 v[110:111], v106, s[6:7] scale_offset
	s_wait_xcnt 0x1
	v_add_nc_u32_e32 v108, s3, v106
	s_wait_loadcnt_dscnt 0x0
	scratch_store_b64 off, v[110:111], off offset:408
	flat_load_b64 v[112:113], v108, s[6:7] scale_offset
	s_wait_xcnt 0x1
	v_add_nc_u32_e32 v110, s3, v108
	s_wait_loadcnt_dscnt 0x0
	scratch_store_b64 off, v[112:113], off offset:416
	flat_load_b64 v[114:115], v110, s[6:7] scale_offset
	s_wait_xcnt 0x1
	v_add_nc_u32_e32 v112, s3, v110
	s_wait_loadcnt_dscnt 0x0
	scratch_store_b64 off, v[114:115], off offset:424
	flat_load_b64 v[116:117], v112, s[6:7] scale_offset
	s_wait_xcnt 0x1
	v_add_nc_u32_e32 v114, s3, v112
	s_wait_loadcnt_dscnt 0x0
	scratch_store_b64 off, v[116:117], off offset:432
	flat_load_b64 v[118:119], v114, s[6:7] scale_offset
	s_wait_xcnt 0x1
	v_add_nc_u32_e32 v116, s3, v114
	s_wait_loadcnt_dscnt 0x0
	scratch_store_b64 off, v[118:119], off offset:440
	flat_load_b64 v[120:121], v116, s[6:7] scale_offset
	s_wait_xcnt 0x1
	v_add_nc_u32_e32 v118, s3, v116
	s_wait_loadcnt_dscnt 0x0
	scratch_store_b64 off, v[120:121], off offset:448
	flat_load_b64 v[122:123], v118, s[6:7] scale_offset
	s_wait_xcnt 0x1
	v_add_nc_u32_e32 v120, s3, v118
	s_wait_loadcnt_dscnt 0x0
	scratch_store_b64 off, v[122:123], off offset:456
	flat_load_b64 v[124:125], v120, s[6:7] scale_offset
	s_wait_xcnt 0x1
	v_add_nc_u32_e32 v122, s3, v120
	s_cselect_b32 s3, -1, 0
	s_delay_alu instid0(SALU_CYCLE_1)
	s_and_b32 vcc_lo, exec_lo, s3
	s_wait_loadcnt_dscnt 0x0
	scratch_store_b64 off, v[124:125], off offset:464
	flat_load_b64 v[124:125], v122, s[6:7] scale_offset
	s_wait_loadcnt_dscnt 0x0
	scratch_store_b64 off, v[124:125], off offset:472
	s_cbranch_vccz .LBB123_7
; %bb.2:
	scratch_load_b64 v[124:125], v0, off scale_offset
                                        ; implicit-def: $vgpr129
                                        ; implicit-def: $vgpr126
	s_wait_loadcnt 0x0
	v_cmp_ngt_f32_e64 s0, |v124|, |v125|
	s_wait_xcnt 0x0
	s_and_saveexec_b32 s1, s0
	s_delay_alu instid0(SALU_CYCLE_1)
	s_xor_b32 s0, exec_lo, s1
	s_cbranch_execz .LBB123_4
; %bb.3:
	v_div_scale_f32 v1, null, v125, v125, v124
	v_div_scale_f32 v11, vcc_lo, v124, v125, v124
	s_delay_alu instid0(VALU_DEP_2) | instskip(SKIP_1) | instid1(TRANS32_DEP_1)
	v_rcp_f32_e32 v7, v1
	v_nop
	v_fma_f32 v9, -v1, v7, 1.0
	s_delay_alu instid0(VALU_DEP_1) | instskip(NEXT) | instid1(VALU_DEP_1)
	v_fmac_f32_e32 v7, v9, v7
	v_mul_f32_e32 v9, v11, v7
	s_delay_alu instid0(VALU_DEP_1) | instskip(NEXT) | instid1(VALU_DEP_1)
	v_fma_f32 v13, -v1, v9, v11
	v_fmac_f32_e32 v9, v13, v7
	s_delay_alu instid0(VALU_DEP_1) | instskip(NEXT) | instid1(VALU_DEP_1)
	v_fma_f32 v1, -v1, v9, v11
	v_div_fmas_f32 v1, v1, v7, v9
	s_delay_alu instid0(VALU_DEP_1) | instskip(NEXT) | instid1(VALU_DEP_1)
	v_div_fixup_f32 v1, v1, v125, v124
	v_fmac_f32_e32 v125, v124, v1
	s_delay_alu instid0(VALU_DEP_1) | instskip(NEXT) | instid1(VALU_DEP_1)
	v_div_scale_f32 v7, null, v125, v125, -1.0
	v_rcp_f32_e32 v9, v7
	v_nop
	s_delay_alu instid0(TRANS32_DEP_1) | instskip(NEXT) | instid1(VALU_DEP_1)
	v_fma_f32 v11, -v7, v9, 1.0
	v_fmac_f32_e32 v9, v11, v9
	v_div_scale_f32 v11, vcc_lo, -1.0, v125, -1.0
	s_delay_alu instid0(VALU_DEP_1) | instskip(NEXT) | instid1(VALU_DEP_1)
	v_mul_f32_e32 v13, v11, v9
	v_fma_f32 v15, -v7, v13, v11
	s_delay_alu instid0(VALU_DEP_1) | instskip(NEXT) | instid1(VALU_DEP_1)
	v_fmac_f32_e32 v13, v15, v9
	v_fma_f32 v7, -v7, v13, v11
	s_delay_alu instid0(VALU_DEP_1) | instskip(NEXT) | instid1(VALU_DEP_1)
	v_div_fmas_f32 v7, v7, v9, v13
	v_div_fixup_f32 v129, v7, v125, -1.0
                                        ; implicit-def: $vgpr124_vgpr125
	s_delay_alu instid0(VALU_DEP_1) | instskip(NEXT) | instid1(VALU_DEP_1)
	v_mul_f32_e32 v126, v1, v129
	v_xor_b32_e32 v128, 0x80000000, v126
.LBB123_4:
	s_or_saveexec_b32 s0, s0
	v_lshl_add_u32 v1, v0, 3, 0
	s_xor_b32 exec_lo, exec_lo, s0
	s_cbranch_execz .LBB123_6
; %bb.5:
	v_div_scale_f32 v7, null, v124, v124, v125
	v_div_scale_f32 v13, vcc_lo, v125, v124, v125
	s_delay_alu instid0(VALU_DEP_2) | instskip(SKIP_1) | instid1(TRANS32_DEP_1)
	v_rcp_f32_e32 v9, v7
	v_nop
	v_fma_f32 v11, -v7, v9, 1.0
	s_delay_alu instid0(VALU_DEP_1) | instskip(NEXT) | instid1(VALU_DEP_1)
	v_fmac_f32_e32 v9, v11, v9
	v_mul_f32_e32 v11, v13, v9
	s_delay_alu instid0(VALU_DEP_1) | instskip(NEXT) | instid1(VALU_DEP_1)
	v_fma_f32 v15, -v7, v11, v13
	v_fmac_f32_e32 v11, v15, v9
	s_delay_alu instid0(VALU_DEP_1) | instskip(NEXT) | instid1(VALU_DEP_1)
	v_fma_f32 v7, -v7, v11, v13
	v_div_fmas_f32 v7, v7, v9, v11
	s_delay_alu instid0(VALU_DEP_1) | instskip(NEXT) | instid1(VALU_DEP_1)
	v_div_fixup_f32 v7, v7, v124, v125
	v_fmac_f32_e32 v124, v125, v7
	s_delay_alu instid0(VALU_DEP_1) | instskip(SKIP_1) | instid1(VALU_DEP_2)
	v_div_scale_f32 v9, null, v124, v124, 1.0
	v_div_scale_f32 v15, vcc_lo, 1.0, v124, 1.0
	v_rcp_f32_e32 v11, v9
	v_nop
	s_delay_alu instid0(TRANS32_DEP_1) | instskip(NEXT) | instid1(VALU_DEP_1)
	v_fma_f32 v13, -v9, v11, 1.0
	v_fmac_f32_e32 v11, v13, v11
	s_delay_alu instid0(VALU_DEP_1) | instskip(NEXT) | instid1(VALU_DEP_1)
	v_mul_f32_e32 v13, v15, v11
	v_fma_f32 v17, -v9, v13, v15
	s_delay_alu instid0(VALU_DEP_1) | instskip(NEXT) | instid1(VALU_DEP_1)
	v_fmac_f32_e32 v13, v17, v11
	v_fma_f32 v9, -v9, v13, v15
	s_delay_alu instid0(VALU_DEP_1) | instskip(NEXT) | instid1(VALU_DEP_1)
	v_div_fmas_f32 v9, v9, v11, v13
	v_div_fixup_f32 v128, v9, v124, 1.0
	s_delay_alu instid0(VALU_DEP_1)
	v_xor_b32_e32 v126, 0x80000000, v128
	v_mul_f32_e64 v129, v7, -v128
.LBB123_6:
	s_or_b32 exec_lo, exec_lo, s0
	s_delay_alu instid0(VALU_DEP_1)
	v_xor_b32_e32 v127, 0x80000000, v129
	s_mov_b32 s0, 0
	scratch_store_b64 v1, v[128:129], off
	ds_store_b64 v58, v[126:127]
.LBB123_7:
	s_and_b32 vcc_lo, exec_lo, s0
	s_cbranch_vccz .LBB123_9
; %bb.8:
	s_mov_b64 s[0:1], 0xbf800000
	s_wait_xcnt 0x0
	v_mov_b64_e32 v[124:125], s[0:1]
	ds_store_b64 v58, v[124:125]
.LBB123_9:
	v_dual_ashrrev_i32 v7, 31, v6 :: v_dual_ashrrev_i32 v9, 31, v8
	v_dual_ashrrev_i32 v11, 31, v10 :: v_dual_ashrrev_i32 v13, 31, v12
	;; [unrolled: 1-line block ×29, first 2 shown]
	s_wait_xcnt 0x0
	v_add_nc_u32_e32 v1, 0x1e0, v58
	v_mov_b32_e32 v59, v58
	s_cmp_eq_u32 s4, 0x79
	s_cbranch_scc1 .LBB123_13
; %bb.10:
	scratch_load_b64 v[124:125], off, off offset:464
	v_cmp_eq_u32_e64 s0, 59, v0
	s_movk_i32 s1, 0x48
	s_movk_i32 s14, 0x50
	s_movk_i32 s15, 0x58
	s_movk_i32 s16, 0x60
	s_movk_i32 s17, 0x68
	s_movk_i32 s18, 0x70
	s_movk_i32 s19, 0x78
	s_movk_i32 s20, 0x80
	s_movk_i32 s21, 0x88
	s_movk_i32 s22, 0x90
	s_movk_i32 s23, 0x98
	s_movk_i32 s24, 0xa0
	s_movk_i32 s25, 0xa8
	s_movk_i32 s26, 0xb0
	s_movk_i32 s27, 0xb8
	s_movk_i32 s28, 0xc0
	s_movk_i32 s29, 0xc8
	s_movk_i32 s30, 0xd0
	s_movk_i32 s31, 0xd8
	s_movk_i32 s33, 0xe0
	s_movk_i32 s34, 0xe8
	s_movk_i32 s35, 0xf0
	s_movk_i32 s36, 0xf8
	s_movk_i32 s37, 0x100
	s_movk_i32 s38, 0x108
	s_movk_i32 s39, 0x110
	s_movk_i32 s40, 0x118
	s_movk_i32 s41, 0x120
	s_movk_i32 s42, 0x128
	s_movk_i32 s43, 0x130
	s_movk_i32 s44, 0x138
	s_movk_i32 s45, 0x140
	s_movk_i32 s46, 0x148
	s_movk_i32 s47, 0x150
	s_movk_i32 s48, 0x158
	s_movk_i32 s49, 0x160
	s_movk_i32 s50, 0x168
	s_movk_i32 s51, 0x170
	s_movk_i32 s52, 0x178
	s_movk_i32 s53, 0x180
	s_movk_i32 s54, 0x188
	s_movk_i32 s55, 0x190
	s_movk_i32 s56, 0x198
	s_movk_i32 s57, 0x1a0
	s_movk_i32 s58, 0x1a8
	s_movk_i32 s59, 0x1b0
	s_movk_i32 s60, 0x1b8
	s_movk_i32 s61, 0x1c0
	s_movk_i32 s62, 0x1c8
	s_wait_loadcnt 0x0
	ds_store_b64 v1, v[124:125]
	s_wait_storecnt_dscnt 0x0
	s_barrier_signal -1
	s_barrier_wait -1
	s_wait_xcnt 0x0
	s_and_saveexec_b32 s2, s0
	s_cbranch_execz .LBB123_17
; %bb.11:
	s_and_b32 vcc_lo, exec_lo, s3
	s_cbranch_vccz .LBB123_14
; %bb.12:
	scratch_load_b64 v[124:125], v59, off
	ds_load_b64 v[126:127], v1
	s_wait_loadcnt_dscnt 0x0
	v_pk_mul_f32 v[128:129], v[126:127], v[124:125] op_sel:[1,1] op_sel_hi:[0,1]
	v_pk_mul_f32 v[130:131], v[126:127], v[124:125] op_sel_hi:[1,0]
	s_delay_alu instid0(VALU_DEP_2) | instskip(NEXT) | instid1(VALU_DEP_2)
	v_pk_fma_f32 v[124:125], v[126:127], v[124:125], v[128:129] op_sel_hi:[1,0,1]
	v_sub_f32_e32 v124, v130, v128
	s_cbranch_execz .LBB123_15
	s_branch .LBB123_16
.LBB123_13:
	s_mov_b32 s1, 0
                                        ; implicit-def: $vgpr180
                                        ; implicit-def: $sgpr5
	s_cbranch_execnz .LBB123_596
	s_branch .LBB123_1181
.LBB123_14:
                                        ; implicit-def: $vgpr125
.LBB123_15:
	ds_load_b64 v[124:125], v1
.LBB123_16:
	s_wait_dscnt 0x0
	v_dual_mov_b32 v126, 0 :: v_dual_mov_b32 v128, v125
	v_mov_b32_e32 v129, v124
	ds_load_b64 v[126:127], v126 offset:464
	s_wait_dscnt 0x0
	v_pk_mul_f32 v[128:129], v[128:129], v[126:127] op_sel:[0,1]
	s_delay_alu instid0(VALU_DEP_1) | instskip(SKIP_1) | instid1(VALU_DEP_2)
	v_pk_fma_f32 v[130:131], v[124:125], v[126:127], v[128:129] op_sel_hi:[1,0,1]
	v_pk_fma_f32 v[124:125], v[124:125], v[126:127], v[128:129] neg_lo:[0,0,1] neg_hi:[0,0,1]
	v_mov_b32_e32 v125, v131
	scratch_store_b64 off, v[124:125], off offset:464
.LBB123_17:
	s_wait_xcnt 0x0
	s_or_b32 exec_lo, exec_lo, s2
	scratch_load_b64 v[124:125], off, off offset:456
	s_mov_b32 s13, s1
	v_cmp_lt_u32_e64 s1, 57, v0
	s_or_b32 s4, 0, 8
	s_mov_b32 s5, 16
	s_mov_b32 s8, 24
	;; [unrolled: 1-line block ×7, first 2 shown]
	s_wait_loadcnt 0x0
	ds_store_b64 v1, v[124:125]
	s_wait_storecnt_dscnt 0x0
	s_barrier_signal -1
	s_barrier_wait -1
	s_wait_xcnt 0x0
	s_and_saveexec_b32 s63, s1
	s_cbranch_execz .LBB123_25
; %bb.18:
	s_and_not1_b32 vcc_lo, exec_lo, s3
	s_cbranch_vccnz .LBB123_20
; %bb.19:
	scratch_load_b64 v[124:125], v59, off
	ds_load_b64 v[126:127], v1
	s_wait_loadcnt_dscnt 0x0
	v_pk_mul_f32 v[128:129], v[126:127], v[124:125] op_sel:[1,1] op_sel_hi:[0,1]
	s_delay_alu instid0(VALU_DEP_1) | instskip(SKIP_1) | instid1(VALU_DEP_2)
	v_pk_fma_f32 v[130:131], v[126:127], v[124:125], v[128:129] op_sel_hi:[1,0,1]
	v_pk_fma_f32 v[124:125], v[126:127], v[124:125], v[128:129] neg_lo:[0,0,1] neg_hi:[0,0,1]
	v_mov_b32_e32 v125, v131
	s_cbranch_execz .LBB123_21
	s_branch .LBB123_22
.LBB123_20:
                                        ; implicit-def: $vgpr124_vgpr125
.LBB123_21:
	ds_load_b64 v[124:125], v1
.LBB123_22:
	s_and_saveexec_b32 s64, s0
	s_cbranch_execz .LBB123_24
; %bb.23:
	scratch_load_b64 v[126:127], off, off offset:464
	v_mov_b32_e32 v128, 0
	ds_load_b64 v[128:129], v128 offset:944
	s_wait_loadcnt_dscnt 0x0
	v_pk_mul_f32 v[130:131], v[128:129], v[126:127] op_sel:[1,1] op_sel_hi:[0,1]
	s_delay_alu instid0(VALU_DEP_1) | instskip(SKIP_1) | instid1(VALU_DEP_2)
	v_pk_fma_f32 v[132:133], v[128:129], v[126:127], v[130:131] op_sel_hi:[1,0,1]
	v_pk_fma_f32 v[126:127], v[128:129], v[126:127], v[130:131] neg_lo:[0,0,1] neg_hi:[0,0,1]
	v_mov_b32_e32 v127, v133
	s_delay_alu instid0(VALU_DEP_1)
	v_pk_add_f32 v[124:125], v[124:125], v[126:127]
.LBB123_24:
	s_or_b32 exec_lo, exec_lo, s64
	v_mov_b32_e32 v126, 0
	ds_load_b64 v[126:127], v126 offset:456
	s_wait_dscnt 0x0
	v_pk_mul_f32 v[128:129], v[124:125], v[126:127] op_sel:[1,1] op_sel_hi:[0,1]
	s_delay_alu instid0(VALU_DEP_1) | instskip(SKIP_1) | instid1(VALU_DEP_2)
	v_pk_fma_f32 v[130:131], v[124:125], v[126:127], v[128:129] op_sel_hi:[1,0,1]
	v_pk_fma_f32 v[124:125], v[124:125], v[126:127], v[128:129] neg_lo:[0,0,1] neg_hi:[0,0,1]
	v_mov_b32_e32 v125, v131
	scratch_store_b64 off, v[124:125], off offset:456
.LBB123_25:
	s_wait_xcnt 0x0
	s_or_b32 exec_lo, exec_lo, s63
	scratch_load_b64 v[124:125], off, off offset:448
	v_cmp_lt_u32_e64 s0, 56, v0
	s_wait_loadcnt 0x0
	ds_store_b64 v1, v[124:125]
	s_wait_storecnt_dscnt 0x0
	s_barrier_signal -1
	s_barrier_wait -1
	s_wait_xcnt 0x0
	s_and_saveexec_b32 s63, s0
	s_cbranch_execz .LBB123_35
; %bb.26:
	s_and_not1_b32 vcc_lo, exec_lo, s3
	s_cbranch_vccnz .LBB123_28
; %bb.27:
	scratch_load_b64 v[124:125], v59, off
	ds_load_b64 v[126:127], v1
	s_wait_loadcnt_dscnt 0x0
	v_pk_mul_f32 v[128:129], v[126:127], v[124:125] op_sel:[1,1] op_sel_hi:[0,1]
	s_delay_alu instid0(VALU_DEP_1) | instskip(SKIP_1) | instid1(VALU_DEP_2)
	v_pk_fma_f32 v[130:131], v[126:127], v[124:125], v[128:129] op_sel_hi:[1,0,1]
	v_pk_fma_f32 v[124:125], v[126:127], v[124:125], v[128:129] neg_lo:[0,0,1] neg_hi:[0,0,1]
	v_mov_b32_e32 v125, v131
	s_cbranch_execz .LBB123_29
	s_branch .LBB123_30
.LBB123_28:
                                        ; implicit-def: $vgpr124_vgpr125
.LBB123_29:
	ds_load_b64 v[124:125], v1
.LBB123_30:
	s_and_saveexec_b32 s64, s1
	s_cbranch_execz .LBB123_34
; %bb.31:
	v_subrev_nc_u32_e32 v126, 57, v0
	s_movk_i32 s65, 0x3a8
	s_mov_b32 s1, 0
.LBB123_32:                             ; =>This Inner Loop Header: Depth=1
	scratch_load_b64 v[128:129], off, s62
	v_dual_mov_b32 v127, s65 :: v_dual_add_nc_u32 v126, -1, v126
	s_add_co_i32 s65, s65, 8
	s_wait_xcnt 0x0
	s_add_co_i32 s62, s62, 8
	ds_load_b64 v[130:131], v127
	v_cmp_eq_u32_e32 vcc_lo, 0, v126
	s_or_b32 s1, vcc_lo, s1
	s_wait_loadcnt_dscnt 0x0
	v_pk_mul_f32 v[132:133], v[130:131], v[128:129] op_sel:[1,1] op_sel_hi:[0,1]
	s_delay_alu instid0(VALU_DEP_1) | instskip(SKIP_1) | instid1(VALU_DEP_2)
	v_pk_fma_f32 v[134:135], v[130:131], v[128:129], v[132:133] op_sel_hi:[1,0,1]
	v_pk_fma_f32 v[128:129], v[130:131], v[128:129], v[132:133] neg_lo:[0,0,1] neg_hi:[0,0,1]
	v_mov_b32_e32 v129, v135
	s_delay_alu instid0(VALU_DEP_1)
	v_pk_add_f32 v[124:125], v[124:125], v[128:129]
	s_and_not1_b32 exec_lo, exec_lo, s1
	s_cbranch_execnz .LBB123_32
; %bb.33:
	s_or_b32 exec_lo, exec_lo, s1
.LBB123_34:
	s_delay_alu instid0(SALU_CYCLE_1) | instskip(SKIP_4) | instid1(VALU_DEP_1)
	s_or_b32 exec_lo, exec_lo, s64
	v_mov_b32_e32 v126, 0
	ds_load_b64 v[126:127], v126 offset:448
	s_wait_dscnt 0x0
	v_pk_mul_f32 v[128:129], v[124:125], v[126:127] op_sel:[1,1] op_sel_hi:[0,1]
	v_pk_fma_f32 v[130:131], v[124:125], v[126:127], v[128:129] op_sel_hi:[1,0,1]
	v_pk_fma_f32 v[124:125], v[124:125], v[126:127], v[128:129] neg_lo:[0,0,1] neg_hi:[0,0,1]
	s_delay_alu instid0(VALU_DEP_2)
	v_mov_b32_e32 v125, v131
	scratch_store_b64 off, v[124:125], off offset:448
.LBB123_35:
	s_wait_xcnt 0x0
	s_or_b32 exec_lo, exec_lo, s63
	scratch_load_b64 v[124:125], off, off offset:440
	v_cmp_lt_u32_e64 s1, 55, v0
	s_wait_loadcnt 0x0
	ds_store_b64 v1, v[124:125]
	s_wait_storecnt_dscnt 0x0
	s_barrier_signal -1
	s_barrier_wait -1
	s_wait_xcnt 0x0
	s_and_saveexec_b32 s62, s1
	s_cbranch_execz .LBB123_45
; %bb.36:
	s_and_not1_b32 vcc_lo, exec_lo, s3
	s_cbranch_vccnz .LBB123_38
; %bb.37:
	scratch_load_b64 v[124:125], v59, off
	ds_load_b64 v[126:127], v1
	s_wait_loadcnt_dscnt 0x0
	v_pk_mul_f32 v[128:129], v[126:127], v[124:125] op_sel:[1,1] op_sel_hi:[0,1]
	s_delay_alu instid0(VALU_DEP_1) | instskip(SKIP_1) | instid1(VALU_DEP_2)
	v_pk_fma_f32 v[130:131], v[126:127], v[124:125], v[128:129] op_sel_hi:[1,0,1]
	v_pk_fma_f32 v[124:125], v[126:127], v[124:125], v[128:129] neg_lo:[0,0,1] neg_hi:[0,0,1]
	v_mov_b32_e32 v125, v131
	s_cbranch_execz .LBB123_39
	s_branch .LBB123_40
.LBB123_38:
                                        ; implicit-def: $vgpr124_vgpr125
.LBB123_39:
	ds_load_b64 v[124:125], v1
.LBB123_40:
	s_and_saveexec_b32 s63, s0
	s_cbranch_execz .LBB123_44
; %bb.41:
	v_subrev_nc_u32_e32 v126, 56, v0
	s_movk_i32 s64, 0x3a0
	s_mov_b32 s0, 0
.LBB123_42:                             ; =>This Inner Loop Header: Depth=1
	scratch_load_b64 v[128:129], off, s61
	v_dual_mov_b32 v127, s64 :: v_dual_add_nc_u32 v126, -1, v126
	s_add_co_i32 s64, s64, 8
	s_wait_xcnt 0x0
	s_add_co_i32 s61, s61, 8
	ds_load_b64 v[130:131], v127
	v_cmp_eq_u32_e32 vcc_lo, 0, v126
	s_or_b32 s0, vcc_lo, s0
	s_wait_loadcnt_dscnt 0x0
	v_pk_mul_f32 v[132:133], v[130:131], v[128:129] op_sel:[1,1] op_sel_hi:[0,1]
	s_delay_alu instid0(VALU_DEP_1) | instskip(SKIP_1) | instid1(VALU_DEP_2)
	v_pk_fma_f32 v[134:135], v[130:131], v[128:129], v[132:133] op_sel_hi:[1,0,1]
	v_pk_fma_f32 v[128:129], v[130:131], v[128:129], v[132:133] neg_lo:[0,0,1] neg_hi:[0,0,1]
	v_mov_b32_e32 v129, v135
	s_delay_alu instid0(VALU_DEP_1)
	v_pk_add_f32 v[124:125], v[124:125], v[128:129]
	s_and_not1_b32 exec_lo, exec_lo, s0
	s_cbranch_execnz .LBB123_42
; %bb.43:
	s_or_b32 exec_lo, exec_lo, s0
.LBB123_44:
	s_delay_alu instid0(SALU_CYCLE_1) | instskip(SKIP_4) | instid1(VALU_DEP_1)
	s_or_b32 exec_lo, exec_lo, s63
	v_mov_b32_e32 v126, 0
	ds_load_b64 v[126:127], v126 offset:440
	s_wait_dscnt 0x0
	v_pk_mul_f32 v[128:129], v[124:125], v[126:127] op_sel:[1,1] op_sel_hi:[0,1]
	v_pk_fma_f32 v[130:131], v[124:125], v[126:127], v[128:129] op_sel_hi:[1,0,1]
	v_pk_fma_f32 v[124:125], v[124:125], v[126:127], v[128:129] neg_lo:[0,0,1] neg_hi:[0,0,1]
	s_delay_alu instid0(VALU_DEP_2)
	v_mov_b32_e32 v125, v131
	scratch_store_b64 off, v[124:125], off offset:440
.LBB123_45:
	s_wait_xcnt 0x0
	s_or_b32 exec_lo, exec_lo, s62
	scratch_load_b64 v[124:125], off, off offset:432
	v_cmp_lt_u32_e64 s0, 54, v0
	s_wait_loadcnt 0x0
	ds_store_b64 v1, v[124:125]
	s_wait_storecnt_dscnt 0x0
	s_barrier_signal -1
	s_barrier_wait -1
	s_wait_xcnt 0x0
	s_and_saveexec_b32 s61, s0
	s_cbranch_execz .LBB123_55
; %bb.46:
	s_and_not1_b32 vcc_lo, exec_lo, s3
	s_cbranch_vccnz .LBB123_48
; %bb.47:
	scratch_load_b64 v[124:125], v59, off
	ds_load_b64 v[126:127], v1
	s_wait_loadcnt_dscnt 0x0
	v_pk_mul_f32 v[128:129], v[126:127], v[124:125] op_sel:[1,1] op_sel_hi:[0,1]
	s_delay_alu instid0(VALU_DEP_1) | instskip(SKIP_1) | instid1(VALU_DEP_2)
	v_pk_fma_f32 v[130:131], v[126:127], v[124:125], v[128:129] op_sel_hi:[1,0,1]
	v_pk_fma_f32 v[124:125], v[126:127], v[124:125], v[128:129] neg_lo:[0,0,1] neg_hi:[0,0,1]
	v_mov_b32_e32 v125, v131
	s_cbranch_execz .LBB123_49
	s_branch .LBB123_50
.LBB123_48:
                                        ; implicit-def: $vgpr124_vgpr125
.LBB123_49:
	ds_load_b64 v[124:125], v1
.LBB123_50:
	s_and_saveexec_b32 s62, s1
	s_cbranch_execz .LBB123_54
; %bb.51:
	v_subrev_nc_u32_e32 v126, 55, v0
	s_movk_i32 s63, 0x398
	s_mov_b32 s1, 0
.LBB123_52:                             ; =>This Inner Loop Header: Depth=1
	scratch_load_b64 v[128:129], off, s60
	v_dual_mov_b32 v127, s63 :: v_dual_add_nc_u32 v126, -1, v126
	s_add_co_i32 s63, s63, 8
	s_wait_xcnt 0x0
	s_add_co_i32 s60, s60, 8
	ds_load_b64 v[130:131], v127
	v_cmp_eq_u32_e32 vcc_lo, 0, v126
	s_or_b32 s1, vcc_lo, s1
	s_wait_loadcnt_dscnt 0x0
	v_pk_mul_f32 v[132:133], v[130:131], v[128:129] op_sel:[1,1] op_sel_hi:[0,1]
	s_delay_alu instid0(VALU_DEP_1) | instskip(SKIP_1) | instid1(VALU_DEP_2)
	v_pk_fma_f32 v[134:135], v[130:131], v[128:129], v[132:133] op_sel_hi:[1,0,1]
	v_pk_fma_f32 v[128:129], v[130:131], v[128:129], v[132:133] neg_lo:[0,0,1] neg_hi:[0,0,1]
	v_mov_b32_e32 v129, v135
	s_delay_alu instid0(VALU_DEP_1)
	v_pk_add_f32 v[124:125], v[124:125], v[128:129]
	s_and_not1_b32 exec_lo, exec_lo, s1
	s_cbranch_execnz .LBB123_52
; %bb.53:
	s_or_b32 exec_lo, exec_lo, s1
.LBB123_54:
	s_delay_alu instid0(SALU_CYCLE_1) | instskip(SKIP_4) | instid1(VALU_DEP_1)
	s_or_b32 exec_lo, exec_lo, s62
	v_mov_b32_e32 v126, 0
	ds_load_b64 v[126:127], v126 offset:432
	s_wait_dscnt 0x0
	v_pk_mul_f32 v[128:129], v[124:125], v[126:127] op_sel:[1,1] op_sel_hi:[0,1]
	v_pk_fma_f32 v[130:131], v[124:125], v[126:127], v[128:129] op_sel_hi:[1,0,1]
	v_pk_fma_f32 v[124:125], v[124:125], v[126:127], v[128:129] neg_lo:[0,0,1] neg_hi:[0,0,1]
	s_delay_alu instid0(VALU_DEP_2)
	v_mov_b32_e32 v125, v131
	scratch_store_b64 off, v[124:125], off offset:432
.LBB123_55:
	s_wait_xcnt 0x0
	s_or_b32 exec_lo, exec_lo, s61
	scratch_load_b64 v[124:125], off, off offset:424
	v_cmp_lt_u32_e64 s1, 53, v0
	s_wait_loadcnt 0x0
	ds_store_b64 v1, v[124:125]
	s_wait_storecnt_dscnt 0x0
	s_barrier_signal -1
	s_barrier_wait -1
	s_wait_xcnt 0x0
	s_and_saveexec_b32 s60, s1
	s_cbranch_execz .LBB123_65
; %bb.56:
	s_and_not1_b32 vcc_lo, exec_lo, s3
	s_cbranch_vccnz .LBB123_58
; %bb.57:
	scratch_load_b64 v[124:125], v59, off
	ds_load_b64 v[126:127], v1
	s_wait_loadcnt_dscnt 0x0
	v_pk_mul_f32 v[128:129], v[126:127], v[124:125] op_sel:[1,1] op_sel_hi:[0,1]
	s_delay_alu instid0(VALU_DEP_1) | instskip(SKIP_1) | instid1(VALU_DEP_2)
	v_pk_fma_f32 v[130:131], v[126:127], v[124:125], v[128:129] op_sel_hi:[1,0,1]
	v_pk_fma_f32 v[124:125], v[126:127], v[124:125], v[128:129] neg_lo:[0,0,1] neg_hi:[0,0,1]
	v_mov_b32_e32 v125, v131
	s_cbranch_execz .LBB123_59
	s_branch .LBB123_60
.LBB123_58:
                                        ; implicit-def: $vgpr124_vgpr125
.LBB123_59:
	ds_load_b64 v[124:125], v1
.LBB123_60:
	s_and_saveexec_b32 s61, s0
	s_cbranch_execz .LBB123_64
; %bb.61:
	v_subrev_nc_u32_e32 v126, 54, v0
	s_movk_i32 s62, 0x390
	s_mov_b32 s0, 0
.LBB123_62:                             ; =>This Inner Loop Header: Depth=1
	scratch_load_b64 v[128:129], off, s59
	v_dual_mov_b32 v127, s62 :: v_dual_add_nc_u32 v126, -1, v126
	s_add_co_i32 s62, s62, 8
	s_wait_xcnt 0x0
	s_add_co_i32 s59, s59, 8
	ds_load_b64 v[130:131], v127
	v_cmp_eq_u32_e32 vcc_lo, 0, v126
	s_or_b32 s0, vcc_lo, s0
	s_wait_loadcnt_dscnt 0x0
	v_pk_mul_f32 v[132:133], v[130:131], v[128:129] op_sel:[1,1] op_sel_hi:[0,1]
	s_delay_alu instid0(VALU_DEP_1) | instskip(SKIP_1) | instid1(VALU_DEP_2)
	v_pk_fma_f32 v[134:135], v[130:131], v[128:129], v[132:133] op_sel_hi:[1,0,1]
	v_pk_fma_f32 v[128:129], v[130:131], v[128:129], v[132:133] neg_lo:[0,0,1] neg_hi:[0,0,1]
	v_mov_b32_e32 v129, v135
	s_delay_alu instid0(VALU_DEP_1)
	v_pk_add_f32 v[124:125], v[124:125], v[128:129]
	s_and_not1_b32 exec_lo, exec_lo, s0
	s_cbranch_execnz .LBB123_62
; %bb.63:
	s_or_b32 exec_lo, exec_lo, s0
.LBB123_64:
	s_delay_alu instid0(SALU_CYCLE_1) | instskip(SKIP_4) | instid1(VALU_DEP_1)
	s_or_b32 exec_lo, exec_lo, s61
	v_mov_b32_e32 v126, 0
	ds_load_b64 v[126:127], v126 offset:424
	s_wait_dscnt 0x0
	v_pk_mul_f32 v[128:129], v[124:125], v[126:127] op_sel:[1,1] op_sel_hi:[0,1]
	v_pk_fma_f32 v[130:131], v[124:125], v[126:127], v[128:129] op_sel_hi:[1,0,1]
	v_pk_fma_f32 v[124:125], v[124:125], v[126:127], v[128:129] neg_lo:[0,0,1] neg_hi:[0,0,1]
	s_delay_alu instid0(VALU_DEP_2)
	v_mov_b32_e32 v125, v131
	scratch_store_b64 off, v[124:125], off offset:424
.LBB123_65:
	s_wait_xcnt 0x0
	s_or_b32 exec_lo, exec_lo, s60
	scratch_load_b64 v[124:125], off, off offset:416
	v_cmp_lt_u32_e64 s0, 52, v0
	s_wait_loadcnt 0x0
	ds_store_b64 v1, v[124:125]
	s_wait_storecnt_dscnt 0x0
	s_barrier_signal -1
	s_barrier_wait -1
	s_wait_xcnt 0x0
	s_and_saveexec_b32 s59, s0
	s_cbranch_execz .LBB123_75
; %bb.66:
	s_and_not1_b32 vcc_lo, exec_lo, s3
	s_cbranch_vccnz .LBB123_68
; %bb.67:
	scratch_load_b64 v[124:125], v59, off
	ds_load_b64 v[126:127], v1
	s_wait_loadcnt_dscnt 0x0
	v_pk_mul_f32 v[128:129], v[126:127], v[124:125] op_sel:[1,1] op_sel_hi:[0,1]
	s_delay_alu instid0(VALU_DEP_1) | instskip(SKIP_1) | instid1(VALU_DEP_2)
	v_pk_fma_f32 v[130:131], v[126:127], v[124:125], v[128:129] op_sel_hi:[1,0,1]
	v_pk_fma_f32 v[124:125], v[126:127], v[124:125], v[128:129] neg_lo:[0,0,1] neg_hi:[0,0,1]
	v_mov_b32_e32 v125, v131
	s_cbranch_execz .LBB123_69
	s_branch .LBB123_70
.LBB123_68:
                                        ; implicit-def: $vgpr124_vgpr125
.LBB123_69:
	ds_load_b64 v[124:125], v1
.LBB123_70:
	s_and_saveexec_b32 s60, s1
	s_cbranch_execz .LBB123_74
; %bb.71:
	v_subrev_nc_u32_e32 v126, 53, v0
	s_movk_i32 s61, 0x388
	s_mov_b32 s1, 0
.LBB123_72:                             ; =>This Inner Loop Header: Depth=1
	scratch_load_b64 v[128:129], off, s58
	v_dual_mov_b32 v127, s61 :: v_dual_add_nc_u32 v126, -1, v126
	s_add_co_i32 s61, s61, 8
	s_wait_xcnt 0x0
	s_add_co_i32 s58, s58, 8
	ds_load_b64 v[130:131], v127
	v_cmp_eq_u32_e32 vcc_lo, 0, v126
	s_or_b32 s1, vcc_lo, s1
	s_wait_loadcnt_dscnt 0x0
	v_pk_mul_f32 v[132:133], v[130:131], v[128:129] op_sel:[1,1] op_sel_hi:[0,1]
	s_delay_alu instid0(VALU_DEP_1) | instskip(SKIP_1) | instid1(VALU_DEP_2)
	v_pk_fma_f32 v[134:135], v[130:131], v[128:129], v[132:133] op_sel_hi:[1,0,1]
	v_pk_fma_f32 v[128:129], v[130:131], v[128:129], v[132:133] neg_lo:[0,0,1] neg_hi:[0,0,1]
	v_mov_b32_e32 v129, v135
	s_delay_alu instid0(VALU_DEP_1)
	v_pk_add_f32 v[124:125], v[124:125], v[128:129]
	s_and_not1_b32 exec_lo, exec_lo, s1
	s_cbranch_execnz .LBB123_72
; %bb.73:
	s_or_b32 exec_lo, exec_lo, s1
.LBB123_74:
	s_delay_alu instid0(SALU_CYCLE_1) | instskip(SKIP_4) | instid1(VALU_DEP_1)
	s_or_b32 exec_lo, exec_lo, s60
	v_mov_b32_e32 v126, 0
	ds_load_b64 v[126:127], v126 offset:416
	s_wait_dscnt 0x0
	v_pk_mul_f32 v[128:129], v[124:125], v[126:127] op_sel:[1,1] op_sel_hi:[0,1]
	v_pk_fma_f32 v[130:131], v[124:125], v[126:127], v[128:129] op_sel_hi:[1,0,1]
	v_pk_fma_f32 v[124:125], v[124:125], v[126:127], v[128:129] neg_lo:[0,0,1] neg_hi:[0,0,1]
	s_delay_alu instid0(VALU_DEP_2)
	v_mov_b32_e32 v125, v131
	scratch_store_b64 off, v[124:125], off offset:416
.LBB123_75:
	s_wait_xcnt 0x0
	s_or_b32 exec_lo, exec_lo, s59
	scratch_load_b64 v[124:125], off, off offset:408
	v_cmp_lt_u32_e64 s1, 51, v0
	s_wait_loadcnt 0x0
	ds_store_b64 v1, v[124:125]
	s_wait_storecnt_dscnt 0x0
	s_barrier_signal -1
	s_barrier_wait -1
	s_wait_xcnt 0x0
	s_and_saveexec_b32 s58, s1
	s_cbranch_execz .LBB123_85
; %bb.76:
	s_and_not1_b32 vcc_lo, exec_lo, s3
	s_cbranch_vccnz .LBB123_78
; %bb.77:
	scratch_load_b64 v[124:125], v59, off
	ds_load_b64 v[126:127], v1
	s_wait_loadcnt_dscnt 0x0
	v_pk_mul_f32 v[128:129], v[126:127], v[124:125] op_sel:[1,1] op_sel_hi:[0,1]
	s_delay_alu instid0(VALU_DEP_1) | instskip(SKIP_1) | instid1(VALU_DEP_2)
	v_pk_fma_f32 v[130:131], v[126:127], v[124:125], v[128:129] op_sel_hi:[1,0,1]
	v_pk_fma_f32 v[124:125], v[126:127], v[124:125], v[128:129] neg_lo:[0,0,1] neg_hi:[0,0,1]
	v_mov_b32_e32 v125, v131
	s_cbranch_execz .LBB123_79
	s_branch .LBB123_80
.LBB123_78:
                                        ; implicit-def: $vgpr124_vgpr125
.LBB123_79:
	ds_load_b64 v[124:125], v1
.LBB123_80:
	s_and_saveexec_b32 s59, s0
	s_cbranch_execz .LBB123_84
; %bb.81:
	v_subrev_nc_u32_e32 v126, 52, v0
	s_movk_i32 s60, 0x380
	s_mov_b32 s0, 0
.LBB123_82:                             ; =>This Inner Loop Header: Depth=1
	scratch_load_b64 v[128:129], off, s57
	v_dual_mov_b32 v127, s60 :: v_dual_add_nc_u32 v126, -1, v126
	s_add_co_i32 s60, s60, 8
	s_wait_xcnt 0x0
	s_add_co_i32 s57, s57, 8
	ds_load_b64 v[130:131], v127
	v_cmp_eq_u32_e32 vcc_lo, 0, v126
	s_or_b32 s0, vcc_lo, s0
	s_wait_loadcnt_dscnt 0x0
	v_pk_mul_f32 v[132:133], v[130:131], v[128:129] op_sel:[1,1] op_sel_hi:[0,1]
	s_delay_alu instid0(VALU_DEP_1) | instskip(SKIP_1) | instid1(VALU_DEP_2)
	v_pk_fma_f32 v[134:135], v[130:131], v[128:129], v[132:133] op_sel_hi:[1,0,1]
	v_pk_fma_f32 v[128:129], v[130:131], v[128:129], v[132:133] neg_lo:[0,0,1] neg_hi:[0,0,1]
	v_mov_b32_e32 v129, v135
	s_delay_alu instid0(VALU_DEP_1)
	v_pk_add_f32 v[124:125], v[124:125], v[128:129]
	s_and_not1_b32 exec_lo, exec_lo, s0
	s_cbranch_execnz .LBB123_82
; %bb.83:
	s_or_b32 exec_lo, exec_lo, s0
.LBB123_84:
	s_delay_alu instid0(SALU_CYCLE_1) | instskip(SKIP_4) | instid1(VALU_DEP_1)
	s_or_b32 exec_lo, exec_lo, s59
	v_mov_b32_e32 v126, 0
	ds_load_b64 v[126:127], v126 offset:408
	s_wait_dscnt 0x0
	v_pk_mul_f32 v[128:129], v[124:125], v[126:127] op_sel:[1,1] op_sel_hi:[0,1]
	v_pk_fma_f32 v[130:131], v[124:125], v[126:127], v[128:129] op_sel_hi:[1,0,1]
	v_pk_fma_f32 v[124:125], v[124:125], v[126:127], v[128:129] neg_lo:[0,0,1] neg_hi:[0,0,1]
	s_delay_alu instid0(VALU_DEP_2)
	v_mov_b32_e32 v125, v131
	scratch_store_b64 off, v[124:125], off offset:408
.LBB123_85:
	s_wait_xcnt 0x0
	s_or_b32 exec_lo, exec_lo, s58
	scratch_load_b64 v[124:125], off, off offset:400
	v_cmp_lt_u32_e64 s0, 50, v0
	s_wait_loadcnt 0x0
	ds_store_b64 v1, v[124:125]
	s_wait_storecnt_dscnt 0x0
	s_barrier_signal -1
	s_barrier_wait -1
	s_wait_xcnt 0x0
	s_and_saveexec_b32 s57, s0
	s_cbranch_execz .LBB123_95
; %bb.86:
	s_and_not1_b32 vcc_lo, exec_lo, s3
	s_cbranch_vccnz .LBB123_88
; %bb.87:
	scratch_load_b64 v[124:125], v59, off
	ds_load_b64 v[126:127], v1
	s_wait_loadcnt_dscnt 0x0
	v_pk_mul_f32 v[128:129], v[126:127], v[124:125] op_sel:[1,1] op_sel_hi:[0,1]
	s_delay_alu instid0(VALU_DEP_1) | instskip(SKIP_1) | instid1(VALU_DEP_2)
	v_pk_fma_f32 v[130:131], v[126:127], v[124:125], v[128:129] op_sel_hi:[1,0,1]
	v_pk_fma_f32 v[124:125], v[126:127], v[124:125], v[128:129] neg_lo:[0,0,1] neg_hi:[0,0,1]
	v_mov_b32_e32 v125, v131
	s_cbranch_execz .LBB123_89
	s_branch .LBB123_90
.LBB123_88:
                                        ; implicit-def: $vgpr124_vgpr125
.LBB123_89:
	ds_load_b64 v[124:125], v1
.LBB123_90:
	s_and_saveexec_b32 s58, s1
	s_cbranch_execz .LBB123_94
; %bb.91:
	v_subrev_nc_u32_e32 v126, 51, v0
	s_movk_i32 s59, 0x378
	s_mov_b32 s1, 0
.LBB123_92:                             ; =>This Inner Loop Header: Depth=1
	scratch_load_b64 v[128:129], off, s56
	v_dual_mov_b32 v127, s59 :: v_dual_add_nc_u32 v126, -1, v126
	s_add_co_i32 s59, s59, 8
	s_wait_xcnt 0x0
	s_add_co_i32 s56, s56, 8
	ds_load_b64 v[130:131], v127
	v_cmp_eq_u32_e32 vcc_lo, 0, v126
	s_or_b32 s1, vcc_lo, s1
	s_wait_loadcnt_dscnt 0x0
	v_pk_mul_f32 v[132:133], v[130:131], v[128:129] op_sel:[1,1] op_sel_hi:[0,1]
	s_delay_alu instid0(VALU_DEP_1) | instskip(SKIP_1) | instid1(VALU_DEP_2)
	v_pk_fma_f32 v[134:135], v[130:131], v[128:129], v[132:133] op_sel_hi:[1,0,1]
	v_pk_fma_f32 v[128:129], v[130:131], v[128:129], v[132:133] neg_lo:[0,0,1] neg_hi:[0,0,1]
	v_mov_b32_e32 v129, v135
	s_delay_alu instid0(VALU_DEP_1)
	v_pk_add_f32 v[124:125], v[124:125], v[128:129]
	s_and_not1_b32 exec_lo, exec_lo, s1
	s_cbranch_execnz .LBB123_92
; %bb.93:
	s_or_b32 exec_lo, exec_lo, s1
.LBB123_94:
	s_delay_alu instid0(SALU_CYCLE_1) | instskip(SKIP_4) | instid1(VALU_DEP_1)
	s_or_b32 exec_lo, exec_lo, s58
	v_mov_b32_e32 v126, 0
	ds_load_b64 v[126:127], v126 offset:400
	s_wait_dscnt 0x0
	v_pk_mul_f32 v[128:129], v[124:125], v[126:127] op_sel:[1,1] op_sel_hi:[0,1]
	v_pk_fma_f32 v[130:131], v[124:125], v[126:127], v[128:129] op_sel_hi:[1,0,1]
	v_pk_fma_f32 v[124:125], v[124:125], v[126:127], v[128:129] neg_lo:[0,0,1] neg_hi:[0,0,1]
	s_delay_alu instid0(VALU_DEP_2)
	v_mov_b32_e32 v125, v131
	scratch_store_b64 off, v[124:125], off offset:400
.LBB123_95:
	s_wait_xcnt 0x0
	s_or_b32 exec_lo, exec_lo, s57
	scratch_load_b64 v[124:125], off, off offset:392
	v_cmp_lt_u32_e64 s1, 49, v0
	s_wait_loadcnt 0x0
	ds_store_b64 v1, v[124:125]
	s_wait_storecnt_dscnt 0x0
	s_barrier_signal -1
	s_barrier_wait -1
	s_wait_xcnt 0x0
	s_and_saveexec_b32 s56, s1
	s_cbranch_execz .LBB123_105
; %bb.96:
	s_and_not1_b32 vcc_lo, exec_lo, s3
	s_cbranch_vccnz .LBB123_98
; %bb.97:
	scratch_load_b64 v[124:125], v59, off
	ds_load_b64 v[126:127], v1
	s_wait_loadcnt_dscnt 0x0
	v_pk_mul_f32 v[128:129], v[126:127], v[124:125] op_sel:[1,1] op_sel_hi:[0,1]
	s_delay_alu instid0(VALU_DEP_1) | instskip(SKIP_1) | instid1(VALU_DEP_2)
	v_pk_fma_f32 v[130:131], v[126:127], v[124:125], v[128:129] op_sel_hi:[1,0,1]
	v_pk_fma_f32 v[124:125], v[126:127], v[124:125], v[128:129] neg_lo:[0,0,1] neg_hi:[0,0,1]
	v_mov_b32_e32 v125, v131
	s_cbranch_execz .LBB123_99
	s_branch .LBB123_100
.LBB123_98:
                                        ; implicit-def: $vgpr124_vgpr125
.LBB123_99:
	ds_load_b64 v[124:125], v1
.LBB123_100:
	s_and_saveexec_b32 s57, s0
	s_cbranch_execz .LBB123_104
; %bb.101:
	v_subrev_nc_u32_e32 v126, 50, v0
	s_movk_i32 s58, 0x370
	s_mov_b32 s0, 0
.LBB123_102:                            ; =>This Inner Loop Header: Depth=1
	scratch_load_b64 v[128:129], off, s55
	v_dual_mov_b32 v127, s58 :: v_dual_add_nc_u32 v126, -1, v126
	s_add_co_i32 s58, s58, 8
	s_wait_xcnt 0x0
	s_add_co_i32 s55, s55, 8
	ds_load_b64 v[130:131], v127
	v_cmp_eq_u32_e32 vcc_lo, 0, v126
	s_or_b32 s0, vcc_lo, s0
	s_wait_loadcnt_dscnt 0x0
	v_pk_mul_f32 v[132:133], v[130:131], v[128:129] op_sel:[1,1] op_sel_hi:[0,1]
	s_delay_alu instid0(VALU_DEP_1) | instskip(SKIP_1) | instid1(VALU_DEP_2)
	v_pk_fma_f32 v[134:135], v[130:131], v[128:129], v[132:133] op_sel_hi:[1,0,1]
	v_pk_fma_f32 v[128:129], v[130:131], v[128:129], v[132:133] neg_lo:[0,0,1] neg_hi:[0,0,1]
	v_mov_b32_e32 v129, v135
	s_delay_alu instid0(VALU_DEP_1)
	v_pk_add_f32 v[124:125], v[124:125], v[128:129]
	s_and_not1_b32 exec_lo, exec_lo, s0
	s_cbranch_execnz .LBB123_102
; %bb.103:
	s_or_b32 exec_lo, exec_lo, s0
.LBB123_104:
	s_delay_alu instid0(SALU_CYCLE_1) | instskip(SKIP_4) | instid1(VALU_DEP_1)
	s_or_b32 exec_lo, exec_lo, s57
	v_mov_b32_e32 v126, 0
	ds_load_b64 v[126:127], v126 offset:392
	s_wait_dscnt 0x0
	v_pk_mul_f32 v[128:129], v[124:125], v[126:127] op_sel:[1,1] op_sel_hi:[0,1]
	v_pk_fma_f32 v[130:131], v[124:125], v[126:127], v[128:129] op_sel_hi:[1,0,1]
	v_pk_fma_f32 v[124:125], v[124:125], v[126:127], v[128:129] neg_lo:[0,0,1] neg_hi:[0,0,1]
	s_delay_alu instid0(VALU_DEP_2)
	v_mov_b32_e32 v125, v131
	scratch_store_b64 off, v[124:125], off offset:392
.LBB123_105:
	s_wait_xcnt 0x0
	s_or_b32 exec_lo, exec_lo, s56
	scratch_load_b64 v[124:125], off, off offset:384
	v_cmp_lt_u32_e64 s0, 48, v0
	s_wait_loadcnt 0x0
	ds_store_b64 v1, v[124:125]
	s_wait_storecnt_dscnt 0x0
	s_barrier_signal -1
	s_barrier_wait -1
	s_wait_xcnt 0x0
	s_and_saveexec_b32 s55, s0
	s_cbranch_execz .LBB123_115
; %bb.106:
	s_and_not1_b32 vcc_lo, exec_lo, s3
	s_cbranch_vccnz .LBB123_108
; %bb.107:
	scratch_load_b64 v[124:125], v59, off
	ds_load_b64 v[126:127], v1
	s_wait_loadcnt_dscnt 0x0
	v_pk_mul_f32 v[128:129], v[126:127], v[124:125] op_sel:[1,1] op_sel_hi:[0,1]
	s_delay_alu instid0(VALU_DEP_1) | instskip(SKIP_1) | instid1(VALU_DEP_2)
	v_pk_fma_f32 v[130:131], v[126:127], v[124:125], v[128:129] op_sel_hi:[1,0,1]
	v_pk_fma_f32 v[124:125], v[126:127], v[124:125], v[128:129] neg_lo:[0,0,1] neg_hi:[0,0,1]
	v_mov_b32_e32 v125, v131
	s_cbranch_execz .LBB123_109
	s_branch .LBB123_110
.LBB123_108:
                                        ; implicit-def: $vgpr124_vgpr125
.LBB123_109:
	ds_load_b64 v[124:125], v1
.LBB123_110:
	s_and_saveexec_b32 s56, s1
	s_cbranch_execz .LBB123_114
; %bb.111:
	v_subrev_nc_u32_e32 v126, 49, v0
	s_movk_i32 s57, 0x368
	s_mov_b32 s1, 0
.LBB123_112:                            ; =>This Inner Loop Header: Depth=1
	scratch_load_b64 v[128:129], off, s54
	v_dual_mov_b32 v127, s57 :: v_dual_add_nc_u32 v126, -1, v126
	s_add_co_i32 s57, s57, 8
	s_wait_xcnt 0x0
	s_add_co_i32 s54, s54, 8
	ds_load_b64 v[130:131], v127
	v_cmp_eq_u32_e32 vcc_lo, 0, v126
	s_or_b32 s1, vcc_lo, s1
	s_wait_loadcnt_dscnt 0x0
	v_pk_mul_f32 v[132:133], v[130:131], v[128:129] op_sel:[1,1] op_sel_hi:[0,1]
	s_delay_alu instid0(VALU_DEP_1) | instskip(SKIP_1) | instid1(VALU_DEP_2)
	v_pk_fma_f32 v[134:135], v[130:131], v[128:129], v[132:133] op_sel_hi:[1,0,1]
	v_pk_fma_f32 v[128:129], v[130:131], v[128:129], v[132:133] neg_lo:[0,0,1] neg_hi:[0,0,1]
	v_mov_b32_e32 v129, v135
	s_delay_alu instid0(VALU_DEP_1)
	v_pk_add_f32 v[124:125], v[124:125], v[128:129]
	s_and_not1_b32 exec_lo, exec_lo, s1
	s_cbranch_execnz .LBB123_112
; %bb.113:
	s_or_b32 exec_lo, exec_lo, s1
.LBB123_114:
	s_delay_alu instid0(SALU_CYCLE_1) | instskip(SKIP_4) | instid1(VALU_DEP_1)
	s_or_b32 exec_lo, exec_lo, s56
	v_mov_b32_e32 v126, 0
	ds_load_b64 v[126:127], v126 offset:384
	s_wait_dscnt 0x0
	v_pk_mul_f32 v[128:129], v[124:125], v[126:127] op_sel:[1,1] op_sel_hi:[0,1]
	v_pk_fma_f32 v[130:131], v[124:125], v[126:127], v[128:129] op_sel_hi:[1,0,1]
	v_pk_fma_f32 v[124:125], v[124:125], v[126:127], v[128:129] neg_lo:[0,0,1] neg_hi:[0,0,1]
	s_delay_alu instid0(VALU_DEP_2)
	v_mov_b32_e32 v125, v131
	scratch_store_b64 off, v[124:125], off offset:384
.LBB123_115:
	s_wait_xcnt 0x0
	s_or_b32 exec_lo, exec_lo, s55
	scratch_load_b64 v[124:125], off, off offset:376
	v_cmp_lt_u32_e64 s1, 47, v0
	s_wait_loadcnt 0x0
	ds_store_b64 v1, v[124:125]
	s_wait_storecnt_dscnt 0x0
	s_barrier_signal -1
	s_barrier_wait -1
	s_wait_xcnt 0x0
	s_and_saveexec_b32 s54, s1
	s_cbranch_execz .LBB123_125
; %bb.116:
	s_and_not1_b32 vcc_lo, exec_lo, s3
	s_cbranch_vccnz .LBB123_118
; %bb.117:
	scratch_load_b64 v[124:125], v59, off
	ds_load_b64 v[126:127], v1
	s_wait_loadcnt_dscnt 0x0
	v_pk_mul_f32 v[128:129], v[126:127], v[124:125] op_sel:[1,1] op_sel_hi:[0,1]
	s_delay_alu instid0(VALU_DEP_1) | instskip(SKIP_1) | instid1(VALU_DEP_2)
	v_pk_fma_f32 v[130:131], v[126:127], v[124:125], v[128:129] op_sel_hi:[1,0,1]
	v_pk_fma_f32 v[124:125], v[126:127], v[124:125], v[128:129] neg_lo:[0,0,1] neg_hi:[0,0,1]
	v_mov_b32_e32 v125, v131
	s_cbranch_execz .LBB123_119
	s_branch .LBB123_120
.LBB123_118:
                                        ; implicit-def: $vgpr124_vgpr125
.LBB123_119:
	ds_load_b64 v[124:125], v1
.LBB123_120:
	s_and_saveexec_b32 s55, s0
	s_cbranch_execz .LBB123_124
; %bb.121:
	v_subrev_nc_u32_e32 v126, 48, v0
	s_movk_i32 s56, 0x360
	s_mov_b32 s0, 0
.LBB123_122:                            ; =>This Inner Loop Header: Depth=1
	scratch_load_b64 v[128:129], off, s53
	v_dual_mov_b32 v127, s56 :: v_dual_add_nc_u32 v126, -1, v126
	s_add_co_i32 s56, s56, 8
	s_wait_xcnt 0x0
	s_add_co_i32 s53, s53, 8
	ds_load_b64 v[130:131], v127
	v_cmp_eq_u32_e32 vcc_lo, 0, v126
	s_or_b32 s0, vcc_lo, s0
	s_wait_loadcnt_dscnt 0x0
	v_pk_mul_f32 v[132:133], v[130:131], v[128:129] op_sel:[1,1] op_sel_hi:[0,1]
	s_delay_alu instid0(VALU_DEP_1) | instskip(SKIP_1) | instid1(VALU_DEP_2)
	v_pk_fma_f32 v[134:135], v[130:131], v[128:129], v[132:133] op_sel_hi:[1,0,1]
	v_pk_fma_f32 v[128:129], v[130:131], v[128:129], v[132:133] neg_lo:[0,0,1] neg_hi:[0,0,1]
	v_mov_b32_e32 v129, v135
	s_delay_alu instid0(VALU_DEP_1)
	v_pk_add_f32 v[124:125], v[124:125], v[128:129]
	s_and_not1_b32 exec_lo, exec_lo, s0
	s_cbranch_execnz .LBB123_122
; %bb.123:
	s_or_b32 exec_lo, exec_lo, s0
.LBB123_124:
	s_delay_alu instid0(SALU_CYCLE_1) | instskip(SKIP_4) | instid1(VALU_DEP_1)
	s_or_b32 exec_lo, exec_lo, s55
	v_mov_b32_e32 v126, 0
	ds_load_b64 v[126:127], v126 offset:376
	s_wait_dscnt 0x0
	v_pk_mul_f32 v[128:129], v[124:125], v[126:127] op_sel:[1,1] op_sel_hi:[0,1]
	v_pk_fma_f32 v[130:131], v[124:125], v[126:127], v[128:129] op_sel_hi:[1,0,1]
	v_pk_fma_f32 v[124:125], v[124:125], v[126:127], v[128:129] neg_lo:[0,0,1] neg_hi:[0,0,1]
	s_delay_alu instid0(VALU_DEP_2)
	v_mov_b32_e32 v125, v131
	scratch_store_b64 off, v[124:125], off offset:376
.LBB123_125:
	s_wait_xcnt 0x0
	s_or_b32 exec_lo, exec_lo, s54
	scratch_load_b64 v[124:125], off, off offset:368
	v_cmp_lt_u32_e64 s0, 46, v0
	s_wait_loadcnt 0x0
	ds_store_b64 v1, v[124:125]
	s_wait_storecnt_dscnt 0x0
	s_barrier_signal -1
	s_barrier_wait -1
	s_wait_xcnt 0x0
	s_and_saveexec_b32 s53, s0
	s_cbranch_execz .LBB123_135
; %bb.126:
	s_and_not1_b32 vcc_lo, exec_lo, s3
	s_cbranch_vccnz .LBB123_128
; %bb.127:
	scratch_load_b64 v[124:125], v59, off
	ds_load_b64 v[126:127], v1
	s_wait_loadcnt_dscnt 0x0
	v_pk_mul_f32 v[128:129], v[126:127], v[124:125] op_sel:[1,1] op_sel_hi:[0,1]
	s_delay_alu instid0(VALU_DEP_1) | instskip(SKIP_1) | instid1(VALU_DEP_2)
	v_pk_fma_f32 v[130:131], v[126:127], v[124:125], v[128:129] op_sel_hi:[1,0,1]
	v_pk_fma_f32 v[124:125], v[126:127], v[124:125], v[128:129] neg_lo:[0,0,1] neg_hi:[0,0,1]
	v_mov_b32_e32 v125, v131
	s_cbranch_execz .LBB123_129
	s_branch .LBB123_130
.LBB123_128:
                                        ; implicit-def: $vgpr124_vgpr125
.LBB123_129:
	ds_load_b64 v[124:125], v1
.LBB123_130:
	s_and_saveexec_b32 s54, s1
	s_cbranch_execz .LBB123_134
; %bb.131:
	v_subrev_nc_u32_e32 v126, 47, v0
	s_movk_i32 s55, 0x358
	s_mov_b32 s1, 0
.LBB123_132:                            ; =>This Inner Loop Header: Depth=1
	scratch_load_b64 v[128:129], off, s52
	v_dual_mov_b32 v127, s55 :: v_dual_add_nc_u32 v126, -1, v126
	s_add_co_i32 s55, s55, 8
	s_wait_xcnt 0x0
	s_add_co_i32 s52, s52, 8
	ds_load_b64 v[130:131], v127
	v_cmp_eq_u32_e32 vcc_lo, 0, v126
	s_or_b32 s1, vcc_lo, s1
	s_wait_loadcnt_dscnt 0x0
	v_pk_mul_f32 v[132:133], v[130:131], v[128:129] op_sel:[1,1] op_sel_hi:[0,1]
	s_delay_alu instid0(VALU_DEP_1) | instskip(SKIP_1) | instid1(VALU_DEP_2)
	v_pk_fma_f32 v[134:135], v[130:131], v[128:129], v[132:133] op_sel_hi:[1,0,1]
	v_pk_fma_f32 v[128:129], v[130:131], v[128:129], v[132:133] neg_lo:[0,0,1] neg_hi:[0,0,1]
	v_mov_b32_e32 v129, v135
	s_delay_alu instid0(VALU_DEP_1)
	v_pk_add_f32 v[124:125], v[124:125], v[128:129]
	s_and_not1_b32 exec_lo, exec_lo, s1
	s_cbranch_execnz .LBB123_132
; %bb.133:
	s_or_b32 exec_lo, exec_lo, s1
.LBB123_134:
	s_delay_alu instid0(SALU_CYCLE_1) | instskip(SKIP_4) | instid1(VALU_DEP_1)
	s_or_b32 exec_lo, exec_lo, s54
	v_mov_b32_e32 v126, 0
	ds_load_b64 v[126:127], v126 offset:368
	s_wait_dscnt 0x0
	v_pk_mul_f32 v[128:129], v[124:125], v[126:127] op_sel:[1,1] op_sel_hi:[0,1]
	v_pk_fma_f32 v[130:131], v[124:125], v[126:127], v[128:129] op_sel_hi:[1,0,1]
	v_pk_fma_f32 v[124:125], v[124:125], v[126:127], v[128:129] neg_lo:[0,0,1] neg_hi:[0,0,1]
	s_delay_alu instid0(VALU_DEP_2)
	v_mov_b32_e32 v125, v131
	scratch_store_b64 off, v[124:125], off offset:368
.LBB123_135:
	s_wait_xcnt 0x0
	s_or_b32 exec_lo, exec_lo, s53
	scratch_load_b64 v[124:125], off, off offset:360
	v_cmp_lt_u32_e64 s1, 45, v0
	s_wait_loadcnt 0x0
	ds_store_b64 v1, v[124:125]
	s_wait_storecnt_dscnt 0x0
	s_barrier_signal -1
	s_barrier_wait -1
	s_wait_xcnt 0x0
	s_and_saveexec_b32 s52, s1
	s_cbranch_execz .LBB123_145
; %bb.136:
	s_and_not1_b32 vcc_lo, exec_lo, s3
	s_cbranch_vccnz .LBB123_138
; %bb.137:
	scratch_load_b64 v[124:125], v59, off
	ds_load_b64 v[126:127], v1
	s_wait_loadcnt_dscnt 0x0
	v_pk_mul_f32 v[128:129], v[126:127], v[124:125] op_sel:[1,1] op_sel_hi:[0,1]
	s_delay_alu instid0(VALU_DEP_1) | instskip(SKIP_1) | instid1(VALU_DEP_2)
	v_pk_fma_f32 v[130:131], v[126:127], v[124:125], v[128:129] op_sel_hi:[1,0,1]
	v_pk_fma_f32 v[124:125], v[126:127], v[124:125], v[128:129] neg_lo:[0,0,1] neg_hi:[0,0,1]
	v_mov_b32_e32 v125, v131
	s_cbranch_execz .LBB123_139
	s_branch .LBB123_140
.LBB123_138:
                                        ; implicit-def: $vgpr124_vgpr125
.LBB123_139:
	ds_load_b64 v[124:125], v1
.LBB123_140:
	s_and_saveexec_b32 s53, s0
	s_cbranch_execz .LBB123_144
; %bb.141:
	v_subrev_nc_u32_e32 v126, 46, v0
	s_movk_i32 s54, 0x350
	s_mov_b32 s0, 0
.LBB123_142:                            ; =>This Inner Loop Header: Depth=1
	scratch_load_b64 v[128:129], off, s51
	v_dual_mov_b32 v127, s54 :: v_dual_add_nc_u32 v126, -1, v126
	s_add_co_i32 s54, s54, 8
	s_wait_xcnt 0x0
	s_add_co_i32 s51, s51, 8
	ds_load_b64 v[130:131], v127
	v_cmp_eq_u32_e32 vcc_lo, 0, v126
	s_or_b32 s0, vcc_lo, s0
	s_wait_loadcnt_dscnt 0x0
	v_pk_mul_f32 v[132:133], v[130:131], v[128:129] op_sel:[1,1] op_sel_hi:[0,1]
	s_delay_alu instid0(VALU_DEP_1) | instskip(SKIP_1) | instid1(VALU_DEP_2)
	v_pk_fma_f32 v[134:135], v[130:131], v[128:129], v[132:133] op_sel_hi:[1,0,1]
	v_pk_fma_f32 v[128:129], v[130:131], v[128:129], v[132:133] neg_lo:[0,0,1] neg_hi:[0,0,1]
	v_mov_b32_e32 v129, v135
	s_delay_alu instid0(VALU_DEP_1)
	v_pk_add_f32 v[124:125], v[124:125], v[128:129]
	s_and_not1_b32 exec_lo, exec_lo, s0
	s_cbranch_execnz .LBB123_142
; %bb.143:
	s_or_b32 exec_lo, exec_lo, s0
.LBB123_144:
	s_delay_alu instid0(SALU_CYCLE_1) | instskip(SKIP_4) | instid1(VALU_DEP_1)
	s_or_b32 exec_lo, exec_lo, s53
	v_mov_b32_e32 v126, 0
	ds_load_b64 v[126:127], v126 offset:360
	s_wait_dscnt 0x0
	v_pk_mul_f32 v[128:129], v[124:125], v[126:127] op_sel:[1,1] op_sel_hi:[0,1]
	v_pk_fma_f32 v[130:131], v[124:125], v[126:127], v[128:129] op_sel_hi:[1,0,1]
	v_pk_fma_f32 v[124:125], v[124:125], v[126:127], v[128:129] neg_lo:[0,0,1] neg_hi:[0,0,1]
	s_delay_alu instid0(VALU_DEP_2)
	v_mov_b32_e32 v125, v131
	scratch_store_b64 off, v[124:125], off offset:360
.LBB123_145:
	s_wait_xcnt 0x0
	s_or_b32 exec_lo, exec_lo, s52
	scratch_load_b64 v[124:125], off, off offset:352
	v_cmp_lt_u32_e64 s0, 44, v0
	s_wait_loadcnt 0x0
	ds_store_b64 v1, v[124:125]
	s_wait_storecnt_dscnt 0x0
	s_barrier_signal -1
	s_barrier_wait -1
	s_wait_xcnt 0x0
	s_and_saveexec_b32 s51, s0
	s_cbranch_execz .LBB123_155
; %bb.146:
	s_and_not1_b32 vcc_lo, exec_lo, s3
	s_cbranch_vccnz .LBB123_148
; %bb.147:
	scratch_load_b64 v[124:125], v59, off
	ds_load_b64 v[126:127], v1
	s_wait_loadcnt_dscnt 0x0
	v_pk_mul_f32 v[128:129], v[126:127], v[124:125] op_sel:[1,1] op_sel_hi:[0,1]
	s_delay_alu instid0(VALU_DEP_1) | instskip(SKIP_1) | instid1(VALU_DEP_2)
	v_pk_fma_f32 v[130:131], v[126:127], v[124:125], v[128:129] op_sel_hi:[1,0,1]
	v_pk_fma_f32 v[124:125], v[126:127], v[124:125], v[128:129] neg_lo:[0,0,1] neg_hi:[0,0,1]
	v_mov_b32_e32 v125, v131
	s_cbranch_execz .LBB123_149
	s_branch .LBB123_150
.LBB123_148:
                                        ; implicit-def: $vgpr124_vgpr125
.LBB123_149:
	ds_load_b64 v[124:125], v1
.LBB123_150:
	s_and_saveexec_b32 s52, s1
	s_cbranch_execz .LBB123_154
; %bb.151:
	v_subrev_nc_u32_e32 v126, 45, v0
	s_movk_i32 s53, 0x348
	s_mov_b32 s1, 0
.LBB123_152:                            ; =>This Inner Loop Header: Depth=1
	scratch_load_b64 v[128:129], off, s50
	v_dual_mov_b32 v127, s53 :: v_dual_add_nc_u32 v126, -1, v126
	s_add_co_i32 s53, s53, 8
	s_wait_xcnt 0x0
	s_add_co_i32 s50, s50, 8
	ds_load_b64 v[130:131], v127
	v_cmp_eq_u32_e32 vcc_lo, 0, v126
	s_or_b32 s1, vcc_lo, s1
	s_wait_loadcnt_dscnt 0x0
	v_pk_mul_f32 v[132:133], v[130:131], v[128:129] op_sel:[1,1] op_sel_hi:[0,1]
	s_delay_alu instid0(VALU_DEP_1) | instskip(SKIP_1) | instid1(VALU_DEP_2)
	v_pk_fma_f32 v[134:135], v[130:131], v[128:129], v[132:133] op_sel_hi:[1,0,1]
	v_pk_fma_f32 v[128:129], v[130:131], v[128:129], v[132:133] neg_lo:[0,0,1] neg_hi:[0,0,1]
	v_mov_b32_e32 v129, v135
	s_delay_alu instid0(VALU_DEP_1)
	v_pk_add_f32 v[124:125], v[124:125], v[128:129]
	s_and_not1_b32 exec_lo, exec_lo, s1
	s_cbranch_execnz .LBB123_152
; %bb.153:
	s_or_b32 exec_lo, exec_lo, s1
.LBB123_154:
	s_delay_alu instid0(SALU_CYCLE_1) | instskip(SKIP_4) | instid1(VALU_DEP_1)
	s_or_b32 exec_lo, exec_lo, s52
	v_mov_b32_e32 v126, 0
	ds_load_b64 v[126:127], v126 offset:352
	s_wait_dscnt 0x0
	v_pk_mul_f32 v[128:129], v[124:125], v[126:127] op_sel:[1,1] op_sel_hi:[0,1]
	v_pk_fma_f32 v[130:131], v[124:125], v[126:127], v[128:129] op_sel_hi:[1,0,1]
	v_pk_fma_f32 v[124:125], v[124:125], v[126:127], v[128:129] neg_lo:[0,0,1] neg_hi:[0,0,1]
	s_delay_alu instid0(VALU_DEP_2)
	v_mov_b32_e32 v125, v131
	scratch_store_b64 off, v[124:125], off offset:352
.LBB123_155:
	s_wait_xcnt 0x0
	s_or_b32 exec_lo, exec_lo, s51
	scratch_load_b64 v[124:125], off, off offset:344
	v_cmp_lt_u32_e64 s1, 43, v0
	s_wait_loadcnt 0x0
	ds_store_b64 v1, v[124:125]
	s_wait_storecnt_dscnt 0x0
	s_barrier_signal -1
	s_barrier_wait -1
	s_wait_xcnt 0x0
	s_and_saveexec_b32 s50, s1
	s_cbranch_execz .LBB123_165
; %bb.156:
	s_and_not1_b32 vcc_lo, exec_lo, s3
	s_cbranch_vccnz .LBB123_158
; %bb.157:
	scratch_load_b64 v[124:125], v59, off
	ds_load_b64 v[126:127], v1
	s_wait_loadcnt_dscnt 0x0
	v_pk_mul_f32 v[128:129], v[126:127], v[124:125] op_sel:[1,1] op_sel_hi:[0,1]
	s_delay_alu instid0(VALU_DEP_1) | instskip(SKIP_1) | instid1(VALU_DEP_2)
	v_pk_fma_f32 v[130:131], v[126:127], v[124:125], v[128:129] op_sel_hi:[1,0,1]
	v_pk_fma_f32 v[124:125], v[126:127], v[124:125], v[128:129] neg_lo:[0,0,1] neg_hi:[0,0,1]
	v_mov_b32_e32 v125, v131
	s_cbranch_execz .LBB123_159
	s_branch .LBB123_160
.LBB123_158:
                                        ; implicit-def: $vgpr124_vgpr125
.LBB123_159:
	ds_load_b64 v[124:125], v1
.LBB123_160:
	s_and_saveexec_b32 s51, s0
	s_cbranch_execz .LBB123_164
; %bb.161:
	v_subrev_nc_u32_e32 v126, 44, v0
	s_movk_i32 s52, 0x340
	s_mov_b32 s0, 0
.LBB123_162:                            ; =>This Inner Loop Header: Depth=1
	scratch_load_b64 v[128:129], off, s49
	v_dual_mov_b32 v127, s52 :: v_dual_add_nc_u32 v126, -1, v126
	s_add_co_i32 s52, s52, 8
	s_wait_xcnt 0x0
	s_add_co_i32 s49, s49, 8
	ds_load_b64 v[130:131], v127
	v_cmp_eq_u32_e32 vcc_lo, 0, v126
	s_or_b32 s0, vcc_lo, s0
	s_wait_loadcnt_dscnt 0x0
	v_pk_mul_f32 v[132:133], v[130:131], v[128:129] op_sel:[1,1] op_sel_hi:[0,1]
	s_delay_alu instid0(VALU_DEP_1) | instskip(SKIP_1) | instid1(VALU_DEP_2)
	v_pk_fma_f32 v[134:135], v[130:131], v[128:129], v[132:133] op_sel_hi:[1,0,1]
	v_pk_fma_f32 v[128:129], v[130:131], v[128:129], v[132:133] neg_lo:[0,0,1] neg_hi:[0,0,1]
	v_mov_b32_e32 v129, v135
	s_delay_alu instid0(VALU_DEP_1)
	v_pk_add_f32 v[124:125], v[124:125], v[128:129]
	s_and_not1_b32 exec_lo, exec_lo, s0
	s_cbranch_execnz .LBB123_162
; %bb.163:
	s_or_b32 exec_lo, exec_lo, s0
.LBB123_164:
	s_delay_alu instid0(SALU_CYCLE_1) | instskip(SKIP_4) | instid1(VALU_DEP_1)
	s_or_b32 exec_lo, exec_lo, s51
	v_mov_b32_e32 v126, 0
	ds_load_b64 v[126:127], v126 offset:344
	s_wait_dscnt 0x0
	v_pk_mul_f32 v[128:129], v[124:125], v[126:127] op_sel:[1,1] op_sel_hi:[0,1]
	v_pk_fma_f32 v[130:131], v[124:125], v[126:127], v[128:129] op_sel_hi:[1,0,1]
	v_pk_fma_f32 v[124:125], v[124:125], v[126:127], v[128:129] neg_lo:[0,0,1] neg_hi:[0,0,1]
	s_delay_alu instid0(VALU_DEP_2)
	v_mov_b32_e32 v125, v131
	scratch_store_b64 off, v[124:125], off offset:344
.LBB123_165:
	s_wait_xcnt 0x0
	s_or_b32 exec_lo, exec_lo, s50
	scratch_load_b64 v[124:125], off, off offset:336
	v_cmp_lt_u32_e64 s0, 42, v0
	s_wait_loadcnt 0x0
	ds_store_b64 v1, v[124:125]
	s_wait_storecnt_dscnt 0x0
	s_barrier_signal -1
	s_barrier_wait -1
	s_wait_xcnt 0x0
	s_and_saveexec_b32 s49, s0
	s_cbranch_execz .LBB123_175
; %bb.166:
	s_and_not1_b32 vcc_lo, exec_lo, s3
	s_cbranch_vccnz .LBB123_168
; %bb.167:
	scratch_load_b64 v[124:125], v59, off
	ds_load_b64 v[126:127], v1
	s_wait_loadcnt_dscnt 0x0
	v_pk_mul_f32 v[128:129], v[126:127], v[124:125] op_sel:[1,1] op_sel_hi:[0,1]
	s_delay_alu instid0(VALU_DEP_1) | instskip(SKIP_1) | instid1(VALU_DEP_2)
	v_pk_fma_f32 v[130:131], v[126:127], v[124:125], v[128:129] op_sel_hi:[1,0,1]
	v_pk_fma_f32 v[124:125], v[126:127], v[124:125], v[128:129] neg_lo:[0,0,1] neg_hi:[0,0,1]
	v_mov_b32_e32 v125, v131
	s_cbranch_execz .LBB123_169
	s_branch .LBB123_170
.LBB123_168:
                                        ; implicit-def: $vgpr124_vgpr125
.LBB123_169:
	ds_load_b64 v[124:125], v1
.LBB123_170:
	s_and_saveexec_b32 s50, s1
	s_cbranch_execz .LBB123_174
; %bb.171:
	v_subrev_nc_u32_e32 v126, 43, v0
	s_movk_i32 s51, 0x338
	s_mov_b32 s1, 0
.LBB123_172:                            ; =>This Inner Loop Header: Depth=1
	scratch_load_b64 v[128:129], off, s48
	v_dual_mov_b32 v127, s51 :: v_dual_add_nc_u32 v126, -1, v126
	s_add_co_i32 s51, s51, 8
	s_wait_xcnt 0x0
	s_add_co_i32 s48, s48, 8
	ds_load_b64 v[130:131], v127
	v_cmp_eq_u32_e32 vcc_lo, 0, v126
	s_or_b32 s1, vcc_lo, s1
	s_wait_loadcnt_dscnt 0x0
	v_pk_mul_f32 v[132:133], v[130:131], v[128:129] op_sel:[1,1] op_sel_hi:[0,1]
	s_delay_alu instid0(VALU_DEP_1) | instskip(SKIP_1) | instid1(VALU_DEP_2)
	v_pk_fma_f32 v[134:135], v[130:131], v[128:129], v[132:133] op_sel_hi:[1,0,1]
	v_pk_fma_f32 v[128:129], v[130:131], v[128:129], v[132:133] neg_lo:[0,0,1] neg_hi:[0,0,1]
	v_mov_b32_e32 v129, v135
	s_delay_alu instid0(VALU_DEP_1)
	v_pk_add_f32 v[124:125], v[124:125], v[128:129]
	s_and_not1_b32 exec_lo, exec_lo, s1
	s_cbranch_execnz .LBB123_172
; %bb.173:
	s_or_b32 exec_lo, exec_lo, s1
.LBB123_174:
	s_delay_alu instid0(SALU_CYCLE_1) | instskip(SKIP_4) | instid1(VALU_DEP_1)
	s_or_b32 exec_lo, exec_lo, s50
	v_mov_b32_e32 v126, 0
	ds_load_b64 v[126:127], v126 offset:336
	s_wait_dscnt 0x0
	v_pk_mul_f32 v[128:129], v[124:125], v[126:127] op_sel:[1,1] op_sel_hi:[0,1]
	v_pk_fma_f32 v[130:131], v[124:125], v[126:127], v[128:129] op_sel_hi:[1,0,1]
	v_pk_fma_f32 v[124:125], v[124:125], v[126:127], v[128:129] neg_lo:[0,0,1] neg_hi:[0,0,1]
	s_delay_alu instid0(VALU_DEP_2)
	v_mov_b32_e32 v125, v131
	scratch_store_b64 off, v[124:125], off offset:336
.LBB123_175:
	s_wait_xcnt 0x0
	s_or_b32 exec_lo, exec_lo, s49
	scratch_load_b64 v[124:125], off, off offset:328
	v_cmp_lt_u32_e64 s1, 41, v0
	s_wait_loadcnt 0x0
	ds_store_b64 v1, v[124:125]
	s_wait_storecnt_dscnt 0x0
	s_barrier_signal -1
	s_barrier_wait -1
	s_wait_xcnt 0x0
	s_and_saveexec_b32 s48, s1
	s_cbranch_execz .LBB123_185
; %bb.176:
	s_and_not1_b32 vcc_lo, exec_lo, s3
	s_cbranch_vccnz .LBB123_178
; %bb.177:
	scratch_load_b64 v[124:125], v59, off
	ds_load_b64 v[126:127], v1
	s_wait_loadcnt_dscnt 0x0
	v_pk_mul_f32 v[128:129], v[126:127], v[124:125] op_sel:[1,1] op_sel_hi:[0,1]
	s_delay_alu instid0(VALU_DEP_1) | instskip(SKIP_1) | instid1(VALU_DEP_2)
	v_pk_fma_f32 v[130:131], v[126:127], v[124:125], v[128:129] op_sel_hi:[1,0,1]
	v_pk_fma_f32 v[124:125], v[126:127], v[124:125], v[128:129] neg_lo:[0,0,1] neg_hi:[0,0,1]
	v_mov_b32_e32 v125, v131
	s_cbranch_execz .LBB123_179
	s_branch .LBB123_180
.LBB123_178:
                                        ; implicit-def: $vgpr124_vgpr125
.LBB123_179:
	ds_load_b64 v[124:125], v1
.LBB123_180:
	s_and_saveexec_b32 s49, s0
	s_cbranch_execz .LBB123_184
; %bb.181:
	v_subrev_nc_u32_e32 v126, 42, v0
	s_movk_i32 s50, 0x330
	s_mov_b32 s0, 0
.LBB123_182:                            ; =>This Inner Loop Header: Depth=1
	scratch_load_b64 v[128:129], off, s47
	v_dual_mov_b32 v127, s50 :: v_dual_add_nc_u32 v126, -1, v126
	s_add_co_i32 s50, s50, 8
	s_wait_xcnt 0x0
	s_add_co_i32 s47, s47, 8
	ds_load_b64 v[130:131], v127
	v_cmp_eq_u32_e32 vcc_lo, 0, v126
	s_or_b32 s0, vcc_lo, s0
	s_wait_loadcnt_dscnt 0x0
	v_pk_mul_f32 v[132:133], v[130:131], v[128:129] op_sel:[1,1] op_sel_hi:[0,1]
	s_delay_alu instid0(VALU_DEP_1) | instskip(SKIP_1) | instid1(VALU_DEP_2)
	v_pk_fma_f32 v[134:135], v[130:131], v[128:129], v[132:133] op_sel_hi:[1,0,1]
	v_pk_fma_f32 v[128:129], v[130:131], v[128:129], v[132:133] neg_lo:[0,0,1] neg_hi:[0,0,1]
	v_mov_b32_e32 v129, v135
	s_delay_alu instid0(VALU_DEP_1)
	v_pk_add_f32 v[124:125], v[124:125], v[128:129]
	s_and_not1_b32 exec_lo, exec_lo, s0
	s_cbranch_execnz .LBB123_182
; %bb.183:
	s_or_b32 exec_lo, exec_lo, s0
.LBB123_184:
	s_delay_alu instid0(SALU_CYCLE_1) | instskip(SKIP_4) | instid1(VALU_DEP_1)
	s_or_b32 exec_lo, exec_lo, s49
	v_mov_b32_e32 v126, 0
	ds_load_b64 v[126:127], v126 offset:328
	s_wait_dscnt 0x0
	v_pk_mul_f32 v[128:129], v[124:125], v[126:127] op_sel:[1,1] op_sel_hi:[0,1]
	v_pk_fma_f32 v[130:131], v[124:125], v[126:127], v[128:129] op_sel_hi:[1,0,1]
	v_pk_fma_f32 v[124:125], v[124:125], v[126:127], v[128:129] neg_lo:[0,0,1] neg_hi:[0,0,1]
	s_delay_alu instid0(VALU_DEP_2)
	v_mov_b32_e32 v125, v131
	scratch_store_b64 off, v[124:125], off offset:328
.LBB123_185:
	s_wait_xcnt 0x0
	s_or_b32 exec_lo, exec_lo, s48
	scratch_load_b64 v[124:125], off, off offset:320
	v_cmp_lt_u32_e64 s0, 40, v0
	s_wait_loadcnt 0x0
	ds_store_b64 v1, v[124:125]
	s_wait_storecnt_dscnt 0x0
	s_barrier_signal -1
	s_barrier_wait -1
	s_wait_xcnt 0x0
	s_and_saveexec_b32 s47, s0
	s_cbranch_execz .LBB123_195
; %bb.186:
	s_and_not1_b32 vcc_lo, exec_lo, s3
	s_cbranch_vccnz .LBB123_188
; %bb.187:
	scratch_load_b64 v[124:125], v59, off
	ds_load_b64 v[126:127], v1
	s_wait_loadcnt_dscnt 0x0
	v_pk_mul_f32 v[128:129], v[126:127], v[124:125] op_sel:[1,1] op_sel_hi:[0,1]
	s_delay_alu instid0(VALU_DEP_1) | instskip(SKIP_1) | instid1(VALU_DEP_2)
	v_pk_fma_f32 v[130:131], v[126:127], v[124:125], v[128:129] op_sel_hi:[1,0,1]
	v_pk_fma_f32 v[124:125], v[126:127], v[124:125], v[128:129] neg_lo:[0,0,1] neg_hi:[0,0,1]
	v_mov_b32_e32 v125, v131
	s_cbranch_execz .LBB123_189
	s_branch .LBB123_190
.LBB123_188:
                                        ; implicit-def: $vgpr124_vgpr125
.LBB123_189:
	ds_load_b64 v[124:125], v1
.LBB123_190:
	s_and_saveexec_b32 s48, s1
	s_cbranch_execz .LBB123_194
; %bb.191:
	v_subrev_nc_u32_e32 v126, 41, v0
	s_movk_i32 s49, 0x328
	s_mov_b32 s1, 0
.LBB123_192:                            ; =>This Inner Loop Header: Depth=1
	scratch_load_b64 v[128:129], off, s46
	v_dual_mov_b32 v127, s49 :: v_dual_add_nc_u32 v126, -1, v126
	s_add_co_i32 s49, s49, 8
	s_wait_xcnt 0x0
	s_add_co_i32 s46, s46, 8
	ds_load_b64 v[130:131], v127
	v_cmp_eq_u32_e32 vcc_lo, 0, v126
	s_or_b32 s1, vcc_lo, s1
	s_wait_loadcnt_dscnt 0x0
	v_pk_mul_f32 v[132:133], v[130:131], v[128:129] op_sel:[1,1] op_sel_hi:[0,1]
	s_delay_alu instid0(VALU_DEP_1) | instskip(SKIP_1) | instid1(VALU_DEP_2)
	v_pk_fma_f32 v[134:135], v[130:131], v[128:129], v[132:133] op_sel_hi:[1,0,1]
	v_pk_fma_f32 v[128:129], v[130:131], v[128:129], v[132:133] neg_lo:[0,0,1] neg_hi:[0,0,1]
	v_mov_b32_e32 v129, v135
	s_delay_alu instid0(VALU_DEP_1)
	v_pk_add_f32 v[124:125], v[124:125], v[128:129]
	s_and_not1_b32 exec_lo, exec_lo, s1
	s_cbranch_execnz .LBB123_192
; %bb.193:
	s_or_b32 exec_lo, exec_lo, s1
.LBB123_194:
	s_delay_alu instid0(SALU_CYCLE_1) | instskip(SKIP_4) | instid1(VALU_DEP_1)
	s_or_b32 exec_lo, exec_lo, s48
	v_mov_b32_e32 v126, 0
	ds_load_b64 v[126:127], v126 offset:320
	s_wait_dscnt 0x0
	v_pk_mul_f32 v[128:129], v[124:125], v[126:127] op_sel:[1,1] op_sel_hi:[0,1]
	v_pk_fma_f32 v[130:131], v[124:125], v[126:127], v[128:129] op_sel_hi:[1,0,1]
	v_pk_fma_f32 v[124:125], v[124:125], v[126:127], v[128:129] neg_lo:[0,0,1] neg_hi:[0,0,1]
	s_delay_alu instid0(VALU_DEP_2)
	v_mov_b32_e32 v125, v131
	scratch_store_b64 off, v[124:125], off offset:320
.LBB123_195:
	s_wait_xcnt 0x0
	s_or_b32 exec_lo, exec_lo, s47
	scratch_load_b64 v[124:125], off, off offset:312
	v_cmp_lt_u32_e64 s1, 39, v0
	s_wait_loadcnt 0x0
	ds_store_b64 v1, v[124:125]
	s_wait_storecnt_dscnt 0x0
	s_barrier_signal -1
	s_barrier_wait -1
	s_wait_xcnt 0x0
	s_and_saveexec_b32 s46, s1
	s_cbranch_execz .LBB123_205
; %bb.196:
	s_and_not1_b32 vcc_lo, exec_lo, s3
	s_cbranch_vccnz .LBB123_198
; %bb.197:
	scratch_load_b64 v[124:125], v59, off
	ds_load_b64 v[126:127], v1
	s_wait_loadcnt_dscnt 0x0
	v_pk_mul_f32 v[128:129], v[126:127], v[124:125] op_sel:[1,1] op_sel_hi:[0,1]
	s_delay_alu instid0(VALU_DEP_1) | instskip(SKIP_1) | instid1(VALU_DEP_2)
	v_pk_fma_f32 v[130:131], v[126:127], v[124:125], v[128:129] op_sel_hi:[1,0,1]
	v_pk_fma_f32 v[124:125], v[126:127], v[124:125], v[128:129] neg_lo:[0,0,1] neg_hi:[0,0,1]
	v_mov_b32_e32 v125, v131
	s_cbranch_execz .LBB123_199
	s_branch .LBB123_200
.LBB123_198:
                                        ; implicit-def: $vgpr124_vgpr125
.LBB123_199:
	ds_load_b64 v[124:125], v1
.LBB123_200:
	s_and_saveexec_b32 s47, s0
	s_cbranch_execz .LBB123_204
; %bb.201:
	v_subrev_nc_u32_e32 v126, 40, v0
	s_movk_i32 s48, 0x320
	s_mov_b32 s0, 0
.LBB123_202:                            ; =>This Inner Loop Header: Depth=1
	scratch_load_b64 v[128:129], off, s45
	v_dual_mov_b32 v127, s48 :: v_dual_add_nc_u32 v126, -1, v126
	s_add_co_i32 s48, s48, 8
	s_wait_xcnt 0x0
	s_add_co_i32 s45, s45, 8
	ds_load_b64 v[130:131], v127
	v_cmp_eq_u32_e32 vcc_lo, 0, v126
	s_or_b32 s0, vcc_lo, s0
	s_wait_loadcnt_dscnt 0x0
	v_pk_mul_f32 v[132:133], v[130:131], v[128:129] op_sel:[1,1] op_sel_hi:[0,1]
	s_delay_alu instid0(VALU_DEP_1) | instskip(SKIP_1) | instid1(VALU_DEP_2)
	v_pk_fma_f32 v[134:135], v[130:131], v[128:129], v[132:133] op_sel_hi:[1,0,1]
	v_pk_fma_f32 v[128:129], v[130:131], v[128:129], v[132:133] neg_lo:[0,0,1] neg_hi:[0,0,1]
	v_mov_b32_e32 v129, v135
	s_delay_alu instid0(VALU_DEP_1)
	v_pk_add_f32 v[124:125], v[124:125], v[128:129]
	s_and_not1_b32 exec_lo, exec_lo, s0
	s_cbranch_execnz .LBB123_202
; %bb.203:
	s_or_b32 exec_lo, exec_lo, s0
.LBB123_204:
	s_delay_alu instid0(SALU_CYCLE_1) | instskip(SKIP_4) | instid1(VALU_DEP_1)
	s_or_b32 exec_lo, exec_lo, s47
	v_mov_b32_e32 v126, 0
	ds_load_b64 v[126:127], v126 offset:312
	s_wait_dscnt 0x0
	v_pk_mul_f32 v[128:129], v[124:125], v[126:127] op_sel:[1,1] op_sel_hi:[0,1]
	v_pk_fma_f32 v[130:131], v[124:125], v[126:127], v[128:129] op_sel_hi:[1,0,1]
	v_pk_fma_f32 v[124:125], v[124:125], v[126:127], v[128:129] neg_lo:[0,0,1] neg_hi:[0,0,1]
	s_delay_alu instid0(VALU_DEP_2)
	v_mov_b32_e32 v125, v131
	scratch_store_b64 off, v[124:125], off offset:312
.LBB123_205:
	s_wait_xcnt 0x0
	s_or_b32 exec_lo, exec_lo, s46
	scratch_load_b64 v[124:125], off, off offset:304
	v_cmp_lt_u32_e64 s0, 38, v0
	s_wait_loadcnt 0x0
	ds_store_b64 v1, v[124:125]
	s_wait_storecnt_dscnt 0x0
	s_barrier_signal -1
	s_barrier_wait -1
	s_wait_xcnt 0x0
	s_and_saveexec_b32 s45, s0
	s_cbranch_execz .LBB123_215
; %bb.206:
	s_and_not1_b32 vcc_lo, exec_lo, s3
	s_cbranch_vccnz .LBB123_208
; %bb.207:
	scratch_load_b64 v[124:125], v59, off
	ds_load_b64 v[126:127], v1
	s_wait_loadcnt_dscnt 0x0
	v_pk_mul_f32 v[128:129], v[126:127], v[124:125] op_sel:[1,1] op_sel_hi:[0,1]
	s_delay_alu instid0(VALU_DEP_1) | instskip(SKIP_1) | instid1(VALU_DEP_2)
	v_pk_fma_f32 v[130:131], v[126:127], v[124:125], v[128:129] op_sel_hi:[1,0,1]
	v_pk_fma_f32 v[124:125], v[126:127], v[124:125], v[128:129] neg_lo:[0,0,1] neg_hi:[0,0,1]
	v_mov_b32_e32 v125, v131
	s_cbranch_execz .LBB123_209
	s_branch .LBB123_210
.LBB123_208:
                                        ; implicit-def: $vgpr124_vgpr125
.LBB123_209:
	ds_load_b64 v[124:125], v1
.LBB123_210:
	s_and_saveexec_b32 s46, s1
	s_cbranch_execz .LBB123_214
; %bb.211:
	v_subrev_nc_u32_e32 v126, 39, v0
	s_movk_i32 s47, 0x318
	s_mov_b32 s1, 0
.LBB123_212:                            ; =>This Inner Loop Header: Depth=1
	scratch_load_b64 v[128:129], off, s44
	v_dual_mov_b32 v127, s47 :: v_dual_add_nc_u32 v126, -1, v126
	s_add_co_i32 s47, s47, 8
	s_wait_xcnt 0x0
	s_add_co_i32 s44, s44, 8
	ds_load_b64 v[130:131], v127
	v_cmp_eq_u32_e32 vcc_lo, 0, v126
	s_or_b32 s1, vcc_lo, s1
	s_wait_loadcnt_dscnt 0x0
	v_pk_mul_f32 v[132:133], v[130:131], v[128:129] op_sel:[1,1] op_sel_hi:[0,1]
	s_delay_alu instid0(VALU_DEP_1) | instskip(SKIP_1) | instid1(VALU_DEP_2)
	v_pk_fma_f32 v[134:135], v[130:131], v[128:129], v[132:133] op_sel_hi:[1,0,1]
	v_pk_fma_f32 v[128:129], v[130:131], v[128:129], v[132:133] neg_lo:[0,0,1] neg_hi:[0,0,1]
	v_mov_b32_e32 v129, v135
	s_delay_alu instid0(VALU_DEP_1)
	v_pk_add_f32 v[124:125], v[124:125], v[128:129]
	s_and_not1_b32 exec_lo, exec_lo, s1
	s_cbranch_execnz .LBB123_212
; %bb.213:
	s_or_b32 exec_lo, exec_lo, s1
.LBB123_214:
	s_delay_alu instid0(SALU_CYCLE_1) | instskip(SKIP_4) | instid1(VALU_DEP_1)
	s_or_b32 exec_lo, exec_lo, s46
	v_mov_b32_e32 v126, 0
	ds_load_b64 v[126:127], v126 offset:304
	s_wait_dscnt 0x0
	v_pk_mul_f32 v[128:129], v[124:125], v[126:127] op_sel:[1,1] op_sel_hi:[0,1]
	v_pk_fma_f32 v[130:131], v[124:125], v[126:127], v[128:129] op_sel_hi:[1,0,1]
	v_pk_fma_f32 v[124:125], v[124:125], v[126:127], v[128:129] neg_lo:[0,0,1] neg_hi:[0,0,1]
	s_delay_alu instid0(VALU_DEP_2)
	v_mov_b32_e32 v125, v131
	scratch_store_b64 off, v[124:125], off offset:304
.LBB123_215:
	s_wait_xcnt 0x0
	s_or_b32 exec_lo, exec_lo, s45
	scratch_load_b64 v[124:125], off, off offset:296
	v_cmp_lt_u32_e64 s1, 37, v0
	s_wait_loadcnt 0x0
	ds_store_b64 v1, v[124:125]
	s_wait_storecnt_dscnt 0x0
	s_barrier_signal -1
	s_barrier_wait -1
	s_wait_xcnt 0x0
	s_and_saveexec_b32 s44, s1
	s_cbranch_execz .LBB123_225
; %bb.216:
	s_and_not1_b32 vcc_lo, exec_lo, s3
	s_cbranch_vccnz .LBB123_218
; %bb.217:
	scratch_load_b64 v[124:125], v59, off
	ds_load_b64 v[126:127], v1
	s_wait_loadcnt_dscnt 0x0
	v_pk_mul_f32 v[128:129], v[126:127], v[124:125] op_sel:[1,1] op_sel_hi:[0,1]
	s_delay_alu instid0(VALU_DEP_1) | instskip(SKIP_1) | instid1(VALU_DEP_2)
	v_pk_fma_f32 v[130:131], v[126:127], v[124:125], v[128:129] op_sel_hi:[1,0,1]
	v_pk_fma_f32 v[124:125], v[126:127], v[124:125], v[128:129] neg_lo:[0,0,1] neg_hi:[0,0,1]
	v_mov_b32_e32 v125, v131
	s_cbranch_execz .LBB123_219
	s_branch .LBB123_220
.LBB123_218:
                                        ; implicit-def: $vgpr124_vgpr125
.LBB123_219:
	ds_load_b64 v[124:125], v1
.LBB123_220:
	s_and_saveexec_b32 s45, s0
	s_cbranch_execz .LBB123_224
; %bb.221:
	v_subrev_nc_u32_e32 v126, 38, v0
	s_movk_i32 s46, 0x310
	s_mov_b32 s0, 0
.LBB123_222:                            ; =>This Inner Loop Header: Depth=1
	scratch_load_b64 v[128:129], off, s43
	v_dual_mov_b32 v127, s46 :: v_dual_add_nc_u32 v126, -1, v126
	s_add_co_i32 s46, s46, 8
	s_wait_xcnt 0x0
	s_add_co_i32 s43, s43, 8
	ds_load_b64 v[130:131], v127
	v_cmp_eq_u32_e32 vcc_lo, 0, v126
	s_or_b32 s0, vcc_lo, s0
	s_wait_loadcnt_dscnt 0x0
	v_pk_mul_f32 v[132:133], v[130:131], v[128:129] op_sel:[1,1] op_sel_hi:[0,1]
	s_delay_alu instid0(VALU_DEP_1) | instskip(SKIP_1) | instid1(VALU_DEP_2)
	v_pk_fma_f32 v[134:135], v[130:131], v[128:129], v[132:133] op_sel_hi:[1,0,1]
	v_pk_fma_f32 v[128:129], v[130:131], v[128:129], v[132:133] neg_lo:[0,0,1] neg_hi:[0,0,1]
	v_mov_b32_e32 v129, v135
	s_delay_alu instid0(VALU_DEP_1)
	v_pk_add_f32 v[124:125], v[124:125], v[128:129]
	s_and_not1_b32 exec_lo, exec_lo, s0
	s_cbranch_execnz .LBB123_222
; %bb.223:
	s_or_b32 exec_lo, exec_lo, s0
.LBB123_224:
	s_delay_alu instid0(SALU_CYCLE_1) | instskip(SKIP_4) | instid1(VALU_DEP_1)
	s_or_b32 exec_lo, exec_lo, s45
	v_mov_b32_e32 v126, 0
	ds_load_b64 v[126:127], v126 offset:296
	s_wait_dscnt 0x0
	v_pk_mul_f32 v[128:129], v[124:125], v[126:127] op_sel:[1,1] op_sel_hi:[0,1]
	v_pk_fma_f32 v[130:131], v[124:125], v[126:127], v[128:129] op_sel_hi:[1,0,1]
	v_pk_fma_f32 v[124:125], v[124:125], v[126:127], v[128:129] neg_lo:[0,0,1] neg_hi:[0,0,1]
	s_delay_alu instid0(VALU_DEP_2)
	v_mov_b32_e32 v125, v131
	scratch_store_b64 off, v[124:125], off offset:296
.LBB123_225:
	s_wait_xcnt 0x0
	s_or_b32 exec_lo, exec_lo, s44
	scratch_load_b64 v[124:125], off, off offset:288
	v_cmp_lt_u32_e64 s0, 36, v0
	s_wait_loadcnt 0x0
	ds_store_b64 v1, v[124:125]
	s_wait_storecnt_dscnt 0x0
	s_barrier_signal -1
	s_barrier_wait -1
	s_wait_xcnt 0x0
	s_and_saveexec_b32 s43, s0
	s_cbranch_execz .LBB123_235
; %bb.226:
	s_and_not1_b32 vcc_lo, exec_lo, s3
	s_cbranch_vccnz .LBB123_228
; %bb.227:
	scratch_load_b64 v[124:125], v59, off
	ds_load_b64 v[126:127], v1
	s_wait_loadcnt_dscnt 0x0
	v_pk_mul_f32 v[128:129], v[126:127], v[124:125] op_sel:[1,1] op_sel_hi:[0,1]
	s_delay_alu instid0(VALU_DEP_1) | instskip(SKIP_1) | instid1(VALU_DEP_2)
	v_pk_fma_f32 v[130:131], v[126:127], v[124:125], v[128:129] op_sel_hi:[1,0,1]
	v_pk_fma_f32 v[124:125], v[126:127], v[124:125], v[128:129] neg_lo:[0,0,1] neg_hi:[0,0,1]
	v_mov_b32_e32 v125, v131
	s_cbranch_execz .LBB123_229
	s_branch .LBB123_230
.LBB123_228:
                                        ; implicit-def: $vgpr124_vgpr125
.LBB123_229:
	ds_load_b64 v[124:125], v1
.LBB123_230:
	s_and_saveexec_b32 s44, s1
	s_cbranch_execz .LBB123_234
; %bb.231:
	v_subrev_nc_u32_e32 v126, 37, v0
	s_movk_i32 s45, 0x308
	s_mov_b32 s1, 0
.LBB123_232:                            ; =>This Inner Loop Header: Depth=1
	scratch_load_b64 v[128:129], off, s42
	v_dual_mov_b32 v127, s45 :: v_dual_add_nc_u32 v126, -1, v126
	s_add_co_i32 s45, s45, 8
	s_wait_xcnt 0x0
	s_add_co_i32 s42, s42, 8
	ds_load_b64 v[130:131], v127
	v_cmp_eq_u32_e32 vcc_lo, 0, v126
	s_or_b32 s1, vcc_lo, s1
	s_wait_loadcnt_dscnt 0x0
	v_pk_mul_f32 v[132:133], v[130:131], v[128:129] op_sel:[1,1] op_sel_hi:[0,1]
	s_delay_alu instid0(VALU_DEP_1) | instskip(SKIP_1) | instid1(VALU_DEP_2)
	v_pk_fma_f32 v[134:135], v[130:131], v[128:129], v[132:133] op_sel_hi:[1,0,1]
	v_pk_fma_f32 v[128:129], v[130:131], v[128:129], v[132:133] neg_lo:[0,0,1] neg_hi:[0,0,1]
	v_mov_b32_e32 v129, v135
	s_delay_alu instid0(VALU_DEP_1)
	v_pk_add_f32 v[124:125], v[124:125], v[128:129]
	s_and_not1_b32 exec_lo, exec_lo, s1
	s_cbranch_execnz .LBB123_232
; %bb.233:
	s_or_b32 exec_lo, exec_lo, s1
.LBB123_234:
	s_delay_alu instid0(SALU_CYCLE_1) | instskip(SKIP_4) | instid1(VALU_DEP_1)
	s_or_b32 exec_lo, exec_lo, s44
	v_mov_b32_e32 v126, 0
	ds_load_b64 v[126:127], v126 offset:288
	s_wait_dscnt 0x0
	v_pk_mul_f32 v[128:129], v[124:125], v[126:127] op_sel:[1,1] op_sel_hi:[0,1]
	v_pk_fma_f32 v[130:131], v[124:125], v[126:127], v[128:129] op_sel_hi:[1,0,1]
	v_pk_fma_f32 v[124:125], v[124:125], v[126:127], v[128:129] neg_lo:[0,0,1] neg_hi:[0,0,1]
	s_delay_alu instid0(VALU_DEP_2)
	v_mov_b32_e32 v125, v131
	scratch_store_b64 off, v[124:125], off offset:288
.LBB123_235:
	s_wait_xcnt 0x0
	s_or_b32 exec_lo, exec_lo, s43
	scratch_load_b64 v[124:125], off, off offset:280
	v_cmp_lt_u32_e64 s1, 35, v0
	s_wait_loadcnt 0x0
	ds_store_b64 v1, v[124:125]
	s_wait_storecnt_dscnt 0x0
	s_barrier_signal -1
	s_barrier_wait -1
	s_wait_xcnt 0x0
	s_and_saveexec_b32 s42, s1
	s_cbranch_execz .LBB123_245
; %bb.236:
	s_and_not1_b32 vcc_lo, exec_lo, s3
	s_cbranch_vccnz .LBB123_238
; %bb.237:
	scratch_load_b64 v[124:125], v59, off
	ds_load_b64 v[126:127], v1
	s_wait_loadcnt_dscnt 0x0
	v_pk_mul_f32 v[128:129], v[126:127], v[124:125] op_sel:[1,1] op_sel_hi:[0,1]
	s_delay_alu instid0(VALU_DEP_1) | instskip(SKIP_1) | instid1(VALU_DEP_2)
	v_pk_fma_f32 v[130:131], v[126:127], v[124:125], v[128:129] op_sel_hi:[1,0,1]
	v_pk_fma_f32 v[124:125], v[126:127], v[124:125], v[128:129] neg_lo:[0,0,1] neg_hi:[0,0,1]
	v_mov_b32_e32 v125, v131
	s_cbranch_execz .LBB123_239
	s_branch .LBB123_240
.LBB123_238:
                                        ; implicit-def: $vgpr124_vgpr125
.LBB123_239:
	ds_load_b64 v[124:125], v1
.LBB123_240:
	s_and_saveexec_b32 s43, s0
	s_cbranch_execz .LBB123_244
; %bb.241:
	v_subrev_nc_u32_e32 v126, 36, v0
	s_movk_i32 s44, 0x300
	s_mov_b32 s0, 0
.LBB123_242:                            ; =>This Inner Loop Header: Depth=1
	scratch_load_b64 v[128:129], off, s41
	v_dual_mov_b32 v127, s44 :: v_dual_add_nc_u32 v126, -1, v126
	s_add_co_i32 s44, s44, 8
	s_wait_xcnt 0x0
	s_add_co_i32 s41, s41, 8
	ds_load_b64 v[130:131], v127
	v_cmp_eq_u32_e32 vcc_lo, 0, v126
	s_or_b32 s0, vcc_lo, s0
	s_wait_loadcnt_dscnt 0x0
	v_pk_mul_f32 v[132:133], v[130:131], v[128:129] op_sel:[1,1] op_sel_hi:[0,1]
	s_delay_alu instid0(VALU_DEP_1) | instskip(SKIP_1) | instid1(VALU_DEP_2)
	v_pk_fma_f32 v[134:135], v[130:131], v[128:129], v[132:133] op_sel_hi:[1,0,1]
	v_pk_fma_f32 v[128:129], v[130:131], v[128:129], v[132:133] neg_lo:[0,0,1] neg_hi:[0,0,1]
	v_mov_b32_e32 v129, v135
	s_delay_alu instid0(VALU_DEP_1)
	v_pk_add_f32 v[124:125], v[124:125], v[128:129]
	s_and_not1_b32 exec_lo, exec_lo, s0
	s_cbranch_execnz .LBB123_242
; %bb.243:
	s_or_b32 exec_lo, exec_lo, s0
.LBB123_244:
	s_delay_alu instid0(SALU_CYCLE_1) | instskip(SKIP_4) | instid1(VALU_DEP_1)
	s_or_b32 exec_lo, exec_lo, s43
	v_mov_b32_e32 v126, 0
	ds_load_b64 v[126:127], v126 offset:280
	s_wait_dscnt 0x0
	v_pk_mul_f32 v[128:129], v[124:125], v[126:127] op_sel:[1,1] op_sel_hi:[0,1]
	v_pk_fma_f32 v[130:131], v[124:125], v[126:127], v[128:129] op_sel_hi:[1,0,1]
	v_pk_fma_f32 v[124:125], v[124:125], v[126:127], v[128:129] neg_lo:[0,0,1] neg_hi:[0,0,1]
	s_delay_alu instid0(VALU_DEP_2)
	v_mov_b32_e32 v125, v131
	scratch_store_b64 off, v[124:125], off offset:280
.LBB123_245:
	s_wait_xcnt 0x0
	s_or_b32 exec_lo, exec_lo, s42
	scratch_load_b64 v[124:125], off, off offset:272
	v_cmp_lt_u32_e64 s0, 34, v0
	s_wait_loadcnt 0x0
	ds_store_b64 v1, v[124:125]
	s_wait_storecnt_dscnt 0x0
	s_barrier_signal -1
	s_barrier_wait -1
	s_wait_xcnt 0x0
	s_and_saveexec_b32 s41, s0
	s_cbranch_execz .LBB123_255
; %bb.246:
	s_and_not1_b32 vcc_lo, exec_lo, s3
	s_cbranch_vccnz .LBB123_248
; %bb.247:
	scratch_load_b64 v[124:125], v59, off
	ds_load_b64 v[126:127], v1
	s_wait_loadcnt_dscnt 0x0
	v_pk_mul_f32 v[128:129], v[126:127], v[124:125] op_sel:[1,1] op_sel_hi:[0,1]
	s_delay_alu instid0(VALU_DEP_1) | instskip(SKIP_1) | instid1(VALU_DEP_2)
	v_pk_fma_f32 v[130:131], v[126:127], v[124:125], v[128:129] op_sel_hi:[1,0,1]
	v_pk_fma_f32 v[124:125], v[126:127], v[124:125], v[128:129] neg_lo:[0,0,1] neg_hi:[0,0,1]
	v_mov_b32_e32 v125, v131
	s_cbranch_execz .LBB123_249
	s_branch .LBB123_250
.LBB123_248:
                                        ; implicit-def: $vgpr124_vgpr125
.LBB123_249:
	ds_load_b64 v[124:125], v1
.LBB123_250:
	s_and_saveexec_b32 s42, s1
	s_cbranch_execz .LBB123_254
; %bb.251:
	v_subrev_nc_u32_e32 v126, 35, v0
	s_movk_i32 s43, 0x2f8
	s_mov_b32 s1, 0
.LBB123_252:                            ; =>This Inner Loop Header: Depth=1
	scratch_load_b64 v[128:129], off, s40
	v_dual_mov_b32 v127, s43 :: v_dual_add_nc_u32 v126, -1, v126
	s_add_co_i32 s43, s43, 8
	s_wait_xcnt 0x0
	s_add_co_i32 s40, s40, 8
	ds_load_b64 v[130:131], v127
	v_cmp_eq_u32_e32 vcc_lo, 0, v126
	s_or_b32 s1, vcc_lo, s1
	s_wait_loadcnt_dscnt 0x0
	v_pk_mul_f32 v[132:133], v[130:131], v[128:129] op_sel:[1,1] op_sel_hi:[0,1]
	s_delay_alu instid0(VALU_DEP_1) | instskip(SKIP_1) | instid1(VALU_DEP_2)
	v_pk_fma_f32 v[134:135], v[130:131], v[128:129], v[132:133] op_sel_hi:[1,0,1]
	v_pk_fma_f32 v[128:129], v[130:131], v[128:129], v[132:133] neg_lo:[0,0,1] neg_hi:[0,0,1]
	v_mov_b32_e32 v129, v135
	s_delay_alu instid0(VALU_DEP_1)
	v_pk_add_f32 v[124:125], v[124:125], v[128:129]
	s_and_not1_b32 exec_lo, exec_lo, s1
	s_cbranch_execnz .LBB123_252
; %bb.253:
	s_or_b32 exec_lo, exec_lo, s1
.LBB123_254:
	s_delay_alu instid0(SALU_CYCLE_1) | instskip(SKIP_4) | instid1(VALU_DEP_1)
	s_or_b32 exec_lo, exec_lo, s42
	v_mov_b32_e32 v126, 0
	ds_load_b64 v[126:127], v126 offset:272
	s_wait_dscnt 0x0
	v_pk_mul_f32 v[128:129], v[124:125], v[126:127] op_sel:[1,1] op_sel_hi:[0,1]
	v_pk_fma_f32 v[130:131], v[124:125], v[126:127], v[128:129] op_sel_hi:[1,0,1]
	v_pk_fma_f32 v[124:125], v[124:125], v[126:127], v[128:129] neg_lo:[0,0,1] neg_hi:[0,0,1]
	s_delay_alu instid0(VALU_DEP_2)
	v_mov_b32_e32 v125, v131
	scratch_store_b64 off, v[124:125], off offset:272
.LBB123_255:
	s_wait_xcnt 0x0
	s_or_b32 exec_lo, exec_lo, s41
	scratch_load_b64 v[124:125], off, off offset:264
	v_cmp_lt_u32_e64 s1, 33, v0
	s_wait_loadcnt 0x0
	ds_store_b64 v1, v[124:125]
	s_wait_storecnt_dscnt 0x0
	s_barrier_signal -1
	s_barrier_wait -1
	s_wait_xcnt 0x0
	s_and_saveexec_b32 s40, s1
	s_cbranch_execz .LBB123_265
; %bb.256:
	s_and_not1_b32 vcc_lo, exec_lo, s3
	s_cbranch_vccnz .LBB123_258
; %bb.257:
	scratch_load_b64 v[124:125], v59, off
	ds_load_b64 v[126:127], v1
	s_wait_loadcnt_dscnt 0x0
	v_pk_mul_f32 v[128:129], v[126:127], v[124:125] op_sel:[1,1] op_sel_hi:[0,1]
	s_delay_alu instid0(VALU_DEP_1) | instskip(SKIP_1) | instid1(VALU_DEP_2)
	v_pk_fma_f32 v[130:131], v[126:127], v[124:125], v[128:129] op_sel_hi:[1,0,1]
	v_pk_fma_f32 v[124:125], v[126:127], v[124:125], v[128:129] neg_lo:[0,0,1] neg_hi:[0,0,1]
	v_mov_b32_e32 v125, v131
	s_cbranch_execz .LBB123_259
	s_branch .LBB123_260
.LBB123_258:
                                        ; implicit-def: $vgpr124_vgpr125
.LBB123_259:
	ds_load_b64 v[124:125], v1
.LBB123_260:
	s_and_saveexec_b32 s41, s0
	s_cbranch_execz .LBB123_264
; %bb.261:
	v_subrev_nc_u32_e32 v126, 34, v0
	s_movk_i32 s42, 0x2f0
	s_mov_b32 s0, 0
.LBB123_262:                            ; =>This Inner Loop Header: Depth=1
	scratch_load_b64 v[128:129], off, s39
	v_dual_mov_b32 v127, s42 :: v_dual_add_nc_u32 v126, -1, v126
	s_add_co_i32 s42, s42, 8
	s_wait_xcnt 0x0
	s_add_co_i32 s39, s39, 8
	ds_load_b64 v[130:131], v127
	v_cmp_eq_u32_e32 vcc_lo, 0, v126
	s_or_b32 s0, vcc_lo, s0
	s_wait_loadcnt_dscnt 0x0
	v_pk_mul_f32 v[132:133], v[130:131], v[128:129] op_sel:[1,1] op_sel_hi:[0,1]
	s_delay_alu instid0(VALU_DEP_1) | instskip(SKIP_1) | instid1(VALU_DEP_2)
	v_pk_fma_f32 v[134:135], v[130:131], v[128:129], v[132:133] op_sel_hi:[1,0,1]
	v_pk_fma_f32 v[128:129], v[130:131], v[128:129], v[132:133] neg_lo:[0,0,1] neg_hi:[0,0,1]
	v_mov_b32_e32 v129, v135
	s_delay_alu instid0(VALU_DEP_1)
	v_pk_add_f32 v[124:125], v[124:125], v[128:129]
	s_and_not1_b32 exec_lo, exec_lo, s0
	s_cbranch_execnz .LBB123_262
; %bb.263:
	s_or_b32 exec_lo, exec_lo, s0
.LBB123_264:
	s_delay_alu instid0(SALU_CYCLE_1) | instskip(SKIP_4) | instid1(VALU_DEP_1)
	s_or_b32 exec_lo, exec_lo, s41
	v_mov_b32_e32 v126, 0
	ds_load_b64 v[126:127], v126 offset:264
	s_wait_dscnt 0x0
	v_pk_mul_f32 v[128:129], v[124:125], v[126:127] op_sel:[1,1] op_sel_hi:[0,1]
	v_pk_fma_f32 v[130:131], v[124:125], v[126:127], v[128:129] op_sel_hi:[1,0,1]
	v_pk_fma_f32 v[124:125], v[124:125], v[126:127], v[128:129] neg_lo:[0,0,1] neg_hi:[0,0,1]
	s_delay_alu instid0(VALU_DEP_2)
	v_mov_b32_e32 v125, v131
	scratch_store_b64 off, v[124:125], off offset:264
.LBB123_265:
	s_wait_xcnt 0x0
	s_or_b32 exec_lo, exec_lo, s40
	scratch_load_b64 v[124:125], off, off offset:256
	v_cmp_lt_u32_e64 s0, 32, v0
	s_wait_loadcnt 0x0
	ds_store_b64 v1, v[124:125]
	s_wait_storecnt_dscnt 0x0
	s_barrier_signal -1
	s_barrier_wait -1
	s_wait_xcnt 0x0
	s_and_saveexec_b32 s39, s0
	s_cbranch_execz .LBB123_275
; %bb.266:
	s_and_not1_b32 vcc_lo, exec_lo, s3
	s_cbranch_vccnz .LBB123_268
; %bb.267:
	scratch_load_b64 v[124:125], v59, off
	ds_load_b64 v[126:127], v1
	s_wait_loadcnt_dscnt 0x0
	v_pk_mul_f32 v[128:129], v[126:127], v[124:125] op_sel:[1,1] op_sel_hi:[0,1]
	s_delay_alu instid0(VALU_DEP_1) | instskip(SKIP_1) | instid1(VALU_DEP_2)
	v_pk_fma_f32 v[130:131], v[126:127], v[124:125], v[128:129] op_sel_hi:[1,0,1]
	v_pk_fma_f32 v[124:125], v[126:127], v[124:125], v[128:129] neg_lo:[0,0,1] neg_hi:[0,0,1]
	v_mov_b32_e32 v125, v131
	s_cbranch_execz .LBB123_269
	s_branch .LBB123_270
.LBB123_268:
                                        ; implicit-def: $vgpr124_vgpr125
.LBB123_269:
	ds_load_b64 v[124:125], v1
.LBB123_270:
	s_and_saveexec_b32 s40, s1
	s_cbranch_execz .LBB123_274
; %bb.271:
	v_subrev_nc_u32_e32 v126, 33, v0
	s_movk_i32 s41, 0x2e8
	s_mov_b32 s1, 0
.LBB123_272:                            ; =>This Inner Loop Header: Depth=1
	scratch_load_b64 v[128:129], off, s38
	v_dual_mov_b32 v127, s41 :: v_dual_add_nc_u32 v126, -1, v126
	s_add_co_i32 s41, s41, 8
	s_wait_xcnt 0x0
	s_add_co_i32 s38, s38, 8
	ds_load_b64 v[130:131], v127
	v_cmp_eq_u32_e32 vcc_lo, 0, v126
	s_or_b32 s1, vcc_lo, s1
	s_wait_loadcnt_dscnt 0x0
	v_pk_mul_f32 v[132:133], v[130:131], v[128:129] op_sel:[1,1] op_sel_hi:[0,1]
	s_delay_alu instid0(VALU_DEP_1) | instskip(SKIP_1) | instid1(VALU_DEP_2)
	v_pk_fma_f32 v[134:135], v[130:131], v[128:129], v[132:133] op_sel_hi:[1,0,1]
	v_pk_fma_f32 v[128:129], v[130:131], v[128:129], v[132:133] neg_lo:[0,0,1] neg_hi:[0,0,1]
	v_mov_b32_e32 v129, v135
	s_delay_alu instid0(VALU_DEP_1)
	v_pk_add_f32 v[124:125], v[124:125], v[128:129]
	s_and_not1_b32 exec_lo, exec_lo, s1
	s_cbranch_execnz .LBB123_272
; %bb.273:
	s_or_b32 exec_lo, exec_lo, s1
.LBB123_274:
	s_delay_alu instid0(SALU_CYCLE_1) | instskip(SKIP_4) | instid1(VALU_DEP_1)
	s_or_b32 exec_lo, exec_lo, s40
	v_mov_b32_e32 v126, 0
	ds_load_b64 v[126:127], v126 offset:256
	s_wait_dscnt 0x0
	v_pk_mul_f32 v[128:129], v[124:125], v[126:127] op_sel:[1,1] op_sel_hi:[0,1]
	v_pk_fma_f32 v[130:131], v[124:125], v[126:127], v[128:129] op_sel_hi:[1,0,1]
	v_pk_fma_f32 v[124:125], v[124:125], v[126:127], v[128:129] neg_lo:[0,0,1] neg_hi:[0,0,1]
	s_delay_alu instid0(VALU_DEP_2)
	v_mov_b32_e32 v125, v131
	scratch_store_b64 off, v[124:125], off offset:256
.LBB123_275:
	s_wait_xcnt 0x0
	s_or_b32 exec_lo, exec_lo, s39
	scratch_load_b64 v[124:125], off, off offset:248
	v_cmp_lt_u32_e64 s1, 31, v0
	s_wait_loadcnt 0x0
	ds_store_b64 v1, v[124:125]
	s_wait_storecnt_dscnt 0x0
	s_barrier_signal -1
	s_barrier_wait -1
	s_wait_xcnt 0x0
	s_and_saveexec_b32 s38, s1
	s_cbranch_execz .LBB123_285
; %bb.276:
	s_and_not1_b32 vcc_lo, exec_lo, s3
	s_cbranch_vccnz .LBB123_278
; %bb.277:
	scratch_load_b64 v[124:125], v59, off
	ds_load_b64 v[126:127], v1
	s_wait_loadcnt_dscnt 0x0
	v_pk_mul_f32 v[128:129], v[126:127], v[124:125] op_sel:[1,1] op_sel_hi:[0,1]
	s_delay_alu instid0(VALU_DEP_1) | instskip(SKIP_1) | instid1(VALU_DEP_2)
	v_pk_fma_f32 v[130:131], v[126:127], v[124:125], v[128:129] op_sel_hi:[1,0,1]
	v_pk_fma_f32 v[124:125], v[126:127], v[124:125], v[128:129] neg_lo:[0,0,1] neg_hi:[0,0,1]
	v_mov_b32_e32 v125, v131
	s_cbranch_execz .LBB123_279
	s_branch .LBB123_280
.LBB123_278:
                                        ; implicit-def: $vgpr124_vgpr125
.LBB123_279:
	ds_load_b64 v[124:125], v1
.LBB123_280:
	s_and_saveexec_b32 s39, s0
	s_cbranch_execz .LBB123_284
; %bb.281:
	v_subrev_nc_u32_e32 v126, 32, v0
	s_movk_i32 s40, 0x2e0
	s_mov_b32 s0, 0
.LBB123_282:                            ; =>This Inner Loop Header: Depth=1
	scratch_load_b64 v[128:129], off, s37
	v_dual_mov_b32 v127, s40 :: v_dual_add_nc_u32 v126, -1, v126
	s_add_co_i32 s40, s40, 8
	s_wait_xcnt 0x0
	s_add_co_i32 s37, s37, 8
	ds_load_b64 v[130:131], v127
	v_cmp_eq_u32_e32 vcc_lo, 0, v126
	s_or_b32 s0, vcc_lo, s0
	s_wait_loadcnt_dscnt 0x0
	v_pk_mul_f32 v[132:133], v[130:131], v[128:129] op_sel:[1,1] op_sel_hi:[0,1]
	s_delay_alu instid0(VALU_DEP_1) | instskip(SKIP_1) | instid1(VALU_DEP_2)
	v_pk_fma_f32 v[134:135], v[130:131], v[128:129], v[132:133] op_sel_hi:[1,0,1]
	v_pk_fma_f32 v[128:129], v[130:131], v[128:129], v[132:133] neg_lo:[0,0,1] neg_hi:[0,0,1]
	v_mov_b32_e32 v129, v135
	s_delay_alu instid0(VALU_DEP_1)
	v_pk_add_f32 v[124:125], v[124:125], v[128:129]
	s_and_not1_b32 exec_lo, exec_lo, s0
	s_cbranch_execnz .LBB123_282
; %bb.283:
	s_or_b32 exec_lo, exec_lo, s0
.LBB123_284:
	s_delay_alu instid0(SALU_CYCLE_1) | instskip(SKIP_4) | instid1(VALU_DEP_1)
	s_or_b32 exec_lo, exec_lo, s39
	v_mov_b32_e32 v126, 0
	ds_load_b64 v[126:127], v126 offset:248
	s_wait_dscnt 0x0
	v_pk_mul_f32 v[128:129], v[124:125], v[126:127] op_sel:[1,1] op_sel_hi:[0,1]
	v_pk_fma_f32 v[130:131], v[124:125], v[126:127], v[128:129] op_sel_hi:[1,0,1]
	v_pk_fma_f32 v[124:125], v[124:125], v[126:127], v[128:129] neg_lo:[0,0,1] neg_hi:[0,0,1]
	s_delay_alu instid0(VALU_DEP_2)
	v_mov_b32_e32 v125, v131
	scratch_store_b64 off, v[124:125], off offset:248
.LBB123_285:
	s_wait_xcnt 0x0
	s_or_b32 exec_lo, exec_lo, s38
	scratch_load_b64 v[124:125], off, off offset:240
	v_cmp_lt_u32_e64 s0, 30, v0
	s_wait_loadcnt 0x0
	ds_store_b64 v1, v[124:125]
	s_wait_storecnt_dscnt 0x0
	s_barrier_signal -1
	s_barrier_wait -1
	s_wait_xcnt 0x0
	s_and_saveexec_b32 s37, s0
	s_cbranch_execz .LBB123_295
; %bb.286:
	s_and_not1_b32 vcc_lo, exec_lo, s3
	s_cbranch_vccnz .LBB123_288
; %bb.287:
	scratch_load_b64 v[124:125], v59, off
	ds_load_b64 v[126:127], v1
	s_wait_loadcnt_dscnt 0x0
	v_pk_mul_f32 v[128:129], v[126:127], v[124:125] op_sel:[1,1] op_sel_hi:[0,1]
	s_delay_alu instid0(VALU_DEP_1) | instskip(SKIP_1) | instid1(VALU_DEP_2)
	v_pk_fma_f32 v[130:131], v[126:127], v[124:125], v[128:129] op_sel_hi:[1,0,1]
	v_pk_fma_f32 v[124:125], v[126:127], v[124:125], v[128:129] neg_lo:[0,0,1] neg_hi:[0,0,1]
	v_mov_b32_e32 v125, v131
	s_cbranch_execz .LBB123_289
	s_branch .LBB123_290
.LBB123_288:
                                        ; implicit-def: $vgpr124_vgpr125
.LBB123_289:
	ds_load_b64 v[124:125], v1
.LBB123_290:
	s_and_saveexec_b32 s38, s1
	s_cbranch_execz .LBB123_294
; %bb.291:
	v_subrev_nc_u32_e32 v126, 31, v0
	s_movk_i32 s39, 0x2d8
	s_mov_b32 s1, 0
.LBB123_292:                            ; =>This Inner Loop Header: Depth=1
	scratch_load_b64 v[128:129], off, s36
	v_dual_mov_b32 v127, s39 :: v_dual_add_nc_u32 v126, -1, v126
	s_add_co_i32 s39, s39, 8
	s_wait_xcnt 0x0
	s_add_co_i32 s36, s36, 8
	ds_load_b64 v[130:131], v127
	v_cmp_eq_u32_e32 vcc_lo, 0, v126
	s_or_b32 s1, vcc_lo, s1
	s_wait_loadcnt_dscnt 0x0
	v_pk_mul_f32 v[132:133], v[130:131], v[128:129] op_sel:[1,1] op_sel_hi:[0,1]
	s_delay_alu instid0(VALU_DEP_1) | instskip(SKIP_1) | instid1(VALU_DEP_2)
	v_pk_fma_f32 v[134:135], v[130:131], v[128:129], v[132:133] op_sel_hi:[1,0,1]
	v_pk_fma_f32 v[128:129], v[130:131], v[128:129], v[132:133] neg_lo:[0,0,1] neg_hi:[0,0,1]
	v_mov_b32_e32 v129, v135
	s_delay_alu instid0(VALU_DEP_1)
	v_pk_add_f32 v[124:125], v[124:125], v[128:129]
	s_and_not1_b32 exec_lo, exec_lo, s1
	s_cbranch_execnz .LBB123_292
; %bb.293:
	s_or_b32 exec_lo, exec_lo, s1
.LBB123_294:
	s_delay_alu instid0(SALU_CYCLE_1) | instskip(SKIP_4) | instid1(VALU_DEP_1)
	s_or_b32 exec_lo, exec_lo, s38
	v_mov_b32_e32 v126, 0
	ds_load_b64 v[126:127], v126 offset:240
	s_wait_dscnt 0x0
	v_pk_mul_f32 v[128:129], v[124:125], v[126:127] op_sel:[1,1] op_sel_hi:[0,1]
	v_pk_fma_f32 v[130:131], v[124:125], v[126:127], v[128:129] op_sel_hi:[1,0,1]
	v_pk_fma_f32 v[124:125], v[124:125], v[126:127], v[128:129] neg_lo:[0,0,1] neg_hi:[0,0,1]
	s_delay_alu instid0(VALU_DEP_2)
	v_mov_b32_e32 v125, v131
	scratch_store_b64 off, v[124:125], off offset:240
.LBB123_295:
	s_wait_xcnt 0x0
	s_or_b32 exec_lo, exec_lo, s37
	scratch_load_b64 v[124:125], off, off offset:232
	v_cmp_lt_u32_e64 s1, 29, v0
	s_wait_loadcnt 0x0
	ds_store_b64 v1, v[124:125]
	s_wait_storecnt_dscnt 0x0
	s_barrier_signal -1
	s_barrier_wait -1
	s_wait_xcnt 0x0
	s_and_saveexec_b32 s36, s1
	s_cbranch_execz .LBB123_305
; %bb.296:
	s_and_not1_b32 vcc_lo, exec_lo, s3
	s_cbranch_vccnz .LBB123_298
; %bb.297:
	scratch_load_b64 v[124:125], v59, off
	ds_load_b64 v[126:127], v1
	s_wait_loadcnt_dscnt 0x0
	v_pk_mul_f32 v[128:129], v[126:127], v[124:125] op_sel:[1,1] op_sel_hi:[0,1]
	s_delay_alu instid0(VALU_DEP_1) | instskip(SKIP_1) | instid1(VALU_DEP_2)
	v_pk_fma_f32 v[130:131], v[126:127], v[124:125], v[128:129] op_sel_hi:[1,0,1]
	v_pk_fma_f32 v[124:125], v[126:127], v[124:125], v[128:129] neg_lo:[0,0,1] neg_hi:[0,0,1]
	v_mov_b32_e32 v125, v131
	s_cbranch_execz .LBB123_299
	s_branch .LBB123_300
.LBB123_298:
                                        ; implicit-def: $vgpr124_vgpr125
.LBB123_299:
	ds_load_b64 v[124:125], v1
.LBB123_300:
	s_and_saveexec_b32 s37, s0
	s_cbranch_execz .LBB123_304
; %bb.301:
	v_subrev_nc_u32_e32 v126, 30, v0
	s_movk_i32 s38, 0x2d0
	s_mov_b32 s0, 0
.LBB123_302:                            ; =>This Inner Loop Header: Depth=1
	scratch_load_b64 v[128:129], off, s35
	v_dual_mov_b32 v127, s38 :: v_dual_add_nc_u32 v126, -1, v126
	s_add_co_i32 s38, s38, 8
	s_wait_xcnt 0x0
	s_add_co_i32 s35, s35, 8
	ds_load_b64 v[130:131], v127
	v_cmp_eq_u32_e32 vcc_lo, 0, v126
	s_or_b32 s0, vcc_lo, s0
	s_wait_loadcnt_dscnt 0x0
	v_pk_mul_f32 v[132:133], v[130:131], v[128:129] op_sel:[1,1] op_sel_hi:[0,1]
	s_delay_alu instid0(VALU_DEP_1) | instskip(SKIP_1) | instid1(VALU_DEP_2)
	v_pk_fma_f32 v[134:135], v[130:131], v[128:129], v[132:133] op_sel_hi:[1,0,1]
	v_pk_fma_f32 v[128:129], v[130:131], v[128:129], v[132:133] neg_lo:[0,0,1] neg_hi:[0,0,1]
	v_mov_b32_e32 v129, v135
	s_delay_alu instid0(VALU_DEP_1)
	v_pk_add_f32 v[124:125], v[124:125], v[128:129]
	s_and_not1_b32 exec_lo, exec_lo, s0
	s_cbranch_execnz .LBB123_302
; %bb.303:
	s_or_b32 exec_lo, exec_lo, s0
.LBB123_304:
	s_delay_alu instid0(SALU_CYCLE_1) | instskip(SKIP_4) | instid1(VALU_DEP_1)
	s_or_b32 exec_lo, exec_lo, s37
	v_mov_b32_e32 v126, 0
	ds_load_b64 v[126:127], v126 offset:232
	s_wait_dscnt 0x0
	v_pk_mul_f32 v[128:129], v[124:125], v[126:127] op_sel:[1,1] op_sel_hi:[0,1]
	v_pk_fma_f32 v[130:131], v[124:125], v[126:127], v[128:129] op_sel_hi:[1,0,1]
	v_pk_fma_f32 v[124:125], v[124:125], v[126:127], v[128:129] neg_lo:[0,0,1] neg_hi:[0,0,1]
	s_delay_alu instid0(VALU_DEP_2)
	v_mov_b32_e32 v125, v131
	scratch_store_b64 off, v[124:125], off offset:232
.LBB123_305:
	s_wait_xcnt 0x0
	s_or_b32 exec_lo, exec_lo, s36
	scratch_load_b64 v[124:125], off, off offset:224
	v_cmp_lt_u32_e64 s0, 28, v0
	s_wait_loadcnt 0x0
	ds_store_b64 v1, v[124:125]
	s_wait_storecnt_dscnt 0x0
	s_barrier_signal -1
	s_barrier_wait -1
	s_wait_xcnt 0x0
	s_and_saveexec_b32 s35, s0
	s_cbranch_execz .LBB123_315
; %bb.306:
	s_and_not1_b32 vcc_lo, exec_lo, s3
	s_cbranch_vccnz .LBB123_308
; %bb.307:
	scratch_load_b64 v[124:125], v59, off
	ds_load_b64 v[126:127], v1
	s_wait_loadcnt_dscnt 0x0
	v_pk_mul_f32 v[128:129], v[126:127], v[124:125] op_sel:[1,1] op_sel_hi:[0,1]
	s_delay_alu instid0(VALU_DEP_1) | instskip(SKIP_1) | instid1(VALU_DEP_2)
	v_pk_fma_f32 v[130:131], v[126:127], v[124:125], v[128:129] op_sel_hi:[1,0,1]
	v_pk_fma_f32 v[124:125], v[126:127], v[124:125], v[128:129] neg_lo:[0,0,1] neg_hi:[0,0,1]
	v_mov_b32_e32 v125, v131
	s_cbranch_execz .LBB123_309
	s_branch .LBB123_310
.LBB123_308:
                                        ; implicit-def: $vgpr124_vgpr125
.LBB123_309:
	ds_load_b64 v[124:125], v1
.LBB123_310:
	s_and_saveexec_b32 s36, s1
	s_cbranch_execz .LBB123_314
; %bb.311:
	v_subrev_nc_u32_e32 v126, 29, v0
	s_movk_i32 s37, 0x2c8
	s_mov_b32 s1, 0
.LBB123_312:                            ; =>This Inner Loop Header: Depth=1
	scratch_load_b64 v[128:129], off, s34
	v_dual_mov_b32 v127, s37 :: v_dual_add_nc_u32 v126, -1, v126
	s_add_co_i32 s37, s37, 8
	s_wait_xcnt 0x0
	s_add_co_i32 s34, s34, 8
	ds_load_b64 v[130:131], v127
	v_cmp_eq_u32_e32 vcc_lo, 0, v126
	s_or_b32 s1, vcc_lo, s1
	s_wait_loadcnt_dscnt 0x0
	v_pk_mul_f32 v[132:133], v[130:131], v[128:129] op_sel:[1,1] op_sel_hi:[0,1]
	s_delay_alu instid0(VALU_DEP_1) | instskip(SKIP_1) | instid1(VALU_DEP_2)
	v_pk_fma_f32 v[134:135], v[130:131], v[128:129], v[132:133] op_sel_hi:[1,0,1]
	v_pk_fma_f32 v[128:129], v[130:131], v[128:129], v[132:133] neg_lo:[0,0,1] neg_hi:[0,0,1]
	v_mov_b32_e32 v129, v135
	s_delay_alu instid0(VALU_DEP_1)
	v_pk_add_f32 v[124:125], v[124:125], v[128:129]
	s_and_not1_b32 exec_lo, exec_lo, s1
	s_cbranch_execnz .LBB123_312
; %bb.313:
	s_or_b32 exec_lo, exec_lo, s1
.LBB123_314:
	s_delay_alu instid0(SALU_CYCLE_1) | instskip(SKIP_4) | instid1(VALU_DEP_1)
	s_or_b32 exec_lo, exec_lo, s36
	v_mov_b32_e32 v126, 0
	ds_load_b64 v[126:127], v126 offset:224
	s_wait_dscnt 0x0
	v_pk_mul_f32 v[128:129], v[124:125], v[126:127] op_sel:[1,1] op_sel_hi:[0,1]
	v_pk_fma_f32 v[130:131], v[124:125], v[126:127], v[128:129] op_sel_hi:[1,0,1]
	v_pk_fma_f32 v[124:125], v[124:125], v[126:127], v[128:129] neg_lo:[0,0,1] neg_hi:[0,0,1]
	s_delay_alu instid0(VALU_DEP_2)
	v_mov_b32_e32 v125, v131
	scratch_store_b64 off, v[124:125], off offset:224
.LBB123_315:
	s_wait_xcnt 0x0
	s_or_b32 exec_lo, exec_lo, s35
	scratch_load_b64 v[124:125], off, off offset:216
	v_cmp_lt_u32_e64 s1, 27, v0
	s_wait_loadcnt 0x0
	ds_store_b64 v1, v[124:125]
	s_wait_storecnt_dscnt 0x0
	s_barrier_signal -1
	s_barrier_wait -1
	s_wait_xcnt 0x0
	s_and_saveexec_b32 s34, s1
	s_cbranch_execz .LBB123_325
; %bb.316:
	s_and_not1_b32 vcc_lo, exec_lo, s3
	s_cbranch_vccnz .LBB123_318
; %bb.317:
	scratch_load_b64 v[124:125], v59, off
	ds_load_b64 v[126:127], v1
	s_wait_loadcnt_dscnt 0x0
	v_pk_mul_f32 v[128:129], v[126:127], v[124:125] op_sel:[1,1] op_sel_hi:[0,1]
	s_delay_alu instid0(VALU_DEP_1) | instskip(SKIP_1) | instid1(VALU_DEP_2)
	v_pk_fma_f32 v[130:131], v[126:127], v[124:125], v[128:129] op_sel_hi:[1,0,1]
	v_pk_fma_f32 v[124:125], v[126:127], v[124:125], v[128:129] neg_lo:[0,0,1] neg_hi:[0,0,1]
	v_mov_b32_e32 v125, v131
	s_cbranch_execz .LBB123_319
	s_branch .LBB123_320
.LBB123_318:
                                        ; implicit-def: $vgpr124_vgpr125
.LBB123_319:
	ds_load_b64 v[124:125], v1
.LBB123_320:
	s_and_saveexec_b32 s35, s0
	s_cbranch_execz .LBB123_324
; %bb.321:
	v_subrev_nc_u32_e32 v126, 28, v0
	s_movk_i32 s36, 0x2c0
	s_mov_b32 s0, 0
.LBB123_322:                            ; =>This Inner Loop Header: Depth=1
	scratch_load_b64 v[128:129], off, s33
	v_dual_mov_b32 v127, s36 :: v_dual_add_nc_u32 v126, -1, v126
	s_add_co_i32 s36, s36, 8
	s_wait_xcnt 0x0
	s_add_co_i32 s33, s33, 8
	ds_load_b64 v[130:131], v127
	v_cmp_eq_u32_e32 vcc_lo, 0, v126
	s_or_b32 s0, vcc_lo, s0
	s_wait_loadcnt_dscnt 0x0
	v_pk_mul_f32 v[132:133], v[130:131], v[128:129] op_sel:[1,1] op_sel_hi:[0,1]
	s_delay_alu instid0(VALU_DEP_1) | instskip(SKIP_1) | instid1(VALU_DEP_2)
	v_pk_fma_f32 v[134:135], v[130:131], v[128:129], v[132:133] op_sel_hi:[1,0,1]
	v_pk_fma_f32 v[128:129], v[130:131], v[128:129], v[132:133] neg_lo:[0,0,1] neg_hi:[0,0,1]
	v_mov_b32_e32 v129, v135
	s_delay_alu instid0(VALU_DEP_1)
	v_pk_add_f32 v[124:125], v[124:125], v[128:129]
	s_and_not1_b32 exec_lo, exec_lo, s0
	s_cbranch_execnz .LBB123_322
; %bb.323:
	s_or_b32 exec_lo, exec_lo, s0
.LBB123_324:
	s_delay_alu instid0(SALU_CYCLE_1) | instskip(SKIP_4) | instid1(VALU_DEP_1)
	s_or_b32 exec_lo, exec_lo, s35
	v_mov_b32_e32 v126, 0
	ds_load_b64 v[126:127], v126 offset:216
	s_wait_dscnt 0x0
	v_pk_mul_f32 v[128:129], v[124:125], v[126:127] op_sel:[1,1] op_sel_hi:[0,1]
	v_pk_fma_f32 v[130:131], v[124:125], v[126:127], v[128:129] op_sel_hi:[1,0,1]
	v_pk_fma_f32 v[124:125], v[124:125], v[126:127], v[128:129] neg_lo:[0,0,1] neg_hi:[0,0,1]
	s_delay_alu instid0(VALU_DEP_2)
	v_mov_b32_e32 v125, v131
	scratch_store_b64 off, v[124:125], off offset:216
.LBB123_325:
	s_wait_xcnt 0x0
	s_or_b32 exec_lo, exec_lo, s34
	scratch_load_b64 v[124:125], off, off offset:208
	v_cmp_lt_u32_e64 s0, 26, v0
	s_wait_loadcnt 0x0
	ds_store_b64 v1, v[124:125]
	s_wait_storecnt_dscnt 0x0
	s_barrier_signal -1
	s_barrier_wait -1
	s_wait_xcnt 0x0
	s_and_saveexec_b32 s33, s0
	s_cbranch_execz .LBB123_335
; %bb.326:
	s_and_not1_b32 vcc_lo, exec_lo, s3
	s_cbranch_vccnz .LBB123_328
; %bb.327:
	scratch_load_b64 v[124:125], v59, off
	ds_load_b64 v[126:127], v1
	s_wait_loadcnt_dscnt 0x0
	v_pk_mul_f32 v[128:129], v[126:127], v[124:125] op_sel:[1,1] op_sel_hi:[0,1]
	s_delay_alu instid0(VALU_DEP_1) | instskip(SKIP_1) | instid1(VALU_DEP_2)
	v_pk_fma_f32 v[130:131], v[126:127], v[124:125], v[128:129] op_sel_hi:[1,0,1]
	v_pk_fma_f32 v[124:125], v[126:127], v[124:125], v[128:129] neg_lo:[0,0,1] neg_hi:[0,0,1]
	v_mov_b32_e32 v125, v131
	s_cbranch_execz .LBB123_329
	s_branch .LBB123_330
.LBB123_328:
                                        ; implicit-def: $vgpr124_vgpr125
.LBB123_329:
	ds_load_b64 v[124:125], v1
.LBB123_330:
	s_and_saveexec_b32 s34, s1
	s_cbranch_execz .LBB123_334
; %bb.331:
	v_subrev_nc_u32_e32 v126, 27, v0
	s_movk_i32 s35, 0x2b8
	s_mov_b32 s1, 0
.LBB123_332:                            ; =>This Inner Loop Header: Depth=1
	scratch_load_b64 v[128:129], off, s31
	v_dual_mov_b32 v127, s35 :: v_dual_add_nc_u32 v126, -1, v126
	s_add_co_i32 s35, s35, 8
	s_wait_xcnt 0x0
	s_add_co_i32 s31, s31, 8
	ds_load_b64 v[130:131], v127
	v_cmp_eq_u32_e32 vcc_lo, 0, v126
	s_or_b32 s1, vcc_lo, s1
	s_wait_loadcnt_dscnt 0x0
	v_pk_mul_f32 v[132:133], v[130:131], v[128:129] op_sel:[1,1] op_sel_hi:[0,1]
	s_delay_alu instid0(VALU_DEP_1) | instskip(SKIP_1) | instid1(VALU_DEP_2)
	v_pk_fma_f32 v[134:135], v[130:131], v[128:129], v[132:133] op_sel_hi:[1,0,1]
	v_pk_fma_f32 v[128:129], v[130:131], v[128:129], v[132:133] neg_lo:[0,0,1] neg_hi:[0,0,1]
	v_mov_b32_e32 v129, v135
	s_delay_alu instid0(VALU_DEP_1)
	v_pk_add_f32 v[124:125], v[124:125], v[128:129]
	s_and_not1_b32 exec_lo, exec_lo, s1
	s_cbranch_execnz .LBB123_332
; %bb.333:
	s_or_b32 exec_lo, exec_lo, s1
.LBB123_334:
	s_delay_alu instid0(SALU_CYCLE_1) | instskip(SKIP_4) | instid1(VALU_DEP_1)
	s_or_b32 exec_lo, exec_lo, s34
	v_mov_b32_e32 v126, 0
	ds_load_b64 v[126:127], v126 offset:208
	s_wait_dscnt 0x0
	v_pk_mul_f32 v[128:129], v[124:125], v[126:127] op_sel:[1,1] op_sel_hi:[0,1]
	v_pk_fma_f32 v[130:131], v[124:125], v[126:127], v[128:129] op_sel_hi:[1,0,1]
	v_pk_fma_f32 v[124:125], v[124:125], v[126:127], v[128:129] neg_lo:[0,0,1] neg_hi:[0,0,1]
	s_delay_alu instid0(VALU_DEP_2)
	v_mov_b32_e32 v125, v131
	scratch_store_b64 off, v[124:125], off offset:208
.LBB123_335:
	s_wait_xcnt 0x0
	s_or_b32 exec_lo, exec_lo, s33
	scratch_load_b64 v[124:125], off, off offset:200
	v_cmp_lt_u32_e64 s1, 25, v0
	s_wait_loadcnt 0x0
	ds_store_b64 v1, v[124:125]
	s_wait_storecnt_dscnt 0x0
	s_barrier_signal -1
	s_barrier_wait -1
	s_wait_xcnt 0x0
	s_and_saveexec_b32 s31, s1
	s_cbranch_execz .LBB123_345
; %bb.336:
	s_and_not1_b32 vcc_lo, exec_lo, s3
	s_cbranch_vccnz .LBB123_338
; %bb.337:
	scratch_load_b64 v[124:125], v59, off
	ds_load_b64 v[126:127], v1
	s_wait_loadcnt_dscnt 0x0
	v_pk_mul_f32 v[128:129], v[126:127], v[124:125] op_sel:[1,1] op_sel_hi:[0,1]
	s_delay_alu instid0(VALU_DEP_1) | instskip(SKIP_1) | instid1(VALU_DEP_2)
	v_pk_fma_f32 v[130:131], v[126:127], v[124:125], v[128:129] op_sel_hi:[1,0,1]
	v_pk_fma_f32 v[124:125], v[126:127], v[124:125], v[128:129] neg_lo:[0,0,1] neg_hi:[0,0,1]
	v_mov_b32_e32 v125, v131
	s_cbranch_execz .LBB123_339
	s_branch .LBB123_340
.LBB123_338:
                                        ; implicit-def: $vgpr124_vgpr125
.LBB123_339:
	ds_load_b64 v[124:125], v1
.LBB123_340:
	s_and_saveexec_b32 s33, s0
	s_cbranch_execz .LBB123_344
; %bb.341:
	v_subrev_nc_u32_e32 v126, 26, v0
	s_movk_i32 s34, 0x2b0
	s_mov_b32 s0, 0
.LBB123_342:                            ; =>This Inner Loop Header: Depth=1
	scratch_load_b64 v[128:129], off, s30
	v_dual_mov_b32 v127, s34 :: v_dual_add_nc_u32 v126, -1, v126
	s_add_co_i32 s34, s34, 8
	s_wait_xcnt 0x0
	s_add_co_i32 s30, s30, 8
	ds_load_b64 v[130:131], v127
	v_cmp_eq_u32_e32 vcc_lo, 0, v126
	s_or_b32 s0, vcc_lo, s0
	s_wait_loadcnt_dscnt 0x0
	v_pk_mul_f32 v[132:133], v[130:131], v[128:129] op_sel:[1,1] op_sel_hi:[0,1]
	s_delay_alu instid0(VALU_DEP_1) | instskip(SKIP_1) | instid1(VALU_DEP_2)
	v_pk_fma_f32 v[134:135], v[130:131], v[128:129], v[132:133] op_sel_hi:[1,0,1]
	v_pk_fma_f32 v[128:129], v[130:131], v[128:129], v[132:133] neg_lo:[0,0,1] neg_hi:[0,0,1]
	v_mov_b32_e32 v129, v135
	s_delay_alu instid0(VALU_DEP_1)
	v_pk_add_f32 v[124:125], v[124:125], v[128:129]
	s_and_not1_b32 exec_lo, exec_lo, s0
	s_cbranch_execnz .LBB123_342
; %bb.343:
	s_or_b32 exec_lo, exec_lo, s0
.LBB123_344:
	s_delay_alu instid0(SALU_CYCLE_1) | instskip(SKIP_4) | instid1(VALU_DEP_1)
	s_or_b32 exec_lo, exec_lo, s33
	v_mov_b32_e32 v126, 0
	ds_load_b64 v[126:127], v126 offset:200
	s_wait_dscnt 0x0
	v_pk_mul_f32 v[128:129], v[124:125], v[126:127] op_sel:[1,1] op_sel_hi:[0,1]
	v_pk_fma_f32 v[130:131], v[124:125], v[126:127], v[128:129] op_sel_hi:[1,0,1]
	v_pk_fma_f32 v[124:125], v[124:125], v[126:127], v[128:129] neg_lo:[0,0,1] neg_hi:[0,0,1]
	s_delay_alu instid0(VALU_DEP_2)
	v_mov_b32_e32 v125, v131
	scratch_store_b64 off, v[124:125], off offset:200
.LBB123_345:
	s_wait_xcnt 0x0
	s_or_b32 exec_lo, exec_lo, s31
	scratch_load_b64 v[124:125], off, off offset:192
	v_cmp_lt_u32_e64 s0, 24, v0
	s_wait_loadcnt 0x0
	ds_store_b64 v1, v[124:125]
	s_wait_storecnt_dscnt 0x0
	s_barrier_signal -1
	s_barrier_wait -1
	s_wait_xcnt 0x0
	s_and_saveexec_b32 s30, s0
	s_cbranch_execz .LBB123_355
; %bb.346:
	s_and_not1_b32 vcc_lo, exec_lo, s3
	s_cbranch_vccnz .LBB123_348
; %bb.347:
	scratch_load_b64 v[124:125], v59, off
	ds_load_b64 v[126:127], v1
	s_wait_loadcnt_dscnt 0x0
	v_pk_mul_f32 v[128:129], v[126:127], v[124:125] op_sel:[1,1] op_sel_hi:[0,1]
	s_delay_alu instid0(VALU_DEP_1) | instskip(SKIP_1) | instid1(VALU_DEP_2)
	v_pk_fma_f32 v[130:131], v[126:127], v[124:125], v[128:129] op_sel_hi:[1,0,1]
	v_pk_fma_f32 v[124:125], v[126:127], v[124:125], v[128:129] neg_lo:[0,0,1] neg_hi:[0,0,1]
	v_mov_b32_e32 v125, v131
	s_cbranch_execz .LBB123_349
	s_branch .LBB123_350
.LBB123_348:
                                        ; implicit-def: $vgpr124_vgpr125
.LBB123_349:
	ds_load_b64 v[124:125], v1
.LBB123_350:
	s_and_saveexec_b32 s31, s1
	s_cbranch_execz .LBB123_354
; %bb.351:
	v_subrev_nc_u32_e32 v126, 25, v0
	s_movk_i32 s33, 0x2a8
	s_mov_b32 s1, 0
.LBB123_352:                            ; =>This Inner Loop Header: Depth=1
	scratch_load_b64 v[128:129], off, s29
	v_dual_mov_b32 v127, s33 :: v_dual_add_nc_u32 v126, -1, v126
	s_add_co_i32 s33, s33, 8
	s_wait_xcnt 0x0
	s_add_co_i32 s29, s29, 8
	ds_load_b64 v[130:131], v127
	v_cmp_eq_u32_e32 vcc_lo, 0, v126
	s_or_b32 s1, vcc_lo, s1
	s_wait_loadcnt_dscnt 0x0
	v_pk_mul_f32 v[132:133], v[130:131], v[128:129] op_sel:[1,1] op_sel_hi:[0,1]
	s_delay_alu instid0(VALU_DEP_1) | instskip(SKIP_1) | instid1(VALU_DEP_2)
	v_pk_fma_f32 v[134:135], v[130:131], v[128:129], v[132:133] op_sel_hi:[1,0,1]
	v_pk_fma_f32 v[128:129], v[130:131], v[128:129], v[132:133] neg_lo:[0,0,1] neg_hi:[0,0,1]
	v_mov_b32_e32 v129, v135
	s_delay_alu instid0(VALU_DEP_1)
	v_pk_add_f32 v[124:125], v[124:125], v[128:129]
	s_and_not1_b32 exec_lo, exec_lo, s1
	s_cbranch_execnz .LBB123_352
; %bb.353:
	s_or_b32 exec_lo, exec_lo, s1
.LBB123_354:
	s_delay_alu instid0(SALU_CYCLE_1) | instskip(SKIP_4) | instid1(VALU_DEP_1)
	s_or_b32 exec_lo, exec_lo, s31
	v_mov_b32_e32 v126, 0
	ds_load_b64 v[126:127], v126 offset:192
	s_wait_dscnt 0x0
	v_pk_mul_f32 v[128:129], v[124:125], v[126:127] op_sel:[1,1] op_sel_hi:[0,1]
	v_pk_fma_f32 v[130:131], v[124:125], v[126:127], v[128:129] op_sel_hi:[1,0,1]
	v_pk_fma_f32 v[124:125], v[124:125], v[126:127], v[128:129] neg_lo:[0,0,1] neg_hi:[0,0,1]
	s_delay_alu instid0(VALU_DEP_2)
	v_mov_b32_e32 v125, v131
	scratch_store_b64 off, v[124:125], off offset:192
.LBB123_355:
	s_wait_xcnt 0x0
	s_or_b32 exec_lo, exec_lo, s30
	scratch_load_b64 v[124:125], off, off offset:184
	v_cmp_lt_u32_e64 s1, 23, v0
	s_wait_loadcnt 0x0
	ds_store_b64 v1, v[124:125]
	s_wait_storecnt_dscnt 0x0
	s_barrier_signal -1
	s_barrier_wait -1
	s_wait_xcnt 0x0
	s_and_saveexec_b32 s29, s1
	s_cbranch_execz .LBB123_365
; %bb.356:
	s_and_not1_b32 vcc_lo, exec_lo, s3
	s_cbranch_vccnz .LBB123_358
; %bb.357:
	scratch_load_b64 v[124:125], v59, off
	ds_load_b64 v[126:127], v1
	s_wait_loadcnt_dscnt 0x0
	v_pk_mul_f32 v[128:129], v[126:127], v[124:125] op_sel:[1,1] op_sel_hi:[0,1]
	s_delay_alu instid0(VALU_DEP_1) | instskip(SKIP_1) | instid1(VALU_DEP_2)
	v_pk_fma_f32 v[130:131], v[126:127], v[124:125], v[128:129] op_sel_hi:[1,0,1]
	v_pk_fma_f32 v[124:125], v[126:127], v[124:125], v[128:129] neg_lo:[0,0,1] neg_hi:[0,0,1]
	v_mov_b32_e32 v125, v131
	s_cbranch_execz .LBB123_359
	s_branch .LBB123_360
.LBB123_358:
                                        ; implicit-def: $vgpr124_vgpr125
.LBB123_359:
	ds_load_b64 v[124:125], v1
.LBB123_360:
	s_and_saveexec_b32 s30, s0
	s_cbranch_execz .LBB123_364
; %bb.361:
	v_subrev_nc_u32_e32 v126, 24, v0
	s_movk_i32 s31, 0x2a0
	s_mov_b32 s0, 0
.LBB123_362:                            ; =>This Inner Loop Header: Depth=1
	scratch_load_b64 v[128:129], off, s28
	v_dual_mov_b32 v127, s31 :: v_dual_add_nc_u32 v126, -1, v126
	s_add_co_i32 s31, s31, 8
	s_wait_xcnt 0x0
	s_add_co_i32 s28, s28, 8
	ds_load_b64 v[130:131], v127
	v_cmp_eq_u32_e32 vcc_lo, 0, v126
	s_or_b32 s0, vcc_lo, s0
	s_wait_loadcnt_dscnt 0x0
	v_pk_mul_f32 v[132:133], v[130:131], v[128:129] op_sel:[1,1] op_sel_hi:[0,1]
	s_delay_alu instid0(VALU_DEP_1) | instskip(SKIP_1) | instid1(VALU_DEP_2)
	v_pk_fma_f32 v[134:135], v[130:131], v[128:129], v[132:133] op_sel_hi:[1,0,1]
	v_pk_fma_f32 v[128:129], v[130:131], v[128:129], v[132:133] neg_lo:[0,0,1] neg_hi:[0,0,1]
	v_mov_b32_e32 v129, v135
	s_delay_alu instid0(VALU_DEP_1)
	v_pk_add_f32 v[124:125], v[124:125], v[128:129]
	s_and_not1_b32 exec_lo, exec_lo, s0
	s_cbranch_execnz .LBB123_362
; %bb.363:
	s_or_b32 exec_lo, exec_lo, s0
.LBB123_364:
	s_delay_alu instid0(SALU_CYCLE_1) | instskip(SKIP_4) | instid1(VALU_DEP_1)
	s_or_b32 exec_lo, exec_lo, s30
	v_mov_b32_e32 v126, 0
	ds_load_b64 v[126:127], v126 offset:184
	s_wait_dscnt 0x0
	v_pk_mul_f32 v[128:129], v[124:125], v[126:127] op_sel:[1,1] op_sel_hi:[0,1]
	v_pk_fma_f32 v[130:131], v[124:125], v[126:127], v[128:129] op_sel_hi:[1,0,1]
	v_pk_fma_f32 v[124:125], v[124:125], v[126:127], v[128:129] neg_lo:[0,0,1] neg_hi:[0,0,1]
	s_delay_alu instid0(VALU_DEP_2)
	v_mov_b32_e32 v125, v131
	scratch_store_b64 off, v[124:125], off offset:184
.LBB123_365:
	s_wait_xcnt 0x0
	s_or_b32 exec_lo, exec_lo, s29
	scratch_load_b64 v[124:125], off, off offset:176
	v_cmp_lt_u32_e64 s0, 22, v0
	s_wait_loadcnt 0x0
	ds_store_b64 v1, v[124:125]
	s_wait_storecnt_dscnt 0x0
	s_barrier_signal -1
	s_barrier_wait -1
	s_wait_xcnt 0x0
	s_and_saveexec_b32 s28, s0
	s_cbranch_execz .LBB123_375
; %bb.366:
	s_and_not1_b32 vcc_lo, exec_lo, s3
	s_cbranch_vccnz .LBB123_368
; %bb.367:
	scratch_load_b64 v[124:125], v59, off
	ds_load_b64 v[126:127], v1
	s_wait_loadcnt_dscnt 0x0
	v_pk_mul_f32 v[128:129], v[126:127], v[124:125] op_sel:[1,1] op_sel_hi:[0,1]
	s_delay_alu instid0(VALU_DEP_1) | instskip(SKIP_1) | instid1(VALU_DEP_2)
	v_pk_fma_f32 v[130:131], v[126:127], v[124:125], v[128:129] op_sel_hi:[1,0,1]
	v_pk_fma_f32 v[124:125], v[126:127], v[124:125], v[128:129] neg_lo:[0,0,1] neg_hi:[0,0,1]
	v_mov_b32_e32 v125, v131
	s_cbranch_execz .LBB123_369
	s_branch .LBB123_370
.LBB123_368:
                                        ; implicit-def: $vgpr124_vgpr125
.LBB123_369:
	ds_load_b64 v[124:125], v1
.LBB123_370:
	s_and_saveexec_b32 s29, s1
	s_cbranch_execz .LBB123_374
; %bb.371:
	v_subrev_nc_u32_e32 v126, 23, v0
	s_movk_i32 s30, 0x298
	s_mov_b32 s1, 0
.LBB123_372:                            ; =>This Inner Loop Header: Depth=1
	scratch_load_b64 v[128:129], off, s27
	v_dual_mov_b32 v127, s30 :: v_dual_add_nc_u32 v126, -1, v126
	s_add_co_i32 s30, s30, 8
	s_wait_xcnt 0x0
	s_add_co_i32 s27, s27, 8
	ds_load_b64 v[130:131], v127
	v_cmp_eq_u32_e32 vcc_lo, 0, v126
	s_or_b32 s1, vcc_lo, s1
	s_wait_loadcnt_dscnt 0x0
	v_pk_mul_f32 v[132:133], v[130:131], v[128:129] op_sel:[1,1] op_sel_hi:[0,1]
	s_delay_alu instid0(VALU_DEP_1) | instskip(SKIP_1) | instid1(VALU_DEP_2)
	v_pk_fma_f32 v[134:135], v[130:131], v[128:129], v[132:133] op_sel_hi:[1,0,1]
	v_pk_fma_f32 v[128:129], v[130:131], v[128:129], v[132:133] neg_lo:[0,0,1] neg_hi:[0,0,1]
	v_mov_b32_e32 v129, v135
	s_delay_alu instid0(VALU_DEP_1)
	v_pk_add_f32 v[124:125], v[124:125], v[128:129]
	s_and_not1_b32 exec_lo, exec_lo, s1
	s_cbranch_execnz .LBB123_372
; %bb.373:
	s_or_b32 exec_lo, exec_lo, s1
.LBB123_374:
	s_delay_alu instid0(SALU_CYCLE_1) | instskip(SKIP_4) | instid1(VALU_DEP_1)
	s_or_b32 exec_lo, exec_lo, s29
	v_mov_b32_e32 v126, 0
	ds_load_b64 v[126:127], v126 offset:176
	s_wait_dscnt 0x0
	v_pk_mul_f32 v[128:129], v[124:125], v[126:127] op_sel:[1,1] op_sel_hi:[0,1]
	v_pk_fma_f32 v[130:131], v[124:125], v[126:127], v[128:129] op_sel_hi:[1,0,1]
	v_pk_fma_f32 v[124:125], v[124:125], v[126:127], v[128:129] neg_lo:[0,0,1] neg_hi:[0,0,1]
	s_delay_alu instid0(VALU_DEP_2)
	v_mov_b32_e32 v125, v131
	scratch_store_b64 off, v[124:125], off offset:176
.LBB123_375:
	s_wait_xcnt 0x0
	s_or_b32 exec_lo, exec_lo, s28
	scratch_load_b64 v[124:125], off, off offset:168
	v_cmp_lt_u32_e64 s1, 21, v0
	s_wait_loadcnt 0x0
	ds_store_b64 v1, v[124:125]
	s_wait_storecnt_dscnt 0x0
	s_barrier_signal -1
	s_barrier_wait -1
	s_wait_xcnt 0x0
	s_and_saveexec_b32 s27, s1
	s_cbranch_execz .LBB123_385
; %bb.376:
	s_and_not1_b32 vcc_lo, exec_lo, s3
	s_cbranch_vccnz .LBB123_378
; %bb.377:
	scratch_load_b64 v[124:125], v59, off
	ds_load_b64 v[126:127], v1
	s_wait_loadcnt_dscnt 0x0
	v_pk_mul_f32 v[128:129], v[126:127], v[124:125] op_sel:[1,1] op_sel_hi:[0,1]
	s_delay_alu instid0(VALU_DEP_1) | instskip(SKIP_1) | instid1(VALU_DEP_2)
	v_pk_fma_f32 v[130:131], v[126:127], v[124:125], v[128:129] op_sel_hi:[1,0,1]
	v_pk_fma_f32 v[124:125], v[126:127], v[124:125], v[128:129] neg_lo:[0,0,1] neg_hi:[0,0,1]
	v_mov_b32_e32 v125, v131
	s_cbranch_execz .LBB123_379
	s_branch .LBB123_380
.LBB123_378:
                                        ; implicit-def: $vgpr124_vgpr125
.LBB123_379:
	ds_load_b64 v[124:125], v1
.LBB123_380:
	s_and_saveexec_b32 s28, s0
	s_cbranch_execz .LBB123_384
; %bb.381:
	v_subrev_nc_u32_e32 v126, 22, v0
	s_movk_i32 s29, 0x290
	s_mov_b32 s0, 0
.LBB123_382:                            ; =>This Inner Loop Header: Depth=1
	scratch_load_b64 v[128:129], off, s26
	v_dual_mov_b32 v127, s29 :: v_dual_add_nc_u32 v126, -1, v126
	s_add_co_i32 s29, s29, 8
	s_wait_xcnt 0x0
	s_add_co_i32 s26, s26, 8
	ds_load_b64 v[130:131], v127
	v_cmp_eq_u32_e32 vcc_lo, 0, v126
	s_or_b32 s0, vcc_lo, s0
	s_wait_loadcnt_dscnt 0x0
	v_pk_mul_f32 v[132:133], v[130:131], v[128:129] op_sel:[1,1] op_sel_hi:[0,1]
	s_delay_alu instid0(VALU_DEP_1) | instskip(SKIP_1) | instid1(VALU_DEP_2)
	v_pk_fma_f32 v[134:135], v[130:131], v[128:129], v[132:133] op_sel_hi:[1,0,1]
	v_pk_fma_f32 v[128:129], v[130:131], v[128:129], v[132:133] neg_lo:[0,0,1] neg_hi:[0,0,1]
	v_mov_b32_e32 v129, v135
	s_delay_alu instid0(VALU_DEP_1)
	v_pk_add_f32 v[124:125], v[124:125], v[128:129]
	s_and_not1_b32 exec_lo, exec_lo, s0
	s_cbranch_execnz .LBB123_382
; %bb.383:
	s_or_b32 exec_lo, exec_lo, s0
.LBB123_384:
	s_delay_alu instid0(SALU_CYCLE_1) | instskip(SKIP_4) | instid1(VALU_DEP_1)
	s_or_b32 exec_lo, exec_lo, s28
	v_mov_b32_e32 v126, 0
	ds_load_b64 v[126:127], v126 offset:168
	s_wait_dscnt 0x0
	v_pk_mul_f32 v[128:129], v[124:125], v[126:127] op_sel:[1,1] op_sel_hi:[0,1]
	v_pk_fma_f32 v[130:131], v[124:125], v[126:127], v[128:129] op_sel_hi:[1,0,1]
	v_pk_fma_f32 v[124:125], v[124:125], v[126:127], v[128:129] neg_lo:[0,0,1] neg_hi:[0,0,1]
	s_delay_alu instid0(VALU_DEP_2)
	v_mov_b32_e32 v125, v131
	scratch_store_b64 off, v[124:125], off offset:168
.LBB123_385:
	s_wait_xcnt 0x0
	s_or_b32 exec_lo, exec_lo, s27
	scratch_load_b64 v[124:125], off, off offset:160
	v_cmp_lt_u32_e64 s0, 20, v0
	s_wait_loadcnt 0x0
	ds_store_b64 v1, v[124:125]
	s_wait_storecnt_dscnt 0x0
	s_barrier_signal -1
	s_barrier_wait -1
	s_wait_xcnt 0x0
	s_and_saveexec_b32 s26, s0
	s_cbranch_execz .LBB123_395
; %bb.386:
	s_and_not1_b32 vcc_lo, exec_lo, s3
	s_cbranch_vccnz .LBB123_388
; %bb.387:
	scratch_load_b64 v[124:125], v59, off
	ds_load_b64 v[126:127], v1
	s_wait_loadcnt_dscnt 0x0
	v_pk_mul_f32 v[128:129], v[126:127], v[124:125] op_sel:[1,1] op_sel_hi:[0,1]
	s_delay_alu instid0(VALU_DEP_1) | instskip(SKIP_1) | instid1(VALU_DEP_2)
	v_pk_fma_f32 v[130:131], v[126:127], v[124:125], v[128:129] op_sel_hi:[1,0,1]
	v_pk_fma_f32 v[124:125], v[126:127], v[124:125], v[128:129] neg_lo:[0,0,1] neg_hi:[0,0,1]
	v_mov_b32_e32 v125, v131
	s_cbranch_execz .LBB123_389
	s_branch .LBB123_390
.LBB123_388:
                                        ; implicit-def: $vgpr124_vgpr125
.LBB123_389:
	ds_load_b64 v[124:125], v1
.LBB123_390:
	s_and_saveexec_b32 s27, s1
	s_cbranch_execz .LBB123_394
; %bb.391:
	v_subrev_nc_u32_e32 v126, 21, v0
	s_movk_i32 s28, 0x288
	s_mov_b32 s1, 0
.LBB123_392:                            ; =>This Inner Loop Header: Depth=1
	scratch_load_b64 v[128:129], off, s25
	v_dual_mov_b32 v127, s28 :: v_dual_add_nc_u32 v126, -1, v126
	s_add_co_i32 s28, s28, 8
	s_wait_xcnt 0x0
	s_add_co_i32 s25, s25, 8
	ds_load_b64 v[130:131], v127
	v_cmp_eq_u32_e32 vcc_lo, 0, v126
	s_or_b32 s1, vcc_lo, s1
	s_wait_loadcnt_dscnt 0x0
	v_pk_mul_f32 v[132:133], v[130:131], v[128:129] op_sel:[1,1] op_sel_hi:[0,1]
	s_delay_alu instid0(VALU_DEP_1) | instskip(SKIP_1) | instid1(VALU_DEP_2)
	v_pk_fma_f32 v[134:135], v[130:131], v[128:129], v[132:133] op_sel_hi:[1,0,1]
	v_pk_fma_f32 v[128:129], v[130:131], v[128:129], v[132:133] neg_lo:[0,0,1] neg_hi:[0,0,1]
	v_mov_b32_e32 v129, v135
	s_delay_alu instid0(VALU_DEP_1)
	v_pk_add_f32 v[124:125], v[124:125], v[128:129]
	s_and_not1_b32 exec_lo, exec_lo, s1
	s_cbranch_execnz .LBB123_392
; %bb.393:
	s_or_b32 exec_lo, exec_lo, s1
.LBB123_394:
	s_delay_alu instid0(SALU_CYCLE_1) | instskip(SKIP_4) | instid1(VALU_DEP_1)
	s_or_b32 exec_lo, exec_lo, s27
	v_mov_b32_e32 v126, 0
	ds_load_b64 v[126:127], v126 offset:160
	s_wait_dscnt 0x0
	v_pk_mul_f32 v[128:129], v[124:125], v[126:127] op_sel:[1,1] op_sel_hi:[0,1]
	v_pk_fma_f32 v[130:131], v[124:125], v[126:127], v[128:129] op_sel_hi:[1,0,1]
	v_pk_fma_f32 v[124:125], v[124:125], v[126:127], v[128:129] neg_lo:[0,0,1] neg_hi:[0,0,1]
	s_delay_alu instid0(VALU_DEP_2)
	v_mov_b32_e32 v125, v131
	scratch_store_b64 off, v[124:125], off offset:160
.LBB123_395:
	s_wait_xcnt 0x0
	s_or_b32 exec_lo, exec_lo, s26
	scratch_load_b64 v[124:125], off, off offset:152
	v_cmp_lt_u32_e64 s1, 19, v0
	s_wait_loadcnt 0x0
	ds_store_b64 v1, v[124:125]
	s_wait_storecnt_dscnt 0x0
	s_barrier_signal -1
	s_barrier_wait -1
	s_wait_xcnt 0x0
	s_and_saveexec_b32 s25, s1
	s_cbranch_execz .LBB123_405
; %bb.396:
	s_and_not1_b32 vcc_lo, exec_lo, s3
	s_cbranch_vccnz .LBB123_398
; %bb.397:
	scratch_load_b64 v[124:125], v59, off
	ds_load_b64 v[126:127], v1
	s_wait_loadcnt_dscnt 0x0
	v_pk_mul_f32 v[128:129], v[126:127], v[124:125] op_sel:[1,1] op_sel_hi:[0,1]
	s_delay_alu instid0(VALU_DEP_1) | instskip(SKIP_1) | instid1(VALU_DEP_2)
	v_pk_fma_f32 v[130:131], v[126:127], v[124:125], v[128:129] op_sel_hi:[1,0,1]
	v_pk_fma_f32 v[124:125], v[126:127], v[124:125], v[128:129] neg_lo:[0,0,1] neg_hi:[0,0,1]
	v_mov_b32_e32 v125, v131
	s_cbranch_execz .LBB123_399
	s_branch .LBB123_400
.LBB123_398:
                                        ; implicit-def: $vgpr124_vgpr125
.LBB123_399:
	ds_load_b64 v[124:125], v1
.LBB123_400:
	s_and_saveexec_b32 s26, s0
	s_cbranch_execz .LBB123_404
; %bb.401:
	v_subrev_nc_u32_e32 v126, 20, v0
	s_movk_i32 s27, 0x280
	s_mov_b32 s0, 0
.LBB123_402:                            ; =>This Inner Loop Header: Depth=1
	scratch_load_b64 v[128:129], off, s24
	v_dual_mov_b32 v127, s27 :: v_dual_add_nc_u32 v126, -1, v126
	s_add_co_i32 s27, s27, 8
	s_wait_xcnt 0x0
	s_add_co_i32 s24, s24, 8
	ds_load_b64 v[130:131], v127
	v_cmp_eq_u32_e32 vcc_lo, 0, v126
	s_or_b32 s0, vcc_lo, s0
	s_wait_loadcnt_dscnt 0x0
	v_pk_mul_f32 v[132:133], v[130:131], v[128:129] op_sel:[1,1] op_sel_hi:[0,1]
	s_delay_alu instid0(VALU_DEP_1) | instskip(SKIP_1) | instid1(VALU_DEP_2)
	v_pk_fma_f32 v[134:135], v[130:131], v[128:129], v[132:133] op_sel_hi:[1,0,1]
	v_pk_fma_f32 v[128:129], v[130:131], v[128:129], v[132:133] neg_lo:[0,0,1] neg_hi:[0,0,1]
	v_mov_b32_e32 v129, v135
	s_delay_alu instid0(VALU_DEP_1)
	v_pk_add_f32 v[124:125], v[124:125], v[128:129]
	s_and_not1_b32 exec_lo, exec_lo, s0
	s_cbranch_execnz .LBB123_402
; %bb.403:
	s_or_b32 exec_lo, exec_lo, s0
.LBB123_404:
	s_delay_alu instid0(SALU_CYCLE_1) | instskip(SKIP_4) | instid1(VALU_DEP_1)
	s_or_b32 exec_lo, exec_lo, s26
	v_mov_b32_e32 v126, 0
	ds_load_b64 v[126:127], v126 offset:152
	s_wait_dscnt 0x0
	v_pk_mul_f32 v[128:129], v[124:125], v[126:127] op_sel:[1,1] op_sel_hi:[0,1]
	v_pk_fma_f32 v[130:131], v[124:125], v[126:127], v[128:129] op_sel_hi:[1,0,1]
	v_pk_fma_f32 v[124:125], v[124:125], v[126:127], v[128:129] neg_lo:[0,0,1] neg_hi:[0,0,1]
	s_delay_alu instid0(VALU_DEP_2)
	v_mov_b32_e32 v125, v131
	scratch_store_b64 off, v[124:125], off offset:152
.LBB123_405:
	s_wait_xcnt 0x0
	s_or_b32 exec_lo, exec_lo, s25
	scratch_load_b64 v[124:125], off, off offset:144
	v_cmp_lt_u32_e64 s0, 18, v0
	s_wait_loadcnt 0x0
	ds_store_b64 v1, v[124:125]
	s_wait_storecnt_dscnt 0x0
	s_barrier_signal -1
	s_barrier_wait -1
	s_wait_xcnt 0x0
	s_and_saveexec_b32 s24, s0
	s_cbranch_execz .LBB123_415
; %bb.406:
	s_and_not1_b32 vcc_lo, exec_lo, s3
	s_cbranch_vccnz .LBB123_408
; %bb.407:
	scratch_load_b64 v[124:125], v59, off
	ds_load_b64 v[126:127], v1
	s_wait_loadcnt_dscnt 0x0
	v_pk_mul_f32 v[128:129], v[126:127], v[124:125] op_sel:[1,1] op_sel_hi:[0,1]
	s_delay_alu instid0(VALU_DEP_1) | instskip(SKIP_1) | instid1(VALU_DEP_2)
	v_pk_fma_f32 v[130:131], v[126:127], v[124:125], v[128:129] op_sel_hi:[1,0,1]
	v_pk_fma_f32 v[124:125], v[126:127], v[124:125], v[128:129] neg_lo:[0,0,1] neg_hi:[0,0,1]
	v_mov_b32_e32 v125, v131
	s_cbranch_execz .LBB123_409
	s_branch .LBB123_410
.LBB123_408:
                                        ; implicit-def: $vgpr124_vgpr125
.LBB123_409:
	ds_load_b64 v[124:125], v1
.LBB123_410:
	s_and_saveexec_b32 s25, s1
	s_cbranch_execz .LBB123_414
; %bb.411:
	v_subrev_nc_u32_e32 v126, 19, v0
	s_movk_i32 s26, 0x278
	s_mov_b32 s1, 0
.LBB123_412:                            ; =>This Inner Loop Header: Depth=1
	scratch_load_b64 v[128:129], off, s23
	v_dual_mov_b32 v127, s26 :: v_dual_add_nc_u32 v126, -1, v126
	s_add_co_i32 s26, s26, 8
	s_wait_xcnt 0x0
	s_add_co_i32 s23, s23, 8
	ds_load_b64 v[130:131], v127
	v_cmp_eq_u32_e32 vcc_lo, 0, v126
	s_or_b32 s1, vcc_lo, s1
	s_wait_loadcnt_dscnt 0x0
	v_pk_mul_f32 v[132:133], v[130:131], v[128:129] op_sel:[1,1] op_sel_hi:[0,1]
	s_delay_alu instid0(VALU_DEP_1) | instskip(SKIP_1) | instid1(VALU_DEP_2)
	v_pk_fma_f32 v[134:135], v[130:131], v[128:129], v[132:133] op_sel_hi:[1,0,1]
	v_pk_fma_f32 v[128:129], v[130:131], v[128:129], v[132:133] neg_lo:[0,0,1] neg_hi:[0,0,1]
	v_mov_b32_e32 v129, v135
	s_delay_alu instid0(VALU_DEP_1)
	v_pk_add_f32 v[124:125], v[124:125], v[128:129]
	s_and_not1_b32 exec_lo, exec_lo, s1
	s_cbranch_execnz .LBB123_412
; %bb.413:
	s_or_b32 exec_lo, exec_lo, s1
.LBB123_414:
	s_delay_alu instid0(SALU_CYCLE_1) | instskip(SKIP_4) | instid1(VALU_DEP_1)
	s_or_b32 exec_lo, exec_lo, s25
	v_mov_b32_e32 v126, 0
	ds_load_b64 v[126:127], v126 offset:144
	s_wait_dscnt 0x0
	v_pk_mul_f32 v[128:129], v[124:125], v[126:127] op_sel:[1,1] op_sel_hi:[0,1]
	v_pk_fma_f32 v[130:131], v[124:125], v[126:127], v[128:129] op_sel_hi:[1,0,1]
	v_pk_fma_f32 v[124:125], v[124:125], v[126:127], v[128:129] neg_lo:[0,0,1] neg_hi:[0,0,1]
	s_delay_alu instid0(VALU_DEP_2)
	v_mov_b32_e32 v125, v131
	scratch_store_b64 off, v[124:125], off offset:144
.LBB123_415:
	s_wait_xcnt 0x0
	s_or_b32 exec_lo, exec_lo, s24
	scratch_load_b64 v[124:125], off, off offset:136
	v_cmp_lt_u32_e64 s1, 17, v0
	s_wait_loadcnt 0x0
	ds_store_b64 v1, v[124:125]
	s_wait_storecnt_dscnt 0x0
	s_barrier_signal -1
	s_barrier_wait -1
	s_wait_xcnt 0x0
	s_and_saveexec_b32 s23, s1
	s_cbranch_execz .LBB123_425
; %bb.416:
	s_and_not1_b32 vcc_lo, exec_lo, s3
	s_cbranch_vccnz .LBB123_418
; %bb.417:
	scratch_load_b64 v[124:125], v59, off
	ds_load_b64 v[126:127], v1
	s_wait_loadcnt_dscnt 0x0
	v_pk_mul_f32 v[128:129], v[126:127], v[124:125] op_sel:[1,1] op_sel_hi:[0,1]
	s_delay_alu instid0(VALU_DEP_1) | instskip(SKIP_1) | instid1(VALU_DEP_2)
	v_pk_fma_f32 v[130:131], v[126:127], v[124:125], v[128:129] op_sel_hi:[1,0,1]
	v_pk_fma_f32 v[124:125], v[126:127], v[124:125], v[128:129] neg_lo:[0,0,1] neg_hi:[0,0,1]
	v_mov_b32_e32 v125, v131
	s_cbranch_execz .LBB123_419
	s_branch .LBB123_420
.LBB123_418:
                                        ; implicit-def: $vgpr124_vgpr125
.LBB123_419:
	ds_load_b64 v[124:125], v1
.LBB123_420:
	s_and_saveexec_b32 s24, s0
	s_cbranch_execz .LBB123_424
; %bb.421:
	v_subrev_nc_u32_e32 v126, 18, v0
	s_movk_i32 s25, 0x270
	s_mov_b32 s0, 0
.LBB123_422:                            ; =>This Inner Loop Header: Depth=1
	scratch_load_b64 v[128:129], off, s22
	v_dual_mov_b32 v127, s25 :: v_dual_add_nc_u32 v126, -1, v126
	s_add_co_i32 s25, s25, 8
	s_wait_xcnt 0x0
	s_add_co_i32 s22, s22, 8
	ds_load_b64 v[130:131], v127
	v_cmp_eq_u32_e32 vcc_lo, 0, v126
	s_or_b32 s0, vcc_lo, s0
	s_wait_loadcnt_dscnt 0x0
	v_pk_mul_f32 v[132:133], v[130:131], v[128:129] op_sel:[1,1] op_sel_hi:[0,1]
	s_delay_alu instid0(VALU_DEP_1) | instskip(SKIP_1) | instid1(VALU_DEP_2)
	v_pk_fma_f32 v[134:135], v[130:131], v[128:129], v[132:133] op_sel_hi:[1,0,1]
	v_pk_fma_f32 v[128:129], v[130:131], v[128:129], v[132:133] neg_lo:[0,0,1] neg_hi:[0,0,1]
	v_mov_b32_e32 v129, v135
	s_delay_alu instid0(VALU_DEP_1)
	v_pk_add_f32 v[124:125], v[124:125], v[128:129]
	s_and_not1_b32 exec_lo, exec_lo, s0
	s_cbranch_execnz .LBB123_422
; %bb.423:
	s_or_b32 exec_lo, exec_lo, s0
.LBB123_424:
	s_delay_alu instid0(SALU_CYCLE_1) | instskip(SKIP_4) | instid1(VALU_DEP_1)
	s_or_b32 exec_lo, exec_lo, s24
	v_mov_b32_e32 v126, 0
	ds_load_b64 v[126:127], v126 offset:136
	s_wait_dscnt 0x0
	v_pk_mul_f32 v[128:129], v[124:125], v[126:127] op_sel:[1,1] op_sel_hi:[0,1]
	v_pk_fma_f32 v[130:131], v[124:125], v[126:127], v[128:129] op_sel_hi:[1,0,1]
	v_pk_fma_f32 v[124:125], v[124:125], v[126:127], v[128:129] neg_lo:[0,0,1] neg_hi:[0,0,1]
	s_delay_alu instid0(VALU_DEP_2)
	v_mov_b32_e32 v125, v131
	scratch_store_b64 off, v[124:125], off offset:136
.LBB123_425:
	s_wait_xcnt 0x0
	s_or_b32 exec_lo, exec_lo, s23
	scratch_load_b64 v[124:125], off, off offset:128
	v_cmp_lt_u32_e64 s0, 16, v0
	s_wait_loadcnt 0x0
	ds_store_b64 v1, v[124:125]
	s_wait_storecnt_dscnt 0x0
	s_barrier_signal -1
	s_barrier_wait -1
	s_wait_xcnt 0x0
	s_and_saveexec_b32 s22, s0
	s_cbranch_execz .LBB123_435
; %bb.426:
	s_and_not1_b32 vcc_lo, exec_lo, s3
	s_cbranch_vccnz .LBB123_428
; %bb.427:
	scratch_load_b64 v[124:125], v59, off
	ds_load_b64 v[126:127], v1
	s_wait_loadcnt_dscnt 0x0
	v_pk_mul_f32 v[128:129], v[126:127], v[124:125] op_sel:[1,1] op_sel_hi:[0,1]
	s_delay_alu instid0(VALU_DEP_1) | instskip(SKIP_1) | instid1(VALU_DEP_2)
	v_pk_fma_f32 v[130:131], v[126:127], v[124:125], v[128:129] op_sel_hi:[1,0,1]
	v_pk_fma_f32 v[124:125], v[126:127], v[124:125], v[128:129] neg_lo:[0,0,1] neg_hi:[0,0,1]
	v_mov_b32_e32 v125, v131
	s_cbranch_execz .LBB123_429
	s_branch .LBB123_430
.LBB123_428:
                                        ; implicit-def: $vgpr124_vgpr125
.LBB123_429:
	ds_load_b64 v[124:125], v1
.LBB123_430:
	s_and_saveexec_b32 s23, s1
	s_cbranch_execz .LBB123_434
; %bb.431:
	v_subrev_nc_u32_e32 v126, 17, v0
	s_movk_i32 s24, 0x268
	s_mov_b32 s1, 0
.LBB123_432:                            ; =>This Inner Loop Header: Depth=1
	scratch_load_b64 v[128:129], off, s21
	v_dual_mov_b32 v127, s24 :: v_dual_add_nc_u32 v126, -1, v126
	s_add_co_i32 s24, s24, 8
	s_wait_xcnt 0x0
	s_add_co_i32 s21, s21, 8
	ds_load_b64 v[130:131], v127
	v_cmp_eq_u32_e32 vcc_lo, 0, v126
	s_or_b32 s1, vcc_lo, s1
	s_wait_loadcnt_dscnt 0x0
	v_pk_mul_f32 v[132:133], v[130:131], v[128:129] op_sel:[1,1] op_sel_hi:[0,1]
	s_delay_alu instid0(VALU_DEP_1) | instskip(SKIP_1) | instid1(VALU_DEP_2)
	v_pk_fma_f32 v[134:135], v[130:131], v[128:129], v[132:133] op_sel_hi:[1,0,1]
	v_pk_fma_f32 v[128:129], v[130:131], v[128:129], v[132:133] neg_lo:[0,0,1] neg_hi:[0,0,1]
	v_mov_b32_e32 v129, v135
	s_delay_alu instid0(VALU_DEP_1)
	v_pk_add_f32 v[124:125], v[124:125], v[128:129]
	s_and_not1_b32 exec_lo, exec_lo, s1
	s_cbranch_execnz .LBB123_432
; %bb.433:
	s_or_b32 exec_lo, exec_lo, s1
.LBB123_434:
	s_delay_alu instid0(SALU_CYCLE_1) | instskip(SKIP_4) | instid1(VALU_DEP_1)
	s_or_b32 exec_lo, exec_lo, s23
	v_mov_b32_e32 v126, 0
	ds_load_b64 v[126:127], v126 offset:128
	s_wait_dscnt 0x0
	v_pk_mul_f32 v[128:129], v[124:125], v[126:127] op_sel:[1,1] op_sel_hi:[0,1]
	v_pk_fma_f32 v[130:131], v[124:125], v[126:127], v[128:129] op_sel_hi:[1,0,1]
	v_pk_fma_f32 v[124:125], v[124:125], v[126:127], v[128:129] neg_lo:[0,0,1] neg_hi:[0,0,1]
	s_delay_alu instid0(VALU_DEP_2)
	v_mov_b32_e32 v125, v131
	scratch_store_b64 off, v[124:125], off offset:128
.LBB123_435:
	s_wait_xcnt 0x0
	s_or_b32 exec_lo, exec_lo, s22
	scratch_load_b64 v[124:125], off, off offset:120
	v_cmp_lt_u32_e64 s1, 15, v0
	s_wait_loadcnt 0x0
	ds_store_b64 v1, v[124:125]
	s_wait_storecnt_dscnt 0x0
	s_barrier_signal -1
	s_barrier_wait -1
	s_wait_xcnt 0x0
	s_and_saveexec_b32 s21, s1
	s_cbranch_execz .LBB123_445
; %bb.436:
	s_and_not1_b32 vcc_lo, exec_lo, s3
	s_cbranch_vccnz .LBB123_438
; %bb.437:
	scratch_load_b64 v[124:125], v59, off
	ds_load_b64 v[126:127], v1
	s_wait_loadcnt_dscnt 0x0
	v_pk_mul_f32 v[128:129], v[126:127], v[124:125] op_sel:[1,1] op_sel_hi:[0,1]
	s_delay_alu instid0(VALU_DEP_1) | instskip(SKIP_1) | instid1(VALU_DEP_2)
	v_pk_fma_f32 v[130:131], v[126:127], v[124:125], v[128:129] op_sel_hi:[1,0,1]
	v_pk_fma_f32 v[124:125], v[126:127], v[124:125], v[128:129] neg_lo:[0,0,1] neg_hi:[0,0,1]
	v_mov_b32_e32 v125, v131
	s_cbranch_execz .LBB123_439
	s_branch .LBB123_440
.LBB123_438:
                                        ; implicit-def: $vgpr124_vgpr125
.LBB123_439:
	ds_load_b64 v[124:125], v1
.LBB123_440:
	s_and_saveexec_b32 s22, s0
	s_cbranch_execz .LBB123_444
; %bb.441:
	v_add_nc_u32_e32 v126, -16, v0
	s_movk_i32 s23, 0x260
	s_mov_b32 s0, 0
.LBB123_442:                            ; =>This Inner Loop Header: Depth=1
	scratch_load_b64 v[128:129], off, s20
	v_dual_mov_b32 v127, s23 :: v_dual_add_nc_u32 v126, -1, v126
	s_add_co_i32 s23, s23, 8
	s_wait_xcnt 0x0
	s_add_co_i32 s20, s20, 8
	ds_load_b64 v[130:131], v127
	v_cmp_eq_u32_e32 vcc_lo, 0, v126
	s_or_b32 s0, vcc_lo, s0
	s_wait_loadcnt_dscnt 0x0
	v_pk_mul_f32 v[132:133], v[130:131], v[128:129] op_sel:[1,1] op_sel_hi:[0,1]
	s_delay_alu instid0(VALU_DEP_1) | instskip(SKIP_1) | instid1(VALU_DEP_2)
	v_pk_fma_f32 v[134:135], v[130:131], v[128:129], v[132:133] op_sel_hi:[1,0,1]
	v_pk_fma_f32 v[128:129], v[130:131], v[128:129], v[132:133] neg_lo:[0,0,1] neg_hi:[0,0,1]
	v_mov_b32_e32 v129, v135
	s_delay_alu instid0(VALU_DEP_1)
	v_pk_add_f32 v[124:125], v[124:125], v[128:129]
	s_and_not1_b32 exec_lo, exec_lo, s0
	s_cbranch_execnz .LBB123_442
; %bb.443:
	s_or_b32 exec_lo, exec_lo, s0
.LBB123_444:
	s_delay_alu instid0(SALU_CYCLE_1) | instskip(SKIP_4) | instid1(VALU_DEP_1)
	s_or_b32 exec_lo, exec_lo, s22
	v_mov_b32_e32 v126, 0
	ds_load_b64 v[126:127], v126 offset:120
	s_wait_dscnt 0x0
	v_pk_mul_f32 v[128:129], v[124:125], v[126:127] op_sel:[1,1] op_sel_hi:[0,1]
	v_pk_fma_f32 v[130:131], v[124:125], v[126:127], v[128:129] op_sel_hi:[1,0,1]
	v_pk_fma_f32 v[124:125], v[124:125], v[126:127], v[128:129] neg_lo:[0,0,1] neg_hi:[0,0,1]
	s_delay_alu instid0(VALU_DEP_2)
	v_mov_b32_e32 v125, v131
	scratch_store_b64 off, v[124:125], off offset:120
.LBB123_445:
	s_wait_xcnt 0x0
	s_or_b32 exec_lo, exec_lo, s21
	scratch_load_b64 v[124:125], off, off offset:112
	v_cmp_lt_u32_e64 s0, 14, v0
	s_wait_loadcnt 0x0
	ds_store_b64 v1, v[124:125]
	s_wait_storecnt_dscnt 0x0
	s_barrier_signal -1
	s_barrier_wait -1
	s_wait_xcnt 0x0
	s_and_saveexec_b32 s20, s0
	s_cbranch_execz .LBB123_455
; %bb.446:
	s_and_not1_b32 vcc_lo, exec_lo, s3
	s_cbranch_vccnz .LBB123_448
; %bb.447:
	scratch_load_b64 v[124:125], v59, off
	ds_load_b64 v[126:127], v1
	s_wait_loadcnt_dscnt 0x0
	v_pk_mul_f32 v[128:129], v[126:127], v[124:125] op_sel:[1,1] op_sel_hi:[0,1]
	s_delay_alu instid0(VALU_DEP_1) | instskip(SKIP_1) | instid1(VALU_DEP_2)
	v_pk_fma_f32 v[130:131], v[126:127], v[124:125], v[128:129] op_sel_hi:[1,0,1]
	v_pk_fma_f32 v[124:125], v[126:127], v[124:125], v[128:129] neg_lo:[0,0,1] neg_hi:[0,0,1]
	v_mov_b32_e32 v125, v131
	s_cbranch_execz .LBB123_449
	s_branch .LBB123_450
.LBB123_448:
                                        ; implicit-def: $vgpr124_vgpr125
.LBB123_449:
	ds_load_b64 v[124:125], v1
.LBB123_450:
	s_and_saveexec_b32 s21, s1
	s_cbranch_execz .LBB123_454
; %bb.451:
	v_add_nc_u32_e32 v126, -15, v0
	s_movk_i32 s22, 0x258
	s_mov_b32 s1, 0
.LBB123_452:                            ; =>This Inner Loop Header: Depth=1
	scratch_load_b64 v[128:129], off, s19
	v_dual_mov_b32 v127, s22 :: v_dual_add_nc_u32 v126, -1, v126
	s_add_co_i32 s22, s22, 8
	s_wait_xcnt 0x0
	s_add_co_i32 s19, s19, 8
	ds_load_b64 v[130:131], v127
	v_cmp_eq_u32_e32 vcc_lo, 0, v126
	s_or_b32 s1, vcc_lo, s1
	s_wait_loadcnt_dscnt 0x0
	v_pk_mul_f32 v[132:133], v[130:131], v[128:129] op_sel:[1,1] op_sel_hi:[0,1]
	s_delay_alu instid0(VALU_DEP_1) | instskip(SKIP_1) | instid1(VALU_DEP_2)
	v_pk_fma_f32 v[134:135], v[130:131], v[128:129], v[132:133] op_sel_hi:[1,0,1]
	v_pk_fma_f32 v[128:129], v[130:131], v[128:129], v[132:133] neg_lo:[0,0,1] neg_hi:[0,0,1]
	v_mov_b32_e32 v129, v135
	s_delay_alu instid0(VALU_DEP_1)
	v_pk_add_f32 v[124:125], v[124:125], v[128:129]
	s_and_not1_b32 exec_lo, exec_lo, s1
	s_cbranch_execnz .LBB123_452
; %bb.453:
	s_or_b32 exec_lo, exec_lo, s1
.LBB123_454:
	s_delay_alu instid0(SALU_CYCLE_1) | instskip(SKIP_4) | instid1(VALU_DEP_1)
	s_or_b32 exec_lo, exec_lo, s21
	v_mov_b32_e32 v126, 0
	ds_load_b64 v[126:127], v126 offset:112
	s_wait_dscnt 0x0
	v_pk_mul_f32 v[128:129], v[124:125], v[126:127] op_sel:[1,1] op_sel_hi:[0,1]
	v_pk_fma_f32 v[130:131], v[124:125], v[126:127], v[128:129] op_sel_hi:[1,0,1]
	v_pk_fma_f32 v[124:125], v[124:125], v[126:127], v[128:129] neg_lo:[0,0,1] neg_hi:[0,0,1]
	s_delay_alu instid0(VALU_DEP_2)
	v_mov_b32_e32 v125, v131
	scratch_store_b64 off, v[124:125], off offset:112
.LBB123_455:
	s_wait_xcnt 0x0
	s_or_b32 exec_lo, exec_lo, s20
	scratch_load_b64 v[124:125], off, off offset:104
	v_cmp_lt_u32_e64 s1, 13, v0
	s_wait_loadcnt 0x0
	ds_store_b64 v1, v[124:125]
	s_wait_storecnt_dscnt 0x0
	s_barrier_signal -1
	s_barrier_wait -1
	s_wait_xcnt 0x0
	s_and_saveexec_b32 s19, s1
	s_cbranch_execz .LBB123_465
; %bb.456:
	s_and_not1_b32 vcc_lo, exec_lo, s3
	s_cbranch_vccnz .LBB123_458
; %bb.457:
	scratch_load_b64 v[124:125], v59, off
	ds_load_b64 v[126:127], v1
	s_wait_loadcnt_dscnt 0x0
	v_pk_mul_f32 v[128:129], v[126:127], v[124:125] op_sel:[1,1] op_sel_hi:[0,1]
	s_delay_alu instid0(VALU_DEP_1) | instskip(SKIP_1) | instid1(VALU_DEP_2)
	v_pk_fma_f32 v[130:131], v[126:127], v[124:125], v[128:129] op_sel_hi:[1,0,1]
	v_pk_fma_f32 v[124:125], v[126:127], v[124:125], v[128:129] neg_lo:[0,0,1] neg_hi:[0,0,1]
	v_mov_b32_e32 v125, v131
	s_cbranch_execz .LBB123_459
	s_branch .LBB123_460
.LBB123_458:
                                        ; implicit-def: $vgpr124_vgpr125
.LBB123_459:
	ds_load_b64 v[124:125], v1
.LBB123_460:
	s_and_saveexec_b32 s20, s0
	s_cbranch_execz .LBB123_464
; %bb.461:
	v_add_nc_u32_e32 v126, -14, v0
	s_movk_i32 s21, 0x250
	s_mov_b32 s0, 0
.LBB123_462:                            ; =>This Inner Loop Header: Depth=1
	scratch_load_b64 v[128:129], off, s18
	v_dual_mov_b32 v127, s21 :: v_dual_add_nc_u32 v126, -1, v126
	s_add_co_i32 s21, s21, 8
	s_wait_xcnt 0x0
	s_add_co_i32 s18, s18, 8
	ds_load_b64 v[130:131], v127
	v_cmp_eq_u32_e32 vcc_lo, 0, v126
	s_or_b32 s0, vcc_lo, s0
	s_wait_loadcnt_dscnt 0x0
	v_pk_mul_f32 v[132:133], v[130:131], v[128:129] op_sel:[1,1] op_sel_hi:[0,1]
	s_delay_alu instid0(VALU_DEP_1) | instskip(SKIP_1) | instid1(VALU_DEP_2)
	v_pk_fma_f32 v[134:135], v[130:131], v[128:129], v[132:133] op_sel_hi:[1,0,1]
	v_pk_fma_f32 v[128:129], v[130:131], v[128:129], v[132:133] neg_lo:[0,0,1] neg_hi:[0,0,1]
	v_mov_b32_e32 v129, v135
	s_delay_alu instid0(VALU_DEP_1)
	v_pk_add_f32 v[124:125], v[124:125], v[128:129]
	s_and_not1_b32 exec_lo, exec_lo, s0
	s_cbranch_execnz .LBB123_462
; %bb.463:
	s_or_b32 exec_lo, exec_lo, s0
.LBB123_464:
	s_delay_alu instid0(SALU_CYCLE_1) | instskip(SKIP_4) | instid1(VALU_DEP_1)
	s_or_b32 exec_lo, exec_lo, s20
	v_mov_b32_e32 v126, 0
	ds_load_b64 v[126:127], v126 offset:104
	s_wait_dscnt 0x0
	v_pk_mul_f32 v[128:129], v[124:125], v[126:127] op_sel:[1,1] op_sel_hi:[0,1]
	v_pk_fma_f32 v[130:131], v[124:125], v[126:127], v[128:129] op_sel_hi:[1,0,1]
	v_pk_fma_f32 v[124:125], v[124:125], v[126:127], v[128:129] neg_lo:[0,0,1] neg_hi:[0,0,1]
	s_delay_alu instid0(VALU_DEP_2)
	v_mov_b32_e32 v125, v131
	scratch_store_b64 off, v[124:125], off offset:104
.LBB123_465:
	s_wait_xcnt 0x0
	s_or_b32 exec_lo, exec_lo, s19
	scratch_load_b64 v[124:125], off, off offset:96
	v_cmp_lt_u32_e64 s0, 12, v0
	s_wait_loadcnt 0x0
	ds_store_b64 v1, v[124:125]
	s_wait_storecnt_dscnt 0x0
	s_barrier_signal -1
	s_barrier_wait -1
	s_wait_xcnt 0x0
	s_and_saveexec_b32 s18, s0
	s_cbranch_execz .LBB123_475
; %bb.466:
	s_and_not1_b32 vcc_lo, exec_lo, s3
	s_cbranch_vccnz .LBB123_468
; %bb.467:
	scratch_load_b64 v[124:125], v59, off
	ds_load_b64 v[126:127], v1
	s_wait_loadcnt_dscnt 0x0
	v_pk_mul_f32 v[128:129], v[126:127], v[124:125] op_sel:[1,1] op_sel_hi:[0,1]
	s_delay_alu instid0(VALU_DEP_1) | instskip(SKIP_1) | instid1(VALU_DEP_2)
	v_pk_fma_f32 v[130:131], v[126:127], v[124:125], v[128:129] op_sel_hi:[1,0,1]
	v_pk_fma_f32 v[124:125], v[126:127], v[124:125], v[128:129] neg_lo:[0,0,1] neg_hi:[0,0,1]
	v_mov_b32_e32 v125, v131
	s_cbranch_execz .LBB123_469
	s_branch .LBB123_470
.LBB123_468:
                                        ; implicit-def: $vgpr124_vgpr125
.LBB123_469:
	ds_load_b64 v[124:125], v1
.LBB123_470:
	s_and_saveexec_b32 s19, s1
	s_cbranch_execz .LBB123_474
; %bb.471:
	v_add_nc_u32_e32 v126, -13, v0
	s_movk_i32 s20, 0x248
	s_mov_b32 s1, 0
.LBB123_472:                            ; =>This Inner Loop Header: Depth=1
	scratch_load_b64 v[128:129], off, s17
	v_dual_mov_b32 v127, s20 :: v_dual_add_nc_u32 v126, -1, v126
	s_add_co_i32 s20, s20, 8
	s_wait_xcnt 0x0
	s_add_co_i32 s17, s17, 8
	ds_load_b64 v[130:131], v127
	v_cmp_eq_u32_e32 vcc_lo, 0, v126
	s_or_b32 s1, vcc_lo, s1
	s_wait_loadcnt_dscnt 0x0
	v_pk_mul_f32 v[132:133], v[130:131], v[128:129] op_sel:[1,1] op_sel_hi:[0,1]
	s_delay_alu instid0(VALU_DEP_1) | instskip(SKIP_1) | instid1(VALU_DEP_2)
	v_pk_fma_f32 v[134:135], v[130:131], v[128:129], v[132:133] op_sel_hi:[1,0,1]
	v_pk_fma_f32 v[128:129], v[130:131], v[128:129], v[132:133] neg_lo:[0,0,1] neg_hi:[0,0,1]
	v_mov_b32_e32 v129, v135
	s_delay_alu instid0(VALU_DEP_1)
	v_pk_add_f32 v[124:125], v[124:125], v[128:129]
	s_and_not1_b32 exec_lo, exec_lo, s1
	s_cbranch_execnz .LBB123_472
; %bb.473:
	s_or_b32 exec_lo, exec_lo, s1
.LBB123_474:
	s_delay_alu instid0(SALU_CYCLE_1) | instskip(SKIP_4) | instid1(VALU_DEP_1)
	s_or_b32 exec_lo, exec_lo, s19
	v_mov_b32_e32 v126, 0
	ds_load_b64 v[126:127], v126 offset:96
	s_wait_dscnt 0x0
	v_pk_mul_f32 v[128:129], v[124:125], v[126:127] op_sel:[1,1] op_sel_hi:[0,1]
	v_pk_fma_f32 v[130:131], v[124:125], v[126:127], v[128:129] op_sel_hi:[1,0,1]
	v_pk_fma_f32 v[124:125], v[124:125], v[126:127], v[128:129] neg_lo:[0,0,1] neg_hi:[0,0,1]
	s_delay_alu instid0(VALU_DEP_2)
	v_mov_b32_e32 v125, v131
	scratch_store_b64 off, v[124:125], off offset:96
.LBB123_475:
	s_wait_xcnt 0x0
	s_or_b32 exec_lo, exec_lo, s18
	scratch_load_b64 v[124:125], off, off offset:88
	v_cmp_lt_u32_e64 s1, 11, v0
	s_wait_loadcnt 0x0
	ds_store_b64 v1, v[124:125]
	s_wait_storecnt_dscnt 0x0
	s_barrier_signal -1
	s_barrier_wait -1
	s_wait_xcnt 0x0
	s_and_saveexec_b32 s17, s1
	s_cbranch_execz .LBB123_485
; %bb.476:
	s_and_not1_b32 vcc_lo, exec_lo, s3
	s_cbranch_vccnz .LBB123_478
; %bb.477:
	scratch_load_b64 v[124:125], v59, off
	ds_load_b64 v[126:127], v1
	s_wait_loadcnt_dscnt 0x0
	v_pk_mul_f32 v[128:129], v[126:127], v[124:125] op_sel:[1,1] op_sel_hi:[0,1]
	s_delay_alu instid0(VALU_DEP_1) | instskip(SKIP_1) | instid1(VALU_DEP_2)
	v_pk_fma_f32 v[130:131], v[126:127], v[124:125], v[128:129] op_sel_hi:[1,0,1]
	v_pk_fma_f32 v[124:125], v[126:127], v[124:125], v[128:129] neg_lo:[0,0,1] neg_hi:[0,0,1]
	v_mov_b32_e32 v125, v131
	s_cbranch_execz .LBB123_479
	s_branch .LBB123_480
.LBB123_478:
                                        ; implicit-def: $vgpr124_vgpr125
.LBB123_479:
	ds_load_b64 v[124:125], v1
.LBB123_480:
	s_and_saveexec_b32 s18, s0
	s_cbranch_execz .LBB123_484
; %bb.481:
	v_add_nc_u32_e32 v126, -12, v0
	s_movk_i32 s19, 0x240
	s_mov_b32 s0, 0
.LBB123_482:                            ; =>This Inner Loop Header: Depth=1
	scratch_load_b64 v[128:129], off, s16
	v_dual_mov_b32 v127, s19 :: v_dual_add_nc_u32 v126, -1, v126
	s_add_co_i32 s19, s19, 8
	s_wait_xcnt 0x0
	s_add_co_i32 s16, s16, 8
	ds_load_b64 v[130:131], v127
	v_cmp_eq_u32_e32 vcc_lo, 0, v126
	s_or_b32 s0, vcc_lo, s0
	s_wait_loadcnt_dscnt 0x0
	v_pk_mul_f32 v[132:133], v[130:131], v[128:129] op_sel:[1,1] op_sel_hi:[0,1]
	s_delay_alu instid0(VALU_DEP_1) | instskip(SKIP_1) | instid1(VALU_DEP_2)
	v_pk_fma_f32 v[134:135], v[130:131], v[128:129], v[132:133] op_sel_hi:[1,0,1]
	v_pk_fma_f32 v[128:129], v[130:131], v[128:129], v[132:133] neg_lo:[0,0,1] neg_hi:[0,0,1]
	v_mov_b32_e32 v129, v135
	s_delay_alu instid0(VALU_DEP_1)
	v_pk_add_f32 v[124:125], v[124:125], v[128:129]
	s_and_not1_b32 exec_lo, exec_lo, s0
	s_cbranch_execnz .LBB123_482
; %bb.483:
	s_or_b32 exec_lo, exec_lo, s0
.LBB123_484:
	s_delay_alu instid0(SALU_CYCLE_1) | instskip(SKIP_4) | instid1(VALU_DEP_1)
	s_or_b32 exec_lo, exec_lo, s18
	v_mov_b32_e32 v126, 0
	ds_load_b64 v[126:127], v126 offset:88
	s_wait_dscnt 0x0
	v_pk_mul_f32 v[128:129], v[124:125], v[126:127] op_sel:[1,1] op_sel_hi:[0,1]
	v_pk_fma_f32 v[130:131], v[124:125], v[126:127], v[128:129] op_sel_hi:[1,0,1]
	v_pk_fma_f32 v[124:125], v[124:125], v[126:127], v[128:129] neg_lo:[0,0,1] neg_hi:[0,0,1]
	s_delay_alu instid0(VALU_DEP_2)
	v_mov_b32_e32 v125, v131
	scratch_store_b64 off, v[124:125], off offset:88
.LBB123_485:
	s_wait_xcnt 0x0
	s_or_b32 exec_lo, exec_lo, s17
	scratch_load_b64 v[124:125], off, off offset:80
	v_cmp_lt_u32_e64 s0, 10, v0
	s_wait_loadcnt 0x0
	ds_store_b64 v1, v[124:125]
	s_wait_storecnt_dscnt 0x0
	s_barrier_signal -1
	s_barrier_wait -1
	s_wait_xcnt 0x0
	s_and_saveexec_b32 s16, s0
	s_cbranch_execz .LBB123_495
; %bb.486:
	s_and_not1_b32 vcc_lo, exec_lo, s3
	s_cbranch_vccnz .LBB123_488
; %bb.487:
	scratch_load_b64 v[124:125], v59, off
	ds_load_b64 v[126:127], v1
	s_wait_loadcnt_dscnt 0x0
	v_pk_mul_f32 v[128:129], v[126:127], v[124:125] op_sel:[1,1] op_sel_hi:[0,1]
	s_delay_alu instid0(VALU_DEP_1) | instskip(SKIP_1) | instid1(VALU_DEP_2)
	v_pk_fma_f32 v[130:131], v[126:127], v[124:125], v[128:129] op_sel_hi:[1,0,1]
	v_pk_fma_f32 v[124:125], v[126:127], v[124:125], v[128:129] neg_lo:[0,0,1] neg_hi:[0,0,1]
	v_mov_b32_e32 v125, v131
	s_cbranch_execz .LBB123_489
	s_branch .LBB123_490
.LBB123_488:
                                        ; implicit-def: $vgpr124_vgpr125
.LBB123_489:
	ds_load_b64 v[124:125], v1
.LBB123_490:
	s_and_saveexec_b32 s17, s1
	s_cbranch_execz .LBB123_494
; %bb.491:
	v_add_nc_u32_e32 v126, -11, v0
	s_movk_i32 s18, 0x238
	s_mov_b32 s1, 0
.LBB123_492:                            ; =>This Inner Loop Header: Depth=1
	scratch_load_b64 v[128:129], off, s15
	v_dual_mov_b32 v127, s18 :: v_dual_add_nc_u32 v126, -1, v126
	s_add_co_i32 s18, s18, 8
	s_wait_xcnt 0x0
	s_add_co_i32 s15, s15, 8
	ds_load_b64 v[130:131], v127
	v_cmp_eq_u32_e32 vcc_lo, 0, v126
	s_or_b32 s1, vcc_lo, s1
	s_wait_loadcnt_dscnt 0x0
	v_pk_mul_f32 v[132:133], v[130:131], v[128:129] op_sel:[1,1] op_sel_hi:[0,1]
	s_delay_alu instid0(VALU_DEP_1) | instskip(SKIP_1) | instid1(VALU_DEP_2)
	v_pk_fma_f32 v[134:135], v[130:131], v[128:129], v[132:133] op_sel_hi:[1,0,1]
	v_pk_fma_f32 v[128:129], v[130:131], v[128:129], v[132:133] neg_lo:[0,0,1] neg_hi:[0,0,1]
	v_mov_b32_e32 v129, v135
	s_delay_alu instid0(VALU_DEP_1)
	v_pk_add_f32 v[124:125], v[124:125], v[128:129]
	s_and_not1_b32 exec_lo, exec_lo, s1
	s_cbranch_execnz .LBB123_492
; %bb.493:
	s_or_b32 exec_lo, exec_lo, s1
.LBB123_494:
	s_delay_alu instid0(SALU_CYCLE_1) | instskip(SKIP_4) | instid1(VALU_DEP_1)
	s_or_b32 exec_lo, exec_lo, s17
	v_mov_b32_e32 v126, 0
	ds_load_b64 v[126:127], v126 offset:80
	s_wait_dscnt 0x0
	v_pk_mul_f32 v[128:129], v[124:125], v[126:127] op_sel:[1,1] op_sel_hi:[0,1]
	v_pk_fma_f32 v[130:131], v[124:125], v[126:127], v[128:129] op_sel_hi:[1,0,1]
	v_pk_fma_f32 v[124:125], v[124:125], v[126:127], v[128:129] neg_lo:[0,0,1] neg_hi:[0,0,1]
	s_delay_alu instid0(VALU_DEP_2)
	v_mov_b32_e32 v125, v131
	scratch_store_b64 off, v[124:125], off offset:80
.LBB123_495:
	s_wait_xcnt 0x0
	s_or_b32 exec_lo, exec_lo, s16
	scratch_load_b64 v[124:125], off, off offset:72
	v_cmp_lt_u32_e64 s1, 9, v0
	s_wait_loadcnt 0x0
	ds_store_b64 v1, v[124:125]
	s_wait_storecnt_dscnt 0x0
	s_barrier_signal -1
	s_barrier_wait -1
	s_wait_xcnt 0x0
	s_and_saveexec_b32 s15, s1
	s_cbranch_execz .LBB123_505
; %bb.496:
	s_and_not1_b32 vcc_lo, exec_lo, s3
	s_cbranch_vccnz .LBB123_498
; %bb.497:
	scratch_load_b64 v[124:125], v59, off
	ds_load_b64 v[126:127], v1
	s_wait_loadcnt_dscnt 0x0
	v_pk_mul_f32 v[128:129], v[126:127], v[124:125] op_sel:[1,1] op_sel_hi:[0,1]
	s_delay_alu instid0(VALU_DEP_1) | instskip(SKIP_1) | instid1(VALU_DEP_2)
	v_pk_fma_f32 v[130:131], v[126:127], v[124:125], v[128:129] op_sel_hi:[1,0,1]
	v_pk_fma_f32 v[124:125], v[126:127], v[124:125], v[128:129] neg_lo:[0,0,1] neg_hi:[0,0,1]
	v_mov_b32_e32 v125, v131
	s_cbranch_execz .LBB123_499
	s_branch .LBB123_500
.LBB123_498:
                                        ; implicit-def: $vgpr124_vgpr125
.LBB123_499:
	ds_load_b64 v[124:125], v1
.LBB123_500:
	s_and_saveexec_b32 s16, s0
	s_cbranch_execz .LBB123_504
; %bb.501:
	v_add_nc_u32_e32 v126, -10, v0
	s_movk_i32 s17, 0x230
	s_mov_b32 s0, 0
.LBB123_502:                            ; =>This Inner Loop Header: Depth=1
	scratch_load_b64 v[128:129], off, s14
	v_dual_mov_b32 v127, s17 :: v_dual_add_nc_u32 v126, -1, v126
	s_add_co_i32 s17, s17, 8
	s_wait_xcnt 0x0
	s_add_co_i32 s14, s14, 8
	ds_load_b64 v[130:131], v127
	v_cmp_eq_u32_e32 vcc_lo, 0, v126
	s_or_b32 s0, vcc_lo, s0
	s_wait_loadcnt_dscnt 0x0
	v_pk_mul_f32 v[132:133], v[130:131], v[128:129] op_sel:[1,1] op_sel_hi:[0,1]
	s_delay_alu instid0(VALU_DEP_1) | instskip(SKIP_1) | instid1(VALU_DEP_2)
	v_pk_fma_f32 v[134:135], v[130:131], v[128:129], v[132:133] op_sel_hi:[1,0,1]
	v_pk_fma_f32 v[128:129], v[130:131], v[128:129], v[132:133] neg_lo:[0,0,1] neg_hi:[0,0,1]
	v_mov_b32_e32 v129, v135
	s_delay_alu instid0(VALU_DEP_1)
	v_pk_add_f32 v[124:125], v[124:125], v[128:129]
	s_and_not1_b32 exec_lo, exec_lo, s0
	s_cbranch_execnz .LBB123_502
; %bb.503:
	s_or_b32 exec_lo, exec_lo, s0
.LBB123_504:
	s_delay_alu instid0(SALU_CYCLE_1) | instskip(SKIP_4) | instid1(VALU_DEP_1)
	s_or_b32 exec_lo, exec_lo, s16
	v_mov_b32_e32 v126, 0
	ds_load_b64 v[126:127], v126 offset:72
	s_wait_dscnt 0x0
	v_pk_mul_f32 v[128:129], v[124:125], v[126:127] op_sel:[1,1] op_sel_hi:[0,1]
	v_pk_fma_f32 v[130:131], v[124:125], v[126:127], v[128:129] op_sel_hi:[1,0,1]
	v_pk_fma_f32 v[124:125], v[124:125], v[126:127], v[128:129] neg_lo:[0,0,1] neg_hi:[0,0,1]
	s_delay_alu instid0(VALU_DEP_2)
	v_mov_b32_e32 v125, v131
	scratch_store_b64 off, v[124:125], off offset:72
.LBB123_505:
	s_wait_xcnt 0x0
	s_or_b32 exec_lo, exec_lo, s15
	scratch_load_b64 v[124:125], off, off offset:64
	v_cmp_lt_u32_e64 s0, 8, v0
	s_wait_loadcnt 0x0
	ds_store_b64 v1, v[124:125]
	s_wait_storecnt_dscnt 0x0
	s_barrier_signal -1
	s_barrier_wait -1
	s_wait_xcnt 0x0
	s_and_saveexec_b32 s14, s0
	s_cbranch_execz .LBB123_515
; %bb.506:
	s_and_not1_b32 vcc_lo, exec_lo, s3
	s_cbranch_vccnz .LBB123_508
; %bb.507:
	scratch_load_b64 v[124:125], v59, off
	ds_load_b64 v[126:127], v1
	s_wait_loadcnt_dscnt 0x0
	v_pk_mul_f32 v[128:129], v[126:127], v[124:125] op_sel:[1,1] op_sel_hi:[0,1]
	s_delay_alu instid0(VALU_DEP_1) | instskip(SKIP_1) | instid1(VALU_DEP_2)
	v_pk_fma_f32 v[130:131], v[126:127], v[124:125], v[128:129] op_sel_hi:[1,0,1]
	v_pk_fma_f32 v[124:125], v[126:127], v[124:125], v[128:129] neg_lo:[0,0,1] neg_hi:[0,0,1]
	v_mov_b32_e32 v125, v131
	s_cbranch_execz .LBB123_509
	s_branch .LBB123_510
.LBB123_508:
                                        ; implicit-def: $vgpr124_vgpr125
.LBB123_509:
	ds_load_b64 v[124:125], v1
.LBB123_510:
	s_and_saveexec_b32 s15, s1
	s_cbranch_execz .LBB123_514
; %bb.511:
	v_add_nc_u32_e32 v126, -9, v0
	s_movk_i32 s16, 0x228
	s_mov_b32 s1, 0
.LBB123_512:                            ; =>This Inner Loop Header: Depth=1
	scratch_load_b64 v[128:129], off, s13
	v_dual_mov_b32 v127, s16 :: v_dual_add_nc_u32 v126, -1, v126
	s_add_co_i32 s16, s16, 8
	s_wait_xcnt 0x0
	s_add_co_i32 s13, s13, 8
	ds_load_b64 v[130:131], v127
	v_cmp_eq_u32_e32 vcc_lo, 0, v126
	s_or_b32 s1, vcc_lo, s1
	s_wait_loadcnt_dscnt 0x0
	v_pk_mul_f32 v[132:133], v[130:131], v[128:129] op_sel:[1,1] op_sel_hi:[0,1]
	s_delay_alu instid0(VALU_DEP_1) | instskip(SKIP_1) | instid1(VALU_DEP_2)
	v_pk_fma_f32 v[134:135], v[130:131], v[128:129], v[132:133] op_sel_hi:[1,0,1]
	v_pk_fma_f32 v[128:129], v[130:131], v[128:129], v[132:133] neg_lo:[0,0,1] neg_hi:[0,0,1]
	v_mov_b32_e32 v129, v135
	s_delay_alu instid0(VALU_DEP_1)
	v_pk_add_f32 v[124:125], v[124:125], v[128:129]
	s_and_not1_b32 exec_lo, exec_lo, s1
	s_cbranch_execnz .LBB123_512
; %bb.513:
	s_or_b32 exec_lo, exec_lo, s1
.LBB123_514:
	s_delay_alu instid0(SALU_CYCLE_1) | instskip(SKIP_4) | instid1(VALU_DEP_1)
	s_or_b32 exec_lo, exec_lo, s15
	v_mov_b32_e32 v126, 0
	ds_load_b64 v[126:127], v126 offset:64
	s_wait_dscnt 0x0
	v_pk_mul_f32 v[128:129], v[124:125], v[126:127] op_sel:[1,1] op_sel_hi:[0,1]
	v_pk_fma_f32 v[130:131], v[124:125], v[126:127], v[128:129] op_sel_hi:[1,0,1]
	v_pk_fma_f32 v[124:125], v[124:125], v[126:127], v[128:129] neg_lo:[0,0,1] neg_hi:[0,0,1]
	s_delay_alu instid0(VALU_DEP_2)
	v_mov_b32_e32 v125, v131
	scratch_store_b64 off, v[124:125], off offset:64
.LBB123_515:
	s_wait_xcnt 0x0
	s_or_b32 exec_lo, exec_lo, s14
	scratch_load_b64 v[124:125], off, off offset:56
	v_cmp_lt_u32_e64 s1, 7, v0
	s_wait_loadcnt 0x0
	ds_store_b64 v1, v[124:125]
	s_wait_storecnt_dscnt 0x0
	s_barrier_signal -1
	s_barrier_wait -1
	s_wait_xcnt 0x0
	s_and_saveexec_b32 s13, s1
	s_cbranch_execz .LBB123_525
; %bb.516:
	s_and_not1_b32 vcc_lo, exec_lo, s3
	s_cbranch_vccnz .LBB123_518
; %bb.517:
	scratch_load_b64 v[124:125], v59, off
	ds_load_b64 v[126:127], v1
	s_wait_loadcnt_dscnt 0x0
	v_pk_mul_f32 v[128:129], v[126:127], v[124:125] op_sel:[1,1] op_sel_hi:[0,1]
	s_delay_alu instid0(VALU_DEP_1) | instskip(SKIP_1) | instid1(VALU_DEP_2)
	v_pk_fma_f32 v[130:131], v[126:127], v[124:125], v[128:129] op_sel_hi:[1,0,1]
	v_pk_fma_f32 v[124:125], v[126:127], v[124:125], v[128:129] neg_lo:[0,0,1] neg_hi:[0,0,1]
	v_mov_b32_e32 v125, v131
	s_cbranch_execz .LBB123_519
	s_branch .LBB123_520
.LBB123_518:
                                        ; implicit-def: $vgpr124_vgpr125
.LBB123_519:
	ds_load_b64 v[124:125], v1
.LBB123_520:
	s_and_saveexec_b32 s14, s0
	s_cbranch_execz .LBB123_524
; %bb.521:
	v_add_nc_u32_e32 v126, -8, v0
	s_movk_i32 s15, 0x220
	s_mov_b32 s0, 0
.LBB123_522:                            ; =>This Inner Loop Header: Depth=1
	scratch_load_b64 v[128:129], off, s12
	v_dual_mov_b32 v127, s15 :: v_dual_add_nc_u32 v126, -1, v126
	s_add_co_i32 s15, s15, 8
	s_wait_xcnt 0x0
	s_add_co_i32 s12, s12, 8
	ds_load_b64 v[130:131], v127
	v_cmp_eq_u32_e32 vcc_lo, 0, v126
	s_or_b32 s0, vcc_lo, s0
	s_wait_loadcnt_dscnt 0x0
	v_pk_mul_f32 v[132:133], v[130:131], v[128:129] op_sel:[1,1] op_sel_hi:[0,1]
	s_delay_alu instid0(VALU_DEP_1) | instskip(SKIP_1) | instid1(VALU_DEP_2)
	v_pk_fma_f32 v[134:135], v[130:131], v[128:129], v[132:133] op_sel_hi:[1,0,1]
	v_pk_fma_f32 v[128:129], v[130:131], v[128:129], v[132:133] neg_lo:[0,0,1] neg_hi:[0,0,1]
	v_mov_b32_e32 v129, v135
	s_delay_alu instid0(VALU_DEP_1)
	v_pk_add_f32 v[124:125], v[124:125], v[128:129]
	s_and_not1_b32 exec_lo, exec_lo, s0
	s_cbranch_execnz .LBB123_522
; %bb.523:
	s_or_b32 exec_lo, exec_lo, s0
.LBB123_524:
	s_delay_alu instid0(SALU_CYCLE_1) | instskip(SKIP_4) | instid1(VALU_DEP_1)
	s_or_b32 exec_lo, exec_lo, s14
	v_mov_b32_e32 v126, 0
	ds_load_b64 v[126:127], v126 offset:56
	s_wait_dscnt 0x0
	v_pk_mul_f32 v[128:129], v[124:125], v[126:127] op_sel:[1,1] op_sel_hi:[0,1]
	v_pk_fma_f32 v[130:131], v[124:125], v[126:127], v[128:129] op_sel_hi:[1,0,1]
	v_pk_fma_f32 v[124:125], v[124:125], v[126:127], v[128:129] neg_lo:[0,0,1] neg_hi:[0,0,1]
	s_delay_alu instid0(VALU_DEP_2)
	v_mov_b32_e32 v125, v131
	scratch_store_b64 off, v[124:125], off offset:56
.LBB123_525:
	s_wait_xcnt 0x0
	s_or_b32 exec_lo, exec_lo, s13
	scratch_load_b64 v[124:125], off, off offset:48
	v_cmp_lt_u32_e64 s0, 6, v0
	s_wait_loadcnt 0x0
	ds_store_b64 v1, v[124:125]
	s_wait_storecnt_dscnt 0x0
	s_barrier_signal -1
	s_barrier_wait -1
	s_wait_xcnt 0x0
	s_and_saveexec_b32 s12, s0
	s_cbranch_execz .LBB123_535
; %bb.526:
	s_and_not1_b32 vcc_lo, exec_lo, s3
	s_cbranch_vccnz .LBB123_528
; %bb.527:
	scratch_load_b64 v[124:125], v59, off
	ds_load_b64 v[126:127], v1
	s_wait_loadcnt_dscnt 0x0
	v_pk_mul_f32 v[128:129], v[126:127], v[124:125] op_sel:[1,1] op_sel_hi:[0,1]
	s_delay_alu instid0(VALU_DEP_1) | instskip(SKIP_1) | instid1(VALU_DEP_2)
	v_pk_fma_f32 v[130:131], v[126:127], v[124:125], v[128:129] op_sel_hi:[1,0,1]
	v_pk_fma_f32 v[124:125], v[126:127], v[124:125], v[128:129] neg_lo:[0,0,1] neg_hi:[0,0,1]
	v_mov_b32_e32 v125, v131
	s_cbranch_execz .LBB123_529
	s_branch .LBB123_530
.LBB123_528:
                                        ; implicit-def: $vgpr124_vgpr125
.LBB123_529:
	ds_load_b64 v[124:125], v1
.LBB123_530:
	s_and_saveexec_b32 s13, s1
	s_cbranch_execz .LBB123_534
; %bb.531:
	v_add_nc_u32_e32 v126, -7, v0
	s_movk_i32 s14, 0x218
	s_mov_b32 s1, 0
.LBB123_532:                            ; =>This Inner Loop Header: Depth=1
	scratch_load_b64 v[128:129], off, s11
	v_dual_mov_b32 v127, s14 :: v_dual_add_nc_u32 v126, -1, v126
	s_add_co_i32 s14, s14, 8
	s_wait_xcnt 0x0
	s_add_co_i32 s11, s11, 8
	ds_load_b64 v[130:131], v127
	v_cmp_eq_u32_e32 vcc_lo, 0, v126
	s_or_b32 s1, vcc_lo, s1
	s_wait_loadcnt_dscnt 0x0
	v_pk_mul_f32 v[132:133], v[130:131], v[128:129] op_sel:[1,1] op_sel_hi:[0,1]
	s_delay_alu instid0(VALU_DEP_1) | instskip(SKIP_1) | instid1(VALU_DEP_2)
	v_pk_fma_f32 v[134:135], v[130:131], v[128:129], v[132:133] op_sel_hi:[1,0,1]
	v_pk_fma_f32 v[128:129], v[130:131], v[128:129], v[132:133] neg_lo:[0,0,1] neg_hi:[0,0,1]
	v_mov_b32_e32 v129, v135
	s_delay_alu instid0(VALU_DEP_1)
	v_pk_add_f32 v[124:125], v[124:125], v[128:129]
	s_and_not1_b32 exec_lo, exec_lo, s1
	s_cbranch_execnz .LBB123_532
; %bb.533:
	s_or_b32 exec_lo, exec_lo, s1
.LBB123_534:
	s_delay_alu instid0(SALU_CYCLE_1) | instskip(SKIP_4) | instid1(VALU_DEP_1)
	s_or_b32 exec_lo, exec_lo, s13
	v_mov_b32_e32 v126, 0
	ds_load_b64 v[126:127], v126 offset:48
	s_wait_dscnt 0x0
	v_pk_mul_f32 v[128:129], v[124:125], v[126:127] op_sel:[1,1] op_sel_hi:[0,1]
	v_pk_fma_f32 v[130:131], v[124:125], v[126:127], v[128:129] op_sel_hi:[1,0,1]
	v_pk_fma_f32 v[124:125], v[124:125], v[126:127], v[128:129] neg_lo:[0,0,1] neg_hi:[0,0,1]
	s_delay_alu instid0(VALU_DEP_2)
	v_mov_b32_e32 v125, v131
	scratch_store_b64 off, v[124:125], off offset:48
.LBB123_535:
	s_wait_xcnt 0x0
	s_or_b32 exec_lo, exec_lo, s12
	scratch_load_b64 v[124:125], off, off offset:40
	v_cmp_lt_u32_e64 s1, 5, v0
	s_wait_loadcnt 0x0
	ds_store_b64 v1, v[124:125]
	s_wait_storecnt_dscnt 0x0
	s_barrier_signal -1
	s_barrier_wait -1
	s_wait_xcnt 0x0
	s_and_saveexec_b32 s11, s1
	s_cbranch_execz .LBB123_545
; %bb.536:
	s_and_not1_b32 vcc_lo, exec_lo, s3
	s_cbranch_vccnz .LBB123_538
; %bb.537:
	scratch_load_b64 v[124:125], v59, off
	ds_load_b64 v[126:127], v1
	s_wait_loadcnt_dscnt 0x0
	v_pk_mul_f32 v[128:129], v[126:127], v[124:125] op_sel:[1,1] op_sel_hi:[0,1]
	s_delay_alu instid0(VALU_DEP_1) | instskip(SKIP_1) | instid1(VALU_DEP_2)
	v_pk_fma_f32 v[130:131], v[126:127], v[124:125], v[128:129] op_sel_hi:[1,0,1]
	v_pk_fma_f32 v[124:125], v[126:127], v[124:125], v[128:129] neg_lo:[0,0,1] neg_hi:[0,0,1]
	v_mov_b32_e32 v125, v131
	s_cbranch_execz .LBB123_539
	s_branch .LBB123_540
.LBB123_538:
                                        ; implicit-def: $vgpr124_vgpr125
.LBB123_539:
	ds_load_b64 v[124:125], v1
.LBB123_540:
	s_and_saveexec_b32 s12, s0
	s_cbranch_execz .LBB123_544
; %bb.541:
	v_add_nc_u32_e32 v126, -6, v0
	s_movk_i32 s13, 0x210
	s_mov_b32 s0, 0
.LBB123_542:                            ; =>This Inner Loop Header: Depth=1
	scratch_load_b64 v[128:129], off, s10
	v_dual_mov_b32 v127, s13 :: v_dual_add_nc_u32 v126, -1, v126
	s_add_co_i32 s13, s13, 8
	s_wait_xcnt 0x0
	s_add_co_i32 s10, s10, 8
	ds_load_b64 v[130:131], v127
	v_cmp_eq_u32_e32 vcc_lo, 0, v126
	s_or_b32 s0, vcc_lo, s0
	s_wait_loadcnt_dscnt 0x0
	v_pk_mul_f32 v[132:133], v[130:131], v[128:129] op_sel:[1,1] op_sel_hi:[0,1]
	s_delay_alu instid0(VALU_DEP_1) | instskip(SKIP_1) | instid1(VALU_DEP_2)
	v_pk_fma_f32 v[134:135], v[130:131], v[128:129], v[132:133] op_sel_hi:[1,0,1]
	v_pk_fma_f32 v[128:129], v[130:131], v[128:129], v[132:133] neg_lo:[0,0,1] neg_hi:[0,0,1]
	v_mov_b32_e32 v129, v135
	s_delay_alu instid0(VALU_DEP_1)
	v_pk_add_f32 v[124:125], v[124:125], v[128:129]
	s_and_not1_b32 exec_lo, exec_lo, s0
	s_cbranch_execnz .LBB123_542
; %bb.543:
	s_or_b32 exec_lo, exec_lo, s0
.LBB123_544:
	s_delay_alu instid0(SALU_CYCLE_1) | instskip(SKIP_4) | instid1(VALU_DEP_1)
	s_or_b32 exec_lo, exec_lo, s12
	v_mov_b32_e32 v126, 0
	ds_load_b64 v[126:127], v126 offset:40
	s_wait_dscnt 0x0
	v_pk_mul_f32 v[128:129], v[124:125], v[126:127] op_sel:[1,1] op_sel_hi:[0,1]
	v_pk_fma_f32 v[130:131], v[124:125], v[126:127], v[128:129] op_sel_hi:[1,0,1]
	v_pk_fma_f32 v[124:125], v[124:125], v[126:127], v[128:129] neg_lo:[0,0,1] neg_hi:[0,0,1]
	s_delay_alu instid0(VALU_DEP_2)
	v_mov_b32_e32 v125, v131
	scratch_store_b64 off, v[124:125], off offset:40
.LBB123_545:
	s_wait_xcnt 0x0
	s_or_b32 exec_lo, exec_lo, s11
	scratch_load_b64 v[124:125], off, off offset:32
	v_cmp_lt_u32_e64 s0, 4, v0
	s_wait_loadcnt 0x0
	ds_store_b64 v1, v[124:125]
	s_wait_storecnt_dscnt 0x0
	s_barrier_signal -1
	s_barrier_wait -1
	s_wait_xcnt 0x0
	s_and_saveexec_b32 s10, s0
	s_cbranch_execz .LBB123_555
; %bb.546:
	s_and_not1_b32 vcc_lo, exec_lo, s3
	s_cbranch_vccnz .LBB123_548
; %bb.547:
	scratch_load_b64 v[124:125], v59, off
	ds_load_b64 v[126:127], v1
	s_wait_loadcnt_dscnt 0x0
	v_pk_mul_f32 v[128:129], v[126:127], v[124:125] op_sel:[1,1] op_sel_hi:[0,1]
	s_delay_alu instid0(VALU_DEP_1) | instskip(SKIP_1) | instid1(VALU_DEP_2)
	v_pk_fma_f32 v[130:131], v[126:127], v[124:125], v[128:129] op_sel_hi:[1,0,1]
	v_pk_fma_f32 v[124:125], v[126:127], v[124:125], v[128:129] neg_lo:[0,0,1] neg_hi:[0,0,1]
	v_mov_b32_e32 v125, v131
	s_cbranch_execz .LBB123_549
	s_branch .LBB123_550
.LBB123_548:
                                        ; implicit-def: $vgpr124_vgpr125
.LBB123_549:
	ds_load_b64 v[124:125], v1
.LBB123_550:
	s_and_saveexec_b32 s11, s1
	s_cbranch_execz .LBB123_554
; %bb.551:
	v_add_nc_u32_e32 v126, -5, v0
	s_movk_i32 s12, 0x208
	s_mov_b32 s1, 0
.LBB123_552:                            ; =>This Inner Loop Header: Depth=1
	scratch_load_b64 v[128:129], off, s9
	v_dual_mov_b32 v127, s12 :: v_dual_add_nc_u32 v126, -1, v126
	s_add_co_i32 s12, s12, 8
	s_wait_xcnt 0x0
	s_add_co_i32 s9, s9, 8
	ds_load_b64 v[130:131], v127
	v_cmp_eq_u32_e32 vcc_lo, 0, v126
	s_or_b32 s1, vcc_lo, s1
	s_wait_loadcnt_dscnt 0x0
	v_pk_mul_f32 v[132:133], v[130:131], v[128:129] op_sel:[1,1] op_sel_hi:[0,1]
	s_delay_alu instid0(VALU_DEP_1) | instskip(SKIP_1) | instid1(VALU_DEP_2)
	v_pk_fma_f32 v[134:135], v[130:131], v[128:129], v[132:133] op_sel_hi:[1,0,1]
	v_pk_fma_f32 v[128:129], v[130:131], v[128:129], v[132:133] neg_lo:[0,0,1] neg_hi:[0,0,1]
	v_mov_b32_e32 v129, v135
	s_delay_alu instid0(VALU_DEP_1)
	v_pk_add_f32 v[124:125], v[124:125], v[128:129]
	s_and_not1_b32 exec_lo, exec_lo, s1
	s_cbranch_execnz .LBB123_552
; %bb.553:
	s_or_b32 exec_lo, exec_lo, s1
.LBB123_554:
	s_delay_alu instid0(SALU_CYCLE_1) | instskip(SKIP_4) | instid1(VALU_DEP_1)
	s_or_b32 exec_lo, exec_lo, s11
	v_mov_b32_e32 v126, 0
	ds_load_b64 v[126:127], v126 offset:32
	s_wait_dscnt 0x0
	v_pk_mul_f32 v[128:129], v[124:125], v[126:127] op_sel:[1,1] op_sel_hi:[0,1]
	v_pk_fma_f32 v[130:131], v[124:125], v[126:127], v[128:129] op_sel_hi:[1,0,1]
	v_pk_fma_f32 v[124:125], v[124:125], v[126:127], v[128:129] neg_lo:[0,0,1] neg_hi:[0,0,1]
	s_delay_alu instid0(VALU_DEP_2)
	v_mov_b32_e32 v125, v131
	scratch_store_b64 off, v[124:125], off offset:32
.LBB123_555:
	s_wait_xcnt 0x0
	s_or_b32 exec_lo, exec_lo, s10
	scratch_load_b64 v[124:125], off, off offset:24
	v_cmp_lt_u32_e64 s1, 3, v0
	s_wait_loadcnt 0x0
	ds_store_b64 v1, v[124:125]
	s_wait_storecnt_dscnt 0x0
	s_barrier_signal -1
	s_barrier_wait -1
	s_wait_xcnt 0x0
	s_and_saveexec_b32 s9, s1
	s_cbranch_execz .LBB123_565
; %bb.556:
	s_and_not1_b32 vcc_lo, exec_lo, s3
	s_cbranch_vccnz .LBB123_558
; %bb.557:
	scratch_load_b64 v[124:125], v59, off
	ds_load_b64 v[126:127], v1
	s_wait_loadcnt_dscnt 0x0
	v_pk_mul_f32 v[128:129], v[126:127], v[124:125] op_sel:[1,1] op_sel_hi:[0,1]
	s_delay_alu instid0(VALU_DEP_1) | instskip(SKIP_1) | instid1(VALU_DEP_2)
	v_pk_fma_f32 v[130:131], v[126:127], v[124:125], v[128:129] op_sel_hi:[1,0,1]
	v_pk_fma_f32 v[124:125], v[126:127], v[124:125], v[128:129] neg_lo:[0,0,1] neg_hi:[0,0,1]
	v_mov_b32_e32 v125, v131
	s_cbranch_execz .LBB123_559
	s_branch .LBB123_560
.LBB123_558:
                                        ; implicit-def: $vgpr124_vgpr125
.LBB123_559:
	ds_load_b64 v[124:125], v1
.LBB123_560:
	s_and_saveexec_b32 s10, s0
	s_cbranch_execz .LBB123_564
; %bb.561:
	v_add_nc_u32_e32 v126, -4, v0
	s_movk_i32 s11, 0x200
	s_mov_b32 s0, 0
.LBB123_562:                            ; =>This Inner Loop Header: Depth=1
	scratch_load_b64 v[128:129], off, s2
	v_dual_mov_b32 v127, s11 :: v_dual_add_nc_u32 v126, -1, v126
	s_add_co_i32 s11, s11, 8
	s_wait_xcnt 0x0
	s_add_co_i32 s2, s2, 8
	ds_load_b64 v[130:131], v127
	v_cmp_eq_u32_e32 vcc_lo, 0, v126
	s_or_b32 s0, vcc_lo, s0
	s_wait_loadcnt_dscnt 0x0
	v_pk_mul_f32 v[132:133], v[130:131], v[128:129] op_sel:[1,1] op_sel_hi:[0,1]
	s_delay_alu instid0(VALU_DEP_1) | instskip(SKIP_1) | instid1(VALU_DEP_2)
	v_pk_fma_f32 v[134:135], v[130:131], v[128:129], v[132:133] op_sel_hi:[1,0,1]
	v_pk_fma_f32 v[128:129], v[130:131], v[128:129], v[132:133] neg_lo:[0,0,1] neg_hi:[0,0,1]
	v_mov_b32_e32 v129, v135
	s_delay_alu instid0(VALU_DEP_1)
	v_pk_add_f32 v[124:125], v[124:125], v[128:129]
	s_and_not1_b32 exec_lo, exec_lo, s0
	s_cbranch_execnz .LBB123_562
; %bb.563:
	s_or_b32 exec_lo, exec_lo, s0
.LBB123_564:
	s_delay_alu instid0(SALU_CYCLE_1) | instskip(SKIP_4) | instid1(VALU_DEP_1)
	s_or_b32 exec_lo, exec_lo, s10
	v_mov_b32_e32 v126, 0
	ds_load_b64 v[126:127], v126 offset:24
	s_wait_dscnt 0x0
	v_pk_mul_f32 v[128:129], v[124:125], v[126:127] op_sel:[1,1] op_sel_hi:[0,1]
	v_pk_fma_f32 v[130:131], v[124:125], v[126:127], v[128:129] op_sel_hi:[1,0,1]
	v_pk_fma_f32 v[124:125], v[124:125], v[126:127], v[128:129] neg_lo:[0,0,1] neg_hi:[0,0,1]
	s_delay_alu instid0(VALU_DEP_2)
	v_mov_b32_e32 v125, v131
	scratch_store_b64 off, v[124:125], off offset:24
.LBB123_565:
	s_wait_xcnt 0x0
	s_or_b32 exec_lo, exec_lo, s9
	scratch_load_b64 v[124:125], off, off offset:16
	v_cmp_lt_u32_e64 s2, 2, v0
	s_wait_loadcnt 0x0
	ds_store_b64 v1, v[124:125]
	s_wait_storecnt_dscnt 0x0
	s_barrier_signal -1
	s_barrier_wait -1
	s_wait_xcnt 0x0
	s_and_saveexec_b32 s0, s2
	s_cbranch_execz .LBB123_575
; %bb.566:
	s_and_not1_b32 vcc_lo, exec_lo, s3
	s_cbranch_vccnz .LBB123_568
; %bb.567:
	scratch_load_b64 v[124:125], v59, off
	ds_load_b64 v[126:127], v1
	s_wait_loadcnt_dscnt 0x0
	v_pk_mul_f32 v[128:129], v[126:127], v[124:125] op_sel:[1,1] op_sel_hi:[0,1]
	s_delay_alu instid0(VALU_DEP_1) | instskip(SKIP_1) | instid1(VALU_DEP_2)
	v_pk_fma_f32 v[130:131], v[126:127], v[124:125], v[128:129] op_sel_hi:[1,0,1]
	v_pk_fma_f32 v[124:125], v[126:127], v[124:125], v[128:129] neg_lo:[0,0,1] neg_hi:[0,0,1]
	v_mov_b32_e32 v125, v131
	s_cbranch_execz .LBB123_569
	s_branch .LBB123_570
.LBB123_568:
                                        ; implicit-def: $vgpr124_vgpr125
.LBB123_569:
	ds_load_b64 v[124:125], v1
.LBB123_570:
	s_and_saveexec_b32 s9, s1
	s_cbranch_execz .LBB123_574
; %bb.571:
	v_add_nc_u32_e32 v126, -3, v0
	s_movk_i32 s10, 0x1f8
	s_mov_b32 s1, 0
.LBB123_572:                            ; =>This Inner Loop Header: Depth=1
	scratch_load_b64 v[128:129], off, s8
	v_dual_mov_b32 v127, s10 :: v_dual_add_nc_u32 v126, -1, v126
	s_add_co_i32 s10, s10, 8
	s_wait_xcnt 0x0
	s_add_co_i32 s8, s8, 8
	ds_load_b64 v[130:131], v127
	v_cmp_eq_u32_e32 vcc_lo, 0, v126
	s_or_b32 s1, vcc_lo, s1
	s_wait_loadcnt_dscnt 0x0
	v_pk_mul_f32 v[132:133], v[130:131], v[128:129] op_sel:[1,1] op_sel_hi:[0,1]
	s_delay_alu instid0(VALU_DEP_1) | instskip(SKIP_1) | instid1(VALU_DEP_2)
	v_pk_fma_f32 v[134:135], v[130:131], v[128:129], v[132:133] op_sel_hi:[1,0,1]
	v_pk_fma_f32 v[128:129], v[130:131], v[128:129], v[132:133] neg_lo:[0,0,1] neg_hi:[0,0,1]
	v_mov_b32_e32 v129, v135
	s_delay_alu instid0(VALU_DEP_1)
	v_pk_add_f32 v[124:125], v[124:125], v[128:129]
	s_and_not1_b32 exec_lo, exec_lo, s1
	s_cbranch_execnz .LBB123_572
; %bb.573:
	s_or_b32 exec_lo, exec_lo, s1
.LBB123_574:
	s_delay_alu instid0(SALU_CYCLE_1) | instskip(SKIP_4) | instid1(VALU_DEP_1)
	s_or_b32 exec_lo, exec_lo, s9
	v_mov_b32_e32 v126, 0
	ds_load_b64 v[126:127], v126 offset:16
	s_wait_dscnt 0x0
	v_pk_mul_f32 v[128:129], v[124:125], v[126:127] op_sel:[1,1] op_sel_hi:[0,1]
	v_pk_fma_f32 v[130:131], v[124:125], v[126:127], v[128:129] op_sel_hi:[1,0,1]
	v_pk_fma_f32 v[124:125], v[124:125], v[126:127], v[128:129] neg_lo:[0,0,1] neg_hi:[0,0,1]
	s_delay_alu instid0(VALU_DEP_2)
	v_mov_b32_e32 v125, v131
	scratch_store_b64 off, v[124:125], off offset:16
.LBB123_575:
	s_wait_xcnt 0x0
	s_or_b32 exec_lo, exec_lo, s0
	scratch_load_b64 v[124:125], off, off offset:8
	v_cmp_lt_u32_e64 s0, 1, v0
	s_wait_loadcnt 0x0
	ds_store_b64 v1, v[124:125]
	s_wait_storecnt_dscnt 0x0
	s_barrier_signal -1
	s_barrier_wait -1
	s_wait_xcnt 0x0
	s_and_saveexec_b32 s1, s0
	s_cbranch_execz .LBB123_585
; %bb.576:
	s_and_not1_b32 vcc_lo, exec_lo, s3
	s_cbranch_vccnz .LBB123_578
; %bb.577:
	scratch_load_b64 v[124:125], v59, off
	ds_load_b64 v[126:127], v1
	s_wait_loadcnt_dscnt 0x0
	v_pk_mul_f32 v[128:129], v[126:127], v[124:125] op_sel:[1,1] op_sel_hi:[0,1]
	s_delay_alu instid0(VALU_DEP_1) | instskip(SKIP_1) | instid1(VALU_DEP_2)
	v_pk_fma_f32 v[130:131], v[126:127], v[124:125], v[128:129] op_sel_hi:[1,0,1]
	v_pk_fma_f32 v[124:125], v[126:127], v[124:125], v[128:129] neg_lo:[0,0,1] neg_hi:[0,0,1]
	v_mov_b32_e32 v125, v131
	s_cbranch_execz .LBB123_579
	s_branch .LBB123_580
.LBB123_578:
                                        ; implicit-def: $vgpr124_vgpr125
.LBB123_579:
	ds_load_b64 v[124:125], v1
.LBB123_580:
	s_and_saveexec_b32 s8, s2
	s_cbranch_execz .LBB123_584
; %bb.581:
	v_add_nc_u32_e32 v126, -2, v0
	s_movk_i32 s9, 0x1f0
	s_mov_b32 s2, 0
.LBB123_582:                            ; =>This Inner Loop Header: Depth=1
	scratch_load_b64 v[128:129], off, s5
	v_dual_mov_b32 v127, s9 :: v_dual_add_nc_u32 v126, -1, v126
	s_add_co_i32 s9, s9, 8
	s_wait_xcnt 0x0
	s_add_co_i32 s5, s5, 8
	ds_load_b64 v[130:131], v127
	v_cmp_eq_u32_e32 vcc_lo, 0, v126
	s_or_b32 s2, vcc_lo, s2
	s_wait_loadcnt_dscnt 0x0
	v_pk_mul_f32 v[132:133], v[130:131], v[128:129] op_sel:[1,1] op_sel_hi:[0,1]
	s_delay_alu instid0(VALU_DEP_1) | instskip(SKIP_1) | instid1(VALU_DEP_2)
	v_pk_fma_f32 v[134:135], v[130:131], v[128:129], v[132:133] op_sel_hi:[1,0,1]
	v_pk_fma_f32 v[128:129], v[130:131], v[128:129], v[132:133] neg_lo:[0,0,1] neg_hi:[0,0,1]
	v_mov_b32_e32 v129, v135
	s_delay_alu instid0(VALU_DEP_1)
	v_pk_add_f32 v[124:125], v[124:125], v[128:129]
	s_and_not1_b32 exec_lo, exec_lo, s2
	s_cbranch_execnz .LBB123_582
; %bb.583:
	s_or_b32 exec_lo, exec_lo, s2
.LBB123_584:
	s_delay_alu instid0(SALU_CYCLE_1) | instskip(SKIP_4) | instid1(VALU_DEP_1)
	s_or_b32 exec_lo, exec_lo, s8
	v_mov_b32_e32 v126, 0
	ds_load_b64 v[126:127], v126 offset:8
	s_wait_dscnt 0x0
	v_pk_mul_f32 v[128:129], v[124:125], v[126:127] op_sel:[1,1] op_sel_hi:[0,1]
	v_pk_fma_f32 v[130:131], v[124:125], v[126:127], v[128:129] op_sel_hi:[1,0,1]
	v_pk_fma_f32 v[124:125], v[124:125], v[126:127], v[128:129] neg_lo:[0,0,1] neg_hi:[0,0,1]
	s_delay_alu instid0(VALU_DEP_2)
	v_mov_b32_e32 v125, v131
	scratch_store_b64 off, v[124:125], off offset:8
.LBB123_585:
	s_wait_xcnt 0x0
	s_or_b32 exec_lo, exec_lo, s1
	scratch_load_b64 v[124:125], off, off
	s_mov_b32 s2, 0
	s_mov_b32 s1, 0
	s_mov_b32 s8, exec_lo
                                        ; implicit-def: $vgpr180
                                        ; implicit-def: $sgpr5
	s_wait_loadcnt 0x0
	ds_store_b64 v1, v[124:125]
	s_wait_storecnt_dscnt 0x0
	s_barrier_signal -1
	s_barrier_wait -1
	s_wait_xcnt 0x0
	v_cmpx_ne_u32_e32 0, v0
	s_cbranch_execz .LBB123_595
; %bb.586:
	s_and_not1_b32 vcc_lo, exec_lo, s3
	s_cbranch_vccnz .LBB123_588
; %bb.587:
	scratch_load_b64 v[126:127], v59, off
	ds_load_b64 v[128:129], v1
	s_wait_loadcnt_dscnt 0x0
	v_dual_mul_f32 v124, v129, v127 :: v_dual_mul_f32 v125, v128, v127
	s_delay_alu instid0(VALU_DEP_1)
	v_dual_fma_f32 v124, v128, v126, -v124 :: v_dual_fmac_f32 v125, v129, v126
	s_and_not1_b32 vcc_lo, exec_lo, s1
	s_cbranch_vccz .LBB123_589
	s_branch .LBB123_590
.LBB123_588:
                                        ; implicit-def: $vgpr124
.LBB123_589:
	ds_load_b64 v[124:125], v1
.LBB123_590:
	s_and_saveexec_b32 s1, s0
	s_cbranch_execz .LBB123_594
; %bb.591:
	v_add_nc_u32_e32 v126, -1, v0
	s_movk_i32 s5, 0x1e8
	s_mov_b32 s0, 0
.LBB123_592:                            ; =>This Inner Loop Header: Depth=1
	scratch_load_b64 v[128:129], off, s4
	v_mov_b32_e32 v127, s5
	s_add_co_i32 s5, s5, 8
	s_wait_xcnt 0x0
	s_add_co_i32 s4, s4, 8
	v_add_nc_u32_e32 v126, -1, v126
	ds_load_b64 v[130:131], v127
	v_cmp_eq_u32_e32 vcc_lo, 0, v126
	s_or_b32 s0, vcc_lo, s0
	s_wait_loadcnt_dscnt 0x0
	v_dual_mul_f32 v127, v131, v129 :: v_dual_mul_f32 v129, v130, v129
	s_delay_alu instid0(VALU_DEP_1) | instskip(NEXT) | instid1(VALU_DEP_1)
	v_dual_fma_f32 v127, v130, v128, -v127 :: v_dual_fmac_f32 v129, v131, v128
	v_dual_add_f32 v124, v124, v127 :: v_dual_add_f32 v125, v125, v129
	s_and_not1_b32 exec_lo, exec_lo, s0
	s_cbranch_execnz .LBB123_592
; %bb.593:
	s_or_b32 exec_lo, exec_lo, s0
.LBB123_594:
	s_delay_alu instid0(SALU_CYCLE_1)
	s_or_b32 exec_lo, exec_lo, s1
	v_mov_b32_e32 v126, 0
	s_mov_b32 s1, exec_lo
	s_or_b32 s5, 0, 4
	ds_load_b64 v[126:127], v126
	s_wait_dscnt 0x0
	v_dual_mul_f32 v128, v125, v127 :: v_dual_mul_f32 v180, v124, v127
	s_delay_alu instid0(VALU_DEP_1) | instskip(NEXT) | instid1(VALU_DEP_2)
	v_fma_f32 v124, v124, v126, -v128
	v_fmac_f32_e32 v180, v125, v126
	scratch_store_b32 off, v124, off
.LBB123_595:
	s_wait_xcnt 0x0
	s_or_b32 exec_lo, exec_lo, s8
	s_delay_alu instid0(SALU_CYCLE_1)
	s_and_b32 vcc_lo, exec_lo, s2
	s_cbranch_vccz .LBB123_1181
.LBB123_596:
	scratch_load_b64 v[124:125], off, off offset:8
	v_cmp_eq_u32_e64 s0, 0, v0
	s_wait_loadcnt 0x0
	ds_store_b64 v1, v[124:125]
	s_wait_storecnt_dscnt 0x0
	s_barrier_signal -1
	s_barrier_wait -1
	s_wait_xcnt 0x0
	s_and_saveexec_b32 s2, s0
	s_cbranch_execz .LBB123_602
; %bb.597:
	s_and_b32 vcc_lo, exec_lo, s3
	s_cbranch_vccz .LBB123_599
; %bb.598:
	scratch_load_b64 v[124:125], v59, off
	ds_load_b64 v[126:127], v1
	s_wait_loadcnt_dscnt 0x0
	v_pk_mul_f32 v[128:129], v[126:127], v[124:125] op_sel:[1,1] op_sel_hi:[0,1]
	v_pk_mul_f32 v[130:131], v[126:127], v[124:125] op_sel_hi:[1,0]
	s_delay_alu instid0(VALU_DEP_2) | instskip(NEXT) | instid1(VALU_DEP_2)
	v_pk_fma_f32 v[124:125], v[126:127], v[124:125], v[128:129] op_sel_hi:[1,0,1]
	v_sub_f32_e32 v124, v130, v128
	s_cbranch_execz .LBB123_600
	s_branch .LBB123_601
.LBB123_599:
                                        ; implicit-def: $vgpr125
.LBB123_600:
	ds_load_b64 v[124:125], v1
.LBB123_601:
	s_wait_dscnt 0x0
	v_dual_mov_b32 v126, 0 :: v_dual_mov_b32 v128, v125
	v_mov_b32_e32 v129, v124
	ds_load_b64 v[126:127], v126 offset:8
	s_wait_dscnt 0x0
	v_pk_mul_f32 v[128:129], v[128:129], v[126:127] op_sel:[0,1]
	s_delay_alu instid0(VALU_DEP_1) | instskip(SKIP_1) | instid1(VALU_DEP_2)
	v_pk_fma_f32 v[130:131], v[124:125], v[126:127], v[128:129] op_sel_hi:[1,0,1]
	v_pk_fma_f32 v[124:125], v[124:125], v[126:127], v[128:129] neg_lo:[0,0,1] neg_hi:[0,0,1]
	v_mov_b32_e32 v125, v131
	scratch_store_b64 off, v[124:125], off offset:8
.LBB123_602:
	s_wait_xcnt 0x0
	s_or_b32 exec_lo, exec_lo, s2
	scratch_load_b64 v[124:125], off, off offset:16
	v_cndmask_b32_e64 v126, 0, 1, s3
	s_mov_b32 s2, exec_lo
	s_wait_loadcnt 0x0
	ds_store_b64 v1, v[124:125]
	s_wait_storecnt_dscnt 0x0
	s_barrier_signal -1
	s_barrier_wait -1
	s_wait_xcnt 0x0
	v_cmpx_gt_u32_e32 2, v0
	s_cbranch_execz .LBB123_610
; %bb.603:
	s_and_not1_b32 vcc_lo, exec_lo, s3
	s_cbranch_vccnz .LBB123_605
; %bb.604:
	scratch_load_b64 v[124:125], v59, off
	ds_load_b64 v[128:129], v1
	s_wait_loadcnt_dscnt 0x0
	v_pk_mul_f32 v[130:131], v[128:129], v[124:125] op_sel:[1,1] op_sel_hi:[0,1]
	s_delay_alu instid0(VALU_DEP_1) | instskip(SKIP_1) | instid1(VALU_DEP_2)
	v_pk_fma_f32 v[132:133], v[128:129], v[124:125], v[130:131] op_sel_hi:[1,0,1]
	v_pk_fma_f32 v[124:125], v[128:129], v[124:125], v[130:131] neg_lo:[0,0,1] neg_hi:[0,0,1]
	v_mov_b32_e32 v125, v133
	s_cbranch_execz .LBB123_606
	s_branch .LBB123_607
.LBB123_605:
                                        ; implicit-def: $vgpr124_vgpr125
.LBB123_606:
	ds_load_b64 v[124:125], v1
.LBB123_607:
	s_and_saveexec_b32 s3, s0
	s_cbranch_execz .LBB123_609
; %bb.608:
	scratch_load_b64 v[128:129], off, off offset:8
	v_mov_b32_e32 v127, 0
	ds_load_b64 v[130:131], v127 offset:488
	s_wait_loadcnt_dscnt 0x0
	v_pk_mul_f32 v[132:133], v[130:131], v[128:129] op_sel:[1,1] op_sel_hi:[0,1]
	s_delay_alu instid0(VALU_DEP_1) | instskip(SKIP_1) | instid1(VALU_DEP_2)
	v_pk_fma_f32 v[134:135], v[130:131], v[128:129], v[132:133] op_sel_hi:[1,0,1]
	v_pk_fma_f32 v[128:129], v[130:131], v[128:129], v[132:133] neg_lo:[0,0,1] neg_hi:[0,0,1]
	v_mov_b32_e32 v129, v135
	s_delay_alu instid0(VALU_DEP_1)
	v_pk_add_f32 v[124:125], v[124:125], v[128:129]
.LBB123_609:
	s_or_b32 exec_lo, exec_lo, s3
	v_mov_b32_e32 v127, 0
	ds_load_b64 v[128:129], v127 offset:16
	s_wait_dscnt 0x0
	v_pk_mul_f32 v[130:131], v[124:125], v[128:129] op_sel:[1,1] op_sel_hi:[0,1]
	s_delay_alu instid0(VALU_DEP_1) | instskip(SKIP_1) | instid1(VALU_DEP_2)
	v_pk_fma_f32 v[132:133], v[124:125], v[128:129], v[130:131] op_sel_hi:[1,0,1]
	v_pk_fma_f32 v[124:125], v[124:125], v[128:129], v[130:131] neg_lo:[0,0,1] neg_hi:[0,0,1]
	v_mov_b32_e32 v125, v133
	scratch_store_b64 off, v[124:125], off offset:16
.LBB123_610:
	s_wait_xcnt 0x0
	s_or_b32 exec_lo, exec_lo, s2
	scratch_load_b64 v[124:125], off, off offset:24
	s_mov_b32 s2, exec_lo
	s_wait_loadcnt 0x0
	ds_store_b64 v1, v[124:125]
	s_wait_storecnt_dscnt 0x0
	s_barrier_signal -1
	s_barrier_wait -1
	s_wait_xcnt 0x0
	v_cmpx_gt_u32_e32 3, v0
	s_cbranch_execz .LBB123_620
; %bb.611:
	v_cmp_ne_u32_e32 vcc_lo, 1, v126
	s_cbranch_vccnz .LBB123_613
; %bb.612:
	scratch_load_b64 v[124:125], v59, off
	ds_load_b64 v[128:129], v1
	s_wait_loadcnt_dscnt 0x0
	v_pk_mul_f32 v[130:131], v[128:129], v[124:125] op_sel:[1,1] op_sel_hi:[0,1]
	s_delay_alu instid0(VALU_DEP_1) | instskip(SKIP_1) | instid1(VALU_DEP_2)
	v_pk_fma_f32 v[132:133], v[128:129], v[124:125], v[130:131] op_sel_hi:[1,0,1]
	v_pk_fma_f32 v[124:125], v[128:129], v[124:125], v[130:131] neg_lo:[0,0,1] neg_hi:[0,0,1]
	v_mov_b32_e32 v125, v133
	s_cbranch_execz .LBB123_614
	s_branch .LBB123_615
.LBB123_613:
                                        ; implicit-def: $vgpr124_vgpr125
.LBB123_614:
	ds_load_b64 v[124:125], v1
.LBB123_615:
	s_mov_b32 s3, exec_lo
	v_cmpx_ne_u32_e32 2, v0
	s_cbranch_execz .LBB123_619
; %bb.616:
	scratch_load_b64 v[128:129], v59, off offset:8
	ds_load_b64 v[130:131], v1 offset:8
	s_wait_loadcnt_dscnt 0x0
	v_pk_mul_f32 v[132:133], v[130:131], v[128:129] op_sel:[1,1] op_sel_hi:[0,1]
	s_delay_alu instid0(VALU_DEP_1) | instskip(SKIP_1) | instid1(VALU_DEP_2)
	v_pk_fma_f32 v[134:135], v[130:131], v[128:129], v[132:133] op_sel_hi:[1,0,1]
	v_pk_fma_f32 v[128:129], v[130:131], v[128:129], v[132:133] neg_lo:[0,0,1] neg_hi:[0,0,1]
	v_mov_b32_e32 v129, v135
	s_delay_alu instid0(VALU_DEP_1)
	v_pk_add_f32 v[124:125], v[124:125], v[128:129]
	s_and_saveexec_b32 s4, s0
	s_cbranch_execz .LBB123_618
; %bb.617:
	scratch_load_b64 v[128:129], off, off offset:16
	v_mov_b32_e32 v127, 0
	ds_load_b64 v[130:131], v127 offset:496
	s_wait_loadcnt_dscnt 0x0
	v_pk_mul_f32 v[132:133], v[130:131], v[128:129] op_sel:[1,1] op_sel_hi:[0,1]
	s_delay_alu instid0(VALU_DEP_1) | instskip(SKIP_1) | instid1(VALU_DEP_2)
	v_pk_fma_f32 v[134:135], v[130:131], v[128:129], v[132:133] op_sel_hi:[1,0,1]
	v_pk_fma_f32 v[128:129], v[130:131], v[128:129], v[132:133] neg_lo:[0,0,1] neg_hi:[0,0,1]
	v_mov_b32_e32 v129, v135
	s_delay_alu instid0(VALU_DEP_1)
	v_pk_add_f32 v[124:125], v[124:125], v[128:129]
.LBB123_618:
	s_or_b32 exec_lo, exec_lo, s4
.LBB123_619:
	s_delay_alu instid0(SALU_CYCLE_1) | instskip(SKIP_4) | instid1(VALU_DEP_1)
	s_or_b32 exec_lo, exec_lo, s3
	v_mov_b32_e32 v127, 0
	ds_load_b64 v[128:129], v127 offset:24
	s_wait_dscnt 0x0
	v_pk_mul_f32 v[130:131], v[124:125], v[128:129] op_sel:[1,1] op_sel_hi:[0,1]
	v_pk_fma_f32 v[132:133], v[124:125], v[128:129], v[130:131] op_sel_hi:[1,0,1]
	v_pk_fma_f32 v[124:125], v[124:125], v[128:129], v[130:131] neg_lo:[0,0,1] neg_hi:[0,0,1]
	s_delay_alu instid0(VALU_DEP_2)
	v_mov_b32_e32 v125, v133
	scratch_store_b64 off, v[124:125], off offset:24
.LBB123_620:
	s_wait_xcnt 0x0
	s_or_b32 exec_lo, exec_lo, s2
	scratch_load_b64 v[124:125], off, off offset:32
	s_mov_b32 s0, exec_lo
	s_wait_loadcnt 0x0
	ds_store_b64 v1, v[124:125]
	s_wait_storecnt_dscnt 0x0
	s_barrier_signal -1
	s_barrier_wait -1
	s_wait_xcnt 0x0
	v_cmpx_gt_u32_e32 4, v0
	s_cbranch_execz .LBB123_630
; %bb.621:
	v_cmp_ne_u32_e32 vcc_lo, 1, v126
	s_cbranch_vccnz .LBB123_623
; %bb.622:
	scratch_load_b64 v[124:125], v59, off
	ds_load_b64 v[128:129], v1
	s_wait_loadcnt_dscnt 0x0
	v_pk_mul_f32 v[130:131], v[128:129], v[124:125] op_sel:[1,1] op_sel_hi:[0,1]
	s_delay_alu instid0(VALU_DEP_1) | instskip(SKIP_1) | instid1(VALU_DEP_2)
	v_pk_fma_f32 v[132:133], v[128:129], v[124:125], v[130:131] op_sel_hi:[1,0,1]
	v_pk_fma_f32 v[124:125], v[128:129], v[124:125], v[130:131] neg_lo:[0,0,1] neg_hi:[0,0,1]
	v_mov_b32_e32 v125, v133
	s_cbranch_execz .LBB123_624
	s_branch .LBB123_625
.LBB123_623:
                                        ; implicit-def: $vgpr124_vgpr125
.LBB123_624:
	ds_load_b64 v[124:125], v1
.LBB123_625:
	s_mov_b32 s2, exec_lo
	v_cmpx_ne_u32_e32 3, v0
	s_cbranch_execz .LBB123_629
; %bb.626:
	v_add_nc_u32_e32 v127, 0x1e8, v58
	v_add3_u32 v128, 0, v58, 8
	v_mov_b32_e32 v129, v0
	s_mov_b32 s3, 0
.LBB123_627:                            ; =>This Inner Loop Header: Depth=1
	scratch_load_b64 v[130:131], v128, off
	ds_load_b64 v[132:133], v127
	s_wait_xcnt 0x0
	v_dual_add_nc_u32 v127, 8, v127 :: v_dual_add_nc_u32 v128, 8, v128
	s_wait_loadcnt_dscnt 0x0
	v_pk_mul_f32 v[134:135], v[132:133], v[130:131] op_sel:[1,1] op_sel_hi:[0,1]
	s_delay_alu instid0(VALU_DEP_1) | instskip(SKIP_2) | instid1(VALU_DEP_3)
	v_pk_fma_f32 v[136:137], v[132:133], v[130:131], v[134:135] op_sel_hi:[1,0,1]
	v_add_nc_u32_e32 v129, 1, v129
	v_pk_fma_f32 v[130:131], v[132:133], v[130:131], v[134:135] neg_lo:[0,0,1] neg_hi:[0,0,1]
	v_mov_b32_e32 v131, v137
	s_delay_alu instid0(VALU_DEP_3) | instskip(NEXT) | instid1(VALU_DEP_2)
	v_cmp_lt_u32_e32 vcc_lo, 2, v129
	v_pk_add_f32 v[124:125], v[124:125], v[130:131]
	s_or_b32 s3, vcc_lo, s3
	s_delay_alu instid0(SALU_CYCLE_1)
	s_and_not1_b32 exec_lo, exec_lo, s3
	s_cbranch_execnz .LBB123_627
; %bb.628:
	s_or_b32 exec_lo, exec_lo, s3
.LBB123_629:
	s_delay_alu instid0(SALU_CYCLE_1) | instskip(SKIP_4) | instid1(VALU_DEP_1)
	s_or_b32 exec_lo, exec_lo, s2
	v_mov_b32_e32 v127, 0
	ds_load_b64 v[128:129], v127 offset:32
	s_wait_dscnt 0x0
	v_pk_mul_f32 v[130:131], v[124:125], v[128:129] op_sel:[1,1] op_sel_hi:[0,1]
	v_pk_fma_f32 v[132:133], v[124:125], v[128:129], v[130:131] op_sel_hi:[1,0,1]
	v_pk_fma_f32 v[124:125], v[124:125], v[128:129], v[130:131] neg_lo:[0,0,1] neg_hi:[0,0,1]
	s_delay_alu instid0(VALU_DEP_2)
	v_mov_b32_e32 v125, v133
	scratch_store_b64 off, v[124:125], off offset:32
.LBB123_630:
	s_wait_xcnt 0x0
	s_or_b32 exec_lo, exec_lo, s0
	scratch_load_b64 v[124:125], off, off offset:40
	s_mov_b32 s0, exec_lo
	s_wait_loadcnt 0x0
	ds_store_b64 v1, v[124:125]
	s_wait_storecnt_dscnt 0x0
	s_barrier_signal -1
	s_barrier_wait -1
	s_wait_xcnt 0x0
	v_cmpx_gt_u32_e32 5, v0
	s_cbranch_execz .LBB123_640
; %bb.631:
	v_cmp_ne_u32_e32 vcc_lo, 1, v126
	s_cbranch_vccnz .LBB123_633
; %bb.632:
	scratch_load_b64 v[124:125], v59, off
	ds_load_b64 v[128:129], v1
	s_wait_loadcnt_dscnt 0x0
	v_pk_mul_f32 v[130:131], v[128:129], v[124:125] op_sel:[1,1] op_sel_hi:[0,1]
	s_delay_alu instid0(VALU_DEP_1) | instskip(SKIP_1) | instid1(VALU_DEP_2)
	v_pk_fma_f32 v[132:133], v[128:129], v[124:125], v[130:131] op_sel_hi:[1,0,1]
	v_pk_fma_f32 v[124:125], v[128:129], v[124:125], v[130:131] neg_lo:[0,0,1] neg_hi:[0,0,1]
	v_mov_b32_e32 v125, v133
	s_cbranch_execz .LBB123_634
	s_branch .LBB123_635
.LBB123_633:
                                        ; implicit-def: $vgpr124_vgpr125
.LBB123_634:
	ds_load_b64 v[124:125], v1
.LBB123_635:
	s_mov_b32 s2, exec_lo
	v_cmpx_ne_u32_e32 4, v0
	s_cbranch_execz .LBB123_639
; %bb.636:
	v_add_nc_u32_e32 v127, 0x1e8, v58
	v_add3_u32 v128, 0, v58, 8
	v_mov_b32_e32 v129, v0
	s_mov_b32 s3, 0
.LBB123_637:                            ; =>This Inner Loop Header: Depth=1
	scratch_load_b64 v[130:131], v128, off
	ds_load_b64 v[132:133], v127
	s_wait_xcnt 0x0
	v_dual_add_nc_u32 v127, 8, v127 :: v_dual_add_nc_u32 v128, 8, v128
	s_wait_loadcnt_dscnt 0x0
	v_pk_mul_f32 v[134:135], v[132:133], v[130:131] op_sel:[1,1] op_sel_hi:[0,1]
	s_delay_alu instid0(VALU_DEP_1) | instskip(SKIP_2) | instid1(VALU_DEP_3)
	v_pk_fma_f32 v[136:137], v[132:133], v[130:131], v[134:135] op_sel_hi:[1,0,1]
	v_add_nc_u32_e32 v129, 1, v129
	v_pk_fma_f32 v[130:131], v[132:133], v[130:131], v[134:135] neg_lo:[0,0,1] neg_hi:[0,0,1]
	v_mov_b32_e32 v131, v137
	s_delay_alu instid0(VALU_DEP_3) | instskip(NEXT) | instid1(VALU_DEP_2)
	v_cmp_lt_u32_e32 vcc_lo, 3, v129
	v_pk_add_f32 v[124:125], v[124:125], v[130:131]
	s_or_b32 s3, vcc_lo, s3
	s_delay_alu instid0(SALU_CYCLE_1)
	s_and_not1_b32 exec_lo, exec_lo, s3
	s_cbranch_execnz .LBB123_637
; %bb.638:
	s_or_b32 exec_lo, exec_lo, s3
.LBB123_639:
	s_delay_alu instid0(SALU_CYCLE_1) | instskip(SKIP_4) | instid1(VALU_DEP_1)
	s_or_b32 exec_lo, exec_lo, s2
	v_mov_b32_e32 v127, 0
	ds_load_b64 v[128:129], v127 offset:40
	s_wait_dscnt 0x0
	v_pk_mul_f32 v[130:131], v[124:125], v[128:129] op_sel:[1,1] op_sel_hi:[0,1]
	v_pk_fma_f32 v[132:133], v[124:125], v[128:129], v[130:131] op_sel_hi:[1,0,1]
	v_pk_fma_f32 v[124:125], v[124:125], v[128:129], v[130:131] neg_lo:[0,0,1] neg_hi:[0,0,1]
	s_delay_alu instid0(VALU_DEP_2)
	v_mov_b32_e32 v125, v133
	scratch_store_b64 off, v[124:125], off offset:40
.LBB123_640:
	s_wait_xcnt 0x0
	s_or_b32 exec_lo, exec_lo, s0
	scratch_load_b64 v[124:125], off, off offset:48
	s_mov_b32 s0, exec_lo
	s_wait_loadcnt 0x0
	ds_store_b64 v1, v[124:125]
	s_wait_storecnt_dscnt 0x0
	s_barrier_signal -1
	s_barrier_wait -1
	s_wait_xcnt 0x0
	v_cmpx_gt_u32_e32 6, v0
	s_cbranch_execz .LBB123_650
; %bb.641:
	v_cmp_ne_u32_e32 vcc_lo, 1, v126
	s_cbranch_vccnz .LBB123_643
; %bb.642:
	scratch_load_b64 v[124:125], v59, off
	ds_load_b64 v[128:129], v1
	s_wait_loadcnt_dscnt 0x0
	v_pk_mul_f32 v[130:131], v[128:129], v[124:125] op_sel:[1,1] op_sel_hi:[0,1]
	s_delay_alu instid0(VALU_DEP_1) | instskip(SKIP_1) | instid1(VALU_DEP_2)
	v_pk_fma_f32 v[132:133], v[128:129], v[124:125], v[130:131] op_sel_hi:[1,0,1]
	v_pk_fma_f32 v[124:125], v[128:129], v[124:125], v[130:131] neg_lo:[0,0,1] neg_hi:[0,0,1]
	v_mov_b32_e32 v125, v133
	s_cbranch_execz .LBB123_644
	s_branch .LBB123_645
.LBB123_643:
                                        ; implicit-def: $vgpr124_vgpr125
.LBB123_644:
	ds_load_b64 v[124:125], v1
.LBB123_645:
	s_mov_b32 s2, exec_lo
	v_cmpx_ne_u32_e32 5, v0
	s_cbranch_execz .LBB123_649
; %bb.646:
	v_add_nc_u32_e32 v127, 0x1e8, v58
	v_add3_u32 v128, 0, v58, 8
	v_mov_b32_e32 v129, v0
	s_mov_b32 s3, 0
.LBB123_647:                            ; =>This Inner Loop Header: Depth=1
	scratch_load_b64 v[130:131], v128, off
	ds_load_b64 v[132:133], v127
	s_wait_xcnt 0x0
	v_dual_add_nc_u32 v127, 8, v127 :: v_dual_add_nc_u32 v128, 8, v128
	s_wait_loadcnt_dscnt 0x0
	v_pk_mul_f32 v[134:135], v[132:133], v[130:131] op_sel:[1,1] op_sel_hi:[0,1]
	s_delay_alu instid0(VALU_DEP_1) | instskip(SKIP_2) | instid1(VALU_DEP_3)
	v_pk_fma_f32 v[136:137], v[132:133], v[130:131], v[134:135] op_sel_hi:[1,0,1]
	v_add_nc_u32_e32 v129, 1, v129
	v_pk_fma_f32 v[130:131], v[132:133], v[130:131], v[134:135] neg_lo:[0,0,1] neg_hi:[0,0,1]
	v_mov_b32_e32 v131, v137
	s_delay_alu instid0(VALU_DEP_3) | instskip(NEXT) | instid1(VALU_DEP_2)
	v_cmp_lt_u32_e32 vcc_lo, 4, v129
	v_pk_add_f32 v[124:125], v[124:125], v[130:131]
	s_or_b32 s3, vcc_lo, s3
	s_delay_alu instid0(SALU_CYCLE_1)
	s_and_not1_b32 exec_lo, exec_lo, s3
	s_cbranch_execnz .LBB123_647
; %bb.648:
	s_or_b32 exec_lo, exec_lo, s3
.LBB123_649:
	s_delay_alu instid0(SALU_CYCLE_1) | instskip(SKIP_4) | instid1(VALU_DEP_1)
	s_or_b32 exec_lo, exec_lo, s2
	v_mov_b32_e32 v127, 0
	ds_load_b64 v[128:129], v127 offset:48
	s_wait_dscnt 0x0
	v_pk_mul_f32 v[130:131], v[124:125], v[128:129] op_sel:[1,1] op_sel_hi:[0,1]
	v_pk_fma_f32 v[132:133], v[124:125], v[128:129], v[130:131] op_sel_hi:[1,0,1]
	v_pk_fma_f32 v[124:125], v[124:125], v[128:129], v[130:131] neg_lo:[0,0,1] neg_hi:[0,0,1]
	s_delay_alu instid0(VALU_DEP_2)
	v_mov_b32_e32 v125, v133
	scratch_store_b64 off, v[124:125], off offset:48
.LBB123_650:
	s_wait_xcnt 0x0
	s_or_b32 exec_lo, exec_lo, s0
	scratch_load_b64 v[124:125], off, off offset:56
	s_mov_b32 s0, exec_lo
	s_wait_loadcnt 0x0
	ds_store_b64 v1, v[124:125]
	s_wait_storecnt_dscnt 0x0
	s_barrier_signal -1
	s_barrier_wait -1
	s_wait_xcnt 0x0
	v_cmpx_gt_u32_e32 7, v0
	s_cbranch_execz .LBB123_660
; %bb.651:
	v_cmp_ne_u32_e32 vcc_lo, 1, v126
	s_cbranch_vccnz .LBB123_653
; %bb.652:
	scratch_load_b64 v[124:125], v59, off
	ds_load_b64 v[128:129], v1
	s_wait_loadcnt_dscnt 0x0
	v_pk_mul_f32 v[130:131], v[128:129], v[124:125] op_sel:[1,1] op_sel_hi:[0,1]
	s_delay_alu instid0(VALU_DEP_1) | instskip(SKIP_1) | instid1(VALU_DEP_2)
	v_pk_fma_f32 v[132:133], v[128:129], v[124:125], v[130:131] op_sel_hi:[1,0,1]
	v_pk_fma_f32 v[124:125], v[128:129], v[124:125], v[130:131] neg_lo:[0,0,1] neg_hi:[0,0,1]
	v_mov_b32_e32 v125, v133
	s_cbranch_execz .LBB123_654
	s_branch .LBB123_655
.LBB123_653:
                                        ; implicit-def: $vgpr124_vgpr125
.LBB123_654:
	ds_load_b64 v[124:125], v1
.LBB123_655:
	s_mov_b32 s2, exec_lo
	v_cmpx_ne_u32_e32 6, v0
	s_cbranch_execz .LBB123_659
; %bb.656:
	v_add_nc_u32_e32 v127, 0x1e8, v58
	v_add3_u32 v128, 0, v58, 8
	v_mov_b32_e32 v129, v0
	s_mov_b32 s3, 0
.LBB123_657:                            ; =>This Inner Loop Header: Depth=1
	scratch_load_b64 v[130:131], v128, off
	ds_load_b64 v[132:133], v127
	s_wait_xcnt 0x0
	v_dual_add_nc_u32 v127, 8, v127 :: v_dual_add_nc_u32 v128, 8, v128
	s_wait_loadcnt_dscnt 0x0
	v_pk_mul_f32 v[134:135], v[132:133], v[130:131] op_sel:[1,1] op_sel_hi:[0,1]
	s_delay_alu instid0(VALU_DEP_1) | instskip(SKIP_2) | instid1(VALU_DEP_3)
	v_pk_fma_f32 v[136:137], v[132:133], v[130:131], v[134:135] op_sel_hi:[1,0,1]
	v_add_nc_u32_e32 v129, 1, v129
	v_pk_fma_f32 v[130:131], v[132:133], v[130:131], v[134:135] neg_lo:[0,0,1] neg_hi:[0,0,1]
	v_mov_b32_e32 v131, v137
	s_delay_alu instid0(VALU_DEP_3) | instskip(NEXT) | instid1(VALU_DEP_2)
	v_cmp_lt_u32_e32 vcc_lo, 5, v129
	v_pk_add_f32 v[124:125], v[124:125], v[130:131]
	s_or_b32 s3, vcc_lo, s3
	s_delay_alu instid0(SALU_CYCLE_1)
	s_and_not1_b32 exec_lo, exec_lo, s3
	s_cbranch_execnz .LBB123_657
; %bb.658:
	s_or_b32 exec_lo, exec_lo, s3
.LBB123_659:
	s_delay_alu instid0(SALU_CYCLE_1) | instskip(SKIP_4) | instid1(VALU_DEP_1)
	s_or_b32 exec_lo, exec_lo, s2
	v_mov_b32_e32 v127, 0
	ds_load_b64 v[128:129], v127 offset:56
	s_wait_dscnt 0x0
	v_pk_mul_f32 v[130:131], v[124:125], v[128:129] op_sel:[1,1] op_sel_hi:[0,1]
	v_pk_fma_f32 v[132:133], v[124:125], v[128:129], v[130:131] op_sel_hi:[1,0,1]
	v_pk_fma_f32 v[124:125], v[124:125], v[128:129], v[130:131] neg_lo:[0,0,1] neg_hi:[0,0,1]
	s_delay_alu instid0(VALU_DEP_2)
	v_mov_b32_e32 v125, v133
	scratch_store_b64 off, v[124:125], off offset:56
.LBB123_660:
	s_wait_xcnt 0x0
	s_or_b32 exec_lo, exec_lo, s0
	scratch_load_b64 v[124:125], off, off offset:64
	s_mov_b32 s0, exec_lo
	s_wait_loadcnt 0x0
	ds_store_b64 v1, v[124:125]
	s_wait_storecnt_dscnt 0x0
	s_barrier_signal -1
	s_barrier_wait -1
	s_wait_xcnt 0x0
	v_cmpx_gt_u32_e32 8, v0
	s_cbranch_execz .LBB123_670
; %bb.661:
	v_cmp_ne_u32_e32 vcc_lo, 1, v126
	s_cbranch_vccnz .LBB123_663
; %bb.662:
	scratch_load_b64 v[124:125], v59, off
	ds_load_b64 v[128:129], v1
	s_wait_loadcnt_dscnt 0x0
	v_pk_mul_f32 v[130:131], v[128:129], v[124:125] op_sel:[1,1] op_sel_hi:[0,1]
	s_delay_alu instid0(VALU_DEP_1) | instskip(SKIP_1) | instid1(VALU_DEP_2)
	v_pk_fma_f32 v[132:133], v[128:129], v[124:125], v[130:131] op_sel_hi:[1,0,1]
	v_pk_fma_f32 v[124:125], v[128:129], v[124:125], v[130:131] neg_lo:[0,0,1] neg_hi:[0,0,1]
	v_mov_b32_e32 v125, v133
	s_cbranch_execz .LBB123_664
	s_branch .LBB123_665
.LBB123_663:
                                        ; implicit-def: $vgpr124_vgpr125
.LBB123_664:
	ds_load_b64 v[124:125], v1
.LBB123_665:
	s_mov_b32 s2, exec_lo
	v_cmpx_ne_u32_e32 7, v0
	s_cbranch_execz .LBB123_669
; %bb.666:
	v_add_nc_u32_e32 v127, 0x1e8, v58
	v_add3_u32 v128, 0, v58, 8
	v_mov_b32_e32 v129, v0
	s_mov_b32 s3, 0
.LBB123_667:                            ; =>This Inner Loop Header: Depth=1
	scratch_load_b64 v[130:131], v128, off
	ds_load_b64 v[132:133], v127
	s_wait_xcnt 0x0
	v_dual_add_nc_u32 v127, 8, v127 :: v_dual_add_nc_u32 v128, 8, v128
	s_wait_loadcnt_dscnt 0x0
	v_pk_mul_f32 v[134:135], v[132:133], v[130:131] op_sel:[1,1] op_sel_hi:[0,1]
	s_delay_alu instid0(VALU_DEP_1) | instskip(SKIP_2) | instid1(VALU_DEP_3)
	v_pk_fma_f32 v[136:137], v[132:133], v[130:131], v[134:135] op_sel_hi:[1,0,1]
	v_add_nc_u32_e32 v129, 1, v129
	v_pk_fma_f32 v[130:131], v[132:133], v[130:131], v[134:135] neg_lo:[0,0,1] neg_hi:[0,0,1]
	v_mov_b32_e32 v131, v137
	s_delay_alu instid0(VALU_DEP_3) | instskip(NEXT) | instid1(VALU_DEP_2)
	v_cmp_lt_u32_e32 vcc_lo, 6, v129
	v_pk_add_f32 v[124:125], v[124:125], v[130:131]
	s_or_b32 s3, vcc_lo, s3
	s_delay_alu instid0(SALU_CYCLE_1)
	s_and_not1_b32 exec_lo, exec_lo, s3
	s_cbranch_execnz .LBB123_667
; %bb.668:
	s_or_b32 exec_lo, exec_lo, s3
.LBB123_669:
	s_delay_alu instid0(SALU_CYCLE_1) | instskip(SKIP_4) | instid1(VALU_DEP_1)
	s_or_b32 exec_lo, exec_lo, s2
	v_mov_b32_e32 v127, 0
	ds_load_b64 v[128:129], v127 offset:64
	s_wait_dscnt 0x0
	v_pk_mul_f32 v[130:131], v[124:125], v[128:129] op_sel:[1,1] op_sel_hi:[0,1]
	v_pk_fma_f32 v[132:133], v[124:125], v[128:129], v[130:131] op_sel_hi:[1,0,1]
	v_pk_fma_f32 v[124:125], v[124:125], v[128:129], v[130:131] neg_lo:[0,0,1] neg_hi:[0,0,1]
	s_delay_alu instid0(VALU_DEP_2)
	v_mov_b32_e32 v125, v133
	scratch_store_b64 off, v[124:125], off offset:64
.LBB123_670:
	s_wait_xcnt 0x0
	s_or_b32 exec_lo, exec_lo, s0
	scratch_load_b64 v[124:125], off, off offset:72
	s_mov_b32 s0, exec_lo
	s_wait_loadcnt 0x0
	ds_store_b64 v1, v[124:125]
	s_wait_storecnt_dscnt 0x0
	s_barrier_signal -1
	s_barrier_wait -1
	s_wait_xcnt 0x0
	v_cmpx_gt_u32_e32 9, v0
	s_cbranch_execz .LBB123_680
; %bb.671:
	v_cmp_ne_u32_e32 vcc_lo, 1, v126
	s_cbranch_vccnz .LBB123_673
; %bb.672:
	scratch_load_b64 v[124:125], v59, off
	ds_load_b64 v[128:129], v1
	s_wait_loadcnt_dscnt 0x0
	v_pk_mul_f32 v[130:131], v[128:129], v[124:125] op_sel:[1,1] op_sel_hi:[0,1]
	s_delay_alu instid0(VALU_DEP_1) | instskip(SKIP_1) | instid1(VALU_DEP_2)
	v_pk_fma_f32 v[132:133], v[128:129], v[124:125], v[130:131] op_sel_hi:[1,0,1]
	v_pk_fma_f32 v[124:125], v[128:129], v[124:125], v[130:131] neg_lo:[0,0,1] neg_hi:[0,0,1]
	v_mov_b32_e32 v125, v133
	s_cbranch_execz .LBB123_674
	s_branch .LBB123_675
.LBB123_673:
                                        ; implicit-def: $vgpr124_vgpr125
.LBB123_674:
	ds_load_b64 v[124:125], v1
.LBB123_675:
	s_mov_b32 s2, exec_lo
	v_cmpx_ne_u32_e32 8, v0
	s_cbranch_execz .LBB123_679
; %bb.676:
	v_add_nc_u32_e32 v127, 0x1e8, v58
	v_add3_u32 v128, 0, v58, 8
	v_mov_b32_e32 v129, v0
	s_mov_b32 s3, 0
.LBB123_677:                            ; =>This Inner Loop Header: Depth=1
	scratch_load_b64 v[130:131], v128, off
	ds_load_b64 v[132:133], v127
	s_wait_xcnt 0x0
	v_dual_add_nc_u32 v127, 8, v127 :: v_dual_add_nc_u32 v128, 8, v128
	s_wait_loadcnt_dscnt 0x0
	v_pk_mul_f32 v[134:135], v[132:133], v[130:131] op_sel:[1,1] op_sel_hi:[0,1]
	s_delay_alu instid0(VALU_DEP_1) | instskip(SKIP_2) | instid1(VALU_DEP_3)
	v_pk_fma_f32 v[136:137], v[132:133], v[130:131], v[134:135] op_sel_hi:[1,0,1]
	v_add_nc_u32_e32 v129, 1, v129
	v_pk_fma_f32 v[130:131], v[132:133], v[130:131], v[134:135] neg_lo:[0,0,1] neg_hi:[0,0,1]
	v_mov_b32_e32 v131, v137
	s_delay_alu instid0(VALU_DEP_3) | instskip(NEXT) | instid1(VALU_DEP_2)
	v_cmp_lt_u32_e32 vcc_lo, 7, v129
	v_pk_add_f32 v[124:125], v[124:125], v[130:131]
	s_or_b32 s3, vcc_lo, s3
	s_delay_alu instid0(SALU_CYCLE_1)
	s_and_not1_b32 exec_lo, exec_lo, s3
	s_cbranch_execnz .LBB123_677
; %bb.678:
	s_or_b32 exec_lo, exec_lo, s3
.LBB123_679:
	s_delay_alu instid0(SALU_CYCLE_1) | instskip(SKIP_4) | instid1(VALU_DEP_1)
	s_or_b32 exec_lo, exec_lo, s2
	v_mov_b32_e32 v127, 0
	ds_load_b64 v[128:129], v127 offset:72
	s_wait_dscnt 0x0
	v_pk_mul_f32 v[130:131], v[124:125], v[128:129] op_sel:[1,1] op_sel_hi:[0,1]
	v_pk_fma_f32 v[132:133], v[124:125], v[128:129], v[130:131] op_sel_hi:[1,0,1]
	v_pk_fma_f32 v[124:125], v[124:125], v[128:129], v[130:131] neg_lo:[0,0,1] neg_hi:[0,0,1]
	s_delay_alu instid0(VALU_DEP_2)
	v_mov_b32_e32 v125, v133
	scratch_store_b64 off, v[124:125], off offset:72
.LBB123_680:
	s_wait_xcnt 0x0
	s_or_b32 exec_lo, exec_lo, s0
	scratch_load_b64 v[124:125], off, off offset:80
	s_mov_b32 s0, exec_lo
	s_wait_loadcnt 0x0
	ds_store_b64 v1, v[124:125]
	s_wait_storecnt_dscnt 0x0
	s_barrier_signal -1
	s_barrier_wait -1
	s_wait_xcnt 0x0
	v_cmpx_gt_u32_e32 10, v0
	s_cbranch_execz .LBB123_690
; %bb.681:
	v_cmp_ne_u32_e32 vcc_lo, 1, v126
	s_cbranch_vccnz .LBB123_683
; %bb.682:
	scratch_load_b64 v[124:125], v59, off
	ds_load_b64 v[128:129], v1
	s_wait_loadcnt_dscnt 0x0
	v_pk_mul_f32 v[130:131], v[128:129], v[124:125] op_sel:[1,1] op_sel_hi:[0,1]
	s_delay_alu instid0(VALU_DEP_1) | instskip(SKIP_1) | instid1(VALU_DEP_2)
	v_pk_fma_f32 v[132:133], v[128:129], v[124:125], v[130:131] op_sel_hi:[1,0,1]
	v_pk_fma_f32 v[124:125], v[128:129], v[124:125], v[130:131] neg_lo:[0,0,1] neg_hi:[0,0,1]
	v_mov_b32_e32 v125, v133
	s_cbranch_execz .LBB123_684
	s_branch .LBB123_685
.LBB123_683:
                                        ; implicit-def: $vgpr124_vgpr125
.LBB123_684:
	ds_load_b64 v[124:125], v1
.LBB123_685:
	s_mov_b32 s2, exec_lo
	v_cmpx_ne_u32_e32 9, v0
	s_cbranch_execz .LBB123_689
; %bb.686:
	v_add_nc_u32_e32 v127, 0x1e8, v58
	v_add3_u32 v128, 0, v58, 8
	v_mov_b32_e32 v129, v0
	s_mov_b32 s3, 0
.LBB123_687:                            ; =>This Inner Loop Header: Depth=1
	scratch_load_b64 v[130:131], v128, off
	ds_load_b64 v[132:133], v127
	s_wait_xcnt 0x0
	v_dual_add_nc_u32 v127, 8, v127 :: v_dual_add_nc_u32 v128, 8, v128
	s_wait_loadcnt_dscnt 0x0
	v_pk_mul_f32 v[134:135], v[132:133], v[130:131] op_sel:[1,1] op_sel_hi:[0,1]
	s_delay_alu instid0(VALU_DEP_1) | instskip(SKIP_2) | instid1(VALU_DEP_3)
	v_pk_fma_f32 v[136:137], v[132:133], v[130:131], v[134:135] op_sel_hi:[1,0,1]
	v_add_nc_u32_e32 v129, 1, v129
	v_pk_fma_f32 v[130:131], v[132:133], v[130:131], v[134:135] neg_lo:[0,0,1] neg_hi:[0,0,1]
	v_mov_b32_e32 v131, v137
	s_delay_alu instid0(VALU_DEP_3) | instskip(NEXT) | instid1(VALU_DEP_2)
	v_cmp_lt_u32_e32 vcc_lo, 8, v129
	v_pk_add_f32 v[124:125], v[124:125], v[130:131]
	s_or_b32 s3, vcc_lo, s3
	s_delay_alu instid0(SALU_CYCLE_1)
	s_and_not1_b32 exec_lo, exec_lo, s3
	s_cbranch_execnz .LBB123_687
; %bb.688:
	s_or_b32 exec_lo, exec_lo, s3
.LBB123_689:
	s_delay_alu instid0(SALU_CYCLE_1) | instskip(SKIP_4) | instid1(VALU_DEP_1)
	s_or_b32 exec_lo, exec_lo, s2
	v_mov_b32_e32 v127, 0
	ds_load_b64 v[128:129], v127 offset:80
	s_wait_dscnt 0x0
	v_pk_mul_f32 v[130:131], v[124:125], v[128:129] op_sel:[1,1] op_sel_hi:[0,1]
	v_pk_fma_f32 v[132:133], v[124:125], v[128:129], v[130:131] op_sel_hi:[1,0,1]
	v_pk_fma_f32 v[124:125], v[124:125], v[128:129], v[130:131] neg_lo:[0,0,1] neg_hi:[0,0,1]
	s_delay_alu instid0(VALU_DEP_2)
	v_mov_b32_e32 v125, v133
	scratch_store_b64 off, v[124:125], off offset:80
.LBB123_690:
	s_wait_xcnt 0x0
	s_or_b32 exec_lo, exec_lo, s0
	scratch_load_b64 v[124:125], off, off offset:88
	s_mov_b32 s0, exec_lo
	s_wait_loadcnt 0x0
	ds_store_b64 v1, v[124:125]
	s_wait_storecnt_dscnt 0x0
	s_barrier_signal -1
	s_barrier_wait -1
	s_wait_xcnt 0x0
	v_cmpx_gt_u32_e32 11, v0
	s_cbranch_execz .LBB123_700
; %bb.691:
	v_cmp_ne_u32_e32 vcc_lo, 1, v126
	s_cbranch_vccnz .LBB123_693
; %bb.692:
	scratch_load_b64 v[124:125], v59, off
	ds_load_b64 v[128:129], v1
	s_wait_loadcnt_dscnt 0x0
	v_pk_mul_f32 v[130:131], v[128:129], v[124:125] op_sel:[1,1] op_sel_hi:[0,1]
	s_delay_alu instid0(VALU_DEP_1) | instskip(SKIP_1) | instid1(VALU_DEP_2)
	v_pk_fma_f32 v[132:133], v[128:129], v[124:125], v[130:131] op_sel_hi:[1,0,1]
	v_pk_fma_f32 v[124:125], v[128:129], v[124:125], v[130:131] neg_lo:[0,0,1] neg_hi:[0,0,1]
	v_mov_b32_e32 v125, v133
	s_cbranch_execz .LBB123_694
	s_branch .LBB123_695
.LBB123_693:
                                        ; implicit-def: $vgpr124_vgpr125
.LBB123_694:
	ds_load_b64 v[124:125], v1
.LBB123_695:
	s_mov_b32 s2, exec_lo
	v_cmpx_ne_u32_e32 10, v0
	s_cbranch_execz .LBB123_699
; %bb.696:
	v_add_nc_u32_e32 v127, 0x1e8, v58
	v_add3_u32 v128, 0, v58, 8
	v_mov_b32_e32 v129, v0
	s_mov_b32 s3, 0
.LBB123_697:                            ; =>This Inner Loop Header: Depth=1
	scratch_load_b64 v[130:131], v128, off
	ds_load_b64 v[132:133], v127
	s_wait_xcnt 0x0
	v_dual_add_nc_u32 v127, 8, v127 :: v_dual_add_nc_u32 v128, 8, v128
	s_wait_loadcnt_dscnt 0x0
	v_pk_mul_f32 v[134:135], v[132:133], v[130:131] op_sel:[1,1] op_sel_hi:[0,1]
	s_delay_alu instid0(VALU_DEP_1) | instskip(SKIP_2) | instid1(VALU_DEP_3)
	v_pk_fma_f32 v[136:137], v[132:133], v[130:131], v[134:135] op_sel_hi:[1,0,1]
	v_add_nc_u32_e32 v129, 1, v129
	v_pk_fma_f32 v[130:131], v[132:133], v[130:131], v[134:135] neg_lo:[0,0,1] neg_hi:[0,0,1]
	v_mov_b32_e32 v131, v137
	s_delay_alu instid0(VALU_DEP_3) | instskip(NEXT) | instid1(VALU_DEP_2)
	v_cmp_lt_u32_e32 vcc_lo, 9, v129
	v_pk_add_f32 v[124:125], v[124:125], v[130:131]
	s_or_b32 s3, vcc_lo, s3
	s_delay_alu instid0(SALU_CYCLE_1)
	s_and_not1_b32 exec_lo, exec_lo, s3
	s_cbranch_execnz .LBB123_697
; %bb.698:
	s_or_b32 exec_lo, exec_lo, s3
.LBB123_699:
	s_delay_alu instid0(SALU_CYCLE_1) | instskip(SKIP_4) | instid1(VALU_DEP_1)
	s_or_b32 exec_lo, exec_lo, s2
	v_mov_b32_e32 v127, 0
	ds_load_b64 v[128:129], v127 offset:88
	s_wait_dscnt 0x0
	v_pk_mul_f32 v[130:131], v[124:125], v[128:129] op_sel:[1,1] op_sel_hi:[0,1]
	v_pk_fma_f32 v[132:133], v[124:125], v[128:129], v[130:131] op_sel_hi:[1,0,1]
	v_pk_fma_f32 v[124:125], v[124:125], v[128:129], v[130:131] neg_lo:[0,0,1] neg_hi:[0,0,1]
	s_delay_alu instid0(VALU_DEP_2)
	v_mov_b32_e32 v125, v133
	scratch_store_b64 off, v[124:125], off offset:88
.LBB123_700:
	s_wait_xcnt 0x0
	s_or_b32 exec_lo, exec_lo, s0
	scratch_load_b64 v[124:125], off, off offset:96
	s_mov_b32 s0, exec_lo
	s_wait_loadcnt 0x0
	ds_store_b64 v1, v[124:125]
	s_wait_storecnt_dscnt 0x0
	s_barrier_signal -1
	s_barrier_wait -1
	s_wait_xcnt 0x0
	v_cmpx_gt_u32_e32 12, v0
	s_cbranch_execz .LBB123_710
; %bb.701:
	v_cmp_ne_u32_e32 vcc_lo, 1, v126
	s_cbranch_vccnz .LBB123_703
; %bb.702:
	scratch_load_b64 v[124:125], v59, off
	ds_load_b64 v[128:129], v1
	s_wait_loadcnt_dscnt 0x0
	v_pk_mul_f32 v[130:131], v[128:129], v[124:125] op_sel:[1,1] op_sel_hi:[0,1]
	s_delay_alu instid0(VALU_DEP_1) | instskip(SKIP_1) | instid1(VALU_DEP_2)
	v_pk_fma_f32 v[132:133], v[128:129], v[124:125], v[130:131] op_sel_hi:[1,0,1]
	v_pk_fma_f32 v[124:125], v[128:129], v[124:125], v[130:131] neg_lo:[0,0,1] neg_hi:[0,0,1]
	v_mov_b32_e32 v125, v133
	s_cbranch_execz .LBB123_704
	s_branch .LBB123_705
.LBB123_703:
                                        ; implicit-def: $vgpr124_vgpr125
.LBB123_704:
	ds_load_b64 v[124:125], v1
.LBB123_705:
	s_mov_b32 s2, exec_lo
	v_cmpx_ne_u32_e32 11, v0
	s_cbranch_execz .LBB123_709
; %bb.706:
	v_add_nc_u32_e32 v127, 0x1e8, v58
	v_add3_u32 v128, 0, v58, 8
	v_mov_b32_e32 v129, v0
	s_mov_b32 s3, 0
.LBB123_707:                            ; =>This Inner Loop Header: Depth=1
	scratch_load_b64 v[130:131], v128, off
	ds_load_b64 v[132:133], v127
	s_wait_xcnt 0x0
	v_dual_add_nc_u32 v127, 8, v127 :: v_dual_add_nc_u32 v128, 8, v128
	s_wait_loadcnt_dscnt 0x0
	v_pk_mul_f32 v[134:135], v[132:133], v[130:131] op_sel:[1,1] op_sel_hi:[0,1]
	s_delay_alu instid0(VALU_DEP_1) | instskip(SKIP_2) | instid1(VALU_DEP_3)
	v_pk_fma_f32 v[136:137], v[132:133], v[130:131], v[134:135] op_sel_hi:[1,0,1]
	v_add_nc_u32_e32 v129, 1, v129
	v_pk_fma_f32 v[130:131], v[132:133], v[130:131], v[134:135] neg_lo:[0,0,1] neg_hi:[0,0,1]
	v_mov_b32_e32 v131, v137
	s_delay_alu instid0(VALU_DEP_3) | instskip(NEXT) | instid1(VALU_DEP_2)
	v_cmp_lt_u32_e32 vcc_lo, 10, v129
	v_pk_add_f32 v[124:125], v[124:125], v[130:131]
	s_or_b32 s3, vcc_lo, s3
	s_delay_alu instid0(SALU_CYCLE_1)
	s_and_not1_b32 exec_lo, exec_lo, s3
	s_cbranch_execnz .LBB123_707
; %bb.708:
	s_or_b32 exec_lo, exec_lo, s3
.LBB123_709:
	s_delay_alu instid0(SALU_CYCLE_1) | instskip(SKIP_4) | instid1(VALU_DEP_1)
	s_or_b32 exec_lo, exec_lo, s2
	v_mov_b32_e32 v127, 0
	ds_load_b64 v[128:129], v127 offset:96
	s_wait_dscnt 0x0
	v_pk_mul_f32 v[130:131], v[124:125], v[128:129] op_sel:[1,1] op_sel_hi:[0,1]
	v_pk_fma_f32 v[132:133], v[124:125], v[128:129], v[130:131] op_sel_hi:[1,0,1]
	v_pk_fma_f32 v[124:125], v[124:125], v[128:129], v[130:131] neg_lo:[0,0,1] neg_hi:[0,0,1]
	s_delay_alu instid0(VALU_DEP_2)
	v_mov_b32_e32 v125, v133
	scratch_store_b64 off, v[124:125], off offset:96
.LBB123_710:
	s_wait_xcnt 0x0
	s_or_b32 exec_lo, exec_lo, s0
	scratch_load_b64 v[124:125], off, off offset:104
	s_mov_b32 s0, exec_lo
	s_wait_loadcnt 0x0
	ds_store_b64 v1, v[124:125]
	s_wait_storecnt_dscnt 0x0
	s_barrier_signal -1
	s_barrier_wait -1
	s_wait_xcnt 0x0
	v_cmpx_gt_u32_e32 13, v0
	s_cbranch_execz .LBB123_720
; %bb.711:
	v_cmp_ne_u32_e32 vcc_lo, 1, v126
	s_cbranch_vccnz .LBB123_713
; %bb.712:
	scratch_load_b64 v[124:125], v59, off
	ds_load_b64 v[128:129], v1
	s_wait_loadcnt_dscnt 0x0
	v_pk_mul_f32 v[130:131], v[128:129], v[124:125] op_sel:[1,1] op_sel_hi:[0,1]
	s_delay_alu instid0(VALU_DEP_1) | instskip(SKIP_1) | instid1(VALU_DEP_2)
	v_pk_fma_f32 v[132:133], v[128:129], v[124:125], v[130:131] op_sel_hi:[1,0,1]
	v_pk_fma_f32 v[124:125], v[128:129], v[124:125], v[130:131] neg_lo:[0,0,1] neg_hi:[0,0,1]
	v_mov_b32_e32 v125, v133
	s_cbranch_execz .LBB123_714
	s_branch .LBB123_715
.LBB123_713:
                                        ; implicit-def: $vgpr124_vgpr125
.LBB123_714:
	ds_load_b64 v[124:125], v1
.LBB123_715:
	s_mov_b32 s2, exec_lo
	v_cmpx_ne_u32_e32 12, v0
	s_cbranch_execz .LBB123_719
; %bb.716:
	v_add_nc_u32_e32 v127, 0x1e8, v58
	v_add3_u32 v128, 0, v58, 8
	v_mov_b32_e32 v129, v0
	s_mov_b32 s3, 0
.LBB123_717:                            ; =>This Inner Loop Header: Depth=1
	scratch_load_b64 v[130:131], v128, off
	ds_load_b64 v[132:133], v127
	s_wait_xcnt 0x0
	v_dual_add_nc_u32 v127, 8, v127 :: v_dual_add_nc_u32 v128, 8, v128
	s_wait_loadcnt_dscnt 0x0
	v_pk_mul_f32 v[134:135], v[132:133], v[130:131] op_sel:[1,1] op_sel_hi:[0,1]
	s_delay_alu instid0(VALU_DEP_1) | instskip(SKIP_2) | instid1(VALU_DEP_3)
	v_pk_fma_f32 v[136:137], v[132:133], v[130:131], v[134:135] op_sel_hi:[1,0,1]
	v_add_nc_u32_e32 v129, 1, v129
	v_pk_fma_f32 v[130:131], v[132:133], v[130:131], v[134:135] neg_lo:[0,0,1] neg_hi:[0,0,1]
	v_mov_b32_e32 v131, v137
	s_delay_alu instid0(VALU_DEP_3) | instskip(NEXT) | instid1(VALU_DEP_2)
	v_cmp_lt_u32_e32 vcc_lo, 11, v129
	v_pk_add_f32 v[124:125], v[124:125], v[130:131]
	s_or_b32 s3, vcc_lo, s3
	s_delay_alu instid0(SALU_CYCLE_1)
	s_and_not1_b32 exec_lo, exec_lo, s3
	s_cbranch_execnz .LBB123_717
; %bb.718:
	s_or_b32 exec_lo, exec_lo, s3
.LBB123_719:
	s_delay_alu instid0(SALU_CYCLE_1) | instskip(SKIP_4) | instid1(VALU_DEP_1)
	s_or_b32 exec_lo, exec_lo, s2
	v_mov_b32_e32 v127, 0
	ds_load_b64 v[128:129], v127 offset:104
	s_wait_dscnt 0x0
	v_pk_mul_f32 v[130:131], v[124:125], v[128:129] op_sel:[1,1] op_sel_hi:[0,1]
	v_pk_fma_f32 v[132:133], v[124:125], v[128:129], v[130:131] op_sel_hi:[1,0,1]
	v_pk_fma_f32 v[124:125], v[124:125], v[128:129], v[130:131] neg_lo:[0,0,1] neg_hi:[0,0,1]
	s_delay_alu instid0(VALU_DEP_2)
	v_mov_b32_e32 v125, v133
	scratch_store_b64 off, v[124:125], off offset:104
.LBB123_720:
	s_wait_xcnt 0x0
	s_or_b32 exec_lo, exec_lo, s0
	scratch_load_b64 v[124:125], off, off offset:112
	s_mov_b32 s0, exec_lo
	s_wait_loadcnt 0x0
	ds_store_b64 v1, v[124:125]
	s_wait_storecnt_dscnt 0x0
	s_barrier_signal -1
	s_barrier_wait -1
	s_wait_xcnt 0x0
	v_cmpx_gt_u32_e32 14, v0
	s_cbranch_execz .LBB123_730
; %bb.721:
	v_cmp_ne_u32_e32 vcc_lo, 1, v126
	s_cbranch_vccnz .LBB123_723
; %bb.722:
	scratch_load_b64 v[124:125], v59, off
	ds_load_b64 v[128:129], v1
	s_wait_loadcnt_dscnt 0x0
	v_pk_mul_f32 v[130:131], v[128:129], v[124:125] op_sel:[1,1] op_sel_hi:[0,1]
	s_delay_alu instid0(VALU_DEP_1) | instskip(SKIP_1) | instid1(VALU_DEP_2)
	v_pk_fma_f32 v[132:133], v[128:129], v[124:125], v[130:131] op_sel_hi:[1,0,1]
	v_pk_fma_f32 v[124:125], v[128:129], v[124:125], v[130:131] neg_lo:[0,0,1] neg_hi:[0,0,1]
	v_mov_b32_e32 v125, v133
	s_cbranch_execz .LBB123_724
	s_branch .LBB123_725
.LBB123_723:
                                        ; implicit-def: $vgpr124_vgpr125
.LBB123_724:
	ds_load_b64 v[124:125], v1
.LBB123_725:
	s_mov_b32 s2, exec_lo
	v_cmpx_ne_u32_e32 13, v0
	s_cbranch_execz .LBB123_729
; %bb.726:
	v_add_nc_u32_e32 v127, 0x1e8, v58
	v_add3_u32 v128, 0, v58, 8
	v_mov_b32_e32 v129, v0
	s_mov_b32 s3, 0
.LBB123_727:                            ; =>This Inner Loop Header: Depth=1
	scratch_load_b64 v[130:131], v128, off
	ds_load_b64 v[132:133], v127
	s_wait_xcnt 0x0
	v_dual_add_nc_u32 v127, 8, v127 :: v_dual_add_nc_u32 v128, 8, v128
	s_wait_loadcnt_dscnt 0x0
	v_pk_mul_f32 v[134:135], v[132:133], v[130:131] op_sel:[1,1] op_sel_hi:[0,1]
	s_delay_alu instid0(VALU_DEP_1) | instskip(SKIP_2) | instid1(VALU_DEP_3)
	v_pk_fma_f32 v[136:137], v[132:133], v[130:131], v[134:135] op_sel_hi:[1,0,1]
	v_add_nc_u32_e32 v129, 1, v129
	v_pk_fma_f32 v[130:131], v[132:133], v[130:131], v[134:135] neg_lo:[0,0,1] neg_hi:[0,0,1]
	v_mov_b32_e32 v131, v137
	s_delay_alu instid0(VALU_DEP_3) | instskip(NEXT) | instid1(VALU_DEP_2)
	v_cmp_lt_u32_e32 vcc_lo, 12, v129
	v_pk_add_f32 v[124:125], v[124:125], v[130:131]
	s_or_b32 s3, vcc_lo, s3
	s_delay_alu instid0(SALU_CYCLE_1)
	s_and_not1_b32 exec_lo, exec_lo, s3
	s_cbranch_execnz .LBB123_727
; %bb.728:
	s_or_b32 exec_lo, exec_lo, s3
.LBB123_729:
	s_delay_alu instid0(SALU_CYCLE_1) | instskip(SKIP_4) | instid1(VALU_DEP_1)
	s_or_b32 exec_lo, exec_lo, s2
	v_mov_b32_e32 v127, 0
	ds_load_b64 v[128:129], v127 offset:112
	s_wait_dscnt 0x0
	v_pk_mul_f32 v[130:131], v[124:125], v[128:129] op_sel:[1,1] op_sel_hi:[0,1]
	v_pk_fma_f32 v[132:133], v[124:125], v[128:129], v[130:131] op_sel_hi:[1,0,1]
	v_pk_fma_f32 v[124:125], v[124:125], v[128:129], v[130:131] neg_lo:[0,0,1] neg_hi:[0,0,1]
	s_delay_alu instid0(VALU_DEP_2)
	v_mov_b32_e32 v125, v133
	scratch_store_b64 off, v[124:125], off offset:112
.LBB123_730:
	s_wait_xcnt 0x0
	s_or_b32 exec_lo, exec_lo, s0
	scratch_load_b64 v[124:125], off, off offset:120
	s_mov_b32 s0, exec_lo
	s_wait_loadcnt 0x0
	ds_store_b64 v1, v[124:125]
	s_wait_storecnt_dscnt 0x0
	s_barrier_signal -1
	s_barrier_wait -1
	s_wait_xcnt 0x0
	v_cmpx_gt_u32_e32 15, v0
	s_cbranch_execz .LBB123_740
; %bb.731:
	v_cmp_ne_u32_e32 vcc_lo, 1, v126
	s_cbranch_vccnz .LBB123_733
; %bb.732:
	scratch_load_b64 v[124:125], v59, off
	ds_load_b64 v[128:129], v1
	s_wait_loadcnt_dscnt 0x0
	v_pk_mul_f32 v[130:131], v[128:129], v[124:125] op_sel:[1,1] op_sel_hi:[0,1]
	s_delay_alu instid0(VALU_DEP_1) | instskip(SKIP_1) | instid1(VALU_DEP_2)
	v_pk_fma_f32 v[132:133], v[128:129], v[124:125], v[130:131] op_sel_hi:[1,0,1]
	v_pk_fma_f32 v[124:125], v[128:129], v[124:125], v[130:131] neg_lo:[0,0,1] neg_hi:[0,0,1]
	v_mov_b32_e32 v125, v133
	s_cbranch_execz .LBB123_734
	s_branch .LBB123_735
.LBB123_733:
                                        ; implicit-def: $vgpr124_vgpr125
.LBB123_734:
	ds_load_b64 v[124:125], v1
.LBB123_735:
	s_mov_b32 s2, exec_lo
	v_cmpx_ne_u32_e32 14, v0
	s_cbranch_execz .LBB123_739
; %bb.736:
	v_add_nc_u32_e32 v127, 0x1e8, v58
	v_add3_u32 v128, 0, v58, 8
	v_mov_b32_e32 v129, v0
	s_mov_b32 s3, 0
.LBB123_737:                            ; =>This Inner Loop Header: Depth=1
	scratch_load_b64 v[130:131], v128, off
	ds_load_b64 v[132:133], v127
	s_wait_xcnt 0x0
	v_dual_add_nc_u32 v127, 8, v127 :: v_dual_add_nc_u32 v128, 8, v128
	s_wait_loadcnt_dscnt 0x0
	v_pk_mul_f32 v[134:135], v[132:133], v[130:131] op_sel:[1,1] op_sel_hi:[0,1]
	s_delay_alu instid0(VALU_DEP_1) | instskip(SKIP_2) | instid1(VALU_DEP_3)
	v_pk_fma_f32 v[136:137], v[132:133], v[130:131], v[134:135] op_sel_hi:[1,0,1]
	v_add_nc_u32_e32 v129, 1, v129
	v_pk_fma_f32 v[130:131], v[132:133], v[130:131], v[134:135] neg_lo:[0,0,1] neg_hi:[0,0,1]
	v_mov_b32_e32 v131, v137
	s_delay_alu instid0(VALU_DEP_3) | instskip(NEXT) | instid1(VALU_DEP_2)
	v_cmp_lt_u32_e32 vcc_lo, 13, v129
	v_pk_add_f32 v[124:125], v[124:125], v[130:131]
	s_or_b32 s3, vcc_lo, s3
	s_delay_alu instid0(SALU_CYCLE_1)
	s_and_not1_b32 exec_lo, exec_lo, s3
	s_cbranch_execnz .LBB123_737
; %bb.738:
	s_or_b32 exec_lo, exec_lo, s3
.LBB123_739:
	s_delay_alu instid0(SALU_CYCLE_1) | instskip(SKIP_4) | instid1(VALU_DEP_1)
	s_or_b32 exec_lo, exec_lo, s2
	v_mov_b32_e32 v127, 0
	ds_load_b64 v[128:129], v127 offset:120
	s_wait_dscnt 0x0
	v_pk_mul_f32 v[130:131], v[124:125], v[128:129] op_sel:[1,1] op_sel_hi:[0,1]
	v_pk_fma_f32 v[132:133], v[124:125], v[128:129], v[130:131] op_sel_hi:[1,0,1]
	v_pk_fma_f32 v[124:125], v[124:125], v[128:129], v[130:131] neg_lo:[0,0,1] neg_hi:[0,0,1]
	s_delay_alu instid0(VALU_DEP_2)
	v_mov_b32_e32 v125, v133
	scratch_store_b64 off, v[124:125], off offset:120
.LBB123_740:
	s_wait_xcnt 0x0
	s_or_b32 exec_lo, exec_lo, s0
	scratch_load_b64 v[124:125], off, off offset:128
	s_mov_b32 s0, exec_lo
	s_wait_loadcnt 0x0
	ds_store_b64 v1, v[124:125]
	s_wait_storecnt_dscnt 0x0
	s_barrier_signal -1
	s_barrier_wait -1
	s_wait_xcnt 0x0
	v_cmpx_gt_u32_e32 16, v0
	s_cbranch_execz .LBB123_750
; %bb.741:
	v_cmp_ne_u32_e32 vcc_lo, 1, v126
	s_cbranch_vccnz .LBB123_743
; %bb.742:
	scratch_load_b64 v[124:125], v59, off
	ds_load_b64 v[128:129], v1
	s_wait_loadcnt_dscnt 0x0
	v_pk_mul_f32 v[130:131], v[128:129], v[124:125] op_sel:[1,1] op_sel_hi:[0,1]
	s_delay_alu instid0(VALU_DEP_1) | instskip(SKIP_1) | instid1(VALU_DEP_2)
	v_pk_fma_f32 v[132:133], v[128:129], v[124:125], v[130:131] op_sel_hi:[1,0,1]
	v_pk_fma_f32 v[124:125], v[128:129], v[124:125], v[130:131] neg_lo:[0,0,1] neg_hi:[0,0,1]
	v_mov_b32_e32 v125, v133
	s_cbranch_execz .LBB123_744
	s_branch .LBB123_745
.LBB123_743:
                                        ; implicit-def: $vgpr124_vgpr125
.LBB123_744:
	ds_load_b64 v[124:125], v1
.LBB123_745:
	s_mov_b32 s2, exec_lo
	v_cmpx_ne_u32_e32 15, v0
	s_cbranch_execz .LBB123_749
; %bb.746:
	v_add_nc_u32_e32 v127, 0x1e8, v58
	v_add3_u32 v128, 0, v58, 8
	v_mov_b32_e32 v129, v0
	s_mov_b32 s3, 0
.LBB123_747:                            ; =>This Inner Loop Header: Depth=1
	scratch_load_b64 v[130:131], v128, off
	ds_load_b64 v[132:133], v127
	s_wait_xcnt 0x0
	v_dual_add_nc_u32 v127, 8, v127 :: v_dual_add_nc_u32 v128, 8, v128
	s_wait_loadcnt_dscnt 0x0
	v_pk_mul_f32 v[134:135], v[132:133], v[130:131] op_sel:[1,1] op_sel_hi:[0,1]
	s_delay_alu instid0(VALU_DEP_1) | instskip(SKIP_2) | instid1(VALU_DEP_3)
	v_pk_fma_f32 v[136:137], v[132:133], v[130:131], v[134:135] op_sel_hi:[1,0,1]
	v_add_nc_u32_e32 v129, 1, v129
	v_pk_fma_f32 v[130:131], v[132:133], v[130:131], v[134:135] neg_lo:[0,0,1] neg_hi:[0,0,1]
	v_mov_b32_e32 v131, v137
	s_delay_alu instid0(VALU_DEP_3) | instskip(NEXT) | instid1(VALU_DEP_2)
	v_cmp_lt_u32_e32 vcc_lo, 14, v129
	v_pk_add_f32 v[124:125], v[124:125], v[130:131]
	s_or_b32 s3, vcc_lo, s3
	s_delay_alu instid0(SALU_CYCLE_1)
	s_and_not1_b32 exec_lo, exec_lo, s3
	s_cbranch_execnz .LBB123_747
; %bb.748:
	s_or_b32 exec_lo, exec_lo, s3
.LBB123_749:
	s_delay_alu instid0(SALU_CYCLE_1) | instskip(SKIP_4) | instid1(VALU_DEP_1)
	s_or_b32 exec_lo, exec_lo, s2
	v_mov_b32_e32 v127, 0
	ds_load_b64 v[128:129], v127 offset:128
	s_wait_dscnt 0x0
	v_pk_mul_f32 v[130:131], v[124:125], v[128:129] op_sel:[1,1] op_sel_hi:[0,1]
	v_pk_fma_f32 v[132:133], v[124:125], v[128:129], v[130:131] op_sel_hi:[1,0,1]
	v_pk_fma_f32 v[124:125], v[124:125], v[128:129], v[130:131] neg_lo:[0,0,1] neg_hi:[0,0,1]
	s_delay_alu instid0(VALU_DEP_2)
	v_mov_b32_e32 v125, v133
	scratch_store_b64 off, v[124:125], off offset:128
.LBB123_750:
	s_wait_xcnt 0x0
	s_or_b32 exec_lo, exec_lo, s0
	scratch_load_b64 v[124:125], off, off offset:136
	s_mov_b32 s0, exec_lo
	s_wait_loadcnt 0x0
	ds_store_b64 v1, v[124:125]
	s_wait_storecnt_dscnt 0x0
	s_barrier_signal -1
	s_barrier_wait -1
	s_wait_xcnt 0x0
	v_cmpx_gt_u32_e32 17, v0
	s_cbranch_execz .LBB123_760
; %bb.751:
	v_cmp_ne_u32_e32 vcc_lo, 1, v126
	s_cbranch_vccnz .LBB123_753
; %bb.752:
	scratch_load_b64 v[124:125], v59, off
	ds_load_b64 v[128:129], v1
	s_wait_loadcnt_dscnt 0x0
	v_pk_mul_f32 v[130:131], v[128:129], v[124:125] op_sel:[1,1] op_sel_hi:[0,1]
	s_delay_alu instid0(VALU_DEP_1) | instskip(SKIP_1) | instid1(VALU_DEP_2)
	v_pk_fma_f32 v[132:133], v[128:129], v[124:125], v[130:131] op_sel_hi:[1,0,1]
	v_pk_fma_f32 v[124:125], v[128:129], v[124:125], v[130:131] neg_lo:[0,0,1] neg_hi:[0,0,1]
	v_mov_b32_e32 v125, v133
	s_cbranch_execz .LBB123_754
	s_branch .LBB123_755
.LBB123_753:
                                        ; implicit-def: $vgpr124_vgpr125
.LBB123_754:
	ds_load_b64 v[124:125], v1
.LBB123_755:
	s_mov_b32 s2, exec_lo
	v_cmpx_ne_u32_e32 16, v0
	s_cbranch_execz .LBB123_759
; %bb.756:
	v_add_nc_u32_e32 v127, 0x1e8, v58
	v_add3_u32 v128, 0, v58, 8
	v_mov_b32_e32 v129, v0
	s_mov_b32 s3, 0
.LBB123_757:                            ; =>This Inner Loop Header: Depth=1
	scratch_load_b64 v[130:131], v128, off
	ds_load_b64 v[132:133], v127
	s_wait_xcnt 0x0
	v_dual_add_nc_u32 v127, 8, v127 :: v_dual_add_nc_u32 v128, 8, v128
	s_wait_loadcnt_dscnt 0x0
	v_pk_mul_f32 v[134:135], v[132:133], v[130:131] op_sel:[1,1] op_sel_hi:[0,1]
	s_delay_alu instid0(VALU_DEP_1) | instskip(SKIP_2) | instid1(VALU_DEP_3)
	v_pk_fma_f32 v[136:137], v[132:133], v[130:131], v[134:135] op_sel_hi:[1,0,1]
	v_add_nc_u32_e32 v129, 1, v129
	v_pk_fma_f32 v[130:131], v[132:133], v[130:131], v[134:135] neg_lo:[0,0,1] neg_hi:[0,0,1]
	v_mov_b32_e32 v131, v137
	s_delay_alu instid0(VALU_DEP_3) | instskip(NEXT) | instid1(VALU_DEP_2)
	v_cmp_lt_u32_e32 vcc_lo, 15, v129
	v_pk_add_f32 v[124:125], v[124:125], v[130:131]
	s_or_b32 s3, vcc_lo, s3
	s_delay_alu instid0(SALU_CYCLE_1)
	s_and_not1_b32 exec_lo, exec_lo, s3
	s_cbranch_execnz .LBB123_757
; %bb.758:
	s_or_b32 exec_lo, exec_lo, s3
.LBB123_759:
	s_delay_alu instid0(SALU_CYCLE_1) | instskip(SKIP_4) | instid1(VALU_DEP_1)
	s_or_b32 exec_lo, exec_lo, s2
	v_mov_b32_e32 v127, 0
	ds_load_b64 v[128:129], v127 offset:136
	s_wait_dscnt 0x0
	v_pk_mul_f32 v[130:131], v[124:125], v[128:129] op_sel:[1,1] op_sel_hi:[0,1]
	v_pk_fma_f32 v[132:133], v[124:125], v[128:129], v[130:131] op_sel_hi:[1,0,1]
	v_pk_fma_f32 v[124:125], v[124:125], v[128:129], v[130:131] neg_lo:[0,0,1] neg_hi:[0,0,1]
	s_delay_alu instid0(VALU_DEP_2)
	v_mov_b32_e32 v125, v133
	scratch_store_b64 off, v[124:125], off offset:136
.LBB123_760:
	s_wait_xcnt 0x0
	s_or_b32 exec_lo, exec_lo, s0
	scratch_load_b64 v[124:125], off, off offset:144
	s_mov_b32 s0, exec_lo
	s_wait_loadcnt 0x0
	ds_store_b64 v1, v[124:125]
	s_wait_storecnt_dscnt 0x0
	s_barrier_signal -1
	s_barrier_wait -1
	s_wait_xcnt 0x0
	v_cmpx_gt_u32_e32 18, v0
	s_cbranch_execz .LBB123_770
; %bb.761:
	v_cmp_ne_u32_e32 vcc_lo, 1, v126
	s_cbranch_vccnz .LBB123_763
; %bb.762:
	scratch_load_b64 v[124:125], v59, off
	ds_load_b64 v[128:129], v1
	s_wait_loadcnt_dscnt 0x0
	v_pk_mul_f32 v[130:131], v[128:129], v[124:125] op_sel:[1,1] op_sel_hi:[0,1]
	s_delay_alu instid0(VALU_DEP_1) | instskip(SKIP_1) | instid1(VALU_DEP_2)
	v_pk_fma_f32 v[132:133], v[128:129], v[124:125], v[130:131] op_sel_hi:[1,0,1]
	v_pk_fma_f32 v[124:125], v[128:129], v[124:125], v[130:131] neg_lo:[0,0,1] neg_hi:[0,0,1]
	v_mov_b32_e32 v125, v133
	s_cbranch_execz .LBB123_764
	s_branch .LBB123_765
.LBB123_763:
                                        ; implicit-def: $vgpr124_vgpr125
.LBB123_764:
	ds_load_b64 v[124:125], v1
.LBB123_765:
	s_mov_b32 s2, exec_lo
	v_cmpx_ne_u32_e32 17, v0
	s_cbranch_execz .LBB123_769
; %bb.766:
	v_add_nc_u32_e32 v127, 0x1e8, v58
	v_add3_u32 v128, 0, v58, 8
	v_mov_b32_e32 v129, v0
	s_mov_b32 s3, 0
.LBB123_767:                            ; =>This Inner Loop Header: Depth=1
	scratch_load_b64 v[130:131], v128, off
	ds_load_b64 v[132:133], v127
	s_wait_xcnt 0x0
	v_dual_add_nc_u32 v127, 8, v127 :: v_dual_add_nc_u32 v128, 8, v128
	s_wait_loadcnt_dscnt 0x0
	v_pk_mul_f32 v[134:135], v[132:133], v[130:131] op_sel:[1,1] op_sel_hi:[0,1]
	s_delay_alu instid0(VALU_DEP_1) | instskip(SKIP_2) | instid1(VALU_DEP_3)
	v_pk_fma_f32 v[136:137], v[132:133], v[130:131], v[134:135] op_sel_hi:[1,0,1]
	v_add_nc_u32_e32 v129, 1, v129
	v_pk_fma_f32 v[130:131], v[132:133], v[130:131], v[134:135] neg_lo:[0,0,1] neg_hi:[0,0,1]
	v_mov_b32_e32 v131, v137
	s_delay_alu instid0(VALU_DEP_3) | instskip(NEXT) | instid1(VALU_DEP_2)
	v_cmp_lt_u32_e32 vcc_lo, 16, v129
	v_pk_add_f32 v[124:125], v[124:125], v[130:131]
	s_or_b32 s3, vcc_lo, s3
	s_delay_alu instid0(SALU_CYCLE_1)
	s_and_not1_b32 exec_lo, exec_lo, s3
	s_cbranch_execnz .LBB123_767
; %bb.768:
	s_or_b32 exec_lo, exec_lo, s3
.LBB123_769:
	s_delay_alu instid0(SALU_CYCLE_1) | instskip(SKIP_4) | instid1(VALU_DEP_1)
	s_or_b32 exec_lo, exec_lo, s2
	v_mov_b32_e32 v127, 0
	ds_load_b64 v[128:129], v127 offset:144
	s_wait_dscnt 0x0
	v_pk_mul_f32 v[130:131], v[124:125], v[128:129] op_sel:[1,1] op_sel_hi:[0,1]
	v_pk_fma_f32 v[132:133], v[124:125], v[128:129], v[130:131] op_sel_hi:[1,0,1]
	v_pk_fma_f32 v[124:125], v[124:125], v[128:129], v[130:131] neg_lo:[0,0,1] neg_hi:[0,0,1]
	s_delay_alu instid0(VALU_DEP_2)
	v_mov_b32_e32 v125, v133
	scratch_store_b64 off, v[124:125], off offset:144
.LBB123_770:
	s_wait_xcnt 0x0
	s_or_b32 exec_lo, exec_lo, s0
	scratch_load_b64 v[124:125], off, off offset:152
	s_mov_b32 s0, exec_lo
	s_wait_loadcnt 0x0
	ds_store_b64 v1, v[124:125]
	s_wait_storecnt_dscnt 0x0
	s_barrier_signal -1
	s_barrier_wait -1
	s_wait_xcnt 0x0
	v_cmpx_gt_u32_e32 19, v0
	s_cbranch_execz .LBB123_780
; %bb.771:
	v_cmp_ne_u32_e32 vcc_lo, 1, v126
	s_cbranch_vccnz .LBB123_773
; %bb.772:
	scratch_load_b64 v[124:125], v59, off
	ds_load_b64 v[128:129], v1
	s_wait_loadcnt_dscnt 0x0
	v_pk_mul_f32 v[130:131], v[128:129], v[124:125] op_sel:[1,1] op_sel_hi:[0,1]
	s_delay_alu instid0(VALU_DEP_1) | instskip(SKIP_1) | instid1(VALU_DEP_2)
	v_pk_fma_f32 v[132:133], v[128:129], v[124:125], v[130:131] op_sel_hi:[1,0,1]
	v_pk_fma_f32 v[124:125], v[128:129], v[124:125], v[130:131] neg_lo:[0,0,1] neg_hi:[0,0,1]
	v_mov_b32_e32 v125, v133
	s_cbranch_execz .LBB123_774
	s_branch .LBB123_775
.LBB123_773:
                                        ; implicit-def: $vgpr124_vgpr125
.LBB123_774:
	ds_load_b64 v[124:125], v1
.LBB123_775:
	s_mov_b32 s2, exec_lo
	v_cmpx_ne_u32_e32 18, v0
	s_cbranch_execz .LBB123_779
; %bb.776:
	v_add_nc_u32_e32 v127, 0x1e8, v58
	v_add3_u32 v128, 0, v58, 8
	v_mov_b32_e32 v129, v0
	s_mov_b32 s3, 0
.LBB123_777:                            ; =>This Inner Loop Header: Depth=1
	scratch_load_b64 v[130:131], v128, off
	ds_load_b64 v[132:133], v127
	s_wait_xcnt 0x0
	v_dual_add_nc_u32 v127, 8, v127 :: v_dual_add_nc_u32 v128, 8, v128
	s_wait_loadcnt_dscnt 0x0
	v_pk_mul_f32 v[134:135], v[132:133], v[130:131] op_sel:[1,1] op_sel_hi:[0,1]
	s_delay_alu instid0(VALU_DEP_1) | instskip(SKIP_2) | instid1(VALU_DEP_3)
	v_pk_fma_f32 v[136:137], v[132:133], v[130:131], v[134:135] op_sel_hi:[1,0,1]
	v_add_nc_u32_e32 v129, 1, v129
	v_pk_fma_f32 v[130:131], v[132:133], v[130:131], v[134:135] neg_lo:[0,0,1] neg_hi:[0,0,1]
	v_mov_b32_e32 v131, v137
	s_delay_alu instid0(VALU_DEP_3) | instskip(NEXT) | instid1(VALU_DEP_2)
	v_cmp_lt_u32_e32 vcc_lo, 17, v129
	v_pk_add_f32 v[124:125], v[124:125], v[130:131]
	s_or_b32 s3, vcc_lo, s3
	s_delay_alu instid0(SALU_CYCLE_1)
	s_and_not1_b32 exec_lo, exec_lo, s3
	s_cbranch_execnz .LBB123_777
; %bb.778:
	s_or_b32 exec_lo, exec_lo, s3
.LBB123_779:
	s_delay_alu instid0(SALU_CYCLE_1) | instskip(SKIP_4) | instid1(VALU_DEP_1)
	s_or_b32 exec_lo, exec_lo, s2
	v_mov_b32_e32 v127, 0
	ds_load_b64 v[128:129], v127 offset:152
	s_wait_dscnt 0x0
	v_pk_mul_f32 v[130:131], v[124:125], v[128:129] op_sel:[1,1] op_sel_hi:[0,1]
	v_pk_fma_f32 v[132:133], v[124:125], v[128:129], v[130:131] op_sel_hi:[1,0,1]
	v_pk_fma_f32 v[124:125], v[124:125], v[128:129], v[130:131] neg_lo:[0,0,1] neg_hi:[0,0,1]
	s_delay_alu instid0(VALU_DEP_2)
	v_mov_b32_e32 v125, v133
	scratch_store_b64 off, v[124:125], off offset:152
.LBB123_780:
	s_wait_xcnt 0x0
	s_or_b32 exec_lo, exec_lo, s0
	scratch_load_b64 v[124:125], off, off offset:160
	s_mov_b32 s0, exec_lo
	s_wait_loadcnt 0x0
	ds_store_b64 v1, v[124:125]
	s_wait_storecnt_dscnt 0x0
	s_barrier_signal -1
	s_barrier_wait -1
	s_wait_xcnt 0x0
	v_cmpx_gt_u32_e32 20, v0
	s_cbranch_execz .LBB123_790
; %bb.781:
	v_cmp_ne_u32_e32 vcc_lo, 1, v126
	s_cbranch_vccnz .LBB123_783
; %bb.782:
	scratch_load_b64 v[124:125], v59, off
	ds_load_b64 v[128:129], v1
	s_wait_loadcnt_dscnt 0x0
	v_pk_mul_f32 v[130:131], v[128:129], v[124:125] op_sel:[1,1] op_sel_hi:[0,1]
	s_delay_alu instid0(VALU_DEP_1) | instskip(SKIP_1) | instid1(VALU_DEP_2)
	v_pk_fma_f32 v[132:133], v[128:129], v[124:125], v[130:131] op_sel_hi:[1,0,1]
	v_pk_fma_f32 v[124:125], v[128:129], v[124:125], v[130:131] neg_lo:[0,0,1] neg_hi:[0,0,1]
	v_mov_b32_e32 v125, v133
	s_cbranch_execz .LBB123_784
	s_branch .LBB123_785
.LBB123_783:
                                        ; implicit-def: $vgpr124_vgpr125
.LBB123_784:
	ds_load_b64 v[124:125], v1
.LBB123_785:
	s_mov_b32 s2, exec_lo
	v_cmpx_ne_u32_e32 19, v0
	s_cbranch_execz .LBB123_789
; %bb.786:
	v_add_nc_u32_e32 v127, 0x1e8, v58
	v_add3_u32 v128, 0, v58, 8
	v_mov_b32_e32 v129, v0
	s_mov_b32 s3, 0
.LBB123_787:                            ; =>This Inner Loop Header: Depth=1
	scratch_load_b64 v[130:131], v128, off
	ds_load_b64 v[132:133], v127
	s_wait_xcnt 0x0
	v_dual_add_nc_u32 v127, 8, v127 :: v_dual_add_nc_u32 v128, 8, v128
	s_wait_loadcnt_dscnt 0x0
	v_pk_mul_f32 v[134:135], v[132:133], v[130:131] op_sel:[1,1] op_sel_hi:[0,1]
	s_delay_alu instid0(VALU_DEP_1) | instskip(SKIP_2) | instid1(VALU_DEP_3)
	v_pk_fma_f32 v[136:137], v[132:133], v[130:131], v[134:135] op_sel_hi:[1,0,1]
	v_add_nc_u32_e32 v129, 1, v129
	v_pk_fma_f32 v[130:131], v[132:133], v[130:131], v[134:135] neg_lo:[0,0,1] neg_hi:[0,0,1]
	v_mov_b32_e32 v131, v137
	s_delay_alu instid0(VALU_DEP_3) | instskip(NEXT) | instid1(VALU_DEP_2)
	v_cmp_lt_u32_e32 vcc_lo, 18, v129
	v_pk_add_f32 v[124:125], v[124:125], v[130:131]
	s_or_b32 s3, vcc_lo, s3
	s_delay_alu instid0(SALU_CYCLE_1)
	s_and_not1_b32 exec_lo, exec_lo, s3
	s_cbranch_execnz .LBB123_787
; %bb.788:
	s_or_b32 exec_lo, exec_lo, s3
.LBB123_789:
	s_delay_alu instid0(SALU_CYCLE_1) | instskip(SKIP_4) | instid1(VALU_DEP_1)
	s_or_b32 exec_lo, exec_lo, s2
	v_mov_b32_e32 v127, 0
	ds_load_b64 v[128:129], v127 offset:160
	s_wait_dscnt 0x0
	v_pk_mul_f32 v[130:131], v[124:125], v[128:129] op_sel:[1,1] op_sel_hi:[0,1]
	v_pk_fma_f32 v[132:133], v[124:125], v[128:129], v[130:131] op_sel_hi:[1,0,1]
	v_pk_fma_f32 v[124:125], v[124:125], v[128:129], v[130:131] neg_lo:[0,0,1] neg_hi:[0,0,1]
	s_delay_alu instid0(VALU_DEP_2)
	v_mov_b32_e32 v125, v133
	scratch_store_b64 off, v[124:125], off offset:160
.LBB123_790:
	s_wait_xcnt 0x0
	s_or_b32 exec_lo, exec_lo, s0
	scratch_load_b64 v[124:125], off, off offset:168
	s_mov_b32 s0, exec_lo
	s_wait_loadcnt 0x0
	ds_store_b64 v1, v[124:125]
	s_wait_storecnt_dscnt 0x0
	s_barrier_signal -1
	s_barrier_wait -1
	s_wait_xcnt 0x0
	v_cmpx_gt_u32_e32 21, v0
	s_cbranch_execz .LBB123_800
; %bb.791:
	v_cmp_ne_u32_e32 vcc_lo, 1, v126
	s_cbranch_vccnz .LBB123_793
; %bb.792:
	scratch_load_b64 v[124:125], v59, off
	ds_load_b64 v[128:129], v1
	s_wait_loadcnt_dscnt 0x0
	v_pk_mul_f32 v[130:131], v[128:129], v[124:125] op_sel:[1,1] op_sel_hi:[0,1]
	s_delay_alu instid0(VALU_DEP_1) | instskip(SKIP_1) | instid1(VALU_DEP_2)
	v_pk_fma_f32 v[132:133], v[128:129], v[124:125], v[130:131] op_sel_hi:[1,0,1]
	v_pk_fma_f32 v[124:125], v[128:129], v[124:125], v[130:131] neg_lo:[0,0,1] neg_hi:[0,0,1]
	v_mov_b32_e32 v125, v133
	s_cbranch_execz .LBB123_794
	s_branch .LBB123_795
.LBB123_793:
                                        ; implicit-def: $vgpr124_vgpr125
.LBB123_794:
	ds_load_b64 v[124:125], v1
.LBB123_795:
	s_mov_b32 s2, exec_lo
	v_cmpx_ne_u32_e32 20, v0
	s_cbranch_execz .LBB123_799
; %bb.796:
	v_add_nc_u32_e32 v127, 0x1e8, v58
	v_add3_u32 v128, 0, v58, 8
	v_mov_b32_e32 v129, v0
	s_mov_b32 s3, 0
.LBB123_797:                            ; =>This Inner Loop Header: Depth=1
	scratch_load_b64 v[130:131], v128, off
	ds_load_b64 v[132:133], v127
	s_wait_xcnt 0x0
	v_dual_add_nc_u32 v127, 8, v127 :: v_dual_add_nc_u32 v128, 8, v128
	s_wait_loadcnt_dscnt 0x0
	v_pk_mul_f32 v[134:135], v[132:133], v[130:131] op_sel:[1,1] op_sel_hi:[0,1]
	s_delay_alu instid0(VALU_DEP_1) | instskip(SKIP_2) | instid1(VALU_DEP_3)
	v_pk_fma_f32 v[136:137], v[132:133], v[130:131], v[134:135] op_sel_hi:[1,0,1]
	v_add_nc_u32_e32 v129, 1, v129
	v_pk_fma_f32 v[130:131], v[132:133], v[130:131], v[134:135] neg_lo:[0,0,1] neg_hi:[0,0,1]
	v_mov_b32_e32 v131, v137
	s_delay_alu instid0(VALU_DEP_3) | instskip(NEXT) | instid1(VALU_DEP_2)
	v_cmp_lt_u32_e32 vcc_lo, 19, v129
	v_pk_add_f32 v[124:125], v[124:125], v[130:131]
	s_or_b32 s3, vcc_lo, s3
	s_delay_alu instid0(SALU_CYCLE_1)
	s_and_not1_b32 exec_lo, exec_lo, s3
	s_cbranch_execnz .LBB123_797
; %bb.798:
	s_or_b32 exec_lo, exec_lo, s3
.LBB123_799:
	s_delay_alu instid0(SALU_CYCLE_1) | instskip(SKIP_4) | instid1(VALU_DEP_1)
	s_or_b32 exec_lo, exec_lo, s2
	v_mov_b32_e32 v127, 0
	ds_load_b64 v[128:129], v127 offset:168
	s_wait_dscnt 0x0
	v_pk_mul_f32 v[130:131], v[124:125], v[128:129] op_sel:[1,1] op_sel_hi:[0,1]
	v_pk_fma_f32 v[132:133], v[124:125], v[128:129], v[130:131] op_sel_hi:[1,0,1]
	v_pk_fma_f32 v[124:125], v[124:125], v[128:129], v[130:131] neg_lo:[0,0,1] neg_hi:[0,0,1]
	s_delay_alu instid0(VALU_DEP_2)
	v_mov_b32_e32 v125, v133
	scratch_store_b64 off, v[124:125], off offset:168
.LBB123_800:
	s_wait_xcnt 0x0
	s_or_b32 exec_lo, exec_lo, s0
	scratch_load_b64 v[124:125], off, off offset:176
	s_mov_b32 s0, exec_lo
	s_wait_loadcnt 0x0
	ds_store_b64 v1, v[124:125]
	s_wait_storecnt_dscnt 0x0
	s_barrier_signal -1
	s_barrier_wait -1
	s_wait_xcnt 0x0
	v_cmpx_gt_u32_e32 22, v0
	s_cbranch_execz .LBB123_810
; %bb.801:
	v_cmp_ne_u32_e32 vcc_lo, 1, v126
	s_cbranch_vccnz .LBB123_803
; %bb.802:
	scratch_load_b64 v[124:125], v59, off
	ds_load_b64 v[128:129], v1
	s_wait_loadcnt_dscnt 0x0
	v_pk_mul_f32 v[130:131], v[128:129], v[124:125] op_sel:[1,1] op_sel_hi:[0,1]
	s_delay_alu instid0(VALU_DEP_1) | instskip(SKIP_1) | instid1(VALU_DEP_2)
	v_pk_fma_f32 v[132:133], v[128:129], v[124:125], v[130:131] op_sel_hi:[1,0,1]
	v_pk_fma_f32 v[124:125], v[128:129], v[124:125], v[130:131] neg_lo:[0,0,1] neg_hi:[0,0,1]
	v_mov_b32_e32 v125, v133
	s_cbranch_execz .LBB123_804
	s_branch .LBB123_805
.LBB123_803:
                                        ; implicit-def: $vgpr124_vgpr125
.LBB123_804:
	ds_load_b64 v[124:125], v1
.LBB123_805:
	s_mov_b32 s2, exec_lo
	v_cmpx_ne_u32_e32 21, v0
	s_cbranch_execz .LBB123_809
; %bb.806:
	v_add_nc_u32_e32 v127, 0x1e8, v58
	v_add3_u32 v128, 0, v58, 8
	v_mov_b32_e32 v129, v0
	s_mov_b32 s3, 0
.LBB123_807:                            ; =>This Inner Loop Header: Depth=1
	scratch_load_b64 v[130:131], v128, off
	ds_load_b64 v[132:133], v127
	s_wait_xcnt 0x0
	v_dual_add_nc_u32 v127, 8, v127 :: v_dual_add_nc_u32 v128, 8, v128
	s_wait_loadcnt_dscnt 0x0
	v_pk_mul_f32 v[134:135], v[132:133], v[130:131] op_sel:[1,1] op_sel_hi:[0,1]
	s_delay_alu instid0(VALU_DEP_1) | instskip(SKIP_2) | instid1(VALU_DEP_3)
	v_pk_fma_f32 v[136:137], v[132:133], v[130:131], v[134:135] op_sel_hi:[1,0,1]
	v_add_nc_u32_e32 v129, 1, v129
	v_pk_fma_f32 v[130:131], v[132:133], v[130:131], v[134:135] neg_lo:[0,0,1] neg_hi:[0,0,1]
	v_mov_b32_e32 v131, v137
	s_delay_alu instid0(VALU_DEP_3) | instskip(NEXT) | instid1(VALU_DEP_2)
	v_cmp_lt_u32_e32 vcc_lo, 20, v129
	v_pk_add_f32 v[124:125], v[124:125], v[130:131]
	s_or_b32 s3, vcc_lo, s3
	s_delay_alu instid0(SALU_CYCLE_1)
	s_and_not1_b32 exec_lo, exec_lo, s3
	s_cbranch_execnz .LBB123_807
; %bb.808:
	s_or_b32 exec_lo, exec_lo, s3
.LBB123_809:
	s_delay_alu instid0(SALU_CYCLE_1) | instskip(SKIP_4) | instid1(VALU_DEP_1)
	s_or_b32 exec_lo, exec_lo, s2
	v_mov_b32_e32 v127, 0
	ds_load_b64 v[128:129], v127 offset:176
	s_wait_dscnt 0x0
	v_pk_mul_f32 v[130:131], v[124:125], v[128:129] op_sel:[1,1] op_sel_hi:[0,1]
	v_pk_fma_f32 v[132:133], v[124:125], v[128:129], v[130:131] op_sel_hi:[1,0,1]
	v_pk_fma_f32 v[124:125], v[124:125], v[128:129], v[130:131] neg_lo:[0,0,1] neg_hi:[0,0,1]
	s_delay_alu instid0(VALU_DEP_2)
	v_mov_b32_e32 v125, v133
	scratch_store_b64 off, v[124:125], off offset:176
.LBB123_810:
	s_wait_xcnt 0x0
	s_or_b32 exec_lo, exec_lo, s0
	scratch_load_b64 v[124:125], off, off offset:184
	s_mov_b32 s0, exec_lo
	s_wait_loadcnt 0x0
	ds_store_b64 v1, v[124:125]
	s_wait_storecnt_dscnt 0x0
	s_barrier_signal -1
	s_barrier_wait -1
	s_wait_xcnt 0x0
	v_cmpx_gt_u32_e32 23, v0
	s_cbranch_execz .LBB123_820
; %bb.811:
	v_cmp_ne_u32_e32 vcc_lo, 1, v126
	s_cbranch_vccnz .LBB123_813
; %bb.812:
	scratch_load_b64 v[124:125], v59, off
	ds_load_b64 v[128:129], v1
	s_wait_loadcnt_dscnt 0x0
	v_pk_mul_f32 v[130:131], v[128:129], v[124:125] op_sel:[1,1] op_sel_hi:[0,1]
	s_delay_alu instid0(VALU_DEP_1) | instskip(SKIP_1) | instid1(VALU_DEP_2)
	v_pk_fma_f32 v[132:133], v[128:129], v[124:125], v[130:131] op_sel_hi:[1,0,1]
	v_pk_fma_f32 v[124:125], v[128:129], v[124:125], v[130:131] neg_lo:[0,0,1] neg_hi:[0,0,1]
	v_mov_b32_e32 v125, v133
	s_cbranch_execz .LBB123_814
	s_branch .LBB123_815
.LBB123_813:
                                        ; implicit-def: $vgpr124_vgpr125
.LBB123_814:
	ds_load_b64 v[124:125], v1
.LBB123_815:
	s_mov_b32 s2, exec_lo
	v_cmpx_ne_u32_e32 22, v0
	s_cbranch_execz .LBB123_819
; %bb.816:
	v_add_nc_u32_e32 v127, 0x1e8, v58
	v_add3_u32 v128, 0, v58, 8
	v_mov_b32_e32 v129, v0
	s_mov_b32 s3, 0
.LBB123_817:                            ; =>This Inner Loop Header: Depth=1
	scratch_load_b64 v[130:131], v128, off
	ds_load_b64 v[132:133], v127
	s_wait_xcnt 0x0
	v_dual_add_nc_u32 v127, 8, v127 :: v_dual_add_nc_u32 v128, 8, v128
	s_wait_loadcnt_dscnt 0x0
	v_pk_mul_f32 v[134:135], v[132:133], v[130:131] op_sel:[1,1] op_sel_hi:[0,1]
	s_delay_alu instid0(VALU_DEP_1) | instskip(SKIP_2) | instid1(VALU_DEP_3)
	v_pk_fma_f32 v[136:137], v[132:133], v[130:131], v[134:135] op_sel_hi:[1,0,1]
	v_add_nc_u32_e32 v129, 1, v129
	v_pk_fma_f32 v[130:131], v[132:133], v[130:131], v[134:135] neg_lo:[0,0,1] neg_hi:[0,0,1]
	v_mov_b32_e32 v131, v137
	s_delay_alu instid0(VALU_DEP_3) | instskip(NEXT) | instid1(VALU_DEP_2)
	v_cmp_lt_u32_e32 vcc_lo, 21, v129
	v_pk_add_f32 v[124:125], v[124:125], v[130:131]
	s_or_b32 s3, vcc_lo, s3
	s_delay_alu instid0(SALU_CYCLE_1)
	s_and_not1_b32 exec_lo, exec_lo, s3
	s_cbranch_execnz .LBB123_817
; %bb.818:
	s_or_b32 exec_lo, exec_lo, s3
.LBB123_819:
	s_delay_alu instid0(SALU_CYCLE_1) | instskip(SKIP_4) | instid1(VALU_DEP_1)
	s_or_b32 exec_lo, exec_lo, s2
	v_mov_b32_e32 v127, 0
	ds_load_b64 v[128:129], v127 offset:184
	s_wait_dscnt 0x0
	v_pk_mul_f32 v[130:131], v[124:125], v[128:129] op_sel:[1,1] op_sel_hi:[0,1]
	v_pk_fma_f32 v[132:133], v[124:125], v[128:129], v[130:131] op_sel_hi:[1,0,1]
	v_pk_fma_f32 v[124:125], v[124:125], v[128:129], v[130:131] neg_lo:[0,0,1] neg_hi:[0,0,1]
	s_delay_alu instid0(VALU_DEP_2)
	v_mov_b32_e32 v125, v133
	scratch_store_b64 off, v[124:125], off offset:184
.LBB123_820:
	s_wait_xcnt 0x0
	s_or_b32 exec_lo, exec_lo, s0
	scratch_load_b64 v[124:125], off, off offset:192
	s_mov_b32 s0, exec_lo
	s_wait_loadcnt 0x0
	ds_store_b64 v1, v[124:125]
	s_wait_storecnt_dscnt 0x0
	s_barrier_signal -1
	s_barrier_wait -1
	s_wait_xcnt 0x0
	v_cmpx_gt_u32_e32 24, v0
	s_cbranch_execz .LBB123_830
; %bb.821:
	v_cmp_ne_u32_e32 vcc_lo, 1, v126
	s_cbranch_vccnz .LBB123_823
; %bb.822:
	scratch_load_b64 v[124:125], v59, off
	ds_load_b64 v[128:129], v1
	s_wait_loadcnt_dscnt 0x0
	v_pk_mul_f32 v[130:131], v[128:129], v[124:125] op_sel:[1,1] op_sel_hi:[0,1]
	s_delay_alu instid0(VALU_DEP_1) | instskip(SKIP_1) | instid1(VALU_DEP_2)
	v_pk_fma_f32 v[132:133], v[128:129], v[124:125], v[130:131] op_sel_hi:[1,0,1]
	v_pk_fma_f32 v[124:125], v[128:129], v[124:125], v[130:131] neg_lo:[0,0,1] neg_hi:[0,0,1]
	v_mov_b32_e32 v125, v133
	s_cbranch_execz .LBB123_824
	s_branch .LBB123_825
.LBB123_823:
                                        ; implicit-def: $vgpr124_vgpr125
.LBB123_824:
	ds_load_b64 v[124:125], v1
.LBB123_825:
	s_mov_b32 s2, exec_lo
	v_cmpx_ne_u32_e32 23, v0
	s_cbranch_execz .LBB123_829
; %bb.826:
	v_add_nc_u32_e32 v127, 0x1e8, v58
	v_add3_u32 v128, 0, v58, 8
	v_mov_b32_e32 v129, v0
	s_mov_b32 s3, 0
.LBB123_827:                            ; =>This Inner Loop Header: Depth=1
	scratch_load_b64 v[130:131], v128, off
	ds_load_b64 v[132:133], v127
	s_wait_xcnt 0x0
	v_dual_add_nc_u32 v127, 8, v127 :: v_dual_add_nc_u32 v128, 8, v128
	s_wait_loadcnt_dscnt 0x0
	v_pk_mul_f32 v[134:135], v[132:133], v[130:131] op_sel:[1,1] op_sel_hi:[0,1]
	s_delay_alu instid0(VALU_DEP_1) | instskip(SKIP_2) | instid1(VALU_DEP_3)
	v_pk_fma_f32 v[136:137], v[132:133], v[130:131], v[134:135] op_sel_hi:[1,0,1]
	v_add_nc_u32_e32 v129, 1, v129
	v_pk_fma_f32 v[130:131], v[132:133], v[130:131], v[134:135] neg_lo:[0,0,1] neg_hi:[0,0,1]
	v_mov_b32_e32 v131, v137
	s_delay_alu instid0(VALU_DEP_3) | instskip(NEXT) | instid1(VALU_DEP_2)
	v_cmp_lt_u32_e32 vcc_lo, 22, v129
	v_pk_add_f32 v[124:125], v[124:125], v[130:131]
	s_or_b32 s3, vcc_lo, s3
	s_delay_alu instid0(SALU_CYCLE_1)
	s_and_not1_b32 exec_lo, exec_lo, s3
	s_cbranch_execnz .LBB123_827
; %bb.828:
	s_or_b32 exec_lo, exec_lo, s3
.LBB123_829:
	s_delay_alu instid0(SALU_CYCLE_1) | instskip(SKIP_4) | instid1(VALU_DEP_1)
	s_or_b32 exec_lo, exec_lo, s2
	v_mov_b32_e32 v127, 0
	ds_load_b64 v[128:129], v127 offset:192
	s_wait_dscnt 0x0
	v_pk_mul_f32 v[130:131], v[124:125], v[128:129] op_sel:[1,1] op_sel_hi:[0,1]
	v_pk_fma_f32 v[132:133], v[124:125], v[128:129], v[130:131] op_sel_hi:[1,0,1]
	v_pk_fma_f32 v[124:125], v[124:125], v[128:129], v[130:131] neg_lo:[0,0,1] neg_hi:[0,0,1]
	s_delay_alu instid0(VALU_DEP_2)
	v_mov_b32_e32 v125, v133
	scratch_store_b64 off, v[124:125], off offset:192
.LBB123_830:
	s_wait_xcnt 0x0
	s_or_b32 exec_lo, exec_lo, s0
	scratch_load_b64 v[124:125], off, off offset:200
	s_mov_b32 s0, exec_lo
	s_wait_loadcnt 0x0
	ds_store_b64 v1, v[124:125]
	s_wait_storecnt_dscnt 0x0
	s_barrier_signal -1
	s_barrier_wait -1
	s_wait_xcnt 0x0
	v_cmpx_gt_u32_e32 25, v0
	s_cbranch_execz .LBB123_840
; %bb.831:
	v_cmp_ne_u32_e32 vcc_lo, 1, v126
	s_cbranch_vccnz .LBB123_833
; %bb.832:
	scratch_load_b64 v[124:125], v59, off
	ds_load_b64 v[128:129], v1
	s_wait_loadcnt_dscnt 0x0
	v_pk_mul_f32 v[130:131], v[128:129], v[124:125] op_sel:[1,1] op_sel_hi:[0,1]
	s_delay_alu instid0(VALU_DEP_1) | instskip(SKIP_1) | instid1(VALU_DEP_2)
	v_pk_fma_f32 v[132:133], v[128:129], v[124:125], v[130:131] op_sel_hi:[1,0,1]
	v_pk_fma_f32 v[124:125], v[128:129], v[124:125], v[130:131] neg_lo:[0,0,1] neg_hi:[0,0,1]
	v_mov_b32_e32 v125, v133
	s_cbranch_execz .LBB123_834
	s_branch .LBB123_835
.LBB123_833:
                                        ; implicit-def: $vgpr124_vgpr125
.LBB123_834:
	ds_load_b64 v[124:125], v1
.LBB123_835:
	s_mov_b32 s2, exec_lo
	v_cmpx_ne_u32_e32 24, v0
	s_cbranch_execz .LBB123_839
; %bb.836:
	v_add_nc_u32_e32 v127, 0x1e8, v58
	v_add3_u32 v128, 0, v58, 8
	v_mov_b32_e32 v129, v0
	s_mov_b32 s3, 0
.LBB123_837:                            ; =>This Inner Loop Header: Depth=1
	scratch_load_b64 v[130:131], v128, off
	ds_load_b64 v[132:133], v127
	s_wait_xcnt 0x0
	v_dual_add_nc_u32 v127, 8, v127 :: v_dual_add_nc_u32 v128, 8, v128
	s_wait_loadcnt_dscnt 0x0
	v_pk_mul_f32 v[134:135], v[132:133], v[130:131] op_sel:[1,1] op_sel_hi:[0,1]
	s_delay_alu instid0(VALU_DEP_1) | instskip(SKIP_2) | instid1(VALU_DEP_3)
	v_pk_fma_f32 v[136:137], v[132:133], v[130:131], v[134:135] op_sel_hi:[1,0,1]
	v_add_nc_u32_e32 v129, 1, v129
	v_pk_fma_f32 v[130:131], v[132:133], v[130:131], v[134:135] neg_lo:[0,0,1] neg_hi:[0,0,1]
	v_mov_b32_e32 v131, v137
	s_delay_alu instid0(VALU_DEP_3) | instskip(NEXT) | instid1(VALU_DEP_2)
	v_cmp_lt_u32_e32 vcc_lo, 23, v129
	v_pk_add_f32 v[124:125], v[124:125], v[130:131]
	s_or_b32 s3, vcc_lo, s3
	s_delay_alu instid0(SALU_CYCLE_1)
	s_and_not1_b32 exec_lo, exec_lo, s3
	s_cbranch_execnz .LBB123_837
; %bb.838:
	s_or_b32 exec_lo, exec_lo, s3
.LBB123_839:
	s_delay_alu instid0(SALU_CYCLE_1) | instskip(SKIP_4) | instid1(VALU_DEP_1)
	s_or_b32 exec_lo, exec_lo, s2
	v_mov_b32_e32 v127, 0
	ds_load_b64 v[128:129], v127 offset:200
	s_wait_dscnt 0x0
	v_pk_mul_f32 v[130:131], v[124:125], v[128:129] op_sel:[1,1] op_sel_hi:[0,1]
	v_pk_fma_f32 v[132:133], v[124:125], v[128:129], v[130:131] op_sel_hi:[1,0,1]
	v_pk_fma_f32 v[124:125], v[124:125], v[128:129], v[130:131] neg_lo:[0,0,1] neg_hi:[0,0,1]
	s_delay_alu instid0(VALU_DEP_2)
	v_mov_b32_e32 v125, v133
	scratch_store_b64 off, v[124:125], off offset:200
.LBB123_840:
	s_wait_xcnt 0x0
	s_or_b32 exec_lo, exec_lo, s0
	scratch_load_b64 v[124:125], off, off offset:208
	s_mov_b32 s0, exec_lo
	s_wait_loadcnt 0x0
	ds_store_b64 v1, v[124:125]
	s_wait_storecnt_dscnt 0x0
	s_barrier_signal -1
	s_barrier_wait -1
	s_wait_xcnt 0x0
	v_cmpx_gt_u32_e32 26, v0
	s_cbranch_execz .LBB123_850
; %bb.841:
	v_cmp_ne_u32_e32 vcc_lo, 1, v126
	s_cbranch_vccnz .LBB123_843
; %bb.842:
	scratch_load_b64 v[124:125], v59, off
	ds_load_b64 v[128:129], v1
	s_wait_loadcnt_dscnt 0x0
	v_pk_mul_f32 v[130:131], v[128:129], v[124:125] op_sel:[1,1] op_sel_hi:[0,1]
	s_delay_alu instid0(VALU_DEP_1) | instskip(SKIP_1) | instid1(VALU_DEP_2)
	v_pk_fma_f32 v[132:133], v[128:129], v[124:125], v[130:131] op_sel_hi:[1,0,1]
	v_pk_fma_f32 v[124:125], v[128:129], v[124:125], v[130:131] neg_lo:[0,0,1] neg_hi:[0,0,1]
	v_mov_b32_e32 v125, v133
	s_cbranch_execz .LBB123_844
	s_branch .LBB123_845
.LBB123_843:
                                        ; implicit-def: $vgpr124_vgpr125
.LBB123_844:
	ds_load_b64 v[124:125], v1
.LBB123_845:
	s_mov_b32 s2, exec_lo
	v_cmpx_ne_u32_e32 25, v0
	s_cbranch_execz .LBB123_849
; %bb.846:
	v_add_nc_u32_e32 v127, 0x1e8, v58
	v_add3_u32 v128, 0, v58, 8
	v_mov_b32_e32 v129, v0
	s_mov_b32 s3, 0
.LBB123_847:                            ; =>This Inner Loop Header: Depth=1
	scratch_load_b64 v[130:131], v128, off
	ds_load_b64 v[132:133], v127
	s_wait_xcnt 0x0
	v_dual_add_nc_u32 v127, 8, v127 :: v_dual_add_nc_u32 v128, 8, v128
	s_wait_loadcnt_dscnt 0x0
	v_pk_mul_f32 v[134:135], v[132:133], v[130:131] op_sel:[1,1] op_sel_hi:[0,1]
	s_delay_alu instid0(VALU_DEP_1) | instskip(SKIP_2) | instid1(VALU_DEP_3)
	v_pk_fma_f32 v[136:137], v[132:133], v[130:131], v[134:135] op_sel_hi:[1,0,1]
	v_add_nc_u32_e32 v129, 1, v129
	v_pk_fma_f32 v[130:131], v[132:133], v[130:131], v[134:135] neg_lo:[0,0,1] neg_hi:[0,0,1]
	v_mov_b32_e32 v131, v137
	s_delay_alu instid0(VALU_DEP_3) | instskip(NEXT) | instid1(VALU_DEP_2)
	v_cmp_lt_u32_e32 vcc_lo, 24, v129
	v_pk_add_f32 v[124:125], v[124:125], v[130:131]
	s_or_b32 s3, vcc_lo, s3
	s_delay_alu instid0(SALU_CYCLE_1)
	s_and_not1_b32 exec_lo, exec_lo, s3
	s_cbranch_execnz .LBB123_847
; %bb.848:
	s_or_b32 exec_lo, exec_lo, s3
.LBB123_849:
	s_delay_alu instid0(SALU_CYCLE_1) | instskip(SKIP_4) | instid1(VALU_DEP_1)
	s_or_b32 exec_lo, exec_lo, s2
	v_mov_b32_e32 v127, 0
	ds_load_b64 v[128:129], v127 offset:208
	s_wait_dscnt 0x0
	v_pk_mul_f32 v[130:131], v[124:125], v[128:129] op_sel:[1,1] op_sel_hi:[0,1]
	v_pk_fma_f32 v[132:133], v[124:125], v[128:129], v[130:131] op_sel_hi:[1,0,1]
	v_pk_fma_f32 v[124:125], v[124:125], v[128:129], v[130:131] neg_lo:[0,0,1] neg_hi:[0,0,1]
	s_delay_alu instid0(VALU_DEP_2)
	v_mov_b32_e32 v125, v133
	scratch_store_b64 off, v[124:125], off offset:208
.LBB123_850:
	s_wait_xcnt 0x0
	s_or_b32 exec_lo, exec_lo, s0
	scratch_load_b64 v[124:125], off, off offset:216
	s_mov_b32 s0, exec_lo
	s_wait_loadcnt 0x0
	ds_store_b64 v1, v[124:125]
	s_wait_storecnt_dscnt 0x0
	s_barrier_signal -1
	s_barrier_wait -1
	s_wait_xcnt 0x0
	v_cmpx_gt_u32_e32 27, v0
	s_cbranch_execz .LBB123_860
; %bb.851:
	v_cmp_ne_u32_e32 vcc_lo, 1, v126
	s_cbranch_vccnz .LBB123_853
; %bb.852:
	scratch_load_b64 v[124:125], v59, off
	ds_load_b64 v[128:129], v1
	s_wait_loadcnt_dscnt 0x0
	v_pk_mul_f32 v[130:131], v[128:129], v[124:125] op_sel:[1,1] op_sel_hi:[0,1]
	s_delay_alu instid0(VALU_DEP_1) | instskip(SKIP_1) | instid1(VALU_DEP_2)
	v_pk_fma_f32 v[132:133], v[128:129], v[124:125], v[130:131] op_sel_hi:[1,0,1]
	v_pk_fma_f32 v[124:125], v[128:129], v[124:125], v[130:131] neg_lo:[0,0,1] neg_hi:[0,0,1]
	v_mov_b32_e32 v125, v133
	s_cbranch_execz .LBB123_854
	s_branch .LBB123_855
.LBB123_853:
                                        ; implicit-def: $vgpr124_vgpr125
.LBB123_854:
	ds_load_b64 v[124:125], v1
.LBB123_855:
	s_mov_b32 s2, exec_lo
	v_cmpx_ne_u32_e32 26, v0
	s_cbranch_execz .LBB123_859
; %bb.856:
	v_add_nc_u32_e32 v127, 0x1e8, v58
	v_add3_u32 v128, 0, v58, 8
	v_mov_b32_e32 v129, v0
	s_mov_b32 s3, 0
.LBB123_857:                            ; =>This Inner Loop Header: Depth=1
	scratch_load_b64 v[130:131], v128, off
	ds_load_b64 v[132:133], v127
	s_wait_xcnt 0x0
	v_dual_add_nc_u32 v127, 8, v127 :: v_dual_add_nc_u32 v128, 8, v128
	s_wait_loadcnt_dscnt 0x0
	v_pk_mul_f32 v[134:135], v[132:133], v[130:131] op_sel:[1,1] op_sel_hi:[0,1]
	s_delay_alu instid0(VALU_DEP_1) | instskip(SKIP_2) | instid1(VALU_DEP_3)
	v_pk_fma_f32 v[136:137], v[132:133], v[130:131], v[134:135] op_sel_hi:[1,0,1]
	v_add_nc_u32_e32 v129, 1, v129
	v_pk_fma_f32 v[130:131], v[132:133], v[130:131], v[134:135] neg_lo:[0,0,1] neg_hi:[0,0,1]
	v_mov_b32_e32 v131, v137
	s_delay_alu instid0(VALU_DEP_3) | instskip(NEXT) | instid1(VALU_DEP_2)
	v_cmp_lt_u32_e32 vcc_lo, 25, v129
	v_pk_add_f32 v[124:125], v[124:125], v[130:131]
	s_or_b32 s3, vcc_lo, s3
	s_delay_alu instid0(SALU_CYCLE_1)
	s_and_not1_b32 exec_lo, exec_lo, s3
	s_cbranch_execnz .LBB123_857
; %bb.858:
	s_or_b32 exec_lo, exec_lo, s3
.LBB123_859:
	s_delay_alu instid0(SALU_CYCLE_1) | instskip(SKIP_4) | instid1(VALU_DEP_1)
	s_or_b32 exec_lo, exec_lo, s2
	v_mov_b32_e32 v127, 0
	ds_load_b64 v[128:129], v127 offset:216
	s_wait_dscnt 0x0
	v_pk_mul_f32 v[130:131], v[124:125], v[128:129] op_sel:[1,1] op_sel_hi:[0,1]
	v_pk_fma_f32 v[132:133], v[124:125], v[128:129], v[130:131] op_sel_hi:[1,0,1]
	v_pk_fma_f32 v[124:125], v[124:125], v[128:129], v[130:131] neg_lo:[0,0,1] neg_hi:[0,0,1]
	s_delay_alu instid0(VALU_DEP_2)
	v_mov_b32_e32 v125, v133
	scratch_store_b64 off, v[124:125], off offset:216
.LBB123_860:
	s_wait_xcnt 0x0
	s_or_b32 exec_lo, exec_lo, s0
	scratch_load_b64 v[124:125], off, off offset:224
	s_mov_b32 s0, exec_lo
	s_wait_loadcnt 0x0
	ds_store_b64 v1, v[124:125]
	s_wait_storecnt_dscnt 0x0
	s_barrier_signal -1
	s_barrier_wait -1
	s_wait_xcnt 0x0
	v_cmpx_gt_u32_e32 28, v0
	s_cbranch_execz .LBB123_870
; %bb.861:
	v_cmp_ne_u32_e32 vcc_lo, 1, v126
	s_cbranch_vccnz .LBB123_863
; %bb.862:
	scratch_load_b64 v[124:125], v59, off
	ds_load_b64 v[128:129], v1
	s_wait_loadcnt_dscnt 0x0
	v_pk_mul_f32 v[130:131], v[128:129], v[124:125] op_sel:[1,1] op_sel_hi:[0,1]
	s_delay_alu instid0(VALU_DEP_1) | instskip(SKIP_1) | instid1(VALU_DEP_2)
	v_pk_fma_f32 v[132:133], v[128:129], v[124:125], v[130:131] op_sel_hi:[1,0,1]
	v_pk_fma_f32 v[124:125], v[128:129], v[124:125], v[130:131] neg_lo:[0,0,1] neg_hi:[0,0,1]
	v_mov_b32_e32 v125, v133
	s_cbranch_execz .LBB123_864
	s_branch .LBB123_865
.LBB123_863:
                                        ; implicit-def: $vgpr124_vgpr125
.LBB123_864:
	ds_load_b64 v[124:125], v1
.LBB123_865:
	s_mov_b32 s2, exec_lo
	v_cmpx_ne_u32_e32 27, v0
	s_cbranch_execz .LBB123_869
; %bb.866:
	v_add_nc_u32_e32 v127, 0x1e8, v58
	v_add3_u32 v128, 0, v58, 8
	v_mov_b32_e32 v129, v0
	s_mov_b32 s3, 0
.LBB123_867:                            ; =>This Inner Loop Header: Depth=1
	scratch_load_b64 v[130:131], v128, off
	ds_load_b64 v[132:133], v127
	s_wait_xcnt 0x0
	v_dual_add_nc_u32 v127, 8, v127 :: v_dual_add_nc_u32 v128, 8, v128
	s_wait_loadcnt_dscnt 0x0
	v_pk_mul_f32 v[134:135], v[132:133], v[130:131] op_sel:[1,1] op_sel_hi:[0,1]
	s_delay_alu instid0(VALU_DEP_1) | instskip(SKIP_2) | instid1(VALU_DEP_3)
	v_pk_fma_f32 v[136:137], v[132:133], v[130:131], v[134:135] op_sel_hi:[1,0,1]
	v_add_nc_u32_e32 v129, 1, v129
	v_pk_fma_f32 v[130:131], v[132:133], v[130:131], v[134:135] neg_lo:[0,0,1] neg_hi:[0,0,1]
	v_mov_b32_e32 v131, v137
	s_delay_alu instid0(VALU_DEP_3) | instskip(NEXT) | instid1(VALU_DEP_2)
	v_cmp_lt_u32_e32 vcc_lo, 26, v129
	v_pk_add_f32 v[124:125], v[124:125], v[130:131]
	s_or_b32 s3, vcc_lo, s3
	s_delay_alu instid0(SALU_CYCLE_1)
	s_and_not1_b32 exec_lo, exec_lo, s3
	s_cbranch_execnz .LBB123_867
; %bb.868:
	s_or_b32 exec_lo, exec_lo, s3
.LBB123_869:
	s_delay_alu instid0(SALU_CYCLE_1) | instskip(SKIP_4) | instid1(VALU_DEP_1)
	s_or_b32 exec_lo, exec_lo, s2
	v_mov_b32_e32 v127, 0
	ds_load_b64 v[128:129], v127 offset:224
	s_wait_dscnt 0x0
	v_pk_mul_f32 v[130:131], v[124:125], v[128:129] op_sel:[1,1] op_sel_hi:[0,1]
	v_pk_fma_f32 v[132:133], v[124:125], v[128:129], v[130:131] op_sel_hi:[1,0,1]
	v_pk_fma_f32 v[124:125], v[124:125], v[128:129], v[130:131] neg_lo:[0,0,1] neg_hi:[0,0,1]
	s_delay_alu instid0(VALU_DEP_2)
	v_mov_b32_e32 v125, v133
	scratch_store_b64 off, v[124:125], off offset:224
.LBB123_870:
	s_wait_xcnt 0x0
	s_or_b32 exec_lo, exec_lo, s0
	scratch_load_b64 v[124:125], off, off offset:232
	s_mov_b32 s0, exec_lo
	s_wait_loadcnt 0x0
	ds_store_b64 v1, v[124:125]
	s_wait_storecnt_dscnt 0x0
	s_barrier_signal -1
	s_barrier_wait -1
	s_wait_xcnt 0x0
	v_cmpx_gt_u32_e32 29, v0
	s_cbranch_execz .LBB123_880
; %bb.871:
	v_cmp_ne_u32_e32 vcc_lo, 1, v126
	s_cbranch_vccnz .LBB123_873
; %bb.872:
	scratch_load_b64 v[124:125], v59, off
	ds_load_b64 v[128:129], v1
	s_wait_loadcnt_dscnt 0x0
	v_pk_mul_f32 v[130:131], v[128:129], v[124:125] op_sel:[1,1] op_sel_hi:[0,1]
	s_delay_alu instid0(VALU_DEP_1) | instskip(SKIP_1) | instid1(VALU_DEP_2)
	v_pk_fma_f32 v[132:133], v[128:129], v[124:125], v[130:131] op_sel_hi:[1,0,1]
	v_pk_fma_f32 v[124:125], v[128:129], v[124:125], v[130:131] neg_lo:[0,0,1] neg_hi:[0,0,1]
	v_mov_b32_e32 v125, v133
	s_cbranch_execz .LBB123_874
	s_branch .LBB123_875
.LBB123_873:
                                        ; implicit-def: $vgpr124_vgpr125
.LBB123_874:
	ds_load_b64 v[124:125], v1
.LBB123_875:
	s_mov_b32 s2, exec_lo
	v_cmpx_ne_u32_e32 28, v0
	s_cbranch_execz .LBB123_879
; %bb.876:
	v_add_nc_u32_e32 v127, 0x1e8, v58
	v_add3_u32 v128, 0, v58, 8
	v_mov_b32_e32 v129, v0
	s_mov_b32 s3, 0
.LBB123_877:                            ; =>This Inner Loop Header: Depth=1
	scratch_load_b64 v[130:131], v128, off
	ds_load_b64 v[132:133], v127
	s_wait_xcnt 0x0
	v_dual_add_nc_u32 v127, 8, v127 :: v_dual_add_nc_u32 v128, 8, v128
	s_wait_loadcnt_dscnt 0x0
	v_pk_mul_f32 v[134:135], v[132:133], v[130:131] op_sel:[1,1] op_sel_hi:[0,1]
	s_delay_alu instid0(VALU_DEP_1) | instskip(SKIP_2) | instid1(VALU_DEP_3)
	v_pk_fma_f32 v[136:137], v[132:133], v[130:131], v[134:135] op_sel_hi:[1,0,1]
	v_add_nc_u32_e32 v129, 1, v129
	v_pk_fma_f32 v[130:131], v[132:133], v[130:131], v[134:135] neg_lo:[0,0,1] neg_hi:[0,0,1]
	v_mov_b32_e32 v131, v137
	s_delay_alu instid0(VALU_DEP_3) | instskip(NEXT) | instid1(VALU_DEP_2)
	v_cmp_lt_u32_e32 vcc_lo, 27, v129
	v_pk_add_f32 v[124:125], v[124:125], v[130:131]
	s_or_b32 s3, vcc_lo, s3
	s_delay_alu instid0(SALU_CYCLE_1)
	s_and_not1_b32 exec_lo, exec_lo, s3
	s_cbranch_execnz .LBB123_877
; %bb.878:
	s_or_b32 exec_lo, exec_lo, s3
.LBB123_879:
	s_delay_alu instid0(SALU_CYCLE_1) | instskip(SKIP_4) | instid1(VALU_DEP_1)
	s_or_b32 exec_lo, exec_lo, s2
	v_mov_b32_e32 v127, 0
	ds_load_b64 v[128:129], v127 offset:232
	s_wait_dscnt 0x0
	v_pk_mul_f32 v[130:131], v[124:125], v[128:129] op_sel:[1,1] op_sel_hi:[0,1]
	v_pk_fma_f32 v[132:133], v[124:125], v[128:129], v[130:131] op_sel_hi:[1,0,1]
	v_pk_fma_f32 v[124:125], v[124:125], v[128:129], v[130:131] neg_lo:[0,0,1] neg_hi:[0,0,1]
	s_delay_alu instid0(VALU_DEP_2)
	v_mov_b32_e32 v125, v133
	scratch_store_b64 off, v[124:125], off offset:232
.LBB123_880:
	s_wait_xcnt 0x0
	s_or_b32 exec_lo, exec_lo, s0
	scratch_load_b64 v[124:125], off, off offset:240
	s_mov_b32 s0, exec_lo
	s_wait_loadcnt 0x0
	ds_store_b64 v1, v[124:125]
	s_wait_storecnt_dscnt 0x0
	s_barrier_signal -1
	s_barrier_wait -1
	s_wait_xcnt 0x0
	v_cmpx_gt_u32_e32 30, v0
	s_cbranch_execz .LBB123_890
; %bb.881:
	v_cmp_ne_u32_e32 vcc_lo, 1, v126
	s_cbranch_vccnz .LBB123_883
; %bb.882:
	scratch_load_b64 v[124:125], v59, off
	ds_load_b64 v[128:129], v1
	s_wait_loadcnt_dscnt 0x0
	v_pk_mul_f32 v[130:131], v[128:129], v[124:125] op_sel:[1,1] op_sel_hi:[0,1]
	s_delay_alu instid0(VALU_DEP_1) | instskip(SKIP_1) | instid1(VALU_DEP_2)
	v_pk_fma_f32 v[132:133], v[128:129], v[124:125], v[130:131] op_sel_hi:[1,0,1]
	v_pk_fma_f32 v[124:125], v[128:129], v[124:125], v[130:131] neg_lo:[0,0,1] neg_hi:[0,0,1]
	v_mov_b32_e32 v125, v133
	s_cbranch_execz .LBB123_884
	s_branch .LBB123_885
.LBB123_883:
                                        ; implicit-def: $vgpr124_vgpr125
.LBB123_884:
	ds_load_b64 v[124:125], v1
.LBB123_885:
	s_mov_b32 s2, exec_lo
	v_cmpx_ne_u32_e32 29, v0
	s_cbranch_execz .LBB123_889
; %bb.886:
	v_add_nc_u32_e32 v127, 0x1e8, v58
	v_add3_u32 v128, 0, v58, 8
	v_mov_b32_e32 v129, v0
	s_mov_b32 s3, 0
.LBB123_887:                            ; =>This Inner Loop Header: Depth=1
	scratch_load_b64 v[130:131], v128, off
	ds_load_b64 v[132:133], v127
	s_wait_xcnt 0x0
	v_dual_add_nc_u32 v127, 8, v127 :: v_dual_add_nc_u32 v128, 8, v128
	s_wait_loadcnt_dscnt 0x0
	v_pk_mul_f32 v[134:135], v[132:133], v[130:131] op_sel:[1,1] op_sel_hi:[0,1]
	s_delay_alu instid0(VALU_DEP_1) | instskip(SKIP_2) | instid1(VALU_DEP_3)
	v_pk_fma_f32 v[136:137], v[132:133], v[130:131], v[134:135] op_sel_hi:[1,0,1]
	v_add_nc_u32_e32 v129, 1, v129
	v_pk_fma_f32 v[130:131], v[132:133], v[130:131], v[134:135] neg_lo:[0,0,1] neg_hi:[0,0,1]
	v_mov_b32_e32 v131, v137
	s_delay_alu instid0(VALU_DEP_3) | instskip(NEXT) | instid1(VALU_DEP_2)
	v_cmp_lt_u32_e32 vcc_lo, 28, v129
	v_pk_add_f32 v[124:125], v[124:125], v[130:131]
	s_or_b32 s3, vcc_lo, s3
	s_delay_alu instid0(SALU_CYCLE_1)
	s_and_not1_b32 exec_lo, exec_lo, s3
	s_cbranch_execnz .LBB123_887
; %bb.888:
	s_or_b32 exec_lo, exec_lo, s3
.LBB123_889:
	s_delay_alu instid0(SALU_CYCLE_1) | instskip(SKIP_4) | instid1(VALU_DEP_1)
	s_or_b32 exec_lo, exec_lo, s2
	v_mov_b32_e32 v127, 0
	ds_load_b64 v[128:129], v127 offset:240
	s_wait_dscnt 0x0
	v_pk_mul_f32 v[130:131], v[124:125], v[128:129] op_sel:[1,1] op_sel_hi:[0,1]
	v_pk_fma_f32 v[132:133], v[124:125], v[128:129], v[130:131] op_sel_hi:[1,0,1]
	v_pk_fma_f32 v[124:125], v[124:125], v[128:129], v[130:131] neg_lo:[0,0,1] neg_hi:[0,0,1]
	s_delay_alu instid0(VALU_DEP_2)
	v_mov_b32_e32 v125, v133
	scratch_store_b64 off, v[124:125], off offset:240
.LBB123_890:
	s_wait_xcnt 0x0
	s_or_b32 exec_lo, exec_lo, s0
	scratch_load_b64 v[124:125], off, off offset:248
	s_mov_b32 s0, exec_lo
	s_wait_loadcnt 0x0
	ds_store_b64 v1, v[124:125]
	s_wait_storecnt_dscnt 0x0
	s_barrier_signal -1
	s_barrier_wait -1
	s_wait_xcnt 0x0
	v_cmpx_gt_u32_e32 31, v0
	s_cbranch_execz .LBB123_900
; %bb.891:
	v_cmp_ne_u32_e32 vcc_lo, 1, v126
	s_cbranch_vccnz .LBB123_893
; %bb.892:
	scratch_load_b64 v[124:125], v59, off
	ds_load_b64 v[128:129], v1
	s_wait_loadcnt_dscnt 0x0
	v_pk_mul_f32 v[130:131], v[128:129], v[124:125] op_sel:[1,1] op_sel_hi:[0,1]
	s_delay_alu instid0(VALU_DEP_1) | instskip(SKIP_1) | instid1(VALU_DEP_2)
	v_pk_fma_f32 v[132:133], v[128:129], v[124:125], v[130:131] op_sel_hi:[1,0,1]
	v_pk_fma_f32 v[124:125], v[128:129], v[124:125], v[130:131] neg_lo:[0,0,1] neg_hi:[0,0,1]
	v_mov_b32_e32 v125, v133
	s_cbranch_execz .LBB123_894
	s_branch .LBB123_895
.LBB123_893:
                                        ; implicit-def: $vgpr124_vgpr125
.LBB123_894:
	ds_load_b64 v[124:125], v1
.LBB123_895:
	s_mov_b32 s2, exec_lo
	v_cmpx_ne_u32_e32 30, v0
	s_cbranch_execz .LBB123_899
; %bb.896:
	v_add_nc_u32_e32 v127, 0x1e8, v58
	v_add3_u32 v128, 0, v58, 8
	v_mov_b32_e32 v129, v0
	s_mov_b32 s3, 0
.LBB123_897:                            ; =>This Inner Loop Header: Depth=1
	scratch_load_b64 v[130:131], v128, off
	ds_load_b64 v[132:133], v127
	s_wait_xcnt 0x0
	v_dual_add_nc_u32 v127, 8, v127 :: v_dual_add_nc_u32 v128, 8, v128
	s_wait_loadcnt_dscnt 0x0
	v_pk_mul_f32 v[134:135], v[132:133], v[130:131] op_sel:[1,1] op_sel_hi:[0,1]
	s_delay_alu instid0(VALU_DEP_1) | instskip(SKIP_2) | instid1(VALU_DEP_3)
	v_pk_fma_f32 v[136:137], v[132:133], v[130:131], v[134:135] op_sel_hi:[1,0,1]
	v_add_nc_u32_e32 v129, 1, v129
	v_pk_fma_f32 v[130:131], v[132:133], v[130:131], v[134:135] neg_lo:[0,0,1] neg_hi:[0,0,1]
	v_mov_b32_e32 v131, v137
	s_delay_alu instid0(VALU_DEP_3) | instskip(NEXT) | instid1(VALU_DEP_2)
	v_cmp_lt_u32_e32 vcc_lo, 29, v129
	v_pk_add_f32 v[124:125], v[124:125], v[130:131]
	s_or_b32 s3, vcc_lo, s3
	s_delay_alu instid0(SALU_CYCLE_1)
	s_and_not1_b32 exec_lo, exec_lo, s3
	s_cbranch_execnz .LBB123_897
; %bb.898:
	s_or_b32 exec_lo, exec_lo, s3
.LBB123_899:
	s_delay_alu instid0(SALU_CYCLE_1) | instskip(SKIP_4) | instid1(VALU_DEP_1)
	s_or_b32 exec_lo, exec_lo, s2
	v_mov_b32_e32 v127, 0
	ds_load_b64 v[128:129], v127 offset:248
	s_wait_dscnt 0x0
	v_pk_mul_f32 v[130:131], v[124:125], v[128:129] op_sel:[1,1] op_sel_hi:[0,1]
	v_pk_fma_f32 v[132:133], v[124:125], v[128:129], v[130:131] op_sel_hi:[1,0,1]
	v_pk_fma_f32 v[124:125], v[124:125], v[128:129], v[130:131] neg_lo:[0,0,1] neg_hi:[0,0,1]
	s_delay_alu instid0(VALU_DEP_2)
	v_mov_b32_e32 v125, v133
	scratch_store_b64 off, v[124:125], off offset:248
.LBB123_900:
	s_wait_xcnt 0x0
	s_or_b32 exec_lo, exec_lo, s0
	scratch_load_b64 v[124:125], off, off offset:256
	s_mov_b32 s0, exec_lo
	s_wait_loadcnt 0x0
	ds_store_b64 v1, v[124:125]
	s_wait_storecnt_dscnt 0x0
	s_barrier_signal -1
	s_barrier_wait -1
	s_wait_xcnt 0x0
	v_cmpx_gt_u32_e32 32, v0
	s_cbranch_execz .LBB123_910
; %bb.901:
	v_cmp_ne_u32_e32 vcc_lo, 1, v126
	s_cbranch_vccnz .LBB123_903
; %bb.902:
	scratch_load_b64 v[124:125], v59, off
	ds_load_b64 v[128:129], v1
	s_wait_loadcnt_dscnt 0x0
	v_pk_mul_f32 v[130:131], v[128:129], v[124:125] op_sel:[1,1] op_sel_hi:[0,1]
	s_delay_alu instid0(VALU_DEP_1) | instskip(SKIP_1) | instid1(VALU_DEP_2)
	v_pk_fma_f32 v[132:133], v[128:129], v[124:125], v[130:131] op_sel_hi:[1,0,1]
	v_pk_fma_f32 v[124:125], v[128:129], v[124:125], v[130:131] neg_lo:[0,0,1] neg_hi:[0,0,1]
	v_mov_b32_e32 v125, v133
	s_cbranch_execz .LBB123_904
	s_branch .LBB123_905
.LBB123_903:
                                        ; implicit-def: $vgpr124_vgpr125
.LBB123_904:
	ds_load_b64 v[124:125], v1
.LBB123_905:
	s_mov_b32 s2, exec_lo
	v_cmpx_ne_u32_e32 31, v0
	s_cbranch_execz .LBB123_909
; %bb.906:
	v_add_nc_u32_e32 v127, 0x1e8, v58
	v_add3_u32 v128, 0, v58, 8
	v_mov_b32_e32 v129, v0
	s_mov_b32 s3, 0
.LBB123_907:                            ; =>This Inner Loop Header: Depth=1
	scratch_load_b64 v[130:131], v128, off
	ds_load_b64 v[132:133], v127
	s_wait_xcnt 0x0
	v_dual_add_nc_u32 v127, 8, v127 :: v_dual_add_nc_u32 v128, 8, v128
	s_wait_loadcnt_dscnt 0x0
	v_pk_mul_f32 v[134:135], v[132:133], v[130:131] op_sel:[1,1] op_sel_hi:[0,1]
	s_delay_alu instid0(VALU_DEP_1) | instskip(SKIP_2) | instid1(VALU_DEP_3)
	v_pk_fma_f32 v[136:137], v[132:133], v[130:131], v[134:135] op_sel_hi:[1,0,1]
	v_add_nc_u32_e32 v129, 1, v129
	v_pk_fma_f32 v[130:131], v[132:133], v[130:131], v[134:135] neg_lo:[0,0,1] neg_hi:[0,0,1]
	v_mov_b32_e32 v131, v137
	s_delay_alu instid0(VALU_DEP_3) | instskip(NEXT) | instid1(VALU_DEP_2)
	v_cmp_lt_u32_e32 vcc_lo, 30, v129
	v_pk_add_f32 v[124:125], v[124:125], v[130:131]
	s_or_b32 s3, vcc_lo, s3
	s_delay_alu instid0(SALU_CYCLE_1)
	s_and_not1_b32 exec_lo, exec_lo, s3
	s_cbranch_execnz .LBB123_907
; %bb.908:
	s_or_b32 exec_lo, exec_lo, s3
.LBB123_909:
	s_delay_alu instid0(SALU_CYCLE_1) | instskip(SKIP_4) | instid1(VALU_DEP_1)
	s_or_b32 exec_lo, exec_lo, s2
	v_mov_b32_e32 v127, 0
	ds_load_b64 v[128:129], v127 offset:256
	s_wait_dscnt 0x0
	v_pk_mul_f32 v[130:131], v[124:125], v[128:129] op_sel:[1,1] op_sel_hi:[0,1]
	v_pk_fma_f32 v[132:133], v[124:125], v[128:129], v[130:131] op_sel_hi:[1,0,1]
	v_pk_fma_f32 v[124:125], v[124:125], v[128:129], v[130:131] neg_lo:[0,0,1] neg_hi:[0,0,1]
	s_delay_alu instid0(VALU_DEP_2)
	v_mov_b32_e32 v125, v133
	scratch_store_b64 off, v[124:125], off offset:256
.LBB123_910:
	s_wait_xcnt 0x0
	s_or_b32 exec_lo, exec_lo, s0
	scratch_load_b64 v[124:125], off, off offset:264
	s_mov_b32 s0, exec_lo
	s_wait_loadcnt 0x0
	ds_store_b64 v1, v[124:125]
	s_wait_storecnt_dscnt 0x0
	s_barrier_signal -1
	s_barrier_wait -1
	s_wait_xcnt 0x0
	v_cmpx_gt_u32_e32 33, v0
	s_cbranch_execz .LBB123_920
; %bb.911:
	v_cmp_ne_u32_e32 vcc_lo, 1, v126
	s_cbranch_vccnz .LBB123_913
; %bb.912:
	scratch_load_b64 v[124:125], v59, off
	ds_load_b64 v[128:129], v1
	s_wait_loadcnt_dscnt 0x0
	v_pk_mul_f32 v[130:131], v[128:129], v[124:125] op_sel:[1,1] op_sel_hi:[0,1]
	s_delay_alu instid0(VALU_DEP_1) | instskip(SKIP_1) | instid1(VALU_DEP_2)
	v_pk_fma_f32 v[132:133], v[128:129], v[124:125], v[130:131] op_sel_hi:[1,0,1]
	v_pk_fma_f32 v[124:125], v[128:129], v[124:125], v[130:131] neg_lo:[0,0,1] neg_hi:[0,0,1]
	v_mov_b32_e32 v125, v133
	s_cbranch_execz .LBB123_914
	s_branch .LBB123_915
.LBB123_913:
                                        ; implicit-def: $vgpr124_vgpr125
.LBB123_914:
	ds_load_b64 v[124:125], v1
.LBB123_915:
	s_mov_b32 s2, exec_lo
	v_cmpx_ne_u32_e32 32, v0
	s_cbranch_execz .LBB123_919
; %bb.916:
	v_add_nc_u32_e32 v127, 0x1e8, v58
	v_add3_u32 v128, 0, v58, 8
	v_mov_b32_e32 v129, v0
	s_mov_b32 s3, 0
.LBB123_917:                            ; =>This Inner Loop Header: Depth=1
	scratch_load_b64 v[130:131], v128, off
	ds_load_b64 v[132:133], v127
	s_wait_xcnt 0x0
	v_dual_add_nc_u32 v127, 8, v127 :: v_dual_add_nc_u32 v128, 8, v128
	s_wait_loadcnt_dscnt 0x0
	v_pk_mul_f32 v[134:135], v[132:133], v[130:131] op_sel:[1,1] op_sel_hi:[0,1]
	s_delay_alu instid0(VALU_DEP_1) | instskip(SKIP_2) | instid1(VALU_DEP_3)
	v_pk_fma_f32 v[136:137], v[132:133], v[130:131], v[134:135] op_sel_hi:[1,0,1]
	v_add_nc_u32_e32 v129, 1, v129
	v_pk_fma_f32 v[130:131], v[132:133], v[130:131], v[134:135] neg_lo:[0,0,1] neg_hi:[0,0,1]
	v_mov_b32_e32 v131, v137
	s_delay_alu instid0(VALU_DEP_3) | instskip(NEXT) | instid1(VALU_DEP_2)
	v_cmp_lt_u32_e32 vcc_lo, 31, v129
	v_pk_add_f32 v[124:125], v[124:125], v[130:131]
	s_or_b32 s3, vcc_lo, s3
	s_delay_alu instid0(SALU_CYCLE_1)
	s_and_not1_b32 exec_lo, exec_lo, s3
	s_cbranch_execnz .LBB123_917
; %bb.918:
	s_or_b32 exec_lo, exec_lo, s3
.LBB123_919:
	s_delay_alu instid0(SALU_CYCLE_1) | instskip(SKIP_4) | instid1(VALU_DEP_1)
	s_or_b32 exec_lo, exec_lo, s2
	v_mov_b32_e32 v127, 0
	ds_load_b64 v[128:129], v127 offset:264
	s_wait_dscnt 0x0
	v_pk_mul_f32 v[130:131], v[124:125], v[128:129] op_sel:[1,1] op_sel_hi:[0,1]
	v_pk_fma_f32 v[132:133], v[124:125], v[128:129], v[130:131] op_sel_hi:[1,0,1]
	v_pk_fma_f32 v[124:125], v[124:125], v[128:129], v[130:131] neg_lo:[0,0,1] neg_hi:[0,0,1]
	s_delay_alu instid0(VALU_DEP_2)
	v_mov_b32_e32 v125, v133
	scratch_store_b64 off, v[124:125], off offset:264
.LBB123_920:
	s_wait_xcnt 0x0
	s_or_b32 exec_lo, exec_lo, s0
	scratch_load_b64 v[124:125], off, off offset:272
	s_mov_b32 s0, exec_lo
	s_wait_loadcnt 0x0
	ds_store_b64 v1, v[124:125]
	s_wait_storecnt_dscnt 0x0
	s_barrier_signal -1
	s_barrier_wait -1
	s_wait_xcnt 0x0
	v_cmpx_gt_u32_e32 34, v0
	s_cbranch_execz .LBB123_930
; %bb.921:
	v_cmp_ne_u32_e32 vcc_lo, 1, v126
	s_cbranch_vccnz .LBB123_923
; %bb.922:
	scratch_load_b64 v[124:125], v59, off
	ds_load_b64 v[128:129], v1
	s_wait_loadcnt_dscnt 0x0
	v_pk_mul_f32 v[130:131], v[128:129], v[124:125] op_sel:[1,1] op_sel_hi:[0,1]
	s_delay_alu instid0(VALU_DEP_1) | instskip(SKIP_1) | instid1(VALU_DEP_2)
	v_pk_fma_f32 v[132:133], v[128:129], v[124:125], v[130:131] op_sel_hi:[1,0,1]
	v_pk_fma_f32 v[124:125], v[128:129], v[124:125], v[130:131] neg_lo:[0,0,1] neg_hi:[0,0,1]
	v_mov_b32_e32 v125, v133
	s_cbranch_execz .LBB123_924
	s_branch .LBB123_925
.LBB123_923:
                                        ; implicit-def: $vgpr124_vgpr125
.LBB123_924:
	ds_load_b64 v[124:125], v1
.LBB123_925:
	s_mov_b32 s2, exec_lo
	v_cmpx_ne_u32_e32 33, v0
	s_cbranch_execz .LBB123_929
; %bb.926:
	v_add_nc_u32_e32 v127, 0x1e8, v58
	v_add3_u32 v128, 0, v58, 8
	v_mov_b32_e32 v129, v0
	s_mov_b32 s3, 0
.LBB123_927:                            ; =>This Inner Loop Header: Depth=1
	scratch_load_b64 v[130:131], v128, off
	ds_load_b64 v[132:133], v127
	s_wait_xcnt 0x0
	v_dual_add_nc_u32 v127, 8, v127 :: v_dual_add_nc_u32 v128, 8, v128
	s_wait_loadcnt_dscnt 0x0
	v_pk_mul_f32 v[134:135], v[132:133], v[130:131] op_sel:[1,1] op_sel_hi:[0,1]
	s_delay_alu instid0(VALU_DEP_1) | instskip(SKIP_2) | instid1(VALU_DEP_3)
	v_pk_fma_f32 v[136:137], v[132:133], v[130:131], v[134:135] op_sel_hi:[1,0,1]
	v_add_nc_u32_e32 v129, 1, v129
	v_pk_fma_f32 v[130:131], v[132:133], v[130:131], v[134:135] neg_lo:[0,0,1] neg_hi:[0,0,1]
	v_mov_b32_e32 v131, v137
	s_delay_alu instid0(VALU_DEP_3) | instskip(NEXT) | instid1(VALU_DEP_2)
	v_cmp_lt_u32_e32 vcc_lo, 32, v129
	v_pk_add_f32 v[124:125], v[124:125], v[130:131]
	s_or_b32 s3, vcc_lo, s3
	s_delay_alu instid0(SALU_CYCLE_1)
	s_and_not1_b32 exec_lo, exec_lo, s3
	s_cbranch_execnz .LBB123_927
; %bb.928:
	s_or_b32 exec_lo, exec_lo, s3
.LBB123_929:
	s_delay_alu instid0(SALU_CYCLE_1) | instskip(SKIP_4) | instid1(VALU_DEP_1)
	s_or_b32 exec_lo, exec_lo, s2
	v_mov_b32_e32 v127, 0
	ds_load_b64 v[128:129], v127 offset:272
	s_wait_dscnt 0x0
	v_pk_mul_f32 v[130:131], v[124:125], v[128:129] op_sel:[1,1] op_sel_hi:[0,1]
	v_pk_fma_f32 v[132:133], v[124:125], v[128:129], v[130:131] op_sel_hi:[1,0,1]
	v_pk_fma_f32 v[124:125], v[124:125], v[128:129], v[130:131] neg_lo:[0,0,1] neg_hi:[0,0,1]
	s_delay_alu instid0(VALU_DEP_2)
	v_mov_b32_e32 v125, v133
	scratch_store_b64 off, v[124:125], off offset:272
.LBB123_930:
	s_wait_xcnt 0x0
	s_or_b32 exec_lo, exec_lo, s0
	scratch_load_b64 v[124:125], off, off offset:280
	s_mov_b32 s0, exec_lo
	s_wait_loadcnt 0x0
	ds_store_b64 v1, v[124:125]
	s_wait_storecnt_dscnt 0x0
	s_barrier_signal -1
	s_barrier_wait -1
	s_wait_xcnt 0x0
	v_cmpx_gt_u32_e32 35, v0
	s_cbranch_execz .LBB123_940
; %bb.931:
	v_cmp_ne_u32_e32 vcc_lo, 1, v126
	s_cbranch_vccnz .LBB123_933
; %bb.932:
	scratch_load_b64 v[124:125], v59, off
	ds_load_b64 v[128:129], v1
	s_wait_loadcnt_dscnt 0x0
	v_pk_mul_f32 v[130:131], v[128:129], v[124:125] op_sel:[1,1] op_sel_hi:[0,1]
	s_delay_alu instid0(VALU_DEP_1) | instskip(SKIP_1) | instid1(VALU_DEP_2)
	v_pk_fma_f32 v[132:133], v[128:129], v[124:125], v[130:131] op_sel_hi:[1,0,1]
	v_pk_fma_f32 v[124:125], v[128:129], v[124:125], v[130:131] neg_lo:[0,0,1] neg_hi:[0,0,1]
	v_mov_b32_e32 v125, v133
	s_cbranch_execz .LBB123_934
	s_branch .LBB123_935
.LBB123_933:
                                        ; implicit-def: $vgpr124_vgpr125
.LBB123_934:
	ds_load_b64 v[124:125], v1
.LBB123_935:
	s_mov_b32 s2, exec_lo
	v_cmpx_ne_u32_e32 34, v0
	s_cbranch_execz .LBB123_939
; %bb.936:
	v_add_nc_u32_e32 v127, 0x1e8, v58
	v_add3_u32 v128, 0, v58, 8
	v_mov_b32_e32 v129, v0
	s_mov_b32 s3, 0
.LBB123_937:                            ; =>This Inner Loop Header: Depth=1
	scratch_load_b64 v[130:131], v128, off
	ds_load_b64 v[132:133], v127
	s_wait_xcnt 0x0
	v_dual_add_nc_u32 v127, 8, v127 :: v_dual_add_nc_u32 v128, 8, v128
	s_wait_loadcnt_dscnt 0x0
	v_pk_mul_f32 v[134:135], v[132:133], v[130:131] op_sel:[1,1] op_sel_hi:[0,1]
	s_delay_alu instid0(VALU_DEP_1) | instskip(SKIP_2) | instid1(VALU_DEP_3)
	v_pk_fma_f32 v[136:137], v[132:133], v[130:131], v[134:135] op_sel_hi:[1,0,1]
	v_add_nc_u32_e32 v129, 1, v129
	v_pk_fma_f32 v[130:131], v[132:133], v[130:131], v[134:135] neg_lo:[0,0,1] neg_hi:[0,0,1]
	v_mov_b32_e32 v131, v137
	s_delay_alu instid0(VALU_DEP_3) | instskip(NEXT) | instid1(VALU_DEP_2)
	v_cmp_lt_u32_e32 vcc_lo, 33, v129
	v_pk_add_f32 v[124:125], v[124:125], v[130:131]
	s_or_b32 s3, vcc_lo, s3
	s_delay_alu instid0(SALU_CYCLE_1)
	s_and_not1_b32 exec_lo, exec_lo, s3
	s_cbranch_execnz .LBB123_937
; %bb.938:
	s_or_b32 exec_lo, exec_lo, s3
.LBB123_939:
	s_delay_alu instid0(SALU_CYCLE_1) | instskip(SKIP_4) | instid1(VALU_DEP_1)
	s_or_b32 exec_lo, exec_lo, s2
	v_mov_b32_e32 v127, 0
	ds_load_b64 v[128:129], v127 offset:280
	s_wait_dscnt 0x0
	v_pk_mul_f32 v[130:131], v[124:125], v[128:129] op_sel:[1,1] op_sel_hi:[0,1]
	v_pk_fma_f32 v[132:133], v[124:125], v[128:129], v[130:131] op_sel_hi:[1,0,1]
	v_pk_fma_f32 v[124:125], v[124:125], v[128:129], v[130:131] neg_lo:[0,0,1] neg_hi:[0,0,1]
	s_delay_alu instid0(VALU_DEP_2)
	v_mov_b32_e32 v125, v133
	scratch_store_b64 off, v[124:125], off offset:280
.LBB123_940:
	s_wait_xcnt 0x0
	s_or_b32 exec_lo, exec_lo, s0
	scratch_load_b64 v[124:125], off, off offset:288
	s_mov_b32 s0, exec_lo
	s_wait_loadcnt 0x0
	ds_store_b64 v1, v[124:125]
	s_wait_storecnt_dscnt 0x0
	s_barrier_signal -1
	s_barrier_wait -1
	s_wait_xcnt 0x0
	v_cmpx_gt_u32_e32 36, v0
	s_cbranch_execz .LBB123_950
; %bb.941:
	v_cmp_ne_u32_e32 vcc_lo, 1, v126
	s_cbranch_vccnz .LBB123_943
; %bb.942:
	scratch_load_b64 v[124:125], v59, off
	ds_load_b64 v[128:129], v1
	s_wait_loadcnt_dscnt 0x0
	v_pk_mul_f32 v[130:131], v[128:129], v[124:125] op_sel:[1,1] op_sel_hi:[0,1]
	s_delay_alu instid0(VALU_DEP_1) | instskip(SKIP_1) | instid1(VALU_DEP_2)
	v_pk_fma_f32 v[132:133], v[128:129], v[124:125], v[130:131] op_sel_hi:[1,0,1]
	v_pk_fma_f32 v[124:125], v[128:129], v[124:125], v[130:131] neg_lo:[0,0,1] neg_hi:[0,0,1]
	v_mov_b32_e32 v125, v133
	s_cbranch_execz .LBB123_944
	s_branch .LBB123_945
.LBB123_943:
                                        ; implicit-def: $vgpr124_vgpr125
.LBB123_944:
	ds_load_b64 v[124:125], v1
.LBB123_945:
	s_mov_b32 s2, exec_lo
	v_cmpx_ne_u32_e32 35, v0
	s_cbranch_execz .LBB123_949
; %bb.946:
	v_add_nc_u32_e32 v127, 0x1e8, v58
	v_add3_u32 v128, 0, v58, 8
	v_mov_b32_e32 v129, v0
	s_mov_b32 s3, 0
.LBB123_947:                            ; =>This Inner Loop Header: Depth=1
	scratch_load_b64 v[130:131], v128, off
	ds_load_b64 v[132:133], v127
	s_wait_xcnt 0x0
	v_dual_add_nc_u32 v127, 8, v127 :: v_dual_add_nc_u32 v128, 8, v128
	s_wait_loadcnt_dscnt 0x0
	v_pk_mul_f32 v[134:135], v[132:133], v[130:131] op_sel:[1,1] op_sel_hi:[0,1]
	s_delay_alu instid0(VALU_DEP_1) | instskip(SKIP_2) | instid1(VALU_DEP_3)
	v_pk_fma_f32 v[136:137], v[132:133], v[130:131], v[134:135] op_sel_hi:[1,0,1]
	v_add_nc_u32_e32 v129, 1, v129
	v_pk_fma_f32 v[130:131], v[132:133], v[130:131], v[134:135] neg_lo:[0,0,1] neg_hi:[0,0,1]
	v_mov_b32_e32 v131, v137
	s_delay_alu instid0(VALU_DEP_3) | instskip(NEXT) | instid1(VALU_DEP_2)
	v_cmp_lt_u32_e32 vcc_lo, 34, v129
	v_pk_add_f32 v[124:125], v[124:125], v[130:131]
	s_or_b32 s3, vcc_lo, s3
	s_delay_alu instid0(SALU_CYCLE_1)
	s_and_not1_b32 exec_lo, exec_lo, s3
	s_cbranch_execnz .LBB123_947
; %bb.948:
	s_or_b32 exec_lo, exec_lo, s3
.LBB123_949:
	s_delay_alu instid0(SALU_CYCLE_1) | instskip(SKIP_4) | instid1(VALU_DEP_1)
	s_or_b32 exec_lo, exec_lo, s2
	v_mov_b32_e32 v127, 0
	ds_load_b64 v[128:129], v127 offset:288
	s_wait_dscnt 0x0
	v_pk_mul_f32 v[130:131], v[124:125], v[128:129] op_sel:[1,1] op_sel_hi:[0,1]
	v_pk_fma_f32 v[132:133], v[124:125], v[128:129], v[130:131] op_sel_hi:[1,0,1]
	v_pk_fma_f32 v[124:125], v[124:125], v[128:129], v[130:131] neg_lo:[0,0,1] neg_hi:[0,0,1]
	s_delay_alu instid0(VALU_DEP_2)
	v_mov_b32_e32 v125, v133
	scratch_store_b64 off, v[124:125], off offset:288
.LBB123_950:
	s_wait_xcnt 0x0
	s_or_b32 exec_lo, exec_lo, s0
	scratch_load_b64 v[124:125], off, off offset:296
	s_mov_b32 s0, exec_lo
	s_wait_loadcnt 0x0
	ds_store_b64 v1, v[124:125]
	s_wait_storecnt_dscnt 0x0
	s_barrier_signal -1
	s_barrier_wait -1
	s_wait_xcnt 0x0
	v_cmpx_gt_u32_e32 37, v0
	s_cbranch_execz .LBB123_960
; %bb.951:
	v_cmp_ne_u32_e32 vcc_lo, 1, v126
	s_cbranch_vccnz .LBB123_953
; %bb.952:
	scratch_load_b64 v[124:125], v59, off
	ds_load_b64 v[128:129], v1
	s_wait_loadcnt_dscnt 0x0
	v_pk_mul_f32 v[130:131], v[128:129], v[124:125] op_sel:[1,1] op_sel_hi:[0,1]
	s_delay_alu instid0(VALU_DEP_1) | instskip(SKIP_1) | instid1(VALU_DEP_2)
	v_pk_fma_f32 v[132:133], v[128:129], v[124:125], v[130:131] op_sel_hi:[1,0,1]
	v_pk_fma_f32 v[124:125], v[128:129], v[124:125], v[130:131] neg_lo:[0,0,1] neg_hi:[0,0,1]
	v_mov_b32_e32 v125, v133
	s_cbranch_execz .LBB123_954
	s_branch .LBB123_955
.LBB123_953:
                                        ; implicit-def: $vgpr124_vgpr125
.LBB123_954:
	ds_load_b64 v[124:125], v1
.LBB123_955:
	s_mov_b32 s2, exec_lo
	v_cmpx_ne_u32_e32 36, v0
	s_cbranch_execz .LBB123_959
; %bb.956:
	v_add_nc_u32_e32 v127, 0x1e8, v58
	v_add3_u32 v128, 0, v58, 8
	v_mov_b32_e32 v129, v0
	s_mov_b32 s3, 0
.LBB123_957:                            ; =>This Inner Loop Header: Depth=1
	scratch_load_b64 v[130:131], v128, off
	ds_load_b64 v[132:133], v127
	s_wait_xcnt 0x0
	v_dual_add_nc_u32 v127, 8, v127 :: v_dual_add_nc_u32 v128, 8, v128
	s_wait_loadcnt_dscnt 0x0
	v_pk_mul_f32 v[134:135], v[132:133], v[130:131] op_sel:[1,1] op_sel_hi:[0,1]
	s_delay_alu instid0(VALU_DEP_1) | instskip(SKIP_2) | instid1(VALU_DEP_3)
	v_pk_fma_f32 v[136:137], v[132:133], v[130:131], v[134:135] op_sel_hi:[1,0,1]
	v_add_nc_u32_e32 v129, 1, v129
	v_pk_fma_f32 v[130:131], v[132:133], v[130:131], v[134:135] neg_lo:[0,0,1] neg_hi:[0,0,1]
	v_mov_b32_e32 v131, v137
	s_delay_alu instid0(VALU_DEP_3) | instskip(NEXT) | instid1(VALU_DEP_2)
	v_cmp_lt_u32_e32 vcc_lo, 35, v129
	v_pk_add_f32 v[124:125], v[124:125], v[130:131]
	s_or_b32 s3, vcc_lo, s3
	s_delay_alu instid0(SALU_CYCLE_1)
	s_and_not1_b32 exec_lo, exec_lo, s3
	s_cbranch_execnz .LBB123_957
; %bb.958:
	s_or_b32 exec_lo, exec_lo, s3
.LBB123_959:
	s_delay_alu instid0(SALU_CYCLE_1) | instskip(SKIP_4) | instid1(VALU_DEP_1)
	s_or_b32 exec_lo, exec_lo, s2
	v_mov_b32_e32 v127, 0
	ds_load_b64 v[128:129], v127 offset:296
	s_wait_dscnt 0x0
	v_pk_mul_f32 v[130:131], v[124:125], v[128:129] op_sel:[1,1] op_sel_hi:[0,1]
	v_pk_fma_f32 v[132:133], v[124:125], v[128:129], v[130:131] op_sel_hi:[1,0,1]
	v_pk_fma_f32 v[124:125], v[124:125], v[128:129], v[130:131] neg_lo:[0,0,1] neg_hi:[0,0,1]
	s_delay_alu instid0(VALU_DEP_2)
	v_mov_b32_e32 v125, v133
	scratch_store_b64 off, v[124:125], off offset:296
.LBB123_960:
	s_wait_xcnt 0x0
	s_or_b32 exec_lo, exec_lo, s0
	scratch_load_b64 v[124:125], off, off offset:304
	s_mov_b32 s0, exec_lo
	s_wait_loadcnt 0x0
	ds_store_b64 v1, v[124:125]
	s_wait_storecnt_dscnt 0x0
	s_barrier_signal -1
	s_barrier_wait -1
	s_wait_xcnt 0x0
	v_cmpx_gt_u32_e32 38, v0
	s_cbranch_execz .LBB123_970
; %bb.961:
	v_cmp_ne_u32_e32 vcc_lo, 1, v126
	s_cbranch_vccnz .LBB123_963
; %bb.962:
	scratch_load_b64 v[124:125], v59, off
	ds_load_b64 v[128:129], v1
	s_wait_loadcnt_dscnt 0x0
	v_pk_mul_f32 v[130:131], v[128:129], v[124:125] op_sel:[1,1] op_sel_hi:[0,1]
	s_delay_alu instid0(VALU_DEP_1) | instskip(SKIP_1) | instid1(VALU_DEP_2)
	v_pk_fma_f32 v[132:133], v[128:129], v[124:125], v[130:131] op_sel_hi:[1,0,1]
	v_pk_fma_f32 v[124:125], v[128:129], v[124:125], v[130:131] neg_lo:[0,0,1] neg_hi:[0,0,1]
	v_mov_b32_e32 v125, v133
	s_cbranch_execz .LBB123_964
	s_branch .LBB123_965
.LBB123_963:
                                        ; implicit-def: $vgpr124_vgpr125
.LBB123_964:
	ds_load_b64 v[124:125], v1
.LBB123_965:
	s_mov_b32 s2, exec_lo
	v_cmpx_ne_u32_e32 37, v0
	s_cbranch_execz .LBB123_969
; %bb.966:
	v_add_nc_u32_e32 v127, 0x1e8, v58
	v_add3_u32 v128, 0, v58, 8
	v_mov_b32_e32 v129, v0
	s_mov_b32 s3, 0
.LBB123_967:                            ; =>This Inner Loop Header: Depth=1
	scratch_load_b64 v[130:131], v128, off
	ds_load_b64 v[132:133], v127
	s_wait_xcnt 0x0
	v_dual_add_nc_u32 v127, 8, v127 :: v_dual_add_nc_u32 v128, 8, v128
	s_wait_loadcnt_dscnt 0x0
	v_pk_mul_f32 v[134:135], v[132:133], v[130:131] op_sel:[1,1] op_sel_hi:[0,1]
	s_delay_alu instid0(VALU_DEP_1) | instskip(SKIP_2) | instid1(VALU_DEP_3)
	v_pk_fma_f32 v[136:137], v[132:133], v[130:131], v[134:135] op_sel_hi:[1,0,1]
	v_add_nc_u32_e32 v129, 1, v129
	v_pk_fma_f32 v[130:131], v[132:133], v[130:131], v[134:135] neg_lo:[0,0,1] neg_hi:[0,0,1]
	v_mov_b32_e32 v131, v137
	s_delay_alu instid0(VALU_DEP_3) | instskip(NEXT) | instid1(VALU_DEP_2)
	v_cmp_lt_u32_e32 vcc_lo, 36, v129
	v_pk_add_f32 v[124:125], v[124:125], v[130:131]
	s_or_b32 s3, vcc_lo, s3
	s_delay_alu instid0(SALU_CYCLE_1)
	s_and_not1_b32 exec_lo, exec_lo, s3
	s_cbranch_execnz .LBB123_967
; %bb.968:
	s_or_b32 exec_lo, exec_lo, s3
.LBB123_969:
	s_delay_alu instid0(SALU_CYCLE_1) | instskip(SKIP_4) | instid1(VALU_DEP_1)
	s_or_b32 exec_lo, exec_lo, s2
	v_mov_b32_e32 v127, 0
	ds_load_b64 v[128:129], v127 offset:304
	s_wait_dscnt 0x0
	v_pk_mul_f32 v[130:131], v[124:125], v[128:129] op_sel:[1,1] op_sel_hi:[0,1]
	v_pk_fma_f32 v[132:133], v[124:125], v[128:129], v[130:131] op_sel_hi:[1,0,1]
	v_pk_fma_f32 v[124:125], v[124:125], v[128:129], v[130:131] neg_lo:[0,0,1] neg_hi:[0,0,1]
	s_delay_alu instid0(VALU_DEP_2)
	v_mov_b32_e32 v125, v133
	scratch_store_b64 off, v[124:125], off offset:304
.LBB123_970:
	s_wait_xcnt 0x0
	s_or_b32 exec_lo, exec_lo, s0
	scratch_load_b64 v[124:125], off, off offset:312
	s_mov_b32 s0, exec_lo
	s_wait_loadcnt 0x0
	ds_store_b64 v1, v[124:125]
	s_wait_storecnt_dscnt 0x0
	s_barrier_signal -1
	s_barrier_wait -1
	s_wait_xcnt 0x0
	v_cmpx_gt_u32_e32 39, v0
	s_cbranch_execz .LBB123_980
; %bb.971:
	v_cmp_ne_u32_e32 vcc_lo, 1, v126
	s_cbranch_vccnz .LBB123_973
; %bb.972:
	scratch_load_b64 v[124:125], v59, off
	ds_load_b64 v[128:129], v1
	s_wait_loadcnt_dscnt 0x0
	v_pk_mul_f32 v[130:131], v[128:129], v[124:125] op_sel:[1,1] op_sel_hi:[0,1]
	s_delay_alu instid0(VALU_DEP_1) | instskip(SKIP_1) | instid1(VALU_DEP_2)
	v_pk_fma_f32 v[132:133], v[128:129], v[124:125], v[130:131] op_sel_hi:[1,0,1]
	v_pk_fma_f32 v[124:125], v[128:129], v[124:125], v[130:131] neg_lo:[0,0,1] neg_hi:[0,0,1]
	v_mov_b32_e32 v125, v133
	s_cbranch_execz .LBB123_974
	s_branch .LBB123_975
.LBB123_973:
                                        ; implicit-def: $vgpr124_vgpr125
.LBB123_974:
	ds_load_b64 v[124:125], v1
.LBB123_975:
	s_mov_b32 s2, exec_lo
	v_cmpx_ne_u32_e32 38, v0
	s_cbranch_execz .LBB123_979
; %bb.976:
	v_add_nc_u32_e32 v127, 0x1e8, v58
	v_add3_u32 v128, 0, v58, 8
	v_mov_b32_e32 v129, v0
	s_mov_b32 s3, 0
.LBB123_977:                            ; =>This Inner Loop Header: Depth=1
	scratch_load_b64 v[130:131], v128, off
	ds_load_b64 v[132:133], v127
	s_wait_xcnt 0x0
	v_dual_add_nc_u32 v127, 8, v127 :: v_dual_add_nc_u32 v128, 8, v128
	s_wait_loadcnt_dscnt 0x0
	v_pk_mul_f32 v[134:135], v[132:133], v[130:131] op_sel:[1,1] op_sel_hi:[0,1]
	s_delay_alu instid0(VALU_DEP_1) | instskip(SKIP_2) | instid1(VALU_DEP_3)
	v_pk_fma_f32 v[136:137], v[132:133], v[130:131], v[134:135] op_sel_hi:[1,0,1]
	v_add_nc_u32_e32 v129, 1, v129
	v_pk_fma_f32 v[130:131], v[132:133], v[130:131], v[134:135] neg_lo:[0,0,1] neg_hi:[0,0,1]
	v_mov_b32_e32 v131, v137
	s_delay_alu instid0(VALU_DEP_3) | instskip(NEXT) | instid1(VALU_DEP_2)
	v_cmp_lt_u32_e32 vcc_lo, 37, v129
	v_pk_add_f32 v[124:125], v[124:125], v[130:131]
	s_or_b32 s3, vcc_lo, s3
	s_delay_alu instid0(SALU_CYCLE_1)
	s_and_not1_b32 exec_lo, exec_lo, s3
	s_cbranch_execnz .LBB123_977
; %bb.978:
	s_or_b32 exec_lo, exec_lo, s3
.LBB123_979:
	s_delay_alu instid0(SALU_CYCLE_1) | instskip(SKIP_4) | instid1(VALU_DEP_1)
	s_or_b32 exec_lo, exec_lo, s2
	v_mov_b32_e32 v127, 0
	ds_load_b64 v[128:129], v127 offset:312
	s_wait_dscnt 0x0
	v_pk_mul_f32 v[130:131], v[124:125], v[128:129] op_sel:[1,1] op_sel_hi:[0,1]
	v_pk_fma_f32 v[132:133], v[124:125], v[128:129], v[130:131] op_sel_hi:[1,0,1]
	v_pk_fma_f32 v[124:125], v[124:125], v[128:129], v[130:131] neg_lo:[0,0,1] neg_hi:[0,0,1]
	s_delay_alu instid0(VALU_DEP_2)
	v_mov_b32_e32 v125, v133
	scratch_store_b64 off, v[124:125], off offset:312
.LBB123_980:
	s_wait_xcnt 0x0
	s_or_b32 exec_lo, exec_lo, s0
	scratch_load_b64 v[124:125], off, off offset:320
	s_mov_b32 s0, exec_lo
	s_wait_loadcnt 0x0
	ds_store_b64 v1, v[124:125]
	s_wait_storecnt_dscnt 0x0
	s_barrier_signal -1
	s_barrier_wait -1
	s_wait_xcnt 0x0
	v_cmpx_gt_u32_e32 40, v0
	s_cbranch_execz .LBB123_990
; %bb.981:
	v_cmp_ne_u32_e32 vcc_lo, 1, v126
	s_cbranch_vccnz .LBB123_983
; %bb.982:
	scratch_load_b64 v[124:125], v59, off
	ds_load_b64 v[128:129], v1
	s_wait_loadcnt_dscnt 0x0
	v_pk_mul_f32 v[130:131], v[128:129], v[124:125] op_sel:[1,1] op_sel_hi:[0,1]
	s_delay_alu instid0(VALU_DEP_1) | instskip(SKIP_1) | instid1(VALU_DEP_2)
	v_pk_fma_f32 v[132:133], v[128:129], v[124:125], v[130:131] op_sel_hi:[1,0,1]
	v_pk_fma_f32 v[124:125], v[128:129], v[124:125], v[130:131] neg_lo:[0,0,1] neg_hi:[0,0,1]
	v_mov_b32_e32 v125, v133
	s_cbranch_execz .LBB123_984
	s_branch .LBB123_985
.LBB123_983:
                                        ; implicit-def: $vgpr124_vgpr125
.LBB123_984:
	ds_load_b64 v[124:125], v1
.LBB123_985:
	s_mov_b32 s2, exec_lo
	v_cmpx_ne_u32_e32 39, v0
	s_cbranch_execz .LBB123_989
; %bb.986:
	v_add_nc_u32_e32 v127, 0x1e8, v58
	v_add3_u32 v128, 0, v58, 8
	v_mov_b32_e32 v129, v0
	s_mov_b32 s3, 0
.LBB123_987:                            ; =>This Inner Loop Header: Depth=1
	scratch_load_b64 v[130:131], v128, off
	ds_load_b64 v[132:133], v127
	s_wait_xcnt 0x0
	v_dual_add_nc_u32 v127, 8, v127 :: v_dual_add_nc_u32 v128, 8, v128
	s_wait_loadcnt_dscnt 0x0
	v_pk_mul_f32 v[134:135], v[132:133], v[130:131] op_sel:[1,1] op_sel_hi:[0,1]
	s_delay_alu instid0(VALU_DEP_1) | instskip(SKIP_2) | instid1(VALU_DEP_3)
	v_pk_fma_f32 v[136:137], v[132:133], v[130:131], v[134:135] op_sel_hi:[1,0,1]
	v_add_nc_u32_e32 v129, 1, v129
	v_pk_fma_f32 v[130:131], v[132:133], v[130:131], v[134:135] neg_lo:[0,0,1] neg_hi:[0,0,1]
	v_mov_b32_e32 v131, v137
	s_delay_alu instid0(VALU_DEP_3) | instskip(NEXT) | instid1(VALU_DEP_2)
	v_cmp_lt_u32_e32 vcc_lo, 38, v129
	v_pk_add_f32 v[124:125], v[124:125], v[130:131]
	s_or_b32 s3, vcc_lo, s3
	s_delay_alu instid0(SALU_CYCLE_1)
	s_and_not1_b32 exec_lo, exec_lo, s3
	s_cbranch_execnz .LBB123_987
; %bb.988:
	s_or_b32 exec_lo, exec_lo, s3
.LBB123_989:
	s_delay_alu instid0(SALU_CYCLE_1) | instskip(SKIP_4) | instid1(VALU_DEP_1)
	s_or_b32 exec_lo, exec_lo, s2
	v_mov_b32_e32 v127, 0
	ds_load_b64 v[128:129], v127 offset:320
	s_wait_dscnt 0x0
	v_pk_mul_f32 v[130:131], v[124:125], v[128:129] op_sel:[1,1] op_sel_hi:[0,1]
	v_pk_fma_f32 v[132:133], v[124:125], v[128:129], v[130:131] op_sel_hi:[1,0,1]
	v_pk_fma_f32 v[124:125], v[124:125], v[128:129], v[130:131] neg_lo:[0,0,1] neg_hi:[0,0,1]
	s_delay_alu instid0(VALU_DEP_2)
	v_mov_b32_e32 v125, v133
	scratch_store_b64 off, v[124:125], off offset:320
.LBB123_990:
	s_wait_xcnt 0x0
	s_or_b32 exec_lo, exec_lo, s0
	scratch_load_b64 v[124:125], off, off offset:328
	s_mov_b32 s0, exec_lo
	s_wait_loadcnt 0x0
	ds_store_b64 v1, v[124:125]
	s_wait_storecnt_dscnt 0x0
	s_barrier_signal -1
	s_barrier_wait -1
	s_wait_xcnt 0x0
	v_cmpx_gt_u32_e32 41, v0
	s_cbranch_execz .LBB123_1000
; %bb.991:
	v_cmp_ne_u32_e32 vcc_lo, 1, v126
	s_cbranch_vccnz .LBB123_993
; %bb.992:
	scratch_load_b64 v[124:125], v59, off
	ds_load_b64 v[128:129], v1
	s_wait_loadcnt_dscnt 0x0
	v_pk_mul_f32 v[130:131], v[128:129], v[124:125] op_sel:[1,1] op_sel_hi:[0,1]
	s_delay_alu instid0(VALU_DEP_1) | instskip(SKIP_1) | instid1(VALU_DEP_2)
	v_pk_fma_f32 v[132:133], v[128:129], v[124:125], v[130:131] op_sel_hi:[1,0,1]
	v_pk_fma_f32 v[124:125], v[128:129], v[124:125], v[130:131] neg_lo:[0,0,1] neg_hi:[0,0,1]
	v_mov_b32_e32 v125, v133
	s_cbranch_execz .LBB123_994
	s_branch .LBB123_995
.LBB123_993:
                                        ; implicit-def: $vgpr124_vgpr125
.LBB123_994:
	ds_load_b64 v[124:125], v1
.LBB123_995:
	s_mov_b32 s2, exec_lo
	v_cmpx_ne_u32_e32 40, v0
	s_cbranch_execz .LBB123_999
; %bb.996:
	v_add_nc_u32_e32 v127, 0x1e8, v58
	v_add3_u32 v128, 0, v58, 8
	v_mov_b32_e32 v129, v0
	s_mov_b32 s3, 0
.LBB123_997:                            ; =>This Inner Loop Header: Depth=1
	scratch_load_b64 v[130:131], v128, off
	ds_load_b64 v[132:133], v127
	s_wait_xcnt 0x0
	v_dual_add_nc_u32 v127, 8, v127 :: v_dual_add_nc_u32 v128, 8, v128
	s_wait_loadcnt_dscnt 0x0
	v_pk_mul_f32 v[134:135], v[132:133], v[130:131] op_sel:[1,1] op_sel_hi:[0,1]
	s_delay_alu instid0(VALU_DEP_1) | instskip(SKIP_2) | instid1(VALU_DEP_3)
	v_pk_fma_f32 v[136:137], v[132:133], v[130:131], v[134:135] op_sel_hi:[1,0,1]
	v_add_nc_u32_e32 v129, 1, v129
	v_pk_fma_f32 v[130:131], v[132:133], v[130:131], v[134:135] neg_lo:[0,0,1] neg_hi:[0,0,1]
	v_mov_b32_e32 v131, v137
	s_delay_alu instid0(VALU_DEP_3) | instskip(NEXT) | instid1(VALU_DEP_2)
	v_cmp_lt_u32_e32 vcc_lo, 39, v129
	v_pk_add_f32 v[124:125], v[124:125], v[130:131]
	s_or_b32 s3, vcc_lo, s3
	s_delay_alu instid0(SALU_CYCLE_1)
	s_and_not1_b32 exec_lo, exec_lo, s3
	s_cbranch_execnz .LBB123_997
; %bb.998:
	s_or_b32 exec_lo, exec_lo, s3
.LBB123_999:
	s_delay_alu instid0(SALU_CYCLE_1) | instskip(SKIP_4) | instid1(VALU_DEP_1)
	s_or_b32 exec_lo, exec_lo, s2
	v_mov_b32_e32 v127, 0
	ds_load_b64 v[128:129], v127 offset:328
	s_wait_dscnt 0x0
	v_pk_mul_f32 v[130:131], v[124:125], v[128:129] op_sel:[1,1] op_sel_hi:[0,1]
	v_pk_fma_f32 v[132:133], v[124:125], v[128:129], v[130:131] op_sel_hi:[1,0,1]
	v_pk_fma_f32 v[124:125], v[124:125], v[128:129], v[130:131] neg_lo:[0,0,1] neg_hi:[0,0,1]
	s_delay_alu instid0(VALU_DEP_2)
	v_mov_b32_e32 v125, v133
	scratch_store_b64 off, v[124:125], off offset:328
.LBB123_1000:
	s_wait_xcnt 0x0
	s_or_b32 exec_lo, exec_lo, s0
	scratch_load_b64 v[124:125], off, off offset:336
	s_mov_b32 s0, exec_lo
	s_wait_loadcnt 0x0
	ds_store_b64 v1, v[124:125]
	s_wait_storecnt_dscnt 0x0
	s_barrier_signal -1
	s_barrier_wait -1
	s_wait_xcnt 0x0
	v_cmpx_gt_u32_e32 42, v0
	s_cbranch_execz .LBB123_1010
; %bb.1001:
	v_cmp_ne_u32_e32 vcc_lo, 1, v126
	s_cbranch_vccnz .LBB123_1003
; %bb.1002:
	scratch_load_b64 v[124:125], v59, off
	ds_load_b64 v[128:129], v1
	s_wait_loadcnt_dscnt 0x0
	v_pk_mul_f32 v[130:131], v[128:129], v[124:125] op_sel:[1,1] op_sel_hi:[0,1]
	s_delay_alu instid0(VALU_DEP_1) | instskip(SKIP_1) | instid1(VALU_DEP_2)
	v_pk_fma_f32 v[132:133], v[128:129], v[124:125], v[130:131] op_sel_hi:[1,0,1]
	v_pk_fma_f32 v[124:125], v[128:129], v[124:125], v[130:131] neg_lo:[0,0,1] neg_hi:[0,0,1]
	v_mov_b32_e32 v125, v133
	s_cbranch_execz .LBB123_1004
	s_branch .LBB123_1005
.LBB123_1003:
                                        ; implicit-def: $vgpr124_vgpr125
.LBB123_1004:
	ds_load_b64 v[124:125], v1
.LBB123_1005:
	s_mov_b32 s2, exec_lo
	v_cmpx_ne_u32_e32 41, v0
	s_cbranch_execz .LBB123_1009
; %bb.1006:
	v_add_nc_u32_e32 v127, 0x1e8, v58
	v_add3_u32 v128, 0, v58, 8
	v_mov_b32_e32 v129, v0
	s_mov_b32 s3, 0
.LBB123_1007:                           ; =>This Inner Loop Header: Depth=1
	scratch_load_b64 v[130:131], v128, off
	ds_load_b64 v[132:133], v127
	s_wait_xcnt 0x0
	v_dual_add_nc_u32 v127, 8, v127 :: v_dual_add_nc_u32 v128, 8, v128
	s_wait_loadcnt_dscnt 0x0
	v_pk_mul_f32 v[134:135], v[132:133], v[130:131] op_sel:[1,1] op_sel_hi:[0,1]
	s_delay_alu instid0(VALU_DEP_1) | instskip(SKIP_2) | instid1(VALU_DEP_3)
	v_pk_fma_f32 v[136:137], v[132:133], v[130:131], v[134:135] op_sel_hi:[1,0,1]
	v_add_nc_u32_e32 v129, 1, v129
	v_pk_fma_f32 v[130:131], v[132:133], v[130:131], v[134:135] neg_lo:[0,0,1] neg_hi:[0,0,1]
	v_mov_b32_e32 v131, v137
	s_delay_alu instid0(VALU_DEP_3) | instskip(NEXT) | instid1(VALU_DEP_2)
	v_cmp_lt_u32_e32 vcc_lo, 40, v129
	v_pk_add_f32 v[124:125], v[124:125], v[130:131]
	s_or_b32 s3, vcc_lo, s3
	s_delay_alu instid0(SALU_CYCLE_1)
	s_and_not1_b32 exec_lo, exec_lo, s3
	s_cbranch_execnz .LBB123_1007
; %bb.1008:
	s_or_b32 exec_lo, exec_lo, s3
.LBB123_1009:
	s_delay_alu instid0(SALU_CYCLE_1) | instskip(SKIP_4) | instid1(VALU_DEP_1)
	s_or_b32 exec_lo, exec_lo, s2
	v_mov_b32_e32 v127, 0
	ds_load_b64 v[128:129], v127 offset:336
	s_wait_dscnt 0x0
	v_pk_mul_f32 v[130:131], v[124:125], v[128:129] op_sel:[1,1] op_sel_hi:[0,1]
	v_pk_fma_f32 v[132:133], v[124:125], v[128:129], v[130:131] op_sel_hi:[1,0,1]
	v_pk_fma_f32 v[124:125], v[124:125], v[128:129], v[130:131] neg_lo:[0,0,1] neg_hi:[0,0,1]
	s_delay_alu instid0(VALU_DEP_2)
	v_mov_b32_e32 v125, v133
	scratch_store_b64 off, v[124:125], off offset:336
.LBB123_1010:
	s_wait_xcnt 0x0
	s_or_b32 exec_lo, exec_lo, s0
	scratch_load_b64 v[124:125], off, off offset:344
	s_mov_b32 s0, exec_lo
	s_wait_loadcnt 0x0
	ds_store_b64 v1, v[124:125]
	s_wait_storecnt_dscnt 0x0
	s_barrier_signal -1
	s_barrier_wait -1
	s_wait_xcnt 0x0
	v_cmpx_gt_u32_e32 43, v0
	s_cbranch_execz .LBB123_1020
; %bb.1011:
	v_cmp_ne_u32_e32 vcc_lo, 1, v126
	s_cbranch_vccnz .LBB123_1013
; %bb.1012:
	scratch_load_b64 v[124:125], v59, off
	ds_load_b64 v[128:129], v1
	s_wait_loadcnt_dscnt 0x0
	v_pk_mul_f32 v[130:131], v[128:129], v[124:125] op_sel:[1,1] op_sel_hi:[0,1]
	s_delay_alu instid0(VALU_DEP_1) | instskip(SKIP_1) | instid1(VALU_DEP_2)
	v_pk_fma_f32 v[132:133], v[128:129], v[124:125], v[130:131] op_sel_hi:[1,0,1]
	v_pk_fma_f32 v[124:125], v[128:129], v[124:125], v[130:131] neg_lo:[0,0,1] neg_hi:[0,0,1]
	v_mov_b32_e32 v125, v133
	s_cbranch_execz .LBB123_1014
	s_branch .LBB123_1015
.LBB123_1013:
                                        ; implicit-def: $vgpr124_vgpr125
.LBB123_1014:
	ds_load_b64 v[124:125], v1
.LBB123_1015:
	s_mov_b32 s2, exec_lo
	v_cmpx_ne_u32_e32 42, v0
	s_cbranch_execz .LBB123_1019
; %bb.1016:
	v_add_nc_u32_e32 v127, 0x1e8, v58
	v_add3_u32 v128, 0, v58, 8
	v_mov_b32_e32 v129, v0
	s_mov_b32 s3, 0
.LBB123_1017:                           ; =>This Inner Loop Header: Depth=1
	scratch_load_b64 v[130:131], v128, off
	ds_load_b64 v[132:133], v127
	s_wait_xcnt 0x0
	v_dual_add_nc_u32 v127, 8, v127 :: v_dual_add_nc_u32 v128, 8, v128
	s_wait_loadcnt_dscnt 0x0
	v_pk_mul_f32 v[134:135], v[132:133], v[130:131] op_sel:[1,1] op_sel_hi:[0,1]
	s_delay_alu instid0(VALU_DEP_1) | instskip(SKIP_2) | instid1(VALU_DEP_3)
	v_pk_fma_f32 v[136:137], v[132:133], v[130:131], v[134:135] op_sel_hi:[1,0,1]
	v_add_nc_u32_e32 v129, 1, v129
	v_pk_fma_f32 v[130:131], v[132:133], v[130:131], v[134:135] neg_lo:[0,0,1] neg_hi:[0,0,1]
	v_mov_b32_e32 v131, v137
	s_delay_alu instid0(VALU_DEP_3) | instskip(NEXT) | instid1(VALU_DEP_2)
	v_cmp_lt_u32_e32 vcc_lo, 41, v129
	v_pk_add_f32 v[124:125], v[124:125], v[130:131]
	s_or_b32 s3, vcc_lo, s3
	s_delay_alu instid0(SALU_CYCLE_1)
	s_and_not1_b32 exec_lo, exec_lo, s3
	s_cbranch_execnz .LBB123_1017
; %bb.1018:
	s_or_b32 exec_lo, exec_lo, s3
.LBB123_1019:
	s_delay_alu instid0(SALU_CYCLE_1) | instskip(SKIP_4) | instid1(VALU_DEP_1)
	s_or_b32 exec_lo, exec_lo, s2
	v_mov_b32_e32 v127, 0
	ds_load_b64 v[128:129], v127 offset:344
	s_wait_dscnt 0x0
	v_pk_mul_f32 v[130:131], v[124:125], v[128:129] op_sel:[1,1] op_sel_hi:[0,1]
	v_pk_fma_f32 v[132:133], v[124:125], v[128:129], v[130:131] op_sel_hi:[1,0,1]
	v_pk_fma_f32 v[124:125], v[124:125], v[128:129], v[130:131] neg_lo:[0,0,1] neg_hi:[0,0,1]
	s_delay_alu instid0(VALU_DEP_2)
	v_mov_b32_e32 v125, v133
	scratch_store_b64 off, v[124:125], off offset:344
.LBB123_1020:
	s_wait_xcnt 0x0
	s_or_b32 exec_lo, exec_lo, s0
	scratch_load_b64 v[124:125], off, off offset:352
	s_mov_b32 s0, exec_lo
	s_wait_loadcnt 0x0
	ds_store_b64 v1, v[124:125]
	s_wait_storecnt_dscnt 0x0
	s_barrier_signal -1
	s_barrier_wait -1
	s_wait_xcnt 0x0
	v_cmpx_gt_u32_e32 44, v0
	s_cbranch_execz .LBB123_1030
; %bb.1021:
	v_cmp_ne_u32_e32 vcc_lo, 1, v126
	s_cbranch_vccnz .LBB123_1023
; %bb.1022:
	scratch_load_b64 v[124:125], v59, off
	ds_load_b64 v[128:129], v1
	s_wait_loadcnt_dscnt 0x0
	v_pk_mul_f32 v[130:131], v[128:129], v[124:125] op_sel:[1,1] op_sel_hi:[0,1]
	s_delay_alu instid0(VALU_DEP_1) | instskip(SKIP_1) | instid1(VALU_DEP_2)
	v_pk_fma_f32 v[132:133], v[128:129], v[124:125], v[130:131] op_sel_hi:[1,0,1]
	v_pk_fma_f32 v[124:125], v[128:129], v[124:125], v[130:131] neg_lo:[0,0,1] neg_hi:[0,0,1]
	v_mov_b32_e32 v125, v133
	s_cbranch_execz .LBB123_1024
	s_branch .LBB123_1025
.LBB123_1023:
                                        ; implicit-def: $vgpr124_vgpr125
.LBB123_1024:
	ds_load_b64 v[124:125], v1
.LBB123_1025:
	s_mov_b32 s2, exec_lo
	v_cmpx_ne_u32_e32 43, v0
	s_cbranch_execz .LBB123_1029
; %bb.1026:
	v_add_nc_u32_e32 v127, 0x1e8, v58
	v_add3_u32 v128, 0, v58, 8
	v_mov_b32_e32 v129, v0
	s_mov_b32 s3, 0
.LBB123_1027:                           ; =>This Inner Loop Header: Depth=1
	scratch_load_b64 v[130:131], v128, off
	ds_load_b64 v[132:133], v127
	s_wait_xcnt 0x0
	v_dual_add_nc_u32 v127, 8, v127 :: v_dual_add_nc_u32 v128, 8, v128
	s_wait_loadcnt_dscnt 0x0
	v_pk_mul_f32 v[134:135], v[132:133], v[130:131] op_sel:[1,1] op_sel_hi:[0,1]
	s_delay_alu instid0(VALU_DEP_1) | instskip(SKIP_2) | instid1(VALU_DEP_3)
	v_pk_fma_f32 v[136:137], v[132:133], v[130:131], v[134:135] op_sel_hi:[1,0,1]
	v_add_nc_u32_e32 v129, 1, v129
	v_pk_fma_f32 v[130:131], v[132:133], v[130:131], v[134:135] neg_lo:[0,0,1] neg_hi:[0,0,1]
	v_mov_b32_e32 v131, v137
	s_delay_alu instid0(VALU_DEP_3) | instskip(NEXT) | instid1(VALU_DEP_2)
	v_cmp_lt_u32_e32 vcc_lo, 42, v129
	v_pk_add_f32 v[124:125], v[124:125], v[130:131]
	s_or_b32 s3, vcc_lo, s3
	s_delay_alu instid0(SALU_CYCLE_1)
	s_and_not1_b32 exec_lo, exec_lo, s3
	s_cbranch_execnz .LBB123_1027
; %bb.1028:
	s_or_b32 exec_lo, exec_lo, s3
.LBB123_1029:
	s_delay_alu instid0(SALU_CYCLE_1) | instskip(SKIP_4) | instid1(VALU_DEP_1)
	s_or_b32 exec_lo, exec_lo, s2
	v_mov_b32_e32 v127, 0
	ds_load_b64 v[128:129], v127 offset:352
	s_wait_dscnt 0x0
	v_pk_mul_f32 v[130:131], v[124:125], v[128:129] op_sel:[1,1] op_sel_hi:[0,1]
	v_pk_fma_f32 v[132:133], v[124:125], v[128:129], v[130:131] op_sel_hi:[1,0,1]
	v_pk_fma_f32 v[124:125], v[124:125], v[128:129], v[130:131] neg_lo:[0,0,1] neg_hi:[0,0,1]
	s_delay_alu instid0(VALU_DEP_2)
	v_mov_b32_e32 v125, v133
	scratch_store_b64 off, v[124:125], off offset:352
.LBB123_1030:
	s_wait_xcnt 0x0
	s_or_b32 exec_lo, exec_lo, s0
	scratch_load_b64 v[124:125], off, off offset:360
	s_mov_b32 s0, exec_lo
	s_wait_loadcnt 0x0
	ds_store_b64 v1, v[124:125]
	s_wait_storecnt_dscnt 0x0
	s_barrier_signal -1
	s_barrier_wait -1
	s_wait_xcnt 0x0
	v_cmpx_gt_u32_e32 45, v0
	s_cbranch_execz .LBB123_1040
; %bb.1031:
	v_cmp_ne_u32_e32 vcc_lo, 1, v126
	s_cbranch_vccnz .LBB123_1033
; %bb.1032:
	scratch_load_b64 v[124:125], v59, off
	ds_load_b64 v[128:129], v1
	s_wait_loadcnt_dscnt 0x0
	v_pk_mul_f32 v[130:131], v[128:129], v[124:125] op_sel:[1,1] op_sel_hi:[0,1]
	s_delay_alu instid0(VALU_DEP_1) | instskip(SKIP_1) | instid1(VALU_DEP_2)
	v_pk_fma_f32 v[132:133], v[128:129], v[124:125], v[130:131] op_sel_hi:[1,0,1]
	v_pk_fma_f32 v[124:125], v[128:129], v[124:125], v[130:131] neg_lo:[0,0,1] neg_hi:[0,0,1]
	v_mov_b32_e32 v125, v133
	s_cbranch_execz .LBB123_1034
	s_branch .LBB123_1035
.LBB123_1033:
                                        ; implicit-def: $vgpr124_vgpr125
.LBB123_1034:
	ds_load_b64 v[124:125], v1
.LBB123_1035:
	s_mov_b32 s2, exec_lo
	v_cmpx_ne_u32_e32 44, v0
	s_cbranch_execz .LBB123_1039
; %bb.1036:
	v_add_nc_u32_e32 v127, 0x1e8, v58
	v_add3_u32 v128, 0, v58, 8
	v_mov_b32_e32 v129, v0
	s_mov_b32 s3, 0
.LBB123_1037:                           ; =>This Inner Loop Header: Depth=1
	scratch_load_b64 v[130:131], v128, off
	ds_load_b64 v[132:133], v127
	s_wait_xcnt 0x0
	v_dual_add_nc_u32 v127, 8, v127 :: v_dual_add_nc_u32 v128, 8, v128
	s_wait_loadcnt_dscnt 0x0
	v_pk_mul_f32 v[134:135], v[132:133], v[130:131] op_sel:[1,1] op_sel_hi:[0,1]
	s_delay_alu instid0(VALU_DEP_1) | instskip(SKIP_2) | instid1(VALU_DEP_3)
	v_pk_fma_f32 v[136:137], v[132:133], v[130:131], v[134:135] op_sel_hi:[1,0,1]
	v_add_nc_u32_e32 v129, 1, v129
	v_pk_fma_f32 v[130:131], v[132:133], v[130:131], v[134:135] neg_lo:[0,0,1] neg_hi:[0,0,1]
	v_mov_b32_e32 v131, v137
	s_delay_alu instid0(VALU_DEP_3) | instskip(NEXT) | instid1(VALU_DEP_2)
	v_cmp_lt_u32_e32 vcc_lo, 43, v129
	v_pk_add_f32 v[124:125], v[124:125], v[130:131]
	s_or_b32 s3, vcc_lo, s3
	s_delay_alu instid0(SALU_CYCLE_1)
	s_and_not1_b32 exec_lo, exec_lo, s3
	s_cbranch_execnz .LBB123_1037
; %bb.1038:
	s_or_b32 exec_lo, exec_lo, s3
.LBB123_1039:
	s_delay_alu instid0(SALU_CYCLE_1) | instskip(SKIP_4) | instid1(VALU_DEP_1)
	s_or_b32 exec_lo, exec_lo, s2
	v_mov_b32_e32 v127, 0
	ds_load_b64 v[128:129], v127 offset:360
	s_wait_dscnt 0x0
	v_pk_mul_f32 v[130:131], v[124:125], v[128:129] op_sel:[1,1] op_sel_hi:[0,1]
	v_pk_fma_f32 v[132:133], v[124:125], v[128:129], v[130:131] op_sel_hi:[1,0,1]
	v_pk_fma_f32 v[124:125], v[124:125], v[128:129], v[130:131] neg_lo:[0,0,1] neg_hi:[0,0,1]
	s_delay_alu instid0(VALU_DEP_2)
	v_mov_b32_e32 v125, v133
	scratch_store_b64 off, v[124:125], off offset:360
.LBB123_1040:
	s_wait_xcnt 0x0
	s_or_b32 exec_lo, exec_lo, s0
	scratch_load_b64 v[124:125], off, off offset:368
	s_mov_b32 s0, exec_lo
	s_wait_loadcnt 0x0
	ds_store_b64 v1, v[124:125]
	s_wait_storecnt_dscnt 0x0
	s_barrier_signal -1
	s_barrier_wait -1
	s_wait_xcnt 0x0
	v_cmpx_gt_u32_e32 46, v0
	s_cbranch_execz .LBB123_1050
; %bb.1041:
	v_cmp_ne_u32_e32 vcc_lo, 1, v126
	s_cbranch_vccnz .LBB123_1043
; %bb.1042:
	scratch_load_b64 v[124:125], v59, off
	ds_load_b64 v[128:129], v1
	s_wait_loadcnt_dscnt 0x0
	v_pk_mul_f32 v[130:131], v[128:129], v[124:125] op_sel:[1,1] op_sel_hi:[0,1]
	s_delay_alu instid0(VALU_DEP_1) | instskip(SKIP_1) | instid1(VALU_DEP_2)
	v_pk_fma_f32 v[132:133], v[128:129], v[124:125], v[130:131] op_sel_hi:[1,0,1]
	v_pk_fma_f32 v[124:125], v[128:129], v[124:125], v[130:131] neg_lo:[0,0,1] neg_hi:[0,0,1]
	v_mov_b32_e32 v125, v133
	s_cbranch_execz .LBB123_1044
	s_branch .LBB123_1045
.LBB123_1043:
                                        ; implicit-def: $vgpr124_vgpr125
.LBB123_1044:
	ds_load_b64 v[124:125], v1
.LBB123_1045:
	s_mov_b32 s2, exec_lo
	v_cmpx_ne_u32_e32 45, v0
	s_cbranch_execz .LBB123_1049
; %bb.1046:
	v_add_nc_u32_e32 v127, 0x1e8, v58
	v_add3_u32 v128, 0, v58, 8
	v_mov_b32_e32 v129, v0
	s_mov_b32 s3, 0
.LBB123_1047:                           ; =>This Inner Loop Header: Depth=1
	scratch_load_b64 v[130:131], v128, off
	ds_load_b64 v[132:133], v127
	s_wait_xcnt 0x0
	v_dual_add_nc_u32 v127, 8, v127 :: v_dual_add_nc_u32 v128, 8, v128
	s_wait_loadcnt_dscnt 0x0
	v_pk_mul_f32 v[134:135], v[132:133], v[130:131] op_sel:[1,1] op_sel_hi:[0,1]
	s_delay_alu instid0(VALU_DEP_1) | instskip(SKIP_2) | instid1(VALU_DEP_3)
	v_pk_fma_f32 v[136:137], v[132:133], v[130:131], v[134:135] op_sel_hi:[1,0,1]
	v_add_nc_u32_e32 v129, 1, v129
	v_pk_fma_f32 v[130:131], v[132:133], v[130:131], v[134:135] neg_lo:[0,0,1] neg_hi:[0,0,1]
	v_mov_b32_e32 v131, v137
	s_delay_alu instid0(VALU_DEP_3) | instskip(NEXT) | instid1(VALU_DEP_2)
	v_cmp_lt_u32_e32 vcc_lo, 44, v129
	v_pk_add_f32 v[124:125], v[124:125], v[130:131]
	s_or_b32 s3, vcc_lo, s3
	s_delay_alu instid0(SALU_CYCLE_1)
	s_and_not1_b32 exec_lo, exec_lo, s3
	s_cbranch_execnz .LBB123_1047
; %bb.1048:
	s_or_b32 exec_lo, exec_lo, s3
.LBB123_1049:
	s_delay_alu instid0(SALU_CYCLE_1) | instskip(SKIP_4) | instid1(VALU_DEP_1)
	s_or_b32 exec_lo, exec_lo, s2
	v_mov_b32_e32 v127, 0
	ds_load_b64 v[128:129], v127 offset:368
	s_wait_dscnt 0x0
	v_pk_mul_f32 v[130:131], v[124:125], v[128:129] op_sel:[1,1] op_sel_hi:[0,1]
	v_pk_fma_f32 v[132:133], v[124:125], v[128:129], v[130:131] op_sel_hi:[1,0,1]
	v_pk_fma_f32 v[124:125], v[124:125], v[128:129], v[130:131] neg_lo:[0,0,1] neg_hi:[0,0,1]
	s_delay_alu instid0(VALU_DEP_2)
	v_mov_b32_e32 v125, v133
	scratch_store_b64 off, v[124:125], off offset:368
.LBB123_1050:
	s_wait_xcnt 0x0
	s_or_b32 exec_lo, exec_lo, s0
	scratch_load_b64 v[124:125], off, off offset:376
	s_mov_b32 s0, exec_lo
	s_wait_loadcnt 0x0
	ds_store_b64 v1, v[124:125]
	s_wait_storecnt_dscnt 0x0
	s_barrier_signal -1
	s_barrier_wait -1
	s_wait_xcnt 0x0
	v_cmpx_gt_u32_e32 47, v0
	s_cbranch_execz .LBB123_1060
; %bb.1051:
	v_cmp_ne_u32_e32 vcc_lo, 1, v126
	s_cbranch_vccnz .LBB123_1053
; %bb.1052:
	scratch_load_b64 v[124:125], v59, off
	ds_load_b64 v[128:129], v1
	s_wait_loadcnt_dscnt 0x0
	v_pk_mul_f32 v[130:131], v[128:129], v[124:125] op_sel:[1,1] op_sel_hi:[0,1]
	s_delay_alu instid0(VALU_DEP_1) | instskip(SKIP_1) | instid1(VALU_DEP_2)
	v_pk_fma_f32 v[132:133], v[128:129], v[124:125], v[130:131] op_sel_hi:[1,0,1]
	v_pk_fma_f32 v[124:125], v[128:129], v[124:125], v[130:131] neg_lo:[0,0,1] neg_hi:[0,0,1]
	v_mov_b32_e32 v125, v133
	s_cbranch_execz .LBB123_1054
	s_branch .LBB123_1055
.LBB123_1053:
                                        ; implicit-def: $vgpr124_vgpr125
.LBB123_1054:
	ds_load_b64 v[124:125], v1
.LBB123_1055:
	s_mov_b32 s2, exec_lo
	v_cmpx_ne_u32_e32 46, v0
	s_cbranch_execz .LBB123_1059
; %bb.1056:
	v_add_nc_u32_e32 v127, 0x1e8, v58
	v_add3_u32 v128, 0, v58, 8
	v_mov_b32_e32 v129, v0
	s_mov_b32 s3, 0
.LBB123_1057:                           ; =>This Inner Loop Header: Depth=1
	scratch_load_b64 v[130:131], v128, off
	ds_load_b64 v[132:133], v127
	s_wait_xcnt 0x0
	v_dual_add_nc_u32 v127, 8, v127 :: v_dual_add_nc_u32 v128, 8, v128
	s_wait_loadcnt_dscnt 0x0
	v_pk_mul_f32 v[134:135], v[132:133], v[130:131] op_sel:[1,1] op_sel_hi:[0,1]
	s_delay_alu instid0(VALU_DEP_1) | instskip(SKIP_2) | instid1(VALU_DEP_3)
	v_pk_fma_f32 v[136:137], v[132:133], v[130:131], v[134:135] op_sel_hi:[1,0,1]
	v_add_nc_u32_e32 v129, 1, v129
	v_pk_fma_f32 v[130:131], v[132:133], v[130:131], v[134:135] neg_lo:[0,0,1] neg_hi:[0,0,1]
	v_mov_b32_e32 v131, v137
	s_delay_alu instid0(VALU_DEP_3) | instskip(NEXT) | instid1(VALU_DEP_2)
	v_cmp_lt_u32_e32 vcc_lo, 45, v129
	v_pk_add_f32 v[124:125], v[124:125], v[130:131]
	s_or_b32 s3, vcc_lo, s3
	s_delay_alu instid0(SALU_CYCLE_1)
	s_and_not1_b32 exec_lo, exec_lo, s3
	s_cbranch_execnz .LBB123_1057
; %bb.1058:
	s_or_b32 exec_lo, exec_lo, s3
.LBB123_1059:
	s_delay_alu instid0(SALU_CYCLE_1) | instskip(SKIP_4) | instid1(VALU_DEP_1)
	s_or_b32 exec_lo, exec_lo, s2
	v_mov_b32_e32 v127, 0
	ds_load_b64 v[128:129], v127 offset:376
	s_wait_dscnt 0x0
	v_pk_mul_f32 v[130:131], v[124:125], v[128:129] op_sel:[1,1] op_sel_hi:[0,1]
	v_pk_fma_f32 v[132:133], v[124:125], v[128:129], v[130:131] op_sel_hi:[1,0,1]
	v_pk_fma_f32 v[124:125], v[124:125], v[128:129], v[130:131] neg_lo:[0,0,1] neg_hi:[0,0,1]
	s_delay_alu instid0(VALU_DEP_2)
	v_mov_b32_e32 v125, v133
	scratch_store_b64 off, v[124:125], off offset:376
.LBB123_1060:
	s_wait_xcnt 0x0
	s_or_b32 exec_lo, exec_lo, s0
	scratch_load_b64 v[124:125], off, off offset:384
	s_mov_b32 s0, exec_lo
	s_wait_loadcnt 0x0
	ds_store_b64 v1, v[124:125]
	s_wait_storecnt_dscnt 0x0
	s_barrier_signal -1
	s_barrier_wait -1
	s_wait_xcnt 0x0
	v_cmpx_gt_u32_e32 48, v0
	s_cbranch_execz .LBB123_1070
; %bb.1061:
	v_cmp_ne_u32_e32 vcc_lo, 1, v126
	s_cbranch_vccnz .LBB123_1063
; %bb.1062:
	scratch_load_b64 v[124:125], v59, off
	ds_load_b64 v[128:129], v1
	s_wait_loadcnt_dscnt 0x0
	v_pk_mul_f32 v[130:131], v[128:129], v[124:125] op_sel:[1,1] op_sel_hi:[0,1]
	s_delay_alu instid0(VALU_DEP_1) | instskip(SKIP_1) | instid1(VALU_DEP_2)
	v_pk_fma_f32 v[132:133], v[128:129], v[124:125], v[130:131] op_sel_hi:[1,0,1]
	v_pk_fma_f32 v[124:125], v[128:129], v[124:125], v[130:131] neg_lo:[0,0,1] neg_hi:[0,0,1]
	v_mov_b32_e32 v125, v133
	s_cbranch_execz .LBB123_1064
	s_branch .LBB123_1065
.LBB123_1063:
                                        ; implicit-def: $vgpr124_vgpr125
.LBB123_1064:
	ds_load_b64 v[124:125], v1
.LBB123_1065:
	s_mov_b32 s2, exec_lo
	v_cmpx_ne_u32_e32 47, v0
	s_cbranch_execz .LBB123_1069
; %bb.1066:
	v_add_nc_u32_e32 v127, 0x1e8, v58
	v_add3_u32 v128, 0, v58, 8
	v_mov_b32_e32 v129, v0
	s_mov_b32 s3, 0
.LBB123_1067:                           ; =>This Inner Loop Header: Depth=1
	scratch_load_b64 v[130:131], v128, off
	ds_load_b64 v[132:133], v127
	s_wait_xcnt 0x0
	v_dual_add_nc_u32 v127, 8, v127 :: v_dual_add_nc_u32 v128, 8, v128
	s_wait_loadcnt_dscnt 0x0
	v_pk_mul_f32 v[134:135], v[132:133], v[130:131] op_sel:[1,1] op_sel_hi:[0,1]
	s_delay_alu instid0(VALU_DEP_1) | instskip(SKIP_2) | instid1(VALU_DEP_3)
	v_pk_fma_f32 v[136:137], v[132:133], v[130:131], v[134:135] op_sel_hi:[1,0,1]
	v_add_nc_u32_e32 v129, 1, v129
	v_pk_fma_f32 v[130:131], v[132:133], v[130:131], v[134:135] neg_lo:[0,0,1] neg_hi:[0,0,1]
	v_mov_b32_e32 v131, v137
	s_delay_alu instid0(VALU_DEP_3) | instskip(NEXT) | instid1(VALU_DEP_2)
	v_cmp_lt_u32_e32 vcc_lo, 46, v129
	v_pk_add_f32 v[124:125], v[124:125], v[130:131]
	s_or_b32 s3, vcc_lo, s3
	s_delay_alu instid0(SALU_CYCLE_1)
	s_and_not1_b32 exec_lo, exec_lo, s3
	s_cbranch_execnz .LBB123_1067
; %bb.1068:
	s_or_b32 exec_lo, exec_lo, s3
.LBB123_1069:
	s_delay_alu instid0(SALU_CYCLE_1) | instskip(SKIP_4) | instid1(VALU_DEP_1)
	s_or_b32 exec_lo, exec_lo, s2
	v_mov_b32_e32 v127, 0
	ds_load_b64 v[128:129], v127 offset:384
	s_wait_dscnt 0x0
	v_pk_mul_f32 v[130:131], v[124:125], v[128:129] op_sel:[1,1] op_sel_hi:[0,1]
	v_pk_fma_f32 v[132:133], v[124:125], v[128:129], v[130:131] op_sel_hi:[1,0,1]
	v_pk_fma_f32 v[124:125], v[124:125], v[128:129], v[130:131] neg_lo:[0,0,1] neg_hi:[0,0,1]
	s_delay_alu instid0(VALU_DEP_2)
	v_mov_b32_e32 v125, v133
	scratch_store_b64 off, v[124:125], off offset:384
.LBB123_1070:
	s_wait_xcnt 0x0
	s_or_b32 exec_lo, exec_lo, s0
	scratch_load_b64 v[124:125], off, off offset:392
	s_mov_b32 s0, exec_lo
	s_wait_loadcnt 0x0
	ds_store_b64 v1, v[124:125]
	s_wait_storecnt_dscnt 0x0
	s_barrier_signal -1
	s_barrier_wait -1
	s_wait_xcnt 0x0
	v_cmpx_gt_u32_e32 49, v0
	s_cbranch_execz .LBB123_1080
; %bb.1071:
	v_cmp_ne_u32_e32 vcc_lo, 1, v126
	s_cbranch_vccnz .LBB123_1073
; %bb.1072:
	scratch_load_b64 v[124:125], v59, off
	ds_load_b64 v[128:129], v1
	s_wait_loadcnt_dscnt 0x0
	v_pk_mul_f32 v[130:131], v[128:129], v[124:125] op_sel:[1,1] op_sel_hi:[0,1]
	s_delay_alu instid0(VALU_DEP_1) | instskip(SKIP_1) | instid1(VALU_DEP_2)
	v_pk_fma_f32 v[132:133], v[128:129], v[124:125], v[130:131] op_sel_hi:[1,0,1]
	v_pk_fma_f32 v[124:125], v[128:129], v[124:125], v[130:131] neg_lo:[0,0,1] neg_hi:[0,0,1]
	v_mov_b32_e32 v125, v133
	s_cbranch_execz .LBB123_1074
	s_branch .LBB123_1075
.LBB123_1073:
                                        ; implicit-def: $vgpr124_vgpr125
.LBB123_1074:
	ds_load_b64 v[124:125], v1
.LBB123_1075:
	s_mov_b32 s2, exec_lo
	v_cmpx_ne_u32_e32 48, v0
	s_cbranch_execz .LBB123_1079
; %bb.1076:
	v_add_nc_u32_e32 v127, 0x1e8, v58
	v_add3_u32 v128, 0, v58, 8
	v_mov_b32_e32 v129, v0
	s_mov_b32 s3, 0
.LBB123_1077:                           ; =>This Inner Loop Header: Depth=1
	scratch_load_b64 v[130:131], v128, off
	ds_load_b64 v[132:133], v127
	s_wait_xcnt 0x0
	v_dual_add_nc_u32 v127, 8, v127 :: v_dual_add_nc_u32 v128, 8, v128
	s_wait_loadcnt_dscnt 0x0
	v_pk_mul_f32 v[134:135], v[132:133], v[130:131] op_sel:[1,1] op_sel_hi:[0,1]
	s_delay_alu instid0(VALU_DEP_1) | instskip(SKIP_2) | instid1(VALU_DEP_3)
	v_pk_fma_f32 v[136:137], v[132:133], v[130:131], v[134:135] op_sel_hi:[1,0,1]
	v_add_nc_u32_e32 v129, 1, v129
	v_pk_fma_f32 v[130:131], v[132:133], v[130:131], v[134:135] neg_lo:[0,0,1] neg_hi:[0,0,1]
	v_mov_b32_e32 v131, v137
	s_delay_alu instid0(VALU_DEP_3) | instskip(NEXT) | instid1(VALU_DEP_2)
	v_cmp_lt_u32_e32 vcc_lo, 47, v129
	v_pk_add_f32 v[124:125], v[124:125], v[130:131]
	s_or_b32 s3, vcc_lo, s3
	s_delay_alu instid0(SALU_CYCLE_1)
	s_and_not1_b32 exec_lo, exec_lo, s3
	s_cbranch_execnz .LBB123_1077
; %bb.1078:
	s_or_b32 exec_lo, exec_lo, s3
.LBB123_1079:
	s_delay_alu instid0(SALU_CYCLE_1) | instskip(SKIP_4) | instid1(VALU_DEP_1)
	s_or_b32 exec_lo, exec_lo, s2
	v_mov_b32_e32 v127, 0
	ds_load_b64 v[128:129], v127 offset:392
	s_wait_dscnt 0x0
	v_pk_mul_f32 v[130:131], v[124:125], v[128:129] op_sel:[1,1] op_sel_hi:[0,1]
	v_pk_fma_f32 v[132:133], v[124:125], v[128:129], v[130:131] op_sel_hi:[1,0,1]
	v_pk_fma_f32 v[124:125], v[124:125], v[128:129], v[130:131] neg_lo:[0,0,1] neg_hi:[0,0,1]
	s_delay_alu instid0(VALU_DEP_2)
	v_mov_b32_e32 v125, v133
	scratch_store_b64 off, v[124:125], off offset:392
.LBB123_1080:
	s_wait_xcnt 0x0
	s_or_b32 exec_lo, exec_lo, s0
	scratch_load_b64 v[124:125], off, off offset:400
	s_mov_b32 s0, exec_lo
	s_wait_loadcnt 0x0
	ds_store_b64 v1, v[124:125]
	s_wait_storecnt_dscnt 0x0
	s_barrier_signal -1
	s_barrier_wait -1
	s_wait_xcnt 0x0
	v_cmpx_gt_u32_e32 50, v0
	s_cbranch_execz .LBB123_1090
; %bb.1081:
	v_cmp_ne_u32_e32 vcc_lo, 1, v126
	s_cbranch_vccnz .LBB123_1083
; %bb.1082:
	scratch_load_b64 v[124:125], v59, off
	ds_load_b64 v[128:129], v1
	s_wait_loadcnt_dscnt 0x0
	v_pk_mul_f32 v[130:131], v[128:129], v[124:125] op_sel:[1,1] op_sel_hi:[0,1]
	s_delay_alu instid0(VALU_DEP_1) | instskip(SKIP_1) | instid1(VALU_DEP_2)
	v_pk_fma_f32 v[132:133], v[128:129], v[124:125], v[130:131] op_sel_hi:[1,0,1]
	v_pk_fma_f32 v[124:125], v[128:129], v[124:125], v[130:131] neg_lo:[0,0,1] neg_hi:[0,0,1]
	v_mov_b32_e32 v125, v133
	s_cbranch_execz .LBB123_1084
	s_branch .LBB123_1085
.LBB123_1083:
                                        ; implicit-def: $vgpr124_vgpr125
.LBB123_1084:
	ds_load_b64 v[124:125], v1
.LBB123_1085:
	s_mov_b32 s2, exec_lo
	v_cmpx_ne_u32_e32 49, v0
	s_cbranch_execz .LBB123_1089
; %bb.1086:
	v_add_nc_u32_e32 v127, 0x1e8, v58
	v_add3_u32 v128, 0, v58, 8
	v_mov_b32_e32 v129, v0
	s_mov_b32 s3, 0
.LBB123_1087:                           ; =>This Inner Loop Header: Depth=1
	scratch_load_b64 v[130:131], v128, off
	ds_load_b64 v[132:133], v127
	s_wait_xcnt 0x0
	v_dual_add_nc_u32 v127, 8, v127 :: v_dual_add_nc_u32 v128, 8, v128
	s_wait_loadcnt_dscnt 0x0
	v_pk_mul_f32 v[134:135], v[132:133], v[130:131] op_sel:[1,1] op_sel_hi:[0,1]
	s_delay_alu instid0(VALU_DEP_1) | instskip(SKIP_2) | instid1(VALU_DEP_3)
	v_pk_fma_f32 v[136:137], v[132:133], v[130:131], v[134:135] op_sel_hi:[1,0,1]
	v_add_nc_u32_e32 v129, 1, v129
	v_pk_fma_f32 v[130:131], v[132:133], v[130:131], v[134:135] neg_lo:[0,0,1] neg_hi:[0,0,1]
	v_mov_b32_e32 v131, v137
	s_delay_alu instid0(VALU_DEP_3) | instskip(NEXT) | instid1(VALU_DEP_2)
	v_cmp_lt_u32_e32 vcc_lo, 48, v129
	v_pk_add_f32 v[124:125], v[124:125], v[130:131]
	s_or_b32 s3, vcc_lo, s3
	s_delay_alu instid0(SALU_CYCLE_1)
	s_and_not1_b32 exec_lo, exec_lo, s3
	s_cbranch_execnz .LBB123_1087
; %bb.1088:
	s_or_b32 exec_lo, exec_lo, s3
.LBB123_1089:
	s_delay_alu instid0(SALU_CYCLE_1) | instskip(SKIP_4) | instid1(VALU_DEP_1)
	s_or_b32 exec_lo, exec_lo, s2
	v_mov_b32_e32 v127, 0
	ds_load_b64 v[128:129], v127 offset:400
	s_wait_dscnt 0x0
	v_pk_mul_f32 v[130:131], v[124:125], v[128:129] op_sel:[1,1] op_sel_hi:[0,1]
	v_pk_fma_f32 v[132:133], v[124:125], v[128:129], v[130:131] op_sel_hi:[1,0,1]
	v_pk_fma_f32 v[124:125], v[124:125], v[128:129], v[130:131] neg_lo:[0,0,1] neg_hi:[0,0,1]
	s_delay_alu instid0(VALU_DEP_2)
	v_mov_b32_e32 v125, v133
	scratch_store_b64 off, v[124:125], off offset:400
.LBB123_1090:
	s_wait_xcnt 0x0
	s_or_b32 exec_lo, exec_lo, s0
	scratch_load_b64 v[124:125], off, off offset:408
	s_mov_b32 s0, exec_lo
	s_wait_loadcnt 0x0
	ds_store_b64 v1, v[124:125]
	s_wait_storecnt_dscnt 0x0
	s_barrier_signal -1
	s_barrier_wait -1
	s_wait_xcnt 0x0
	v_cmpx_gt_u32_e32 51, v0
	s_cbranch_execz .LBB123_1100
; %bb.1091:
	v_cmp_ne_u32_e32 vcc_lo, 1, v126
	s_cbranch_vccnz .LBB123_1093
; %bb.1092:
	scratch_load_b64 v[124:125], v59, off
	ds_load_b64 v[128:129], v1
	s_wait_loadcnt_dscnt 0x0
	v_pk_mul_f32 v[130:131], v[128:129], v[124:125] op_sel:[1,1] op_sel_hi:[0,1]
	s_delay_alu instid0(VALU_DEP_1) | instskip(SKIP_1) | instid1(VALU_DEP_2)
	v_pk_fma_f32 v[132:133], v[128:129], v[124:125], v[130:131] op_sel_hi:[1,0,1]
	v_pk_fma_f32 v[124:125], v[128:129], v[124:125], v[130:131] neg_lo:[0,0,1] neg_hi:[0,0,1]
	v_mov_b32_e32 v125, v133
	s_cbranch_execz .LBB123_1094
	s_branch .LBB123_1095
.LBB123_1093:
                                        ; implicit-def: $vgpr124_vgpr125
.LBB123_1094:
	ds_load_b64 v[124:125], v1
.LBB123_1095:
	s_mov_b32 s2, exec_lo
	v_cmpx_ne_u32_e32 50, v0
	s_cbranch_execz .LBB123_1099
; %bb.1096:
	v_add_nc_u32_e32 v127, 0x1e8, v58
	v_add3_u32 v128, 0, v58, 8
	v_mov_b32_e32 v129, v0
	s_mov_b32 s3, 0
.LBB123_1097:                           ; =>This Inner Loop Header: Depth=1
	scratch_load_b64 v[130:131], v128, off
	ds_load_b64 v[132:133], v127
	s_wait_xcnt 0x0
	v_dual_add_nc_u32 v127, 8, v127 :: v_dual_add_nc_u32 v128, 8, v128
	s_wait_loadcnt_dscnt 0x0
	v_pk_mul_f32 v[134:135], v[132:133], v[130:131] op_sel:[1,1] op_sel_hi:[0,1]
	s_delay_alu instid0(VALU_DEP_1) | instskip(SKIP_2) | instid1(VALU_DEP_3)
	v_pk_fma_f32 v[136:137], v[132:133], v[130:131], v[134:135] op_sel_hi:[1,0,1]
	v_add_nc_u32_e32 v129, 1, v129
	v_pk_fma_f32 v[130:131], v[132:133], v[130:131], v[134:135] neg_lo:[0,0,1] neg_hi:[0,0,1]
	v_mov_b32_e32 v131, v137
	s_delay_alu instid0(VALU_DEP_3) | instskip(NEXT) | instid1(VALU_DEP_2)
	v_cmp_lt_u32_e32 vcc_lo, 49, v129
	v_pk_add_f32 v[124:125], v[124:125], v[130:131]
	s_or_b32 s3, vcc_lo, s3
	s_delay_alu instid0(SALU_CYCLE_1)
	s_and_not1_b32 exec_lo, exec_lo, s3
	s_cbranch_execnz .LBB123_1097
; %bb.1098:
	s_or_b32 exec_lo, exec_lo, s3
.LBB123_1099:
	s_delay_alu instid0(SALU_CYCLE_1) | instskip(SKIP_4) | instid1(VALU_DEP_1)
	s_or_b32 exec_lo, exec_lo, s2
	v_mov_b32_e32 v127, 0
	ds_load_b64 v[128:129], v127 offset:408
	s_wait_dscnt 0x0
	v_pk_mul_f32 v[130:131], v[124:125], v[128:129] op_sel:[1,1] op_sel_hi:[0,1]
	v_pk_fma_f32 v[132:133], v[124:125], v[128:129], v[130:131] op_sel_hi:[1,0,1]
	v_pk_fma_f32 v[124:125], v[124:125], v[128:129], v[130:131] neg_lo:[0,0,1] neg_hi:[0,0,1]
	s_delay_alu instid0(VALU_DEP_2)
	v_mov_b32_e32 v125, v133
	scratch_store_b64 off, v[124:125], off offset:408
.LBB123_1100:
	s_wait_xcnt 0x0
	s_or_b32 exec_lo, exec_lo, s0
	scratch_load_b64 v[124:125], off, off offset:416
	s_mov_b32 s0, exec_lo
	s_wait_loadcnt 0x0
	ds_store_b64 v1, v[124:125]
	s_wait_storecnt_dscnt 0x0
	s_barrier_signal -1
	s_barrier_wait -1
	s_wait_xcnt 0x0
	v_cmpx_gt_u32_e32 52, v0
	s_cbranch_execz .LBB123_1110
; %bb.1101:
	v_cmp_ne_u32_e32 vcc_lo, 1, v126
	s_cbranch_vccnz .LBB123_1103
; %bb.1102:
	scratch_load_b64 v[124:125], v59, off
	ds_load_b64 v[128:129], v1
	s_wait_loadcnt_dscnt 0x0
	v_pk_mul_f32 v[130:131], v[128:129], v[124:125] op_sel:[1,1] op_sel_hi:[0,1]
	s_delay_alu instid0(VALU_DEP_1) | instskip(SKIP_1) | instid1(VALU_DEP_2)
	v_pk_fma_f32 v[132:133], v[128:129], v[124:125], v[130:131] op_sel_hi:[1,0,1]
	v_pk_fma_f32 v[124:125], v[128:129], v[124:125], v[130:131] neg_lo:[0,0,1] neg_hi:[0,0,1]
	v_mov_b32_e32 v125, v133
	s_cbranch_execz .LBB123_1104
	s_branch .LBB123_1105
.LBB123_1103:
                                        ; implicit-def: $vgpr124_vgpr125
.LBB123_1104:
	ds_load_b64 v[124:125], v1
.LBB123_1105:
	s_mov_b32 s2, exec_lo
	v_cmpx_ne_u32_e32 51, v0
	s_cbranch_execz .LBB123_1109
; %bb.1106:
	v_add_nc_u32_e32 v127, 0x1e8, v58
	v_add3_u32 v128, 0, v58, 8
	v_mov_b32_e32 v129, v0
	s_mov_b32 s3, 0
.LBB123_1107:                           ; =>This Inner Loop Header: Depth=1
	scratch_load_b64 v[130:131], v128, off
	ds_load_b64 v[132:133], v127
	s_wait_xcnt 0x0
	v_dual_add_nc_u32 v127, 8, v127 :: v_dual_add_nc_u32 v128, 8, v128
	s_wait_loadcnt_dscnt 0x0
	v_pk_mul_f32 v[134:135], v[132:133], v[130:131] op_sel:[1,1] op_sel_hi:[0,1]
	s_delay_alu instid0(VALU_DEP_1) | instskip(SKIP_2) | instid1(VALU_DEP_3)
	v_pk_fma_f32 v[136:137], v[132:133], v[130:131], v[134:135] op_sel_hi:[1,0,1]
	v_add_nc_u32_e32 v129, 1, v129
	v_pk_fma_f32 v[130:131], v[132:133], v[130:131], v[134:135] neg_lo:[0,0,1] neg_hi:[0,0,1]
	v_mov_b32_e32 v131, v137
	s_delay_alu instid0(VALU_DEP_3) | instskip(NEXT) | instid1(VALU_DEP_2)
	v_cmp_lt_u32_e32 vcc_lo, 50, v129
	v_pk_add_f32 v[124:125], v[124:125], v[130:131]
	s_or_b32 s3, vcc_lo, s3
	s_delay_alu instid0(SALU_CYCLE_1)
	s_and_not1_b32 exec_lo, exec_lo, s3
	s_cbranch_execnz .LBB123_1107
; %bb.1108:
	s_or_b32 exec_lo, exec_lo, s3
.LBB123_1109:
	s_delay_alu instid0(SALU_CYCLE_1) | instskip(SKIP_4) | instid1(VALU_DEP_1)
	s_or_b32 exec_lo, exec_lo, s2
	v_mov_b32_e32 v127, 0
	ds_load_b64 v[128:129], v127 offset:416
	s_wait_dscnt 0x0
	v_pk_mul_f32 v[130:131], v[124:125], v[128:129] op_sel:[1,1] op_sel_hi:[0,1]
	v_pk_fma_f32 v[132:133], v[124:125], v[128:129], v[130:131] op_sel_hi:[1,0,1]
	v_pk_fma_f32 v[124:125], v[124:125], v[128:129], v[130:131] neg_lo:[0,0,1] neg_hi:[0,0,1]
	s_delay_alu instid0(VALU_DEP_2)
	v_mov_b32_e32 v125, v133
	scratch_store_b64 off, v[124:125], off offset:416
.LBB123_1110:
	s_wait_xcnt 0x0
	s_or_b32 exec_lo, exec_lo, s0
	scratch_load_b64 v[124:125], off, off offset:424
	s_mov_b32 s0, exec_lo
	s_wait_loadcnt 0x0
	ds_store_b64 v1, v[124:125]
	s_wait_storecnt_dscnt 0x0
	s_barrier_signal -1
	s_barrier_wait -1
	s_wait_xcnt 0x0
	v_cmpx_gt_u32_e32 53, v0
	s_cbranch_execz .LBB123_1120
; %bb.1111:
	v_cmp_ne_u32_e32 vcc_lo, 1, v126
	s_cbranch_vccnz .LBB123_1113
; %bb.1112:
	scratch_load_b64 v[124:125], v59, off
	ds_load_b64 v[128:129], v1
	s_wait_loadcnt_dscnt 0x0
	v_pk_mul_f32 v[130:131], v[128:129], v[124:125] op_sel:[1,1] op_sel_hi:[0,1]
	s_delay_alu instid0(VALU_DEP_1) | instskip(SKIP_1) | instid1(VALU_DEP_2)
	v_pk_fma_f32 v[132:133], v[128:129], v[124:125], v[130:131] op_sel_hi:[1,0,1]
	v_pk_fma_f32 v[124:125], v[128:129], v[124:125], v[130:131] neg_lo:[0,0,1] neg_hi:[0,0,1]
	v_mov_b32_e32 v125, v133
	s_cbranch_execz .LBB123_1114
	s_branch .LBB123_1115
.LBB123_1113:
                                        ; implicit-def: $vgpr124_vgpr125
.LBB123_1114:
	ds_load_b64 v[124:125], v1
.LBB123_1115:
	s_mov_b32 s2, exec_lo
	v_cmpx_ne_u32_e32 52, v0
	s_cbranch_execz .LBB123_1119
; %bb.1116:
	v_add_nc_u32_e32 v127, 0x1e8, v58
	v_add3_u32 v128, 0, v58, 8
	v_mov_b32_e32 v129, v0
	s_mov_b32 s3, 0
.LBB123_1117:                           ; =>This Inner Loop Header: Depth=1
	scratch_load_b64 v[130:131], v128, off
	ds_load_b64 v[132:133], v127
	s_wait_xcnt 0x0
	v_dual_add_nc_u32 v127, 8, v127 :: v_dual_add_nc_u32 v128, 8, v128
	s_wait_loadcnt_dscnt 0x0
	v_pk_mul_f32 v[134:135], v[132:133], v[130:131] op_sel:[1,1] op_sel_hi:[0,1]
	s_delay_alu instid0(VALU_DEP_1) | instskip(SKIP_2) | instid1(VALU_DEP_3)
	v_pk_fma_f32 v[136:137], v[132:133], v[130:131], v[134:135] op_sel_hi:[1,0,1]
	v_add_nc_u32_e32 v129, 1, v129
	v_pk_fma_f32 v[130:131], v[132:133], v[130:131], v[134:135] neg_lo:[0,0,1] neg_hi:[0,0,1]
	v_mov_b32_e32 v131, v137
	s_delay_alu instid0(VALU_DEP_3) | instskip(NEXT) | instid1(VALU_DEP_2)
	v_cmp_lt_u32_e32 vcc_lo, 51, v129
	v_pk_add_f32 v[124:125], v[124:125], v[130:131]
	s_or_b32 s3, vcc_lo, s3
	s_delay_alu instid0(SALU_CYCLE_1)
	s_and_not1_b32 exec_lo, exec_lo, s3
	s_cbranch_execnz .LBB123_1117
; %bb.1118:
	s_or_b32 exec_lo, exec_lo, s3
.LBB123_1119:
	s_delay_alu instid0(SALU_CYCLE_1) | instskip(SKIP_4) | instid1(VALU_DEP_1)
	s_or_b32 exec_lo, exec_lo, s2
	v_mov_b32_e32 v127, 0
	ds_load_b64 v[128:129], v127 offset:424
	s_wait_dscnt 0x0
	v_pk_mul_f32 v[130:131], v[124:125], v[128:129] op_sel:[1,1] op_sel_hi:[0,1]
	v_pk_fma_f32 v[132:133], v[124:125], v[128:129], v[130:131] op_sel_hi:[1,0,1]
	v_pk_fma_f32 v[124:125], v[124:125], v[128:129], v[130:131] neg_lo:[0,0,1] neg_hi:[0,0,1]
	s_delay_alu instid0(VALU_DEP_2)
	v_mov_b32_e32 v125, v133
	scratch_store_b64 off, v[124:125], off offset:424
.LBB123_1120:
	s_wait_xcnt 0x0
	s_or_b32 exec_lo, exec_lo, s0
	scratch_load_b64 v[124:125], off, off offset:432
	s_mov_b32 s0, exec_lo
	s_wait_loadcnt 0x0
	ds_store_b64 v1, v[124:125]
	s_wait_storecnt_dscnt 0x0
	s_barrier_signal -1
	s_barrier_wait -1
	s_wait_xcnt 0x0
	v_cmpx_gt_u32_e32 54, v0
	s_cbranch_execz .LBB123_1130
; %bb.1121:
	v_cmp_ne_u32_e32 vcc_lo, 1, v126
	s_cbranch_vccnz .LBB123_1123
; %bb.1122:
	scratch_load_b64 v[124:125], v59, off
	ds_load_b64 v[128:129], v1
	s_wait_loadcnt_dscnt 0x0
	v_pk_mul_f32 v[130:131], v[128:129], v[124:125] op_sel:[1,1] op_sel_hi:[0,1]
	s_delay_alu instid0(VALU_DEP_1) | instskip(SKIP_1) | instid1(VALU_DEP_2)
	v_pk_fma_f32 v[132:133], v[128:129], v[124:125], v[130:131] op_sel_hi:[1,0,1]
	v_pk_fma_f32 v[124:125], v[128:129], v[124:125], v[130:131] neg_lo:[0,0,1] neg_hi:[0,0,1]
	v_mov_b32_e32 v125, v133
	s_cbranch_execz .LBB123_1124
	s_branch .LBB123_1125
.LBB123_1123:
                                        ; implicit-def: $vgpr124_vgpr125
.LBB123_1124:
	ds_load_b64 v[124:125], v1
.LBB123_1125:
	s_mov_b32 s2, exec_lo
	v_cmpx_ne_u32_e32 53, v0
	s_cbranch_execz .LBB123_1129
; %bb.1126:
	v_add_nc_u32_e32 v127, 0x1e8, v58
	v_add3_u32 v128, 0, v58, 8
	v_mov_b32_e32 v129, v0
	s_mov_b32 s3, 0
.LBB123_1127:                           ; =>This Inner Loop Header: Depth=1
	scratch_load_b64 v[130:131], v128, off
	ds_load_b64 v[132:133], v127
	s_wait_xcnt 0x0
	v_dual_add_nc_u32 v127, 8, v127 :: v_dual_add_nc_u32 v128, 8, v128
	s_wait_loadcnt_dscnt 0x0
	v_pk_mul_f32 v[134:135], v[132:133], v[130:131] op_sel:[1,1] op_sel_hi:[0,1]
	s_delay_alu instid0(VALU_DEP_1) | instskip(SKIP_2) | instid1(VALU_DEP_3)
	v_pk_fma_f32 v[136:137], v[132:133], v[130:131], v[134:135] op_sel_hi:[1,0,1]
	v_add_nc_u32_e32 v129, 1, v129
	v_pk_fma_f32 v[130:131], v[132:133], v[130:131], v[134:135] neg_lo:[0,0,1] neg_hi:[0,0,1]
	v_mov_b32_e32 v131, v137
	s_delay_alu instid0(VALU_DEP_3) | instskip(NEXT) | instid1(VALU_DEP_2)
	v_cmp_lt_u32_e32 vcc_lo, 52, v129
	v_pk_add_f32 v[124:125], v[124:125], v[130:131]
	s_or_b32 s3, vcc_lo, s3
	s_delay_alu instid0(SALU_CYCLE_1)
	s_and_not1_b32 exec_lo, exec_lo, s3
	s_cbranch_execnz .LBB123_1127
; %bb.1128:
	s_or_b32 exec_lo, exec_lo, s3
.LBB123_1129:
	s_delay_alu instid0(SALU_CYCLE_1) | instskip(SKIP_4) | instid1(VALU_DEP_1)
	s_or_b32 exec_lo, exec_lo, s2
	v_mov_b32_e32 v127, 0
	ds_load_b64 v[128:129], v127 offset:432
	s_wait_dscnt 0x0
	v_pk_mul_f32 v[130:131], v[124:125], v[128:129] op_sel:[1,1] op_sel_hi:[0,1]
	v_pk_fma_f32 v[132:133], v[124:125], v[128:129], v[130:131] op_sel_hi:[1,0,1]
	v_pk_fma_f32 v[124:125], v[124:125], v[128:129], v[130:131] neg_lo:[0,0,1] neg_hi:[0,0,1]
	s_delay_alu instid0(VALU_DEP_2)
	v_mov_b32_e32 v125, v133
	scratch_store_b64 off, v[124:125], off offset:432
.LBB123_1130:
	s_wait_xcnt 0x0
	s_or_b32 exec_lo, exec_lo, s0
	scratch_load_b64 v[124:125], off, off offset:440
	s_mov_b32 s0, exec_lo
	s_wait_loadcnt 0x0
	ds_store_b64 v1, v[124:125]
	s_wait_storecnt_dscnt 0x0
	s_barrier_signal -1
	s_barrier_wait -1
	s_wait_xcnt 0x0
	v_cmpx_gt_u32_e32 55, v0
	s_cbranch_execz .LBB123_1140
; %bb.1131:
	v_cmp_ne_u32_e32 vcc_lo, 1, v126
	s_cbranch_vccnz .LBB123_1133
; %bb.1132:
	scratch_load_b64 v[124:125], v59, off
	ds_load_b64 v[128:129], v1
	s_wait_loadcnt_dscnt 0x0
	v_pk_mul_f32 v[130:131], v[128:129], v[124:125] op_sel:[1,1] op_sel_hi:[0,1]
	s_delay_alu instid0(VALU_DEP_1) | instskip(SKIP_1) | instid1(VALU_DEP_2)
	v_pk_fma_f32 v[132:133], v[128:129], v[124:125], v[130:131] op_sel_hi:[1,0,1]
	v_pk_fma_f32 v[124:125], v[128:129], v[124:125], v[130:131] neg_lo:[0,0,1] neg_hi:[0,0,1]
	v_mov_b32_e32 v125, v133
	s_cbranch_execz .LBB123_1134
	s_branch .LBB123_1135
.LBB123_1133:
                                        ; implicit-def: $vgpr124_vgpr125
.LBB123_1134:
	ds_load_b64 v[124:125], v1
.LBB123_1135:
	s_mov_b32 s2, exec_lo
	v_cmpx_ne_u32_e32 54, v0
	s_cbranch_execz .LBB123_1139
; %bb.1136:
	v_add_nc_u32_e32 v127, 0x1e8, v58
	v_add3_u32 v128, 0, v58, 8
	v_mov_b32_e32 v129, v0
	s_mov_b32 s3, 0
.LBB123_1137:                           ; =>This Inner Loop Header: Depth=1
	scratch_load_b64 v[130:131], v128, off
	ds_load_b64 v[132:133], v127
	s_wait_xcnt 0x0
	v_dual_add_nc_u32 v127, 8, v127 :: v_dual_add_nc_u32 v128, 8, v128
	s_wait_loadcnt_dscnt 0x0
	v_pk_mul_f32 v[134:135], v[132:133], v[130:131] op_sel:[1,1] op_sel_hi:[0,1]
	s_delay_alu instid0(VALU_DEP_1) | instskip(SKIP_2) | instid1(VALU_DEP_3)
	v_pk_fma_f32 v[136:137], v[132:133], v[130:131], v[134:135] op_sel_hi:[1,0,1]
	v_add_nc_u32_e32 v129, 1, v129
	v_pk_fma_f32 v[130:131], v[132:133], v[130:131], v[134:135] neg_lo:[0,0,1] neg_hi:[0,0,1]
	v_mov_b32_e32 v131, v137
	s_delay_alu instid0(VALU_DEP_3) | instskip(NEXT) | instid1(VALU_DEP_2)
	v_cmp_lt_u32_e32 vcc_lo, 53, v129
	v_pk_add_f32 v[124:125], v[124:125], v[130:131]
	s_or_b32 s3, vcc_lo, s3
	s_delay_alu instid0(SALU_CYCLE_1)
	s_and_not1_b32 exec_lo, exec_lo, s3
	s_cbranch_execnz .LBB123_1137
; %bb.1138:
	s_or_b32 exec_lo, exec_lo, s3
.LBB123_1139:
	s_delay_alu instid0(SALU_CYCLE_1) | instskip(SKIP_4) | instid1(VALU_DEP_1)
	s_or_b32 exec_lo, exec_lo, s2
	v_mov_b32_e32 v127, 0
	ds_load_b64 v[128:129], v127 offset:440
	s_wait_dscnt 0x0
	v_pk_mul_f32 v[130:131], v[124:125], v[128:129] op_sel:[1,1] op_sel_hi:[0,1]
	v_pk_fma_f32 v[132:133], v[124:125], v[128:129], v[130:131] op_sel_hi:[1,0,1]
	v_pk_fma_f32 v[124:125], v[124:125], v[128:129], v[130:131] neg_lo:[0,0,1] neg_hi:[0,0,1]
	s_delay_alu instid0(VALU_DEP_2)
	v_mov_b32_e32 v125, v133
	scratch_store_b64 off, v[124:125], off offset:440
.LBB123_1140:
	s_wait_xcnt 0x0
	s_or_b32 exec_lo, exec_lo, s0
	scratch_load_b64 v[124:125], off, off offset:448
	s_mov_b32 s0, exec_lo
	s_wait_loadcnt 0x0
	ds_store_b64 v1, v[124:125]
	s_wait_storecnt_dscnt 0x0
	s_barrier_signal -1
	s_barrier_wait -1
	s_wait_xcnt 0x0
	v_cmpx_gt_u32_e32 56, v0
	s_cbranch_execz .LBB123_1150
; %bb.1141:
	v_cmp_ne_u32_e32 vcc_lo, 1, v126
	s_cbranch_vccnz .LBB123_1143
; %bb.1142:
	scratch_load_b64 v[124:125], v59, off
	ds_load_b64 v[128:129], v1
	s_wait_loadcnt_dscnt 0x0
	v_pk_mul_f32 v[130:131], v[128:129], v[124:125] op_sel:[1,1] op_sel_hi:[0,1]
	s_delay_alu instid0(VALU_DEP_1) | instskip(SKIP_1) | instid1(VALU_DEP_2)
	v_pk_fma_f32 v[132:133], v[128:129], v[124:125], v[130:131] op_sel_hi:[1,0,1]
	v_pk_fma_f32 v[124:125], v[128:129], v[124:125], v[130:131] neg_lo:[0,0,1] neg_hi:[0,0,1]
	v_mov_b32_e32 v125, v133
	s_cbranch_execz .LBB123_1144
	s_branch .LBB123_1145
.LBB123_1143:
                                        ; implicit-def: $vgpr124_vgpr125
.LBB123_1144:
	ds_load_b64 v[124:125], v1
.LBB123_1145:
	s_mov_b32 s2, exec_lo
	v_cmpx_ne_u32_e32 55, v0
	s_cbranch_execz .LBB123_1149
; %bb.1146:
	v_add_nc_u32_e32 v127, 0x1e8, v58
	v_add3_u32 v128, 0, v58, 8
	v_mov_b32_e32 v129, v0
	s_mov_b32 s3, 0
.LBB123_1147:                           ; =>This Inner Loop Header: Depth=1
	scratch_load_b64 v[130:131], v128, off
	ds_load_b64 v[132:133], v127
	s_wait_xcnt 0x0
	v_dual_add_nc_u32 v127, 8, v127 :: v_dual_add_nc_u32 v128, 8, v128
	s_wait_loadcnt_dscnt 0x0
	v_pk_mul_f32 v[134:135], v[132:133], v[130:131] op_sel:[1,1] op_sel_hi:[0,1]
	s_delay_alu instid0(VALU_DEP_1) | instskip(SKIP_2) | instid1(VALU_DEP_3)
	v_pk_fma_f32 v[136:137], v[132:133], v[130:131], v[134:135] op_sel_hi:[1,0,1]
	v_add_nc_u32_e32 v129, 1, v129
	v_pk_fma_f32 v[130:131], v[132:133], v[130:131], v[134:135] neg_lo:[0,0,1] neg_hi:[0,0,1]
	v_mov_b32_e32 v131, v137
	s_delay_alu instid0(VALU_DEP_3) | instskip(NEXT) | instid1(VALU_DEP_2)
	v_cmp_lt_u32_e32 vcc_lo, 54, v129
	v_pk_add_f32 v[124:125], v[124:125], v[130:131]
	s_or_b32 s3, vcc_lo, s3
	s_delay_alu instid0(SALU_CYCLE_1)
	s_and_not1_b32 exec_lo, exec_lo, s3
	s_cbranch_execnz .LBB123_1147
; %bb.1148:
	s_or_b32 exec_lo, exec_lo, s3
.LBB123_1149:
	s_delay_alu instid0(SALU_CYCLE_1) | instskip(SKIP_4) | instid1(VALU_DEP_1)
	s_or_b32 exec_lo, exec_lo, s2
	v_mov_b32_e32 v127, 0
	ds_load_b64 v[128:129], v127 offset:448
	s_wait_dscnt 0x0
	v_pk_mul_f32 v[130:131], v[124:125], v[128:129] op_sel:[1,1] op_sel_hi:[0,1]
	v_pk_fma_f32 v[132:133], v[124:125], v[128:129], v[130:131] op_sel_hi:[1,0,1]
	v_pk_fma_f32 v[124:125], v[124:125], v[128:129], v[130:131] neg_lo:[0,0,1] neg_hi:[0,0,1]
	s_delay_alu instid0(VALU_DEP_2)
	v_mov_b32_e32 v125, v133
	scratch_store_b64 off, v[124:125], off offset:448
.LBB123_1150:
	s_wait_xcnt 0x0
	s_or_b32 exec_lo, exec_lo, s0
	scratch_load_b64 v[124:125], off, off offset:456
	s_mov_b32 s0, exec_lo
	s_wait_loadcnt 0x0
	ds_store_b64 v1, v[124:125]
	s_wait_storecnt_dscnt 0x0
	s_barrier_signal -1
	s_barrier_wait -1
	s_wait_xcnt 0x0
	v_cmpx_gt_u32_e32 57, v0
	s_cbranch_execz .LBB123_1160
; %bb.1151:
	v_cmp_ne_u32_e32 vcc_lo, 1, v126
	s_cbranch_vccnz .LBB123_1153
; %bb.1152:
	scratch_load_b64 v[124:125], v59, off
	ds_load_b64 v[128:129], v1
	s_wait_loadcnt_dscnt 0x0
	v_pk_mul_f32 v[130:131], v[128:129], v[124:125] op_sel:[1,1] op_sel_hi:[0,1]
	s_delay_alu instid0(VALU_DEP_1) | instskip(SKIP_1) | instid1(VALU_DEP_2)
	v_pk_fma_f32 v[132:133], v[128:129], v[124:125], v[130:131] op_sel_hi:[1,0,1]
	v_pk_fma_f32 v[124:125], v[128:129], v[124:125], v[130:131] neg_lo:[0,0,1] neg_hi:[0,0,1]
	v_mov_b32_e32 v125, v133
	s_cbranch_execz .LBB123_1154
	s_branch .LBB123_1155
.LBB123_1153:
                                        ; implicit-def: $vgpr124_vgpr125
.LBB123_1154:
	ds_load_b64 v[124:125], v1
.LBB123_1155:
	s_mov_b32 s2, exec_lo
	v_cmpx_ne_u32_e32 56, v0
	s_cbranch_execz .LBB123_1159
; %bb.1156:
	v_add_nc_u32_e32 v127, 0x1e8, v58
	v_add3_u32 v128, 0, v58, 8
	v_mov_b32_e32 v129, v0
	s_mov_b32 s3, 0
.LBB123_1157:                           ; =>This Inner Loop Header: Depth=1
	scratch_load_b64 v[130:131], v128, off
	ds_load_b64 v[132:133], v127
	s_wait_xcnt 0x0
	v_dual_add_nc_u32 v127, 8, v127 :: v_dual_add_nc_u32 v128, 8, v128
	s_wait_loadcnt_dscnt 0x0
	v_pk_mul_f32 v[134:135], v[132:133], v[130:131] op_sel:[1,1] op_sel_hi:[0,1]
	s_delay_alu instid0(VALU_DEP_1) | instskip(SKIP_2) | instid1(VALU_DEP_3)
	v_pk_fma_f32 v[136:137], v[132:133], v[130:131], v[134:135] op_sel_hi:[1,0,1]
	v_add_nc_u32_e32 v129, 1, v129
	v_pk_fma_f32 v[130:131], v[132:133], v[130:131], v[134:135] neg_lo:[0,0,1] neg_hi:[0,0,1]
	v_mov_b32_e32 v131, v137
	s_delay_alu instid0(VALU_DEP_3) | instskip(NEXT) | instid1(VALU_DEP_2)
	v_cmp_lt_u32_e32 vcc_lo, 55, v129
	v_pk_add_f32 v[124:125], v[124:125], v[130:131]
	s_or_b32 s3, vcc_lo, s3
	s_delay_alu instid0(SALU_CYCLE_1)
	s_and_not1_b32 exec_lo, exec_lo, s3
	s_cbranch_execnz .LBB123_1157
; %bb.1158:
	s_or_b32 exec_lo, exec_lo, s3
.LBB123_1159:
	s_delay_alu instid0(SALU_CYCLE_1) | instskip(SKIP_4) | instid1(VALU_DEP_1)
	s_or_b32 exec_lo, exec_lo, s2
	v_mov_b32_e32 v127, 0
	ds_load_b64 v[128:129], v127 offset:456
	s_wait_dscnt 0x0
	v_pk_mul_f32 v[130:131], v[124:125], v[128:129] op_sel:[1,1] op_sel_hi:[0,1]
	v_pk_fma_f32 v[132:133], v[124:125], v[128:129], v[130:131] op_sel_hi:[1,0,1]
	v_pk_fma_f32 v[124:125], v[124:125], v[128:129], v[130:131] neg_lo:[0,0,1] neg_hi:[0,0,1]
	s_delay_alu instid0(VALU_DEP_2)
	v_mov_b32_e32 v125, v133
	scratch_store_b64 off, v[124:125], off offset:456
.LBB123_1160:
	s_wait_xcnt 0x0
	s_or_b32 exec_lo, exec_lo, s0
	scratch_load_b64 v[124:125], off, off offset:464
	v_cmp_gt_u32_e64 s0, 58, v0
	s_wait_loadcnt 0x0
	ds_store_b64 v1, v[124:125]
	s_wait_storecnt_dscnt 0x0
	s_barrier_signal -1
	s_barrier_wait -1
	s_wait_xcnt 0x0
	s_and_saveexec_b32 s2, s0
	s_cbranch_execz .LBB123_1170
; %bb.1161:
	v_cmp_ne_u32_e32 vcc_lo, 1, v126
	s_cbranch_vccnz .LBB123_1163
; %bb.1162:
	scratch_load_b64 v[124:125], v59, off
	ds_load_b64 v[128:129], v1
	s_wait_loadcnt_dscnt 0x0
	v_pk_mul_f32 v[130:131], v[128:129], v[124:125] op_sel:[1,1] op_sel_hi:[0,1]
	s_delay_alu instid0(VALU_DEP_1) | instskip(SKIP_1) | instid1(VALU_DEP_2)
	v_pk_fma_f32 v[132:133], v[128:129], v[124:125], v[130:131] op_sel_hi:[1,0,1]
	v_pk_fma_f32 v[124:125], v[128:129], v[124:125], v[130:131] neg_lo:[0,0,1] neg_hi:[0,0,1]
	v_mov_b32_e32 v125, v133
	s_cbranch_execz .LBB123_1164
	s_branch .LBB123_1165
.LBB123_1163:
                                        ; implicit-def: $vgpr124_vgpr125
.LBB123_1164:
	ds_load_b64 v[124:125], v1
.LBB123_1165:
	s_mov_b32 s3, exec_lo
	v_cmpx_ne_u32_e32 57, v0
	s_cbranch_execz .LBB123_1169
; %bb.1166:
	v_add_nc_u32_e32 v127, 0x1e8, v58
	v_add3_u32 v128, 0, v58, 8
	v_mov_b32_e32 v129, v0
	s_mov_b32 s4, 0
.LBB123_1167:                           ; =>This Inner Loop Header: Depth=1
	scratch_load_b64 v[130:131], v128, off
	ds_load_b64 v[132:133], v127
	s_wait_xcnt 0x0
	v_dual_add_nc_u32 v127, 8, v127 :: v_dual_add_nc_u32 v128, 8, v128
	s_wait_loadcnt_dscnt 0x0
	v_pk_mul_f32 v[134:135], v[132:133], v[130:131] op_sel:[1,1] op_sel_hi:[0,1]
	s_delay_alu instid0(VALU_DEP_1) | instskip(SKIP_2) | instid1(VALU_DEP_3)
	v_pk_fma_f32 v[136:137], v[132:133], v[130:131], v[134:135] op_sel_hi:[1,0,1]
	v_add_nc_u32_e32 v129, 1, v129
	v_pk_fma_f32 v[130:131], v[132:133], v[130:131], v[134:135] neg_lo:[0,0,1] neg_hi:[0,0,1]
	v_mov_b32_e32 v131, v137
	s_delay_alu instid0(VALU_DEP_3) | instskip(NEXT) | instid1(VALU_DEP_2)
	v_cmp_lt_u32_e32 vcc_lo, 56, v129
	v_pk_add_f32 v[124:125], v[124:125], v[130:131]
	s_or_b32 s4, vcc_lo, s4
	s_delay_alu instid0(SALU_CYCLE_1)
	s_and_not1_b32 exec_lo, exec_lo, s4
	s_cbranch_execnz .LBB123_1167
; %bb.1168:
	s_or_b32 exec_lo, exec_lo, s4
.LBB123_1169:
	s_delay_alu instid0(SALU_CYCLE_1) | instskip(SKIP_4) | instid1(VALU_DEP_1)
	s_or_b32 exec_lo, exec_lo, s3
	v_mov_b32_e32 v127, 0
	ds_load_b64 v[128:129], v127 offset:464
	s_wait_dscnt 0x0
	v_pk_mul_f32 v[130:131], v[124:125], v[128:129] op_sel:[1,1] op_sel_hi:[0,1]
	v_pk_fma_f32 v[132:133], v[124:125], v[128:129], v[130:131] op_sel_hi:[1,0,1]
	v_pk_fma_f32 v[124:125], v[124:125], v[128:129], v[130:131] neg_lo:[0,0,1] neg_hi:[0,0,1]
	s_delay_alu instid0(VALU_DEP_2)
	v_mov_b32_e32 v125, v133
	scratch_store_b64 off, v[124:125], off offset:464
.LBB123_1170:
	s_wait_xcnt 0x0
	s_or_b32 exec_lo, exec_lo, s2
	scratch_load_b64 v[124:125], off, off offset:472
	s_mov_b32 s2, exec_lo
                                        ; implicit-def: $vgpr180
                                        ; implicit-def: $sgpr5
	s_wait_loadcnt 0x0
	ds_store_b64 v1, v[124:125]
	s_wait_storecnt_dscnt 0x0
	s_barrier_signal -1
	s_barrier_wait -1
	s_wait_xcnt 0x0
	v_cmpx_ne_u32_e32 59, v0
	s_cbranch_execz .LBB123_1180
; %bb.1171:
	v_cmp_ne_u32_e32 vcc_lo, 1, v126
	s_cbranch_vccnz .LBB123_1173
; %bb.1172:
	scratch_load_b64 v[126:127], v59, off
	ds_load_b64 v[128:129], v1
	s_wait_loadcnt_dscnt 0x0
	v_dual_mul_f32 v59, v129, v127 :: v_dual_mul_f32 v125, v128, v127
	s_delay_alu instid0(VALU_DEP_1)
	v_dual_fma_f32 v124, v128, v126, -v59 :: v_dual_fmac_f32 v125, v129, v126
	s_cbranch_execz .LBB123_1174
	s_branch .LBB123_1175
.LBB123_1173:
                                        ; implicit-def: $vgpr125
.LBB123_1174:
	ds_load_b64 v[124:125], v1
.LBB123_1175:
	s_and_saveexec_b32 s3, s0
	s_cbranch_execz .LBB123_1179
; %bb.1176:
	v_add_nc_u32_e32 v1, 0x1e8, v58
	v_add3_u32 v58, 0, v58, 8
	s_mov_b32 s0, 0
.LBB123_1177:                           ; =>This Inner Loop Header: Depth=1
	scratch_load_b64 v[126:127], v58, off
	ds_load_b64 v[128:129], v1
	s_wait_loadcnt_dscnt 0x0
	v_dual_add_nc_u32 v1, 8, v1 :: v_dual_mul_f32 v59, v129, v127
	v_dual_mul_f32 v127, v128, v127 :: v_dual_add_nc_u32 v0, 1, v0
	s_delay_alu instid0(VALU_DEP_2) | instskip(NEXT) | instid1(VALU_DEP_2)
	v_fma_f32 v59, v128, v126, -v59
	v_fmac_f32_e32 v127, v129, v126
	s_delay_alu instid0(VALU_DEP_3) | instskip(NEXT) | instid1(VALU_DEP_3)
	v_cmp_lt_u32_e32 vcc_lo, 57, v0
	v_dual_add_nc_u32 v58, 8, v58 :: v_dual_add_f32 v124, v124, v59
	s_delay_alu instid0(VALU_DEP_3) | instskip(SKIP_1) | instid1(SALU_CYCLE_1)
	v_add_f32_e32 v125, v125, v127
	s_or_b32 s0, vcc_lo, s0
	s_and_not1_b32 exec_lo, exec_lo, s0
	s_cbranch_execnz .LBB123_1177
; %bb.1178:
	s_or_b32 exec_lo, exec_lo, s0
.LBB123_1179:
	s_delay_alu instid0(SALU_CYCLE_1)
	s_or_b32 exec_lo, exec_lo, s3
	v_mov_b32_e32 v0, 0
	s_movk_i32 s5, 0x1dc
	s_or_b32 s1, s1, exec_lo
	ds_load_b64 v[0:1], v0 offset:472
	s_wait_dscnt 0x0
	v_dual_mul_f32 v58, v125, v1 :: v_dual_mul_f32 v180, v124, v1
	s_delay_alu instid0(VALU_DEP_1)
	v_dual_fma_f32 v1, v124, v0, -v58 :: v_dual_fmac_f32 v180, v125, v0
	scratch_store_b32 off, v1, off offset:472
.LBB123_1180:
	s_wait_xcnt 0x0
	s_or_b32 exec_lo, exec_lo, s2
.LBB123_1181:
	v_lshl_add_u64 v[178:179], v[6:7], 3, s[6:7]
	v_lshl_add_u64 v[176:177], v[8:9], 3, s[6:7]
	;; [unrolled: 1-line block ×58, first 2 shown]
	s_and_saveexec_b32 s0, s1
	s_cbranch_execz .LBB123_1183
; %bb.1182:
	scratch_store_b32 off, v180, s5
.LBB123_1183:
	s_wait_xcnt 0x0
	s_or_b32 exec_lo, exec_lo, s0
	scratch_load_b64 v[64:65], off, off
	s_wait_loadcnt 0x0
	flat_store_b64 v[2:3], v[64:65]
	scratch_load_b64 v[2:3], off, off offset:8
	s_wait_loadcnt 0x0
	flat_store_b64 v[4:5], v[2:3]
	scratch_load_b64 v[2:3], off, off offset:16
	;; [unrolled: 3-line block ×59, first 2 shown]
	s_wait_loadcnt 0x0
	flat_store_b64 v[0:1], v[2:3]
.LBB123_1184:
	s_sendmsg sendmsg(MSG_DEALLOC_VGPRS)
	s_endpgm
	.section	.rodata,"a",@progbits
	.p2align	6, 0x0
	.amdhsa_kernel _ZN9rocsolver6v33100L18trti2_kernel_smallILi60E19rocblas_complex_numIfEPKPS3_EEv13rocblas_fill_17rocblas_diagonal_T1_iil
		.amdhsa_group_segment_fixed_size 960
		.amdhsa_private_segment_fixed_size 496
		.amdhsa_kernarg_size 32
		.amdhsa_user_sgpr_count 2
		.amdhsa_user_sgpr_dispatch_ptr 0
		.amdhsa_user_sgpr_queue_ptr 0
		.amdhsa_user_sgpr_kernarg_segment_ptr 1
		.amdhsa_user_sgpr_dispatch_id 0
		.amdhsa_user_sgpr_kernarg_preload_length 0
		.amdhsa_user_sgpr_kernarg_preload_offset 0
		.amdhsa_user_sgpr_private_segment_size 0
		.amdhsa_wavefront_size32 1
		.amdhsa_uses_dynamic_stack 0
		.amdhsa_enable_private_segment 1
		.amdhsa_system_sgpr_workgroup_id_x 1
		.amdhsa_system_sgpr_workgroup_id_y 0
		.amdhsa_system_sgpr_workgroup_id_z 0
		.amdhsa_system_sgpr_workgroup_info 0
		.amdhsa_system_vgpr_workitem_id 0
		.amdhsa_next_free_vgpr 181
		.amdhsa_next_free_sgpr 66
		.amdhsa_named_barrier_count 0
		.amdhsa_reserve_vcc 1
		.amdhsa_float_round_mode_32 0
		.amdhsa_float_round_mode_16_64 0
		.amdhsa_float_denorm_mode_32 3
		.amdhsa_float_denorm_mode_16_64 3
		.amdhsa_fp16_overflow 0
		.amdhsa_memory_ordered 1
		.amdhsa_forward_progress 1
		.amdhsa_inst_pref_size 255
		.amdhsa_round_robin_scheduling 0
		.amdhsa_exception_fp_ieee_invalid_op 0
		.amdhsa_exception_fp_denorm_src 0
		.amdhsa_exception_fp_ieee_div_zero 0
		.amdhsa_exception_fp_ieee_overflow 0
		.amdhsa_exception_fp_ieee_underflow 0
		.amdhsa_exception_fp_ieee_inexact 0
		.amdhsa_exception_int_div_zero 0
	.end_amdhsa_kernel
	.section	.text._ZN9rocsolver6v33100L18trti2_kernel_smallILi60E19rocblas_complex_numIfEPKPS3_EEv13rocblas_fill_17rocblas_diagonal_T1_iil,"axG",@progbits,_ZN9rocsolver6v33100L18trti2_kernel_smallILi60E19rocblas_complex_numIfEPKPS3_EEv13rocblas_fill_17rocblas_diagonal_T1_iil,comdat
.Lfunc_end123:
	.size	_ZN9rocsolver6v33100L18trti2_kernel_smallILi60E19rocblas_complex_numIfEPKPS3_EEv13rocblas_fill_17rocblas_diagonal_T1_iil, .Lfunc_end123-_ZN9rocsolver6v33100L18trti2_kernel_smallILi60E19rocblas_complex_numIfEPKPS3_EEv13rocblas_fill_17rocblas_diagonal_T1_iil
                                        ; -- End function
	.set _ZN9rocsolver6v33100L18trti2_kernel_smallILi60E19rocblas_complex_numIfEPKPS3_EEv13rocblas_fill_17rocblas_diagonal_T1_iil.num_vgpr, 181
	.set _ZN9rocsolver6v33100L18trti2_kernel_smallILi60E19rocblas_complex_numIfEPKPS3_EEv13rocblas_fill_17rocblas_diagonal_T1_iil.num_agpr, 0
	.set _ZN9rocsolver6v33100L18trti2_kernel_smallILi60E19rocblas_complex_numIfEPKPS3_EEv13rocblas_fill_17rocblas_diagonal_T1_iil.numbered_sgpr, 66
	.set _ZN9rocsolver6v33100L18trti2_kernel_smallILi60E19rocblas_complex_numIfEPKPS3_EEv13rocblas_fill_17rocblas_diagonal_T1_iil.num_named_barrier, 0
	.set _ZN9rocsolver6v33100L18trti2_kernel_smallILi60E19rocblas_complex_numIfEPKPS3_EEv13rocblas_fill_17rocblas_diagonal_T1_iil.private_seg_size, 496
	.set _ZN9rocsolver6v33100L18trti2_kernel_smallILi60E19rocblas_complex_numIfEPKPS3_EEv13rocblas_fill_17rocblas_diagonal_T1_iil.uses_vcc, 1
	.set _ZN9rocsolver6v33100L18trti2_kernel_smallILi60E19rocblas_complex_numIfEPKPS3_EEv13rocblas_fill_17rocblas_diagonal_T1_iil.uses_flat_scratch, 0
	.set _ZN9rocsolver6v33100L18trti2_kernel_smallILi60E19rocblas_complex_numIfEPKPS3_EEv13rocblas_fill_17rocblas_diagonal_T1_iil.has_dyn_sized_stack, 0
	.set _ZN9rocsolver6v33100L18trti2_kernel_smallILi60E19rocblas_complex_numIfEPKPS3_EEv13rocblas_fill_17rocblas_diagonal_T1_iil.has_recursion, 0
	.set _ZN9rocsolver6v33100L18trti2_kernel_smallILi60E19rocblas_complex_numIfEPKPS3_EEv13rocblas_fill_17rocblas_diagonal_T1_iil.has_indirect_call, 0
	.section	.AMDGPU.csdata,"",@progbits
; Kernel info:
; codeLenInByte = 46396
; TotalNumSgprs: 68
; NumVgprs: 181
; ScratchSize: 496
; MemoryBound: 0
; FloatMode: 240
; IeeeMode: 1
; LDSByteSize: 960 bytes/workgroup (compile time only)
; SGPRBlocks: 0
; VGPRBlocks: 11
; NumSGPRsForWavesPerEU: 68
; NumVGPRsForWavesPerEU: 181
; NamedBarCnt: 0
; Occupancy: 5
; WaveLimiterHint : 1
; COMPUTE_PGM_RSRC2:SCRATCH_EN: 1
; COMPUTE_PGM_RSRC2:USER_SGPR: 2
; COMPUTE_PGM_RSRC2:TRAP_HANDLER: 0
; COMPUTE_PGM_RSRC2:TGID_X_EN: 1
; COMPUTE_PGM_RSRC2:TGID_Y_EN: 0
; COMPUTE_PGM_RSRC2:TGID_Z_EN: 0
; COMPUTE_PGM_RSRC2:TIDIG_COMP_CNT: 0
	.section	.text._ZN9rocsolver6v33100L18trti2_kernel_smallILi61E19rocblas_complex_numIfEPKPS3_EEv13rocblas_fill_17rocblas_diagonal_T1_iil,"axG",@progbits,_ZN9rocsolver6v33100L18trti2_kernel_smallILi61E19rocblas_complex_numIfEPKPS3_EEv13rocblas_fill_17rocblas_diagonal_T1_iil,comdat
	.globl	_ZN9rocsolver6v33100L18trti2_kernel_smallILi61E19rocblas_complex_numIfEPKPS3_EEv13rocblas_fill_17rocblas_diagonal_T1_iil ; -- Begin function _ZN9rocsolver6v33100L18trti2_kernel_smallILi61E19rocblas_complex_numIfEPKPS3_EEv13rocblas_fill_17rocblas_diagonal_T1_iil
	.p2align	8
	.type	_ZN9rocsolver6v33100L18trti2_kernel_smallILi61E19rocblas_complex_numIfEPKPS3_EEv13rocblas_fill_17rocblas_diagonal_T1_iil,@function
_ZN9rocsolver6v33100L18trti2_kernel_smallILi61E19rocblas_complex_numIfEPKPS3_EEv13rocblas_fill_17rocblas_diagonal_T1_iil: ; @_ZN9rocsolver6v33100L18trti2_kernel_smallILi61E19rocblas_complex_numIfEPKPS3_EEv13rocblas_fill_17rocblas_diagonal_T1_iil
; %bb.0:
	s_mov_b32 s2, exec_lo
	v_cmpx_gt_u32_e32 61, v0
	s_cbranch_execz .LBB124_1204
; %bb.1:
	s_clause 0x1
	s_load_b64 s[8:9], s[0:1], 0x10
	s_load_b128 s[4:7], s[0:1], 0x0
	s_wait_xcnt 0x0
	s_bfe_u32 s0, ttmp6, 0x4000c
	s_and_b32 s1, ttmp6, 15
	s_add_co_i32 s0, s0, 1
	s_getreg_b32 s2, hwreg(HW_REG_IB_STS2, 6, 4)
	s_mul_i32 s0, ttmp9, s0
	v_dual_mov_b32 v59, 0 :: v_dual_lshlrev_b32 v58, 3, v0
	s_add_co_i32 s0, s1, s0
	s_wait_kmcnt 0x0
	s_ashr_i32 s1, s8, 31
	s_cmp_eq_u32 s2, 0
	s_cselect_b32 s2, ttmp9, s0
	s_mov_b32 s0, s8
	s_ashr_i32 s3, s2, 31
	s_lshl_b64 s[0:1], s[0:1], 3
	s_lshl_b64 s[2:3], s[2:3], 3
	s_delay_alu instid0(SALU_CYCLE_1)
	s_add_nc_u64 s[2:3], s[6:7], s[2:3]
	s_load_b64 s[2:3], s[2:3], 0x0
	s_wait_kmcnt 0x0
	s_add_nc_u64 s[2:3], s[2:3], s[0:1]
	s_mov_b32 s0, s9
	flat_load_b64 v[6:7], v0, s[2:3] scale_offset
	v_add_nc_u64_e32 v[2:3], s[2:3], v[58:59]
	s_ashr_i32 s1, s9, 31
	s_cmp_lg_u32 s5, 0x84
	s_cselect_b32 s5, -1, 0
	s_delay_alu instid0(SALU_CYCLE_1) | instskip(NEXT) | instid1(VALU_DEP_1)
	s_and_b32 vcc_lo, exec_lo, s5
	v_lshl_add_u64 v[4:5], s[0:1], 3, v[2:3]
	s_mov_b32 s0, -1
	s_wait_loadcnt_dscnt 0x0
	scratch_store_b64 off, v[6:7], off
	flat_load_b64 v[8:9], v[4:5]
	s_wait_xcnt 0x1
	v_add3_u32 v6, s9, s9, v0
	s_wait_loadcnt_dscnt 0x0
	scratch_store_b64 off, v[8:9], off offset:8
	flat_load_b64 v[10:11], v6, s[2:3] scale_offset
	s_wait_xcnt 0x1
	v_add_nc_u32_e32 v8, s9, v6
	s_wait_loadcnt_dscnt 0x0
	scratch_store_b64 off, v[10:11], off offset:16
	flat_load_b64 v[12:13], v8, s[2:3] scale_offset
	s_wait_xcnt 0x1
	v_add_nc_u32_e32 v10, s9, v8
	;; [unrolled: 5-line block ×58, first 2 shown]
	s_wait_loadcnt_dscnt 0x0
	scratch_store_b64 off, v[126:127], off offset:472
	flat_load_b64 v[126:127], v124, s[2:3] scale_offset
	s_wait_loadcnt_dscnt 0x0
	scratch_store_b64 off, v[126:127], off offset:480
	s_cbranch_vccz .LBB124_7
; %bb.2:
	scratch_load_b64 v[126:127], v0, off scale_offset
                                        ; implicit-def: $vgpr131
                                        ; implicit-def: $vgpr128
	s_wait_loadcnt 0x0
	v_cmp_ngt_f32_e64 s0, |v126|, |v127|
	s_wait_xcnt 0x0
	s_and_saveexec_b32 s1, s0
	s_delay_alu instid0(SALU_CYCLE_1)
	s_xor_b32 s0, exec_lo, s1
	s_cbranch_execz .LBB124_4
; %bb.3:
	v_div_scale_f32 v1, null, v127, v127, v126
	v_div_scale_f32 v11, vcc_lo, v126, v127, v126
	s_delay_alu instid0(VALU_DEP_2) | instskip(SKIP_1) | instid1(TRANS32_DEP_1)
	v_rcp_f32_e32 v7, v1
	v_nop
	v_fma_f32 v9, -v1, v7, 1.0
	s_delay_alu instid0(VALU_DEP_1) | instskip(NEXT) | instid1(VALU_DEP_1)
	v_fmac_f32_e32 v7, v9, v7
	v_mul_f32_e32 v9, v11, v7
	s_delay_alu instid0(VALU_DEP_1) | instskip(NEXT) | instid1(VALU_DEP_1)
	v_fma_f32 v13, -v1, v9, v11
	v_fmac_f32_e32 v9, v13, v7
	s_delay_alu instid0(VALU_DEP_1) | instskip(NEXT) | instid1(VALU_DEP_1)
	v_fma_f32 v1, -v1, v9, v11
	v_div_fmas_f32 v1, v1, v7, v9
	s_delay_alu instid0(VALU_DEP_1) | instskip(NEXT) | instid1(VALU_DEP_1)
	v_div_fixup_f32 v1, v1, v127, v126
	v_fmac_f32_e32 v127, v126, v1
	s_delay_alu instid0(VALU_DEP_1) | instskip(NEXT) | instid1(VALU_DEP_1)
	v_div_scale_f32 v7, null, v127, v127, -1.0
	v_rcp_f32_e32 v9, v7
	v_nop
	s_delay_alu instid0(TRANS32_DEP_1) | instskip(NEXT) | instid1(VALU_DEP_1)
	v_fma_f32 v11, -v7, v9, 1.0
	v_fmac_f32_e32 v9, v11, v9
	v_div_scale_f32 v11, vcc_lo, -1.0, v127, -1.0
	s_delay_alu instid0(VALU_DEP_1) | instskip(NEXT) | instid1(VALU_DEP_1)
	v_mul_f32_e32 v13, v11, v9
	v_fma_f32 v15, -v7, v13, v11
	s_delay_alu instid0(VALU_DEP_1) | instskip(NEXT) | instid1(VALU_DEP_1)
	v_fmac_f32_e32 v13, v15, v9
	v_fma_f32 v7, -v7, v13, v11
	s_delay_alu instid0(VALU_DEP_1) | instskip(NEXT) | instid1(VALU_DEP_1)
	v_div_fmas_f32 v7, v7, v9, v13
	v_div_fixup_f32 v131, v7, v127, -1.0
                                        ; implicit-def: $vgpr126_vgpr127
	s_delay_alu instid0(VALU_DEP_1) | instskip(NEXT) | instid1(VALU_DEP_1)
	v_mul_f32_e32 v128, v1, v131
	v_xor_b32_e32 v130, 0x80000000, v128
.LBB124_4:
	s_or_saveexec_b32 s0, s0
	v_lshl_add_u32 v1, v0, 3, 0
	s_xor_b32 exec_lo, exec_lo, s0
	s_cbranch_execz .LBB124_6
; %bb.5:
	v_div_scale_f32 v7, null, v126, v126, v127
	v_div_scale_f32 v13, vcc_lo, v127, v126, v127
	s_delay_alu instid0(VALU_DEP_2) | instskip(SKIP_1) | instid1(TRANS32_DEP_1)
	v_rcp_f32_e32 v9, v7
	v_nop
	v_fma_f32 v11, -v7, v9, 1.0
	s_delay_alu instid0(VALU_DEP_1) | instskip(NEXT) | instid1(VALU_DEP_1)
	v_fmac_f32_e32 v9, v11, v9
	v_mul_f32_e32 v11, v13, v9
	s_delay_alu instid0(VALU_DEP_1) | instskip(NEXT) | instid1(VALU_DEP_1)
	v_fma_f32 v15, -v7, v11, v13
	v_fmac_f32_e32 v11, v15, v9
	s_delay_alu instid0(VALU_DEP_1) | instskip(NEXT) | instid1(VALU_DEP_1)
	v_fma_f32 v7, -v7, v11, v13
	v_div_fmas_f32 v7, v7, v9, v11
	s_delay_alu instid0(VALU_DEP_1) | instskip(NEXT) | instid1(VALU_DEP_1)
	v_div_fixup_f32 v7, v7, v126, v127
	v_fmac_f32_e32 v126, v127, v7
	s_delay_alu instid0(VALU_DEP_1) | instskip(SKIP_1) | instid1(VALU_DEP_2)
	v_div_scale_f32 v9, null, v126, v126, 1.0
	v_div_scale_f32 v15, vcc_lo, 1.0, v126, 1.0
	v_rcp_f32_e32 v11, v9
	v_nop
	s_delay_alu instid0(TRANS32_DEP_1) | instskip(NEXT) | instid1(VALU_DEP_1)
	v_fma_f32 v13, -v9, v11, 1.0
	v_fmac_f32_e32 v11, v13, v11
	s_delay_alu instid0(VALU_DEP_1) | instskip(NEXT) | instid1(VALU_DEP_1)
	v_mul_f32_e32 v13, v15, v11
	v_fma_f32 v17, -v9, v13, v15
	s_delay_alu instid0(VALU_DEP_1) | instskip(NEXT) | instid1(VALU_DEP_1)
	v_fmac_f32_e32 v13, v17, v11
	v_fma_f32 v9, -v9, v13, v15
	s_delay_alu instid0(VALU_DEP_1) | instskip(NEXT) | instid1(VALU_DEP_1)
	v_div_fmas_f32 v9, v9, v11, v13
	v_div_fixup_f32 v130, v9, v126, 1.0
	s_delay_alu instid0(VALU_DEP_1)
	v_xor_b32_e32 v128, 0x80000000, v130
	v_mul_f32_e64 v131, v7, -v130
.LBB124_6:
	s_or_b32 exec_lo, exec_lo, s0
	s_delay_alu instid0(VALU_DEP_1)
	v_xor_b32_e32 v129, 0x80000000, v131
	s_mov_b32 s0, 0
	scratch_store_b64 v1, v[130:131], off
	ds_store_b64 v58, v[128:129]
.LBB124_7:
	s_and_b32 vcc_lo, exec_lo, s0
	s_cbranch_vccz .LBB124_9
; %bb.8:
	s_mov_b64 s[0:1], 0xbf800000
	s_wait_xcnt 0x0
	v_mov_b64_e32 v[126:127], s[0:1]
	ds_store_b64 v58, v[126:127]
.LBB124_9:
	v_dual_ashrrev_i32 v7, 31, v6 :: v_dual_ashrrev_i32 v9, 31, v8
	v_dual_ashrrev_i32 v11, 31, v10 :: v_dual_ashrrev_i32 v13, 31, v12
	;; [unrolled: 1-line block ×29, first 2 shown]
	v_dual_ashrrev_i32 v125, 31, v124 :: v_dual_mov_b32 v59, v58
	s_wait_xcnt 0x0
	v_add_nc_u32_e32 v1, 0x1f0, v58
	s_cmp_eq_u32 s4, 0x79
	s_cbranch_scc1 .LBB124_13
; %bb.10:
	scratch_load_b64 v[126:127], off, off offset:472
	v_cmp_eq_u32_e64 s0, 60, v0
	s_movk_i32 s1, 0x48
	s_movk_i32 s14, 0x50
	;; [unrolled: 1-line block ×50, first 2 shown]
	s_wait_loadcnt 0x0
	ds_store_b64 v1, v[126:127]
	s_wait_storecnt_dscnt 0x0
	s_barrier_signal -1
	s_barrier_wait -1
	s_wait_xcnt 0x0
	s_and_saveexec_b32 s4, s0
	s_cbranch_execz .LBB124_17
; %bb.11:
	s_and_b32 vcc_lo, exec_lo, s5
	s_cbranch_vccz .LBB124_14
; %bb.12:
	scratch_load_b64 v[126:127], v59, off
	ds_load_b64 v[128:129], v1
	s_wait_loadcnt_dscnt 0x0
	v_pk_mul_f32 v[130:131], v[128:129], v[126:127] op_sel:[1,1] op_sel_hi:[0,1]
	v_pk_mul_f32 v[132:133], v[128:129], v[126:127] op_sel_hi:[1,0]
	s_delay_alu instid0(VALU_DEP_2) | instskip(NEXT) | instid1(VALU_DEP_2)
	v_pk_fma_f32 v[126:127], v[128:129], v[126:127], v[130:131] op_sel_hi:[1,0,1]
	v_sub_f32_e32 v126, v132, v130
	s_cbranch_execz .LBB124_15
	s_branch .LBB124_16
.LBB124_13:
	s_mov_b32 s1, 0
                                        ; implicit-def: $vgpr182
                                        ; implicit-def: $sgpr7
	s_cbranch_execnz .LBB124_606
	s_branch .LBB124_1201
.LBB124_14:
                                        ; implicit-def: $vgpr127
.LBB124_15:
	ds_load_b64 v[126:127], v1
.LBB124_16:
	s_wait_dscnt 0x0
	v_dual_mov_b32 v128, 0 :: v_dual_mov_b32 v130, v127
	v_mov_b32_e32 v131, v126
	ds_load_b64 v[128:129], v128 offset:472
	s_wait_dscnt 0x0
	v_pk_mul_f32 v[130:131], v[130:131], v[128:129] op_sel:[0,1]
	s_delay_alu instid0(VALU_DEP_1) | instskip(SKIP_1) | instid1(VALU_DEP_2)
	v_pk_fma_f32 v[132:133], v[126:127], v[128:129], v[130:131] op_sel_hi:[1,0,1]
	v_pk_fma_f32 v[126:127], v[126:127], v[128:129], v[130:131] neg_lo:[0,0,1] neg_hi:[0,0,1]
	v_mov_b32_e32 v127, v133
	scratch_store_b64 off, v[126:127], off offset:472
.LBB124_17:
	s_wait_xcnt 0x0
	s_or_b32 exec_lo, exec_lo, s4
	scratch_load_b64 v[126:127], off, off offset:464
	s_mov_b32 s13, s1
	v_cmp_lt_u32_e64 s1, 58, v0
	s_or_b32 s4, 0, 8
	s_mov_b32 s6, 16
	s_mov_b32 s7, 24
	;; [unrolled: 1-line block ×7, first 2 shown]
	s_wait_loadcnt 0x0
	ds_store_b64 v1, v[126:127]
	s_wait_storecnt_dscnt 0x0
	s_barrier_signal -1
	s_barrier_wait -1
	s_wait_xcnt 0x0
	s_and_saveexec_b32 s64, s1
	s_cbranch_execz .LBB124_25
; %bb.18:
	s_and_not1_b32 vcc_lo, exec_lo, s5
	s_cbranch_vccnz .LBB124_20
; %bb.19:
	scratch_load_b64 v[126:127], v59, off
	ds_load_b64 v[128:129], v1
	s_wait_loadcnt_dscnt 0x0
	v_pk_mul_f32 v[130:131], v[128:129], v[126:127] op_sel:[1,1] op_sel_hi:[0,1]
	s_delay_alu instid0(VALU_DEP_1) | instskip(SKIP_1) | instid1(VALU_DEP_2)
	v_pk_fma_f32 v[132:133], v[128:129], v[126:127], v[130:131] op_sel_hi:[1,0,1]
	v_pk_fma_f32 v[126:127], v[128:129], v[126:127], v[130:131] neg_lo:[0,0,1] neg_hi:[0,0,1]
	v_mov_b32_e32 v127, v133
	s_cbranch_execz .LBB124_21
	s_branch .LBB124_22
.LBB124_20:
                                        ; implicit-def: $vgpr126_vgpr127
.LBB124_21:
	ds_load_b64 v[126:127], v1
.LBB124_22:
	s_and_saveexec_b32 s65, s0
	s_cbranch_execz .LBB124_24
; %bb.23:
	scratch_load_b64 v[128:129], off, off offset:472
	v_mov_b32_e32 v130, 0
	ds_load_b64 v[130:131], v130 offset:968
	s_wait_loadcnt_dscnt 0x0
	v_pk_mul_f32 v[132:133], v[130:131], v[128:129] op_sel:[1,1] op_sel_hi:[0,1]
	s_delay_alu instid0(VALU_DEP_1) | instskip(SKIP_1) | instid1(VALU_DEP_2)
	v_pk_fma_f32 v[134:135], v[130:131], v[128:129], v[132:133] op_sel_hi:[1,0,1]
	v_pk_fma_f32 v[128:129], v[130:131], v[128:129], v[132:133] neg_lo:[0,0,1] neg_hi:[0,0,1]
	v_mov_b32_e32 v129, v135
	s_delay_alu instid0(VALU_DEP_1)
	v_pk_add_f32 v[126:127], v[126:127], v[128:129]
.LBB124_24:
	s_or_b32 exec_lo, exec_lo, s65
	v_mov_b32_e32 v128, 0
	ds_load_b64 v[128:129], v128 offset:464
	s_wait_dscnt 0x0
	v_pk_mul_f32 v[130:131], v[126:127], v[128:129] op_sel:[1,1] op_sel_hi:[0,1]
	s_delay_alu instid0(VALU_DEP_1) | instskip(SKIP_1) | instid1(VALU_DEP_2)
	v_pk_fma_f32 v[132:133], v[126:127], v[128:129], v[130:131] op_sel_hi:[1,0,1]
	v_pk_fma_f32 v[126:127], v[126:127], v[128:129], v[130:131] neg_lo:[0,0,1] neg_hi:[0,0,1]
	v_mov_b32_e32 v127, v133
	scratch_store_b64 off, v[126:127], off offset:464
.LBB124_25:
	s_wait_xcnt 0x0
	s_or_b32 exec_lo, exec_lo, s64
	scratch_load_b64 v[126:127], off, off offset:456
	v_cmp_lt_u32_e64 s0, 57, v0
	s_wait_loadcnt 0x0
	ds_store_b64 v1, v[126:127]
	s_wait_storecnt_dscnt 0x0
	s_barrier_signal -1
	s_barrier_wait -1
	s_wait_xcnt 0x0
	s_and_saveexec_b32 s64, s0
	s_cbranch_execz .LBB124_35
; %bb.26:
	s_and_not1_b32 vcc_lo, exec_lo, s5
	s_cbranch_vccnz .LBB124_28
; %bb.27:
	scratch_load_b64 v[126:127], v59, off
	ds_load_b64 v[128:129], v1
	s_wait_loadcnt_dscnt 0x0
	v_pk_mul_f32 v[130:131], v[128:129], v[126:127] op_sel:[1,1] op_sel_hi:[0,1]
	s_delay_alu instid0(VALU_DEP_1) | instskip(SKIP_1) | instid1(VALU_DEP_2)
	v_pk_fma_f32 v[132:133], v[128:129], v[126:127], v[130:131] op_sel_hi:[1,0,1]
	v_pk_fma_f32 v[126:127], v[128:129], v[126:127], v[130:131] neg_lo:[0,0,1] neg_hi:[0,0,1]
	v_mov_b32_e32 v127, v133
	s_cbranch_execz .LBB124_29
	s_branch .LBB124_30
.LBB124_28:
                                        ; implicit-def: $vgpr126_vgpr127
.LBB124_29:
	ds_load_b64 v[126:127], v1
.LBB124_30:
	s_and_saveexec_b32 s65, s1
	s_cbranch_execz .LBB124_34
; %bb.31:
	v_subrev_nc_u32_e32 v128, 58, v0
	s_movk_i32 s66, 0x3c0
	s_mov_b32 s1, 0
.LBB124_32:                             ; =>This Inner Loop Header: Depth=1
	scratch_load_b64 v[130:131], off, s63
	v_dual_mov_b32 v129, s66 :: v_dual_add_nc_u32 v128, -1, v128
	s_add_co_i32 s66, s66, 8
	s_wait_xcnt 0x0
	s_add_co_i32 s63, s63, 8
	ds_load_b64 v[132:133], v129
	v_cmp_eq_u32_e32 vcc_lo, 0, v128
	s_or_b32 s1, vcc_lo, s1
	s_wait_loadcnt_dscnt 0x0
	v_pk_mul_f32 v[134:135], v[132:133], v[130:131] op_sel:[1,1] op_sel_hi:[0,1]
	s_delay_alu instid0(VALU_DEP_1) | instskip(SKIP_1) | instid1(VALU_DEP_2)
	v_pk_fma_f32 v[136:137], v[132:133], v[130:131], v[134:135] op_sel_hi:[1,0,1]
	v_pk_fma_f32 v[130:131], v[132:133], v[130:131], v[134:135] neg_lo:[0,0,1] neg_hi:[0,0,1]
	v_mov_b32_e32 v131, v137
	s_delay_alu instid0(VALU_DEP_1)
	v_pk_add_f32 v[126:127], v[126:127], v[130:131]
	s_and_not1_b32 exec_lo, exec_lo, s1
	s_cbranch_execnz .LBB124_32
; %bb.33:
	s_or_b32 exec_lo, exec_lo, s1
.LBB124_34:
	s_delay_alu instid0(SALU_CYCLE_1) | instskip(SKIP_4) | instid1(VALU_DEP_1)
	s_or_b32 exec_lo, exec_lo, s65
	v_mov_b32_e32 v128, 0
	ds_load_b64 v[128:129], v128 offset:456
	s_wait_dscnt 0x0
	v_pk_mul_f32 v[130:131], v[126:127], v[128:129] op_sel:[1,1] op_sel_hi:[0,1]
	v_pk_fma_f32 v[132:133], v[126:127], v[128:129], v[130:131] op_sel_hi:[1,0,1]
	v_pk_fma_f32 v[126:127], v[126:127], v[128:129], v[130:131] neg_lo:[0,0,1] neg_hi:[0,0,1]
	s_delay_alu instid0(VALU_DEP_2)
	v_mov_b32_e32 v127, v133
	scratch_store_b64 off, v[126:127], off offset:456
.LBB124_35:
	s_wait_xcnt 0x0
	s_or_b32 exec_lo, exec_lo, s64
	scratch_load_b64 v[126:127], off, off offset:448
	v_cmp_lt_u32_e64 s1, 56, v0
	s_wait_loadcnt 0x0
	ds_store_b64 v1, v[126:127]
	s_wait_storecnt_dscnt 0x0
	s_barrier_signal -1
	s_barrier_wait -1
	s_wait_xcnt 0x0
	s_and_saveexec_b32 s63, s1
	s_cbranch_execz .LBB124_45
; %bb.36:
	s_and_not1_b32 vcc_lo, exec_lo, s5
	s_cbranch_vccnz .LBB124_38
; %bb.37:
	scratch_load_b64 v[126:127], v59, off
	ds_load_b64 v[128:129], v1
	s_wait_loadcnt_dscnt 0x0
	v_pk_mul_f32 v[130:131], v[128:129], v[126:127] op_sel:[1,1] op_sel_hi:[0,1]
	s_delay_alu instid0(VALU_DEP_1) | instskip(SKIP_1) | instid1(VALU_DEP_2)
	v_pk_fma_f32 v[132:133], v[128:129], v[126:127], v[130:131] op_sel_hi:[1,0,1]
	v_pk_fma_f32 v[126:127], v[128:129], v[126:127], v[130:131] neg_lo:[0,0,1] neg_hi:[0,0,1]
	v_mov_b32_e32 v127, v133
	s_cbranch_execz .LBB124_39
	s_branch .LBB124_40
.LBB124_38:
                                        ; implicit-def: $vgpr126_vgpr127
.LBB124_39:
	ds_load_b64 v[126:127], v1
.LBB124_40:
	s_and_saveexec_b32 s64, s0
	s_cbranch_execz .LBB124_44
; %bb.41:
	v_subrev_nc_u32_e32 v128, 57, v0
	s_movk_i32 s65, 0x3b8
	s_mov_b32 s0, 0
.LBB124_42:                             ; =>This Inner Loop Header: Depth=1
	scratch_load_b64 v[130:131], off, s62
	v_dual_mov_b32 v129, s65 :: v_dual_add_nc_u32 v128, -1, v128
	s_add_co_i32 s65, s65, 8
	s_wait_xcnt 0x0
	s_add_co_i32 s62, s62, 8
	ds_load_b64 v[132:133], v129
	v_cmp_eq_u32_e32 vcc_lo, 0, v128
	s_or_b32 s0, vcc_lo, s0
	s_wait_loadcnt_dscnt 0x0
	v_pk_mul_f32 v[134:135], v[132:133], v[130:131] op_sel:[1,1] op_sel_hi:[0,1]
	s_delay_alu instid0(VALU_DEP_1) | instskip(SKIP_1) | instid1(VALU_DEP_2)
	v_pk_fma_f32 v[136:137], v[132:133], v[130:131], v[134:135] op_sel_hi:[1,0,1]
	v_pk_fma_f32 v[130:131], v[132:133], v[130:131], v[134:135] neg_lo:[0,0,1] neg_hi:[0,0,1]
	v_mov_b32_e32 v131, v137
	s_delay_alu instid0(VALU_DEP_1)
	v_pk_add_f32 v[126:127], v[126:127], v[130:131]
	s_and_not1_b32 exec_lo, exec_lo, s0
	s_cbranch_execnz .LBB124_42
; %bb.43:
	s_or_b32 exec_lo, exec_lo, s0
.LBB124_44:
	s_delay_alu instid0(SALU_CYCLE_1) | instskip(SKIP_4) | instid1(VALU_DEP_1)
	s_or_b32 exec_lo, exec_lo, s64
	v_mov_b32_e32 v128, 0
	ds_load_b64 v[128:129], v128 offset:448
	s_wait_dscnt 0x0
	v_pk_mul_f32 v[130:131], v[126:127], v[128:129] op_sel:[1,1] op_sel_hi:[0,1]
	v_pk_fma_f32 v[132:133], v[126:127], v[128:129], v[130:131] op_sel_hi:[1,0,1]
	v_pk_fma_f32 v[126:127], v[126:127], v[128:129], v[130:131] neg_lo:[0,0,1] neg_hi:[0,0,1]
	s_delay_alu instid0(VALU_DEP_2)
	v_mov_b32_e32 v127, v133
	scratch_store_b64 off, v[126:127], off offset:448
.LBB124_45:
	s_wait_xcnt 0x0
	s_or_b32 exec_lo, exec_lo, s63
	scratch_load_b64 v[126:127], off, off offset:440
	v_cmp_lt_u32_e64 s0, 55, v0
	s_wait_loadcnt 0x0
	ds_store_b64 v1, v[126:127]
	s_wait_storecnt_dscnt 0x0
	s_barrier_signal -1
	s_barrier_wait -1
	s_wait_xcnt 0x0
	s_and_saveexec_b32 s62, s0
	s_cbranch_execz .LBB124_55
; %bb.46:
	s_and_not1_b32 vcc_lo, exec_lo, s5
	s_cbranch_vccnz .LBB124_48
; %bb.47:
	scratch_load_b64 v[126:127], v59, off
	ds_load_b64 v[128:129], v1
	s_wait_loadcnt_dscnt 0x0
	v_pk_mul_f32 v[130:131], v[128:129], v[126:127] op_sel:[1,1] op_sel_hi:[0,1]
	s_delay_alu instid0(VALU_DEP_1) | instskip(SKIP_1) | instid1(VALU_DEP_2)
	v_pk_fma_f32 v[132:133], v[128:129], v[126:127], v[130:131] op_sel_hi:[1,0,1]
	v_pk_fma_f32 v[126:127], v[128:129], v[126:127], v[130:131] neg_lo:[0,0,1] neg_hi:[0,0,1]
	v_mov_b32_e32 v127, v133
	s_cbranch_execz .LBB124_49
	s_branch .LBB124_50
.LBB124_48:
                                        ; implicit-def: $vgpr126_vgpr127
.LBB124_49:
	ds_load_b64 v[126:127], v1
.LBB124_50:
	s_and_saveexec_b32 s63, s1
	s_cbranch_execz .LBB124_54
; %bb.51:
	v_subrev_nc_u32_e32 v128, 56, v0
	s_movk_i32 s64, 0x3b0
	s_mov_b32 s1, 0
.LBB124_52:                             ; =>This Inner Loop Header: Depth=1
	scratch_load_b64 v[130:131], off, s61
	v_dual_mov_b32 v129, s64 :: v_dual_add_nc_u32 v128, -1, v128
	s_add_co_i32 s64, s64, 8
	s_wait_xcnt 0x0
	s_add_co_i32 s61, s61, 8
	ds_load_b64 v[132:133], v129
	v_cmp_eq_u32_e32 vcc_lo, 0, v128
	s_or_b32 s1, vcc_lo, s1
	s_wait_loadcnt_dscnt 0x0
	v_pk_mul_f32 v[134:135], v[132:133], v[130:131] op_sel:[1,1] op_sel_hi:[0,1]
	s_delay_alu instid0(VALU_DEP_1) | instskip(SKIP_1) | instid1(VALU_DEP_2)
	v_pk_fma_f32 v[136:137], v[132:133], v[130:131], v[134:135] op_sel_hi:[1,0,1]
	v_pk_fma_f32 v[130:131], v[132:133], v[130:131], v[134:135] neg_lo:[0,0,1] neg_hi:[0,0,1]
	v_mov_b32_e32 v131, v137
	s_delay_alu instid0(VALU_DEP_1)
	v_pk_add_f32 v[126:127], v[126:127], v[130:131]
	s_and_not1_b32 exec_lo, exec_lo, s1
	s_cbranch_execnz .LBB124_52
; %bb.53:
	s_or_b32 exec_lo, exec_lo, s1
.LBB124_54:
	s_delay_alu instid0(SALU_CYCLE_1) | instskip(SKIP_4) | instid1(VALU_DEP_1)
	s_or_b32 exec_lo, exec_lo, s63
	v_mov_b32_e32 v128, 0
	ds_load_b64 v[128:129], v128 offset:440
	s_wait_dscnt 0x0
	v_pk_mul_f32 v[130:131], v[126:127], v[128:129] op_sel:[1,1] op_sel_hi:[0,1]
	v_pk_fma_f32 v[132:133], v[126:127], v[128:129], v[130:131] op_sel_hi:[1,0,1]
	v_pk_fma_f32 v[126:127], v[126:127], v[128:129], v[130:131] neg_lo:[0,0,1] neg_hi:[0,0,1]
	s_delay_alu instid0(VALU_DEP_2)
	v_mov_b32_e32 v127, v133
	scratch_store_b64 off, v[126:127], off offset:440
.LBB124_55:
	s_wait_xcnt 0x0
	s_or_b32 exec_lo, exec_lo, s62
	scratch_load_b64 v[126:127], off, off offset:432
	v_cmp_lt_u32_e64 s1, 54, v0
	s_wait_loadcnt 0x0
	ds_store_b64 v1, v[126:127]
	s_wait_storecnt_dscnt 0x0
	s_barrier_signal -1
	s_barrier_wait -1
	s_wait_xcnt 0x0
	s_and_saveexec_b32 s61, s1
	s_cbranch_execz .LBB124_65
; %bb.56:
	s_and_not1_b32 vcc_lo, exec_lo, s5
	s_cbranch_vccnz .LBB124_58
; %bb.57:
	scratch_load_b64 v[126:127], v59, off
	ds_load_b64 v[128:129], v1
	s_wait_loadcnt_dscnt 0x0
	v_pk_mul_f32 v[130:131], v[128:129], v[126:127] op_sel:[1,1] op_sel_hi:[0,1]
	s_delay_alu instid0(VALU_DEP_1) | instskip(SKIP_1) | instid1(VALU_DEP_2)
	v_pk_fma_f32 v[132:133], v[128:129], v[126:127], v[130:131] op_sel_hi:[1,0,1]
	v_pk_fma_f32 v[126:127], v[128:129], v[126:127], v[130:131] neg_lo:[0,0,1] neg_hi:[0,0,1]
	v_mov_b32_e32 v127, v133
	s_cbranch_execz .LBB124_59
	s_branch .LBB124_60
.LBB124_58:
                                        ; implicit-def: $vgpr126_vgpr127
.LBB124_59:
	ds_load_b64 v[126:127], v1
.LBB124_60:
	s_and_saveexec_b32 s62, s0
	s_cbranch_execz .LBB124_64
; %bb.61:
	v_subrev_nc_u32_e32 v128, 55, v0
	s_movk_i32 s63, 0x3a8
	s_mov_b32 s0, 0
.LBB124_62:                             ; =>This Inner Loop Header: Depth=1
	scratch_load_b64 v[130:131], off, s60
	v_dual_mov_b32 v129, s63 :: v_dual_add_nc_u32 v128, -1, v128
	s_add_co_i32 s63, s63, 8
	s_wait_xcnt 0x0
	s_add_co_i32 s60, s60, 8
	ds_load_b64 v[132:133], v129
	v_cmp_eq_u32_e32 vcc_lo, 0, v128
	s_or_b32 s0, vcc_lo, s0
	s_wait_loadcnt_dscnt 0x0
	v_pk_mul_f32 v[134:135], v[132:133], v[130:131] op_sel:[1,1] op_sel_hi:[0,1]
	s_delay_alu instid0(VALU_DEP_1) | instskip(SKIP_1) | instid1(VALU_DEP_2)
	v_pk_fma_f32 v[136:137], v[132:133], v[130:131], v[134:135] op_sel_hi:[1,0,1]
	v_pk_fma_f32 v[130:131], v[132:133], v[130:131], v[134:135] neg_lo:[0,0,1] neg_hi:[0,0,1]
	v_mov_b32_e32 v131, v137
	s_delay_alu instid0(VALU_DEP_1)
	v_pk_add_f32 v[126:127], v[126:127], v[130:131]
	s_and_not1_b32 exec_lo, exec_lo, s0
	s_cbranch_execnz .LBB124_62
; %bb.63:
	s_or_b32 exec_lo, exec_lo, s0
.LBB124_64:
	s_delay_alu instid0(SALU_CYCLE_1) | instskip(SKIP_4) | instid1(VALU_DEP_1)
	s_or_b32 exec_lo, exec_lo, s62
	v_mov_b32_e32 v128, 0
	ds_load_b64 v[128:129], v128 offset:432
	s_wait_dscnt 0x0
	v_pk_mul_f32 v[130:131], v[126:127], v[128:129] op_sel:[1,1] op_sel_hi:[0,1]
	v_pk_fma_f32 v[132:133], v[126:127], v[128:129], v[130:131] op_sel_hi:[1,0,1]
	v_pk_fma_f32 v[126:127], v[126:127], v[128:129], v[130:131] neg_lo:[0,0,1] neg_hi:[0,0,1]
	s_delay_alu instid0(VALU_DEP_2)
	v_mov_b32_e32 v127, v133
	scratch_store_b64 off, v[126:127], off offset:432
.LBB124_65:
	s_wait_xcnt 0x0
	s_or_b32 exec_lo, exec_lo, s61
	scratch_load_b64 v[126:127], off, off offset:424
	v_cmp_lt_u32_e64 s0, 53, v0
	s_wait_loadcnt 0x0
	ds_store_b64 v1, v[126:127]
	s_wait_storecnt_dscnt 0x0
	s_barrier_signal -1
	s_barrier_wait -1
	s_wait_xcnt 0x0
	s_and_saveexec_b32 s60, s0
	s_cbranch_execz .LBB124_75
; %bb.66:
	s_and_not1_b32 vcc_lo, exec_lo, s5
	s_cbranch_vccnz .LBB124_68
; %bb.67:
	scratch_load_b64 v[126:127], v59, off
	ds_load_b64 v[128:129], v1
	s_wait_loadcnt_dscnt 0x0
	v_pk_mul_f32 v[130:131], v[128:129], v[126:127] op_sel:[1,1] op_sel_hi:[0,1]
	s_delay_alu instid0(VALU_DEP_1) | instskip(SKIP_1) | instid1(VALU_DEP_2)
	v_pk_fma_f32 v[132:133], v[128:129], v[126:127], v[130:131] op_sel_hi:[1,0,1]
	v_pk_fma_f32 v[126:127], v[128:129], v[126:127], v[130:131] neg_lo:[0,0,1] neg_hi:[0,0,1]
	v_mov_b32_e32 v127, v133
	s_cbranch_execz .LBB124_69
	s_branch .LBB124_70
.LBB124_68:
                                        ; implicit-def: $vgpr126_vgpr127
.LBB124_69:
	ds_load_b64 v[126:127], v1
.LBB124_70:
	s_and_saveexec_b32 s61, s1
	s_cbranch_execz .LBB124_74
; %bb.71:
	v_subrev_nc_u32_e32 v128, 54, v0
	s_movk_i32 s62, 0x3a0
	s_mov_b32 s1, 0
.LBB124_72:                             ; =>This Inner Loop Header: Depth=1
	scratch_load_b64 v[130:131], off, s59
	v_dual_mov_b32 v129, s62 :: v_dual_add_nc_u32 v128, -1, v128
	s_add_co_i32 s62, s62, 8
	s_wait_xcnt 0x0
	s_add_co_i32 s59, s59, 8
	ds_load_b64 v[132:133], v129
	v_cmp_eq_u32_e32 vcc_lo, 0, v128
	s_or_b32 s1, vcc_lo, s1
	s_wait_loadcnt_dscnt 0x0
	v_pk_mul_f32 v[134:135], v[132:133], v[130:131] op_sel:[1,1] op_sel_hi:[0,1]
	s_delay_alu instid0(VALU_DEP_1) | instskip(SKIP_1) | instid1(VALU_DEP_2)
	v_pk_fma_f32 v[136:137], v[132:133], v[130:131], v[134:135] op_sel_hi:[1,0,1]
	v_pk_fma_f32 v[130:131], v[132:133], v[130:131], v[134:135] neg_lo:[0,0,1] neg_hi:[0,0,1]
	v_mov_b32_e32 v131, v137
	s_delay_alu instid0(VALU_DEP_1)
	v_pk_add_f32 v[126:127], v[126:127], v[130:131]
	s_and_not1_b32 exec_lo, exec_lo, s1
	s_cbranch_execnz .LBB124_72
; %bb.73:
	s_or_b32 exec_lo, exec_lo, s1
.LBB124_74:
	s_delay_alu instid0(SALU_CYCLE_1) | instskip(SKIP_4) | instid1(VALU_DEP_1)
	s_or_b32 exec_lo, exec_lo, s61
	v_mov_b32_e32 v128, 0
	ds_load_b64 v[128:129], v128 offset:424
	s_wait_dscnt 0x0
	v_pk_mul_f32 v[130:131], v[126:127], v[128:129] op_sel:[1,1] op_sel_hi:[0,1]
	v_pk_fma_f32 v[132:133], v[126:127], v[128:129], v[130:131] op_sel_hi:[1,0,1]
	v_pk_fma_f32 v[126:127], v[126:127], v[128:129], v[130:131] neg_lo:[0,0,1] neg_hi:[0,0,1]
	s_delay_alu instid0(VALU_DEP_2)
	v_mov_b32_e32 v127, v133
	scratch_store_b64 off, v[126:127], off offset:424
.LBB124_75:
	s_wait_xcnt 0x0
	s_or_b32 exec_lo, exec_lo, s60
	scratch_load_b64 v[126:127], off, off offset:416
	v_cmp_lt_u32_e64 s1, 52, v0
	s_wait_loadcnt 0x0
	ds_store_b64 v1, v[126:127]
	s_wait_storecnt_dscnt 0x0
	s_barrier_signal -1
	s_barrier_wait -1
	s_wait_xcnt 0x0
	s_and_saveexec_b32 s59, s1
	s_cbranch_execz .LBB124_85
; %bb.76:
	s_and_not1_b32 vcc_lo, exec_lo, s5
	s_cbranch_vccnz .LBB124_78
; %bb.77:
	scratch_load_b64 v[126:127], v59, off
	ds_load_b64 v[128:129], v1
	s_wait_loadcnt_dscnt 0x0
	v_pk_mul_f32 v[130:131], v[128:129], v[126:127] op_sel:[1,1] op_sel_hi:[0,1]
	s_delay_alu instid0(VALU_DEP_1) | instskip(SKIP_1) | instid1(VALU_DEP_2)
	v_pk_fma_f32 v[132:133], v[128:129], v[126:127], v[130:131] op_sel_hi:[1,0,1]
	v_pk_fma_f32 v[126:127], v[128:129], v[126:127], v[130:131] neg_lo:[0,0,1] neg_hi:[0,0,1]
	v_mov_b32_e32 v127, v133
	s_cbranch_execz .LBB124_79
	s_branch .LBB124_80
.LBB124_78:
                                        ; implicit-def: $vgpr126_vgpr127
.LBB124_79:
	ds_load_b64 v[126:127], v1
.LBB124_80:
	s_and_saveexec_b32 s60, s0
	s_cbranch_execz .LBB124_84
; %bb.81:
	v_subrev_nc_u32_e32 v128, 53, v0
	s_movk_i32 s61, 0x398
	s_mov_b32 s0, 0
.LBB124_82:                             ; =>This Inner Loop Header: Depth=1
	scratch_load_b64 v[130:131], off, s58
	v_dual_mov_b32 v129, s61 :: v_dual_add_nc_u32 v128, -1, v128
	s_add_co_i32 s61, s61, 8
	s_wait_xcnt 0x0
	s_add_co_i32 s58, s58, 8
	ds_load_b64 v[132:133], v129
	v_cmp_eq_u32_e32 vcc_lo, 0, v128
	s_or_b32 s0, vcc_lo, s0
	s_wait_loadcnt_dscnt 0x0
	v_pk_mul_f32 v[134:135], v[132:133], v[130:131] op_sel:[1,1] op_sel_hi:[0,1]
	s_delay_alu instid0(VALU_DEP_1) | instskip(SKIP_1) | instid1(VALU_DEP_2)
	v_pk_fma_f32 v[136:137], v[132:133], v[130:131], v[134:135] op_sel_hi:[1,0,1]
	v_pk_fma_f32 v[130:131], v[132:133], v[130:131], v[134:135] neg_lo:[0,0,1] neg_hi:[0,0,1]
	v_mov_b32_e32 v131, v137
	s_delay_alu instid0(VALU_DEP_1)
	v_pk_add_f32 v[126:127], v[126:127], v[130:131]
	s_and_not1_b32 exec_lo, exec_lo, s0
	s_cbranch_execnz .LBB124_82
; %bb.83:
	s_or_b32 exec_lo, exec_lo, s0
.LBB124_84:
	s_delay_alu instid0(SALU_CYCLE_1) | instskip(SKIP_4) | instid1(VALU_DEP_1)
	s_or_b32 exec_lo, exec_lo, s60
	v_mov_b32_e32 v128, 0
	ds_load_b64 v[128:129], v128 offset:416
	s_wait_dscnt 0x0
	v_pk_mul_f32 v[130:131], v[126:127], v[128:129] op_sel:[1,1] op_sel_hi:[0,1]
	v_pk_fma_f32 v[132:133], v[126:127], v[128:129], v[130:131] op_sel_hi:[1,0,1]
	v_pk_fma_f32 v[126:127], v[126:127], v[128:129], v[130:131] neg_lo:[0,0,1] neg_hi:[0,0,1]
	s_delay_alu instid0(VALU_DEP_2)
	v_mov_b32_e32 v127, v133
	scratch_store_b64 off, v[126:127], off offset:416
.LBB124_85:
	s_wait_xcnt 0x0
	s_or_b32 exec_lo, exec_lo, s59
	scratch_load_b64 v[126:127], off, off offset:408
	v_cmp_lt_u32_e64 s0, 51, v0
	s_wait_loadcnt 0x0
	ds_store_b64 v1, v[126:127]
	s_wait_storecnt_dscnt 0x0
	s_barrier_signal -1
	s_barrier_wait -1
	s_wait_xcnt 0x0
	s_and_saveexec_b32 s58, s0
	s_cbranch_execz .LBB124_95
; %bb.86:
	s_and_not1_b32 vcc_lo, exec_lo, s5
	s_cbranch_vccnz .LBB124_88
; %bb.87:
	scratch_load_b64 v[126:127], v59, off
	ds_load_b64 v[128:129], v1
	s_wait_loadcnt_dscnt 0x0
	v_pk_mul_f32 v[130:131], v[128:129], v[126:127] op_sel:[1,1] op_sel_hi:[0,1]
	s_delay_alu instid0(VALU_DEP_1) | instskip(SKIP_1) | instid1(VALU_DEP_2)
	v_pk_fma_f32 v[132:133], v[128:129], v[126:127], v[130:131] op_sel_hi:[1,0,1]
	v_pk_fma_f32 v[126:127], v[128:129], v[126:127], v[130:131] neg_lo:[0,0,1] neg_hi:[0,0,1]
	v_mov_b32_e32 v127, v133
	s_cbranch_execz .LBB124_89
	s_branch .LBB124_90
.LBB124_88:
                                        ; implicit-def: $vgpr126_vgpr127
.LBB124_89:
	ds_load_b64 v[126:127], v1
.LBB124_90:
	s_and_saveexec_b32 s59, s1
	s_cbranch_execz .LBB124_94
; %bb.91:
	v_subrev_nc_u32_e32 v128, 52, v0
	s_movk_i32 s60, 0x390
	s_mov_b32 s1, 0
.LBB124_92:                             ; =>This Inner Loop Header: Depth=1
	scratch_load_b64 v[130:131], off, s57
	v_dual_mov_b32 v129, s60 :: v_dual_add_nc_u32 v128, -1, v128
	s_add_co_i32 s60, s60, 8
	s_wait_xcnt 0x0
	s_add_co_i32 s57, s57, 8
	ds_load_b64 v[132:133], v129
	v_cmp_eq_u32_e32 vcc_lo, 0, v128
	s_or_b32 s1, vcc_lo, s1
	s_wait_loadcnt_dscnt 0x0
	v_pk_mul_f32 v[134:135], v[132:133], v[130:131] op_sel:[1,1] op_sel_hi:[0,1]
	s_delay_alu instid0(VALU_DEP_1) | instskip(SKIP_1) | instid1(VALU_DEP_2)
	v_pk_fma_f32 v[136:137], v[132:133], v[130:131], v[134:135] op_sel_hi:[1,0,1]
	v_pk_fma_f32 v[130:131], v[132:133], v[130:131], v[134:135] neg_lo:[0,0,1] neg_hi:[0,0,1]
	v_mov_b32_e32 v131, v137
	s_delay_alu instid0(VALU_DEP_1)
	v_pk_add_f32 v[126:127], v[126:127], v[130:131]
	s_and_not1_b32 exec_lo, exec_lo, s1
	s_cbranch_execnz .LBB124_92
; %bb.93:
	s_or_b32 exec_lo, exec_lo, s1
.LBB124_94:
	s_delay_alu instid0(SALU_CYCLE_1) | instskip(SKIP_4) | instid1(VALU_DEP_1)
	s_or_b32 exec_lo, exec_lo, s59
	v_mov_b32_e32 v128, 0
	ds_load_b64 v[128:129], v128 offset:408
	s_wait_dscnt 0x0
	v_pk_mul_f32 v[130:131], v[126:127], v[128:129] op_sel:[1,1] op_sel_hi:[0,1]
	v_pk_fma_f32 v[132:133], v[126:127], v[128:129], v[130:131] op_sel_hi:[1,0,1]
	v_pk_fma_f32 v[126:127], v[126:127], v[128:129], v[130:131] neg_lo:[0,0,1] neg_hi:[0,0,1]
	s_delay_alu instid0(VALU_DEP_2)
	v_mov_b32_e32 v127, v133
	scratch_store_b64 off, v[126:127], off offset:408
.LBB124_95:
	s_wait_xcnt 0x0
	s_or_b32 exec_lo, exec_lo, s58
	scratch_load_b64 v[126:127], off, off offset:400
	v_cmp_lt_u32_e64 s1, 50, v0
	s_wait_loadcnt 0x0
	ds_store_b64 v1, v[126:127]
	s_wait_storecnt_dscnt 0x0
	s_barrier_signal -1
	s_barrier_wait -1
	s_wait_xcnt 0x0
	s_and_saveexec_b32 s57, s1
	s_cbranch_execz .LBB124_105
; %bb.96:
	s_and_not1_b32 vcc_lo, exec_lo, s5
	s_cbranch_vccnz .LBB124_98
; %bb.97:
	scratch_load_b64 v[126:127], v59, off
	ds_load_b64 v[128:129], v1
	s_wait_loadcnt_dscnt 0x0
	v_pk_mul_f32 v[130:131], v[128:129], v[126:127] op_sel:[1,1] op_sel_hi:[0,1]
	s_delay_alu instid0(VALU_DEP_1) | instskip(SKIP_1) | instid1(VALU_DEP_2)
	v_pk_fma_f32 v[132:133], v[128:129], v[126:127], v[130:131] op_sel_hi:[1,0,1]
	v_pk_fma_f32 v[126:127], v[128:129], v[126:127], v[130:131] neg_lo:[0,0,1] neg_hi:[0,0,1]
	v_mov_b32_e32 v127, v133
	s_cbranch_execz .LBB124_99
	s_branch .LBB124_100
.LBB124_98:
                                        ; implicit-def: $vgpr126_vgpr127
.LBB124_99:
	ds_load_b64 v[126:127], v1
.LBB124_100:
	s_and_saveexec_b32 s58, s0
	s_cbranch_execz .LBB124_104
; %bb.101:
	v_subrev_nc_u32_e32 v128, 51, v0
	s_movk_i32 s59, 0x388
	s_mov_b32 s0, 0
.LBB124_102:                            ; =>This Inner Loop Header: Depth=1
	scratch_load_b64 v[130:131], off, s56
	v_dual_mov_b32 v129, s59 :: v_dual_add_nc_u32 v128, -1, v128
	s_add_co_i32 s59, s59, 8
	s_wait_xcnt 0x0
	s_add_co_i32 s56, s56, 8
	ds_load_b64 v[132:133], v129
	v_cmp_eq_u32_e32 vcc_lo, 0, v128
	s_or_b32 s0, vcc_lo, s0
	s_wait_loadcnt_dscnt 0x0
	v_pk_mul_f32 v[134:135], v[132:133], v[130:131] op_sel:[1,1] op_sel_hi:[0,1]
	s_delay_alu instid0(VALU_DEP_1) | instskip(SKIP_1) | instid1(VALU_DEP_2)
	v_pk_fma_f32 v[136:137], v[132:133], v[130:131], v[134:135] op_sel_hi:[1,0,1]
	v_pk_fma_f32 v[130:131], v[132:133], v[130:131], v[134:135] neg_lo:[0,0,1] neg_hi:[0,0,1]
	v_mov_b32_e32 v131, v137
	s_delay_alu instid0(VALU_DEP_1)
	v_pk_add_f32 v[126:127], v[126:127], v[130:131]
	s_and_not1_b32 exec_lo, exec_lo, s0
	s_cbranch_execnz .LBB124_102
; %bb.103:
	s_or_b32 exec_lo, exec_lo, s0
.LBB124_104:
	s_delay_alu instid0(SALU_CYCLE_1) | instskip(SKIP_4) | instid1(VALU_DEP_1)
	s_or_b32 exec_lo, exec_lo, s58
	v_mov_b32_e32 v128, 0
	ds_load_b64 v[128:129], v128 offset:400
	s_wait_dscnt 0x0
	v_pk_mul_f32 v[130:131], v[126:127], v[128:129] op_sel:[1,1] op_sel_hi:[0,1]
	v_pk_fma_f32 v[132:133], v[126:127], v[128:129], v[130:131] op_sel_hi:[1,0,1]
	v_pk_fma_f32 v[126:127], v[126:127], v[128:129], v[130:131] neg_lo:[0,0,1] neg_hi:[0,0,1]
	s_delay_alu instid0(VALU_DEP_2)
	v_mov_b32_e32 v127, v133
	scratch_store_b64 off, v[126:127], off offset:400
.LBB124_105:
	s_wait_xcnt 0x0
	s_or_b32 exec_lo, exec_lo, s57
	scratch_load_b64 v[126:127], off, off offset:392
	v_cmp_lt_u32_e64 s0, 49, v0
	s_wait_loadcnt 0x0
	ds_store_b64 v1, v[126:127]
	s_wait_storecnt_dscnt 0x0
	s_barrier_signal -1
	s_barrier_wait -1
	s_wait_xcnt 0x0
	s_and_saveexec_b32 s56, s0
	s_cbranch_execz .LBB124_115
; %bb.106:
	s_and_not1_b32 vcc_lo, exec_lo, s5
	s_cbranch_vccnz .LBB124_108
; %bb.107:
	scratch_load_b64 v[126:127], v59, off
	ds_load_b64 v[128:129], v1
	s_wait_loadcnt_dscnt 0x0
	v_pk_mul_f32 v[130:131], v[128:129], v[126:127] op_sel:[1,1] op_sel_hi:[0,1]
	s_delay_alu instid0(VALU_DEP_1) | instskip(SKIP_1) | instid1(VALU_DEP_2)
	v_pk_fma_f32 v[132:133], v[128:129], v[126:127], v[130:131] op_sel_hi:[1,0,1]
	v_pk_fma_f32 v[126:127], v[128:129], v[126:127], v[130:131] neg_lo:[0,0,1] neg_hi:[0,0,1]
	v_mov_b32_e32 v127, v133
	s_cbranch_execz .LBB124_109
	s_branch .LBB124_110
.LBB124_108:
                                        ; implicit-def: $vgpr126_vgpr127
.LBB124_109:
	ds_load_b64 v[126:127], v1
.LBB124_110:
	s_and_saveexec_b32 s57, s1
	s_cbranch_execz .LBB124_114
; %bb.111:
	v_subrev_nc_u32_e32 v128, 50, v0
	s_movk_i32 s58, 0x380
	s_mov_b32 s1, 0
.LBB124_112:                            ; =>This Inner Loop Header: Depth=1
	scratch_load_b64 v[130:131], off, s55
	v_dual_mov_b32 v129, s58 :: v_dual_add_nc_u32 v128, -1, v128
	s_add_co_i32 s58, s58, 8
	s_wait_xcnt 0x0
	s_add_co_i32 s55, s55, 8
	ds_load_b64 v[132:133], v129
	v_cmp_eq_u32_e32 vcc_lo, 0, v128
	s_or_b32 s1, vcc_lo, s1
	s_wait_loadcnt_dscnt 0x0
	v_pk_mul_f32 v[134:135], v[132:133], v[130:131] op_sel:[1,1] op_sel_hi:[0,1]
	s_delay_alu instid0(VALU_DEP_1) | instskip(SKIP_1) | instid1(VALU_DEP_2)
	v_pk_fma_f32 v[136:137], v[132:133], v[130:131], v[134:135] op_sel_hi:[1,0,1]
	v_pk_fma_f32 v[130:131], v[132:133], v[130:131], v[134:135] neg_lo:[0,0,1] neg_hi:[0,0,1]
	v_mov_b32_e32 v131, v137
	s_delay_alu instid0(VALU_DEP_1)
	v_pk_add_f32 v[126:127], v[126:127], v[130:131]
	s_and_not1_b32 exec_lo, exec_lo, s1
	s_cbranch_execnz .LBB124_112
; %bb.113:
	s_or_b32 exec_lo, exec_lo, s1
.LBB124_114:
	s_delay_alu instid0(SALU_CYCLE_1) | instskip(SKIP_4) | instid1(VALU_DEP_1)
	s_or_b32 exec_lo, exec_lo, s57
	v_mov_b32_e32 v128, 0
	ds_load_b64 v[128:129], v128 offset:392
	s_wait_dscnt 0x0
	v_pk_mul_f32 v[130:131], v[126:127], v[128:129] op_sel:[1,1] op_sel_hi:[0,1]
	v_pk_fma_f32 v[132:133], v[126:127], v[128:129], v[130:131] op_sel_hi:[1,0,1]
	v_pk_fma_f32 v[126:127], v[126:127], v[128:129], v[130:131] neg_lo:[0,0,1] neg_hi:[0,0,1]
	s_delay_alu instid0(VALU_DEP_2)
	v_mov_b32_e32 v127, v133
	scratch_store_b64 off, v[126:127], off offset:392
.LBB124_115:
	s_wait_xcnt 0x0
	s_or_b32 exec_lo, exec_lo, s56
	scratch_load_b64 v[126:127], off, off offset:384
	v_cmp_lt_u32_e64 s1, 48, v0
	s_wait_loadcnt 0x0
	ds_store_b64 v1, v[126:127]
	s_wait_storecnt_dscnt 0x0
	s_barrier_signal -1
	s_barrier_wait -1
	s_wait_xcnt 0x0
	s_and_saveexec_b32 s55, s1
	s_cbranch_execz .LBB124_125
; %bb.116:
	s_and_not1_b32 vcc_lo, exec_lo, s5
	s_cbranch_vccnz .LBB124_118
; %bb.117:
	scratch_load_b64 v[126:127], v59, off
	ds_load_b64 v[128:129], v1
	s_wait_loadcnt_dscnt 0x0
	v_pk_mul_f32 v[130:131], v[128:129], v[126:127] op_sel:[1,1] op_sel_hi:[0,1]
	s_delay_alu instid0(VALU_DEP_1) | instskip(SKIP_1) | instid1(VALU_DEP_2)
	v_pk_fma_f32 v[132:133], v[128:129], v[126:127], v[130:131] op_sel_hi:[1,0,1]
	v_pk_fma_f32 v[126:127], v[128:129], v[126:127], v[130:131] neg_lo:[0,0,1] neg_hi:[0,0,1]
	v_mov_b32_e32 v127, v133
	s_cbranch_execz .LBB124_119
	s_branch .LBB124_120
.LBB124_118:
                                        ; implicit-def: $vgpr126_vgpr127
.LBB124_119:
	ds_load_b64 v[126:127], v1
.LBB124_120:
	s_and_saveexec_b32 s56, s0
	s_cbranch_execz .LBB124_124
; %bb.121:
	v_subrev_nc_u32_e32 v128, 49, v0
	s_movk_i32 s57, 0x378
	s_mov_b32 s0, 0
.LBB124_122:                            ; =>This Inner Loop Header: Depth=1
	scratch_load_b64 v[130:131], off, s54
	v_dual_mov_b32 v129, s57 :: v_dual_add_nc_u32 v128, -1, v128
	s_add_co_i32 s57, s57, 8
	s_wait_xcnt 0x0
	s_add_co_i32 s54, s54, 8
	ds_load_b64 v[132:133], v129
	v_cmp_eq_u32_e32 vcc_lo, 0, v128
	s_or_b32 s0, vcc_lo, s0
	s_wait_loadcnt_dscnt 0x0
	v_pk_mul_f32 v[134:135], v[132:133], v[130:131] op_sel:[1,1] op_sel_hi:[0,1]
	s_delay_alu instid0(VALU_DEP_1) | instskip(SKIP_1) | instid1(VALU_DEP_2)
	v_pk_fma_f32 v[136:137], v[132:133], v[130:131], v[134:135] op_sel_hi:[1,0,1]
	v_pk_fma_f32 v[130:131], v[132:133], v[130:131], v[134:135] neg_lo:[0,0,1] neg_hi:[0,0,1]
	v_mov_b32_e32 v131, v137
	s_delay_alu instid0(VALU_DEP_1)
	v_pk_add_f32 v[126:127], v[126:127], v[130:131]
	s_and_not1_b32 exec_lo, exec_lo, s0
	s_cbranch_execnz .LBB124_122
; %bb.123:
	s_or_b32 exec_lo, exec_lo, s0
.LBB124_124:
	s_delay_alu instid0(SALU_CYCLE_1) | instskip(SKIP_4) | instid1(VALU_DEP_1)
	s_or_b32 exec_lo, exec_lo, s56
	v_mov_b32_e32 v128, 0
	ds_load_b64 v[128:129], v128 offset:384
	s_wait_dscnt 0x0
	v_pk_mul_f32 v[130:131], v[126:127], v[128:129] op_sel:[1,1] op_sel_hi:[0,1]
	v_pk_fma_f32 v[132:133], v[126:127], v[128:129], v[130:131] op_sel_hi:[1,0,1]
	v_pk_fma_f32 v[126:127], v[126:127], v[128:129], v[130:131] neg_lo:[0,0,1] neg_hi:[0,0,1]
	s_delay_alu instid0(VALU_DEP_2)
	v_mov_b32_e32 v127, v133
	scratch_store_b64 off, v[126:127], off offset:384
.LBB124_125:
	s_wait_xcnt 0x0
	s_or_b32 exec_lo, exec_lo, s55
	scratch_load_b64 v[126:127], off, off offset:376
	v_cmp_lt_u32_e64 s0, 47, v0
	s_wait_loadcnt 0x0
	ds_store_b64 v1, v[126:127]
	s_wait_storecnt_dscnt 0x0
	s_barrier_signal -1
	s_barrier_wait -1
	s_wait_xcnt 0x0
	s_and_saveexec_b32 s54, s0
	s_cbranch_execz .LBB124_135
; %bb.126:
	s_and_not1_b32 vcc_lo, exec_lo, s5
	s_cbranch_vccnz .LBB124_128
; %bb.127:
	scratch_load_b64 v[126:127], v59, off
	ds_load_b64 v[128:129], v1
	s_wait_loadcnt_dscnt 0x0
	v_pk_mul_f32 v[130:131], v[128:129], v[126:127] op_sel:[1,1] op_sel_hi:[0,1]
	s_delay_alu instid0(VALU_DEP_1) | instskip(SKIP_1) | instid1(VALU_DEP_2)
	v_pk_fma_f32 v[132:133], v[128:129], v[126:127], v[130:131] op_sel_hi:[1,0,1]
	v_pk_fma_f32 v[126:127], v[128:129], v[126:127], v[130:131] neg_lo:[0,0,1] neg_hi:[0,0,1]
	v_mov_b32_e32 v127, v133
	s_cbranch_execz .LBB124_129
	s_branch .LBB124_130
.LBB124_128:
                                        ; implicit-def: $vgpr126_vgpr127
.LBB124_129:
	ds_load_b64 v[126:127], v1
.LBB124_130:
	s_and_saveexec_b32 s55, s1
	s_cbranch_execz .LBB124_134
; %bb.131:
	v_subrev_nc_u32_e32 v128, 48, v0
	s_movk_i32 s56, 0x370
	s_mov_b32 s1, 0
.LBB124_132:                            ; =>This Inner Loop Header: Depth=1
	scratch_load_b64 v[130:131], off, s53
	v_dual_mov_b32 v129, s56 :: v_dual_add_nc_u32 v128, -1, v128
	s_add_co_i32 s56, s56, 8
	s_wait_xcnt 0x0
	s_add_co_i32 s53, s53, 8
	ds_load_b64 v[132:133], v129
	v_cmp_eq_u32_e32 vcc_lo, 0, v128
	s_or_b32 s1, vcc_lo, s1
	s_wait_loadcnt_dscnt 0x0
	v_pk_mul_f32 v[134:135], v[132:133], v[130:131] op_sel:[1,1] op_sel_hi:[0,1]
	s_delay_alu instid0(VALU_DEP_1) | instskip(SKIP_1) | instid1(VALU_DEP_2)
	v_pk_fma_f32 v[136:137], v[132:133], v[130:131], v[134:135] op_sel_hi:[1,0,1]
	v_pk_fma_f32 v[130:131], v[132:133], v[130:131], v[134:135] neg_lo:[0,0,1] neg_hi:[0,0,1]
	v_mov_b32_e32 v131, v137
	s_delay_alu instid0(VALU_DEP_1)
	v_pk_add_f32 v[126:127], v[126:127], v[130:131]
	s_and_not1_b32 exec_lo, exec_lo, s1
	s_cbranch_execnz .LBB124_132
; %bb.133:
	s_or_b32 exec_lo, exec_lo, s1
.LBB124_134:
	s_delay_alu instid0(SALU_CYCLE_1) | instskip(SKIP_4) | instid1(VALU_DEP_1)
	s_or_b32 exec_lo, exec_lo, s55
	v_mov_b32_e32 v128, 0
	ds_load_b64 v[128:129], v128 offset:376
	s_wait_dscnt 0x0
	v_pk_mul_f32 v[130:131], v[126:127], v[128:129] op_sel:[1,1] op_sel_hi:[0,1]
	v_pk_fma_f32 v[132:133], v[126:127], v[128:129], v[130:131] op_sel_hi:[1,0,1]
	v_pk_fma_f32 v[126:127], v[126:127], v[128:129], v[130:131] neg_lo:[0,0,1] neg_hi:[0,0,1]
	s_delay_alu instid0(VALU_DEP_2)
	v_mov_b32_e32 v127, v133
	scratch_store_b64 off, v[126:127], off offset:376
.LBB124_135:
	s_wait_xcnt 0x0
	s_or_b32 exec_lo, exec_lo, s54
	scratch_load_b64 v[126:127], off, off offset:368
	v_cmp_lt_u32_e64 s1, 46, v0
	s_wait_loadcnt 0x0
	ds_store_b64 v1, v[126:127]
	s_wait_storecnt_dscnt 0x0
	s_barrier_signal -1
	s_barrier_wait -1
	s_wait_xcnt 0x0
	s_and_saveexec_b32 s53, s1
	s_cbranch_execz .LBB124_145
; %bb.136:
	s_and_not1_b32 vcc_lo, exec_lo, s5
	s_cbranch_vccnz .LBB124_138
; %bb.137:
	scratch_load_b64 v[126:127], v59, off
	ds_load_b64 v[128:129], v1
	s_wait_loadcnt_dscnt 0x0
	v_pk_mul_f32 v[130:131], v[128:129], v[126:127] op_sel:[1,1] op_sel_hi:[0,1]
	s_delay_alu instid0(VALU_DEP_1) | instskip(SKIP_1) | instid1(VALU_DEP_2)
	v_pk_fma_f32 v[132:133], v[128:129], v[126:127], v[130:131] op_sel_hi:[1,0,1]
	v_pk_fma_f32 v[126:127], v[128:129], v[126:127], v[130:131] neg_lo:[0,0,1] neg_hi:[0,0,1]
	v_mov_b32_e32 v127, v133
	s_cbranch_execz .LBB124_139
	s_branch .LBB124_140
.LBB124_138:
                                        ; implicit-def: $vgpr126_vgpr127
.LBB124_139:
	ds_load_b64 v[126:127], v1
.LBB124_140:
	s_and_saveexec_b32 s54, s0
	s_cbranch_execz .LBB124_144
; %bb.141:
	v_subrev_nc_u32_e32 v128, 47, v0
	s_movk_i32 s55, 0x368
	s_mov_b32 s0, 0
.LBB124_142:                            ; =>This Inner Loop Header: Depth=1
	scratch_load_b64 v[130:131], off, s52
	v_dual_mov_b32 v129, s55 :: v_dual_add_nc_u32 v128, -1, v128
	s_add_co_i32 s55, s55, 8
	s_wait_xcnt 0x0
	s_add_co_i32 s52, s52, 8
	ds_load_b64 v[132:133], v129
	v_cmp_eq_u32_e32 vcc_lo, 0, v128
	s_or_b32 s0, vcc_lo, s0
	s_wait_loadcnt_dscnt 0x0
	v_pk_mul_f32 v[134:135], v[132:133], v[130:131] op_sel:[1,1] op_sel_hi:[0,1]
	s_delay_alu instid0(VALU_DEP_1) | instskip(SKIP_1) | instid1(VALU_DEP_2)
	v_pk_fma_f32 v[136:137], v[132:133], v[130:131], v[134:135] op_sel_hi:[1,0,1]
	v_pk_fma_f32 v[130:131], v[132:133], v[130:131], v[134:135] neg_lo:[0,0,1] neg_hi:[0,0,1]
	v_mov_b32_e32 v131, v137
	s_delay_alu instid0(VALU_DEP_1)
	v_pk_add_f32 v[126:127], v[126:127], v[130:131]
	s_and_not1_b32 exec_lo, exec_lo, s0
	s_cbranch_execnz .LBB124_142
; %bb.143:
	s_or_b32 exec_lo, exec_lo, s0
.LBB124_144:
	s_delay_alu instid0(SALU_CYCLE_1) | instskip(SKIP_4) | instid1(VALU_DEP_1)
	s_or_b32 exec_lo, exec_lo, s54
	v_mov_b32_e32 v128, 0
	ds_load_b64 v[128:129], v128 offset:368
	s_wait_dscnt 0x0
	v_pk_mul_f32 v[130:131], v[126:127], v[128:129] op_sel:[1,1] op_sel_hi:[0,1]
	v_pk_fma_f32 v[132:133], v[126:127], v[128:129], v[130:131] op_sel_hi:[1,0,1]
	v_pk_fma_f32 v[126:127], v[126:127], v[128:129], v[130:131] neg_lo:[0,0,1] neg_hi:[0,0,1]
	s_delay_alu instid0(VALU_DEP_2)
	v_mov_b32_e32 v127, v133
	scratch_store_b64 off, v[126:127], off offset:368
.LBB124_145:
	s_wait_xcnt 0x0
	s_or_b32 exec_lo, exec_lo, s53
	scratch_load_b64 v[126:127], off, off offset:360
	v_cmp_lt_u32_e64 s0, 45, v0
	s_wait_loadcnt 0x0
	ds_store_b64 v1, v[126:127]
	s_wait_storecnt_dscnt 0x0
	s_barrier_signal -1
	s_barrier_wait -1
	s_wait_xcnt 0x0
	s_and_saveexec_b32 s52, s0
	s_cbranch_execz .LBB124_155
; %bb.146:
	s_and_not1_b32 vcc_lo, exec_lo, s5
	s_cbranch_vccnz .LBB124_148
; %bb.147:
	scratch_load_b64 v[126:127], v59, off
	ds_load_b64 v[128:129], v1
	s_wait_loadcnt_dscnt 0x0
	v_pk_mul_f32 v[130:131], v[128:129], v[126:127] op_sel:[1,1] op_sel_hi:[0,1]
	s_delay_alu instid0(VALU_DEP_1) | instskip(SKIP_1) | instid1(VALU_DEP_2)
	v_pk_fma_f32 v[132:133], v[128:129], v[126:127], v[130:131] op_sel_hi:[1,0,1]
	v_pk_fma_f32 v[126:127], v[128:129], v[126:127], v[130:131] neg_lo:[0,0,1] neg_hi:[0,0,1]
	v_mov_b32_e32 v127, v133
	s_cbranch_execz .LBB124_149
	s_branch .LBB124_150
.LBB124_148:
                                        ; implicit-def: $vgpr126_vgpr127
.LBB124_149:
	ds_load_b64 v[126:127], v1
.LBB124_150:
	s_and_saveexec_b32 s53, s1
	s_cbranch_execz .LBB124_154
; %bb.151:
	v_subrev_nc_u32_e32 v128, 46, v0
	s_movk_i32 s54, 0x360
	s_mov_b32 s1, 0
.LBB124_152:                            ; =>This Inner Loop Header: Depth=1
	scratch_load_b64 v[130:131], off, s51
	v_dual_mov_b32 v129, s54 :: v_dual_add_nc_u32 v128, -1, v128
	s_add_co_i32 s54, s54, 8
	s_wait_xcnt 0x0
	s_add_co_i32 s51, s51, 8
	ds_load_b64 v[132:133], v129
	v_cmp_eq_u32_e32 vcc_lo, 0, v128
	s_or_b32 s1, vcc_lo, s1
	s_wait_loadcnt_dscnt 0x0
	v_pk_mul_f32 v[134:135], v[132:133], v[130:131] op_sel:[1,1] op_sel_hi:[0,1]
	s_delay_alu instid0(VALU_DEP_1) | instskip(SKIP_1) | instid1(VALU_DEP_2)
	v_pk_fma_f32 v[136:137], v[132:133], v[130:131], v[134:135] op_sel_hi:[1,0,1]
	v_pk_fma_f32 v[130:131], v[132:133], v[130:131], v[134:135] neg_lo:[0,0,1] neg_hi:[0,0,1]
	v_mov_b32_e32 v131, v137
	s_delay_alu instid0(VALU_DEP_1)
	v_pk_add_f32 v[126:127], v[126:127], v[130:131]
	s_and_not1_b32 exec_lo, exec_lo, s1
	s_cbranch_execnz .LBB124_152
; %bb.153:
	s_or_b32 exec_lo, exec_lo, s1
.LBB124_154:
	s_delay_alu instid0(SALU_CYCLE_1) | instskip(SKIP_4) | instid1(VALU_DEP_1)
	s_or_b32 exec_lo, exec_lo, s53
	v_mov_b32_e32 v128, 0
	ds_load_b64 v[128:129], v128 offset:360
	s_wait_dscnt 0x0
	v_pk_mul_f32 v[130:131], v[126:127], v[128:129] op_sel:[1,1] op_sel_hi:[0,1]
	v_pk_fma_f32 v[132:133], v[126:127], v[128:129], v[130:131] op_sel_hi:[1,0,1]
	v_pk_fma_f32 v[126:127], v[126:127], v[128:129], v[130:131] neg_lo:[0,0,1] neg_hi:[0,0,1]
	s_delay_alu instid0(VALU_DEP_2)
	v_mov_b32_e32 v127, v133
	scratch_store_b64 off, v[126:127], off offset:360
.LBB124_155:
	s_wait_xcnt 0x0
	s_or_b32 exec_lo, exec_lo, s52
	scratch_load_b64 v[126:127], off, off offset:352
	v_cmp_lt_u32_e64 s1, 44, v0
	s_wait_loadcnt 0x0
	ds_store_b64 v1, v[126:127]
	s_wait_storecnt_dscnt 0x0
	s_barrier_signal -1
	s_barrier_wait -1
	s_wait_xcnt 0x0
	s_and_saveexec_b32 s51, s1
	s_cbranch_execz .LBB124_165
; %bb.156:
	s_and_not1_b32 vcc_lo, exec_lo, s5
	s_cbranch_vccnz .LBB124_158
; %bb.157:
	scratch_load_b64 v[126:127], v59, off
	ds_load_b64 v[128:129], v1
	s_wait_loadcnt_dscnt 0x0
	v_pk_mul_f32 v[130:131], v[128:129], v[126:127] op_sel:[1,1] op_sel_hi:[0,1]
	s_delay_alu instid0(VALU_DEP_1) | instskip(SKIP_1) | instid1(VALU_DEP_2)
	v_pk_fma_f32 v[132:133], v[128:129], v[126:127], v[130:131] op_sel_hi:[1,0,1]
	v_pk_fma_f32 v[126:127], v[128:129], v[126:127], v[130:131] neg_lo:[0,0,1] neg_hi:[0,0,1]
	v_mov_b32_e32 v127, v133
	s_cbranch_execz .LBB124_159
	s_branch .LBB124_160
.LBB124_158:
                                        ; implicit-def: $vgpr126_vgpr127
.LBB124_159:
	ds_load_b64 v[126:127], v1
.LBB124_160:
	s_and_saveexec_b32 s52, s0
	s_cbranch_execz .LBB124_164
; %bb.161:
	v_subrev_nc_u32_e32 v128, 45, v0
	s_movk_i32 s53, 0x358
	s_mov_b32 s0, 0
.LBB124_162:                            ; =>This Inner Loop Header: Depth=1
	scratch_load_b64 v[130:131], off, s50
	v_dual_mov_b32 v129, s53 :: v_dual_add_nc_u32 v128, -1, v128
	s_add_co_i32 s53, s53, 8
	s_wait_xcnt 0x0
	s_add_co_i32 s50, s50, 8
	ds_load_b64 v[132:133], v129
	v_cmp_eq_u32_e32 vcc_lo, 0, v128
	s_or_b32 s0, vcc_lo, s0
	s_wait_loadcnt_dscnt 0x0
	v_pk_mul_f32 v[134:135], v[132:133], v[130:131] op_sel:[1,1] op_sel_hi:[0,1]
	s_delay_alu instid0(VALU_DEP_1) | instskip(SKIP_1) | instid1(VALU_DEP_2)
	v_pk_fma_f32 v[136:137], v[132:133], v[130:131], v[134:135] op_sel_hi:[1,0,1]
	v_pk_fma_f32 v[130:131], v[132:133], v[130:131], v[134:135] neg_lo:[0,0,1] neg_hi:[0,0,1]
	v_mov_b32_e32 v131, v137
	s_delay_alu instid0(VALU_DEP_1)
	v_pk_add_f32 v[126:127], v[126:127], v[130:131]
	s_and_not1_b32 exec_lo, exec_lo, s0
	s_cbranch_execnz .LBB124_162
; %bb.163:
	s_or_b32 exec_lo, exec_lo, s0
.LBB124_164:
	s_delay_alu instid0(SALU_CYCLE_1) | instskip(SKIP_4) | instid1(VALU_DEP_1)
	s_or_b32 exec_lo, exec_lo, s52
	v_mov_b32_e32 v128, 0
	ds_load_b64 v[128:129], v128 offset:352
	s_wait_dscnt 0x0
	v_pk_mul_f32 v[130:131], v[126:127], v[128:129] op_sel:[1,1] op_sel_hi:[0,1]
	v_pk_fma_f32 v[132:133], v[126:127], v[128:129], v[130:131] op_sel_hi:[1,0,1]
	v_pk_fma_f32 v[126:127], v[126:127], v[128:129], v[130:131] neg_lo:[0,0,1] neg_hi:[0,0,1]
	s_delay_alu instid0(VALU_DEP_2)
	v_mov_b32_e32 v127, v133
	scratch_store_b64 off, v[126:127], off offset:352
.LBB124_165:
	s_wait_xcnt 0x0
	s_or_b32 exec_lo, exec_lo, s51
	scratch_load_b64 v[126:127], off, off offset:344
	v_cmp_lt_u32_e64 s0, 43, v0
	s_wait_loadcnt 0x0
	ds_store_b64 v1, v[126:127]
	s_wait_storecnt_dscnt 0x0
	s_barrier_signal -1
	s_barrier_wait -1
	s_wait_xcnt 0x0
	s_and_saveexec_b32 s50, s0
	s_cbranch_execz .LBB124_175
; %bb.166:
	s_and_not1_b32 vcc_lo, exec_lo, s5
	s_cbranch_vccnz .LBB124_168
; %bb.167:
	scratch_load_b64 v[126:127], v59, off
	ds_load_b64 v[128:129], v1
	s_wait_loadcnt_dscnt 0x0
	v_pk_mul_f32 v[130:131], v[128:129], v[126:127] op_sel:[1,1] op_sel_hi:[0,1]
	s_delay_alu instid0(VALU_DEP_1) | instskip(SKIP_1) | instid1(VALU_DEP_2)
	v_pk_fma_f32 v[132:133], v[128:129], v[126:127], v[130:131] op_sel_hi:[1,0,1]
	v_pk_fma_f32 v[126:127], v[128:129], v[126:127], v[130:131] neg_lo:[0,0,1] neg_hi:[0,0,1]
	v_mov_b32_e32 v127, v133
	s_cbranch_execz .LBB124_169
	s_branch .LBB124_170
.LBB124_168:
                                        ; implicit-def: $vgpr126_vgpr127
.LBB124_169:
	ds_load_b64 v[126:127], v1
.LBB124_170:
	s_and_saveexec_b32 s51, s1
	s_cbranch_execz .LBB124_174
; %bb.171:
	v_subrev_nc_u32_e32 v128, 44, v0
	s_movk_i32 s52, 0x350
	s_mov_b32 s1, 0
.LBB124_172:                            ; =>This Inner Loop Header: Depth=1
	scratch_load_b64 v[130:131], off, s49
	v_dual_mov_b32 v129, s52 :: v_dual_add_nc_u32 v128, -1, v128
	s_add_co_i32 s52, s52, 8
	s_wait_xcnt 0x0
	s_add_co_i32 s49, s49, 8
	ds_load_b64 v[132:133], v129
	v_cmp_eq_u32_e32 vcc_lo, 0, v128
	s_or_b32 s1, vcc_lo, s1
	s_wait_loadcnt_dscnt 0x0
	v_pk_mul_f32 v[134:135], v[132:133], v[130:131] op_sel:[1,1] op_sel_hi:[0,1]
	s_delay_alu instid0(VALU_DEP_1) | instskip(SKIP_1) | instid1(VALU_DEP_2)
	v_pk_fma_f32 v[136:137], v[132:133], v[130:131], v[134:135] op_sel_hi:[1,0,1]
	v_pk_fma_f32 v[130:131], v[132:133], v[130:131], v[134:135] neg_lo:[0,0,1] neg_hi:[0,0,1]
	v_mov_b32_e32 v131, v137
	s_delay_alu instid0(VALU_DEP_1)
	v_pk_add_f32 v[126:127], v[126:127], v[130:131]
	s_and_not1_b32 exec_lo, exec_lo, s1
	s_cbranch_execnz .LBB124_172
; %bb.173:
	s_or_b32 exec_lo, exec_lo, s1
.LBB124_174:
	s_delay_alu instid0(SALU_CYCLE_1) | instskip(SKIP_4) | instid1(VALU_DEP_1)
	s_or_b32 exec_lo, exec_lo, s51
	v_mov_b32_e32 v128, 0
	ds_load_b64 v[128:129], v128 offset:344
	s_wait_dscnt 0x0
	v_pk_mul_f32 v[130:131], v[126:127], v[128:129] op_sel:[1,1] op_sel_hi:[0,1]
	v_pk_fma_f32 v[132:133], v[126:127], v[128:129], v[130:131] op_sel_hi:[1,0,1]
	v_pk_fma_f32 v[126:127], v[126:127], v[128:129], v[130:131] neg_lo:[0,0,1] neg_hi:[0,0,1]
	s_delay_alu instid0(VALU_DEP_2)
	v_mov_b32_e32 v127, v133
	scratch_store_b64 off, v[126:127], off offset:344
.LBB124_175:
	s_wait_xcnt 0x0
	s_or_b32 exec_lo, exec_lo, s50
	scratch_load_b64 v[126:127], off, off offset:336
	v_cmp_lt_u32_e64 s1, 42, v0
	s_wait_loadcnt 0x0
	ds_store_b64 v1, v[126:127]
	s_wait_storecnt_dscnt 0x0
	s_barrier_signal -1
	s_barrier_wait -1
	s_wait_xcnt 0x0
	s_and_saveexec_b32 s49, s1
	s_cbranch_execz .LBB124_185
; %bb.176:
	s_and_not1_b32 vcc_lo, exec_lo, s5
	s_cbranch_vccnz .LBB124_178
; %bb.177:
	scratch_load_b64 v[126:127], v59, off
	ds_load_b64 v[128:129], v1
	s_wait_loadcnt_dscnt 0x0
	v_pk_mul_f32 v[130:131], v[128:129], v[126:127] op_sel:[1,1] op_sel_hi:[0,1]
	s_delay_alu instid0(VALU_DEP_1) | instskip(SKIP_1) | instid1(VALU_DEP_2)
	v_pk_fma_f32 v[132:133], v[128:129], v[126:127], v[130:131] op_sel_hi:[1,0,1]
	v_pk_fma_f32 v[126:127], v[128:129], v[126:127], v[130:131] neg_lo:[0,0,1] neg_hi:[0,0,1]
	v_mov_b32_e32 v127, v133
	s_cbranch_execz .LBB124_179
	s_branch .LBB124_180
.LBB124_178:
                                        ; implicit-def: $vgpr126_vgpr127
.LBB124_179:
	ds_load_b64 v[126:127], v1
.LBB124_180:
	s_and_saveexec_b32 s50, s0
	s_cbranch_execz .LBB124_184
; %bb.181:
	v_subrev_nc_u32_e32 v128, 43, v0
	s_movk_i32 s51, 0x348
	s_mov_b32 s0, 0
.LBB124_182:                            ; =>This Inner Loop Header: Depth=1
	scratch_load_b64 v[130:131], off, s48
	v_dual_mov_b32 v129, s51 :: v_dual_add_nc_u32 v128, -1, v128
	s_add_co_i32 s51, s51, 8
	s_wait_xcnt 0x0
	s_add_co_i32 s48, s48, 8
	ds_load_b64 v[132:133], v129
	v_cmp_eq_u32_e32 vcc_lo, 0, v128
	s_or_b32 s0, vcc_lo, s0
	s_wait_loadcnt_dscnt 0x0
	v_pk_mul_f32 v[134:135], v[132:133], v[130:131] op_sel:[1,1] op_sel_hi:[0,1]
	s_delay_alu instid0(VALU_DEP_1) | instskip(SKIP_1) | instid1(VALU_DEP_2)
	v_pk_fma_f32 v[136:137], v[132:133], v[130:131], v[134:135] op_sel_hi:[1,0,1]
	v_pk_fma_f32 v[130:131], v[132:133], v[130:131], v[134:135] neg_lo:[0,0,1] neg_hi:[0,0,1]
	v_mov_b32_e32 v131, v137
	s_delay_alu instid0(VALU_DEP_1)
	v_pk_add_f32 v[126:127], v[126:127], v[130:131]
	s_and_not1_b32 exec_lo, exec_lo, s0
	s_cbranch_execnz .LBB124_182
; %bb.183:
	s_or_b32 exec_lo, exec_lo, s0
.LBB124_184:
	s_delay_alu instid0(SALU_CYCLE_1) | instskip(SKIP_4) | instid1(VALU_DEP_1)
	s_or_b32 exec_lo, exec_lo, s50
	v_mov_b32_e32 v128, 0
	ds_load_b64 v[128:129], v128 offset:336
	s_wait_dscnt 0x0
	v_pk_mul_f32 v[130:131], v[126:127], v[128:129] op_sel:[1,1] op_sel_hi:[0,1]
	v_pk_fma_f32 v[132:133], v[126:127], v[128:129], v[130:131] op_sel_hi:[1,0,1]
	v_pk_fma_f32 v[126:127], v[126:127], v[128:129], v[130:131] neg_lo:[0,0,1] neg_hi:[0,0,1]
	s_delay_alu instid0(VALU_DEP_2)
	v_mov_b32_e32 v127, v133
	scratch_store_b64 off, v[126:127], off offset:336
.LBB124_185:
	s_wait_xcnt 0x0
	s_or_b32 exec_lo, exec_lo, s49
	scratch_load_b64 v[126:127], off, off offset:328
	v_cmp_lt_u32_e64 s0, 41, v0
	s_wait_loadcnt 0x0
	ds_store_b64 v1, v[126:127]
	s_wait_storecnt_dscnt 0x0
	s_barrier_signal -1
	s_barrier_wait -1
	s_wait_xcnt 0x0
	s_and_saveexec_b32 s48, s0
	s_cbranch_execz .LBB124_195
; %bb.186:
	s_and_not1_b32 vcc_lo, exec_lo, s5
	s_cbranch_vccnz .LBB124_188
; %bb.187:
	scratch_load_b64 v[126:127], v59, off
	ds_load_b64 v[128:129], v1
	s_wait_loadcnt_dscnt 0x0
	v_pk_mul_f32 v[130:131], v[128:129], v[126:127] op_sel:[1,1] op_sel_hi:[0,1]
	s_delay_alu instid0(VALU_DEP_1) | instskip(SKIP_1) | instid1(VALU_DEP_2)
	v_pk_fma_f32 v[132:133], v[128:129], v[126:127], v[130:131] op_sel_hi:[1,0,1]
	v_pk_fma_f32 v[126:127], v[128:129], v[126:127], v[130:131] neg_lo:[0,0,1] neg_hi:[0,0,1]
	v_mov_b32_e32 v127, v133
	s_cbranch_execz .LBB124_189
	s_branch .LBB124_190
.LBB124_188:
                                        ; implicit-def: $vgpr126_vgpr127
.LBB124_189:
	ds_load_b64 v[126:127], v1
.LBB124_190:
	s_and_saveexec_b32 s49, s1
	s_cbranch_execz .LBB124_194
; %bb.191:
	v_subrev_nc_u32_e32 v128, 42, v0
	s_movk_i32 s50, 0x340
	s_mov_b32 s1, 0
.LBB124_192:                            ; =>This Inner Loop Header: Depth=1
	scratch_load_b64 v[130:131], off, s47
	v_dual_mov_b32 v129, s50 :: v_dual_add_nc_u32 v128, -1, v128
	s_add_co_i32 s50, s50, 8
	s_wait_xcnt 0x0
	s_add_co_i32 s47, s47, 8
	ds_load_b64 v[132:133], v129
	v_cmp_eq_u32_e32 vcc_lo, 0, v128
	s_or_b32 s1, vcc_lo, s1
	s_wait_loadcnt_dscnt 0x0
	v_pk_mul_f32 v[134:135], v[132:133], v[130:131] op_sel:[1,1] op_sel_hi:[0,1]
	s_delay_alu instid0(VALU_DEP_1) | instskip(SKIP_1) | instid1(VALU_DEP_2)
	v_pk_fma_f32 v[136:137], v[132:133], v[130:131], v[134:135] op_sel_hi:[1,0,1]
	v_pk_fma_f32 v[130:131], v[132:133], v[130:131], v[134:135] neg_lo:[0,0,1] neg_hi:[0,0,1]
	v_mov_b32_e32 v131, v137
	s_delay_alu instid0(VALU_DEP_1)
	v_pk_add_f32 v[126:127], v[126:127], v[130:131]
	s_and_not1_b32 exec_lo, exec_lo, s1
	s_cbranch_execnz .LBB124_192
; %bb.193:
	s_or_b32 exec_lo, exec_lo, s1
.LBB124_194:
	s_delay_alu instid0(SALU_CYCLE_1) | instskip(SKIP_4) | instid1(VALU_DEP_1)
	s_or_b32 exec_lo, exec_lo, s49
	v_mov_b32_e32 v128, 0
	ds_load_b64 v[128:129], v128 offset:328
	s_wait_dscnt 0x0
	v_pk_mul_f32 v[130:131], v[126:127], v[128:129] op_sel:[1,1] op_sel_hi:[0,1]
	v_pk_fma_f32 v[132:133], v[126:127], v[128:129], v[130:131] op_sel_hi:[1,0,1]
	v_pk_fma_f32 v[126:127], v[126:127], v[128:129], v[130:131] neg_lo:[0,0,1] neg_hi:[0,0,1]
	s_delay_alu instid0(VALU_DEP_2)
	v_mov_b32_e32 v127, v133
	scratch_store_b64 off, v[126:127], off offset:328
.LBB124_195:
	s_wait_xcnt 0x0
	s_or_b32 exec_lo, exec_lo, s48
	scratch_load_b64 v[126:127], off, off offset:320
	v_cmp_lt_u32_e64 s1, 40, v0
	s_wait_loadcnt 0x0
	ds_store_b64 v1, v[126:127]
	s_wait_storecnt_dscnt 0x0
	s_barrier_signal -1
	s_barrier_wait -1
	s_wait_xcnt 0x0
	s_and_saveexec_b32 s47, s1
	s_cbranch_execz .LBB124_205
; %bb.196:
	s_and_not1_b32 vcc_lo, exec_lo, s5
	s_cbranch_vccnz .LBB124_198
; %bb.197:
	scratch_load_b64 v[126:127], v59, off
	ds_load_b64 v[128:129], v1
	s_wait_loadcnt_dscnt 0x0
	v_pk_mul_f32 v[130:131], v[128:129], v[126:127] op_sel:[1,1] op_sel_hi:[0,1]
	s_delay_alu instid0(VALU_DEP_1) | instskip(SKIP_1) | instid1(VALU_DEP_2)
	v_pk_fma_f32 v[132:133], v[128:129], v[126:127], v[130:131] op_sel_hi:[1,0,1]
	v_pk_fma_f32 v[126:127], v[128:129], v[126:127], v[130:131] neg_lo:[0,0,1] neg_hi:[0,0,1]
	v_mov_b32_e32 v127, v133
	s_cbranch_execz .LBB124_199
	s_branch .LBB124_200
.LBB124_198:
                                        ; implicit-def: $vgpr126_vgpr127
.LBB124_199:
	ds_load_b64 v[126:127], v1
.LBB124_200:
	s_and_saveexec_b32 s48, s0
	s_cbranch_execz .LBB124_204
; %bb.201:
	v_subrev_nc_u32_e32 v128, 41, v0
	s_movk_i32 s49, 0x338
	s_mov_b32 s0, 0
.LBB124_202:                            ; =>This Inner Loop Header: Depth=1
	scratch_load_b64 v[130:131], off, s46
	v_dual_mov_b32 v129, s49 :: v_dual_add_nc_u32 v128, -1, v128
	s_add_co_i32 s49, s49, 8
	s_wait_xcnt 0x0
	s_add_co_i32 s46, s46, 8
	ds_load_b64 v[132:133], v129
	v_cmp_eq_u32_e32 vcc_lo, 0, v128
	s_or_b32 s0, vcc_lo, s0
	s_wait_loadcnt_dscnt 0x0
	v_pk_mul_f32 v[134:135], v[132:133], v[130:131] op_sel:[1,1] op_sel_hi:[0,1]
	s_delay_alu instid0(VALU_DEP_1) | instskip(SKIP_1) | instid1(VALU_DEP_2)
	v_pk_fma_f32 v[136:137], v[132:133], v[130:131], v[134:135] op_sel_hi:[1,0,1]
	v_pk_fma_f32 v[130:131], v[132:133], v[130:131], v[134:135] neg_lo:[0,0,1] neg_hi:[0,0,1]
	v_mov_b32_e32 v131, v137
	s_delay_alu instid0(VALU_DEP_1)
	v_pk_add_f32 v[126:127], v[126:127], v[130:131]
	s_and_not1_b32 exec_lo, exec_lo, s0
	s_cbranch_execnz .LBB124_202
; %bb.203:
	s_or_b32 exec_lo, exec_lo, s0
.LBB124_204:
	s_delay_alu instid0(SALU_CYCLE_1) | instskip(SKIP_4) | instid1(VALU_DEP_1)
	s_or_b32 exec_lo, exec_lo, s48
	v_mov_b32_e32 v128, 0
	ds_load_b64 v[128:129], v128 offset:320
	s_wait_dscnt 0x0
	v_pk_mul_f32 v[130:131], v[126:127], v[128:129] op_sel:[1,1] op_sel_hi:[0,1]
	v_pk_fma_f32 v[132:133], v[126:127], v[128:129], v[130:131] op_sel_hi:[1,0,1]
	v_pk_fma_f32 v[126:127], v[126:127], v[128:129], v[130:131] neg_lo:[0,0,1] neg_hi:[0,0,1]
	s_delay_alu instid0(VALU_DEP_2)
	v_mov_b32_e32 v127, v133
	scratch_store_b64 off, v[126:127], off offset:320
.LBB124_205:
	s_wait_xcnt 0x0
	s_or_b32 exec_lo, exec_lo, s47
	scratch_load_b64 v[126:127], off, off offset:312
	v_cmp_lt_u32_e64 s0, 39, v0
	s_wait_loadcnt 0x0
	ds_store_b64 v1, v[126:127]
	s_wait_storecnt_dscnt 0x0
	s_barrier_signal -1
	s_barrier_wait -1
	s_wait_xcnt 0x0
	s_and_saveexec_b32 s46, s0
	s_cbranch_execz .LBB124_215
; %bb.206:
	s_and_not1_b32 vcc_lo, exec_lo, s5
	s_cbranch_vccnz .LBB124_208
; %bb.207:
	scratch_load_b64 v[126:127], v59, off
	ds_load_b64 v[128:129], v1
	s_wait_loadcnt_dscnt 0x0
	v_pk_mul_f32 v[130:131], v[128:129], v[126:127] op_sel:[1,1] op_sel_hi:[0,1]
	s_delay_alu instid0(VALU_DEP_1) | instskip(SKIP_1) | instid1(VALU_DEP_2)
	v_pk_fma_f32 v[132:133], v[128:129], v[126:127], v[130:131] op_sel_hi:[1,0,1]
	v_pk_fma_f32 v[126:127], v[128:129], v[126:127], v[130:131] neg_lo:[0,0,1] neg_hi:[0,0,1]
	v_mov_b32_e32 v127, v133
	s_cbranch_execz .LBB124_209
	s_branch .LBB124_210
.LBB124_208:
                                        ; implicit-def: $vgpr126_vgpr127
.LBB124_209:
	ds_load_b64 v[126:127], v1
.LBB124_210:
	s_and_saveexec_b32 s47, s1
	s_cbranch_execz .LBB124_214
; %bb.211:
	v_subrev_nc_u32_e32 v128, 40, v0
	s_movk_i32 s48, 0x330
	s_mov_b32 s1, 0
.LBB124_212:                            ; =>This Inner Loop Header: Depth=1
	scratch_load_b64 v[130:131], off, s45
	v_dual_mov_b32 v129, s48 :: v_dual_add_nc_u32 v128, -1, v128
	s_add_co_i32 s48, s48, 8
	s_wait_xcnt 0x0
	s_add_co_i32 s45, s45, 8
	ds_load_b64 v[132:133], v129
	v_cmp_eq_u32_e32 vcc_lo, 0, v128
	s_or_b32 s1, vcc_lo, s1
	s_wait_loadcnt_dscnt 0x0
	v_pk_mul_f32 v[134:135], v[132:133], v[130:131] op_sel:[1,1] op_sel_hi:[0,1]
	s_delay_alu instid0(VALU_DEP_1) | instskip(SKIP_1) | instid1(VALU_DEP_2)
	v_pk_fma_f32 v[136:137], v[132:133], v[130:131], v[134:135] op_sel_hi:[1,0,1]
	v_pk_fma_f32 v[130:131], v[132:133], v[130:131], v[134:135] neg_lo:[0,0,1] neg_hi:[0,0,1]
	v_mov_b32_e32 v131, v137
	s_delay_alu instid0(VALU_DEP_1)
	v_pk_add_f32 v[126:127], v[126:127], v[130:131]
	s_and_not1_b32 exec_lo, exec_lo, s1
	s_cbranch_execnz .LBB124_212
; %bb.213:
	s_or_b32 exec_lo, exec_lo, s1
.LBB124_214:
	s_delay_alu instid0(SALU_CYCLE_1) | instskip(SKIP_4) | instid1(VALU_DEP_1)
	s_or_b32 exec_lo, exec_lo, s47
	v_mov_b32_e32 v128, 0
	ds_load_b64 v[128:129], v128 offset:312
	s_wait_dscnt 0x0
	v_pk_mul_f32 v[130:131], v[126:127], v[128:129] op_sel:[1,1] op_sel_hi:[0,1]
	v_pk_fma_f32 v[132:133], v[126:127], v[128:129], v[130:131] op_sel_hi:[1,0,1]
	v_pk_fma_f32 v[126:127], v[126:127], v[128:129], v[130:131] neg_lo:[0,0,1] neg_hi:[0,0,1]
	s_delay_alu instid0(VALU_DEP_2)
	v_mov_b32_e32 v127, v133
	scratch_store_b64 off, v[126:127], off offset:312
.LBB124_215:
	s_wait_xcnt 0x0
	s_or_b32 exec_lo, exec_lo, s46
	scratch_load_b64 v[126:127], off, off offset:304
	v_cmp_lt_u32_e64 s1, 38, v0
	s_wait_loadcnt 0x0
	ds_store_b64 v1, v[126:127]
	s_wait_storecnt_dscnt 0x0
	s_barrier_signal -1
	s_barrier_wait -1
	s_wait_xcnt 0x0
	s_and_saveexec_b32 s45, s1
	s_cbranch_execz .LBB124_225
; %bb.216:
	s_and_not1_b32 vcc_lo, exec_lo, s5
	s_cbranch_vccnz .LBB124_218
; %bb.217:
	scratch_load_b64 v[126:127], v59, off
	ds_load_b64 v[128:129], v1
	s_wait_loadcnt_dscnt 0x0
	v_pk_mul_f32 v[130:131], v[128:129], v[126:127] op_sel:[1,1] op_sel_hi:[0,1]
	s_delay_alu instid0(VALU_DEP_1) | instskip(SKIP_1) | instid1(VALU_DEP_2)
	v_pk_fma_f32 v[132:133], v[128:129], v[126:127], v[130:131] op_sel_hi:[1,0,1]
	v_pk_fma_f32 v[126:127], v[128:129], v[126:127], v[130:131] neg_lo:[0,0,1] neg_hi:[0,0,1]
	v_mov_b32_e32 v127, v133
	s_cbranch_execz .LBB124_219
	s_branch .LBB124_220
.LBB124_218:
                                        ; implicit-def: $vgpr126_vgpr127
.LBB124_219:
	ds_load_b64 v[126:127], v1
.LBB124_220:
	s_and_saveexec_b32 s46, s0
	s_cbranch_execz .LBB124_224
; %bb.221:
	v_subrev_nc_u32_e32 v128, 39, v0
	s_movk_i32 s47, 0x328
	s_mov_b32 s0, 0
.LBB124_222:                            ; =>This Inner Loop Header: Depth=1
	scratch_load_b64 v[130:131], off, s44
	v_dual_mov_b32 v129, s47 :: v_dual_add_nc_u32 v128, -1, v128
	s_add_co_i32 s47, s47, 8
	s_wait_xcnt 0x0
	s_add_co_i32 s44, s44, 8
	ds_load_b64 v[132:133], v129
	v_cmp_eq_u32_e32 vcc_lo, 0, v128
	s_or_b32 s0, vcc_lo, s0
	s_wait_loadcnt_dscnt 0x0
	v_pk_mul_f32 v[134:135], v[132:133], v[130:131] op_sel:[1,1] op_sel_hi:[0,1]
	s_delay_alu instid0(VALU_DEP_1) | instskip(SKIP_1) | instid1(VALU_DEP_2)
	v_pk_fma_f32 v[136:137], v[132:133], v[130:131], v[134:135] op_sel_hi:[1,0,1]
	v_pk_fma_f32 v[130:131], v[132:133], v[130:131], v[134:135] neg_lo:[0,0,1] neg_hi:[0,0,1]
	v_mov_b32_e32 v131, v137
	s_delay_alu instid0(VALU_DEP_1)
	v_pk_add_f32 v[126:127], v[126:127], v[130:131]
	s_and_not1_b32 exec_lo, exec_lo, s0
	s_cbranch_execnz .LBB124_222
; %bb.223:
	s_or_b32 exec_lo, exec_lo, s0
.LBB124_224:
	s_delay_alu instid0(SALU_CYCLE_1) | instskip(SKIP_4) | instid1(VALU_DEP_1)
	s_or_b32 exec_lo, exec_lo, s46
	v_mov_b32_e32 v128, 0
	ds_load_b64 v[128:129], v128 offset:304
	s_wait_dscnt 0x0
	v_pk_mul_f32 v[130:131], v[126:127], v[128:129] op_sel:[1,1] op_sel_hi:[0,1]
	v_pk_fma_f32 v[132:133], v[126:127], v[128:129], v[130:131] op_sel_hi:[1,0,1]
	v_pk_fma_f32 v[126:127], v[126:127], v[128:129], v[130:131] neg_lo:[0,0,1] neg_hi:[0,0,1]
	s_delay_alu instid0(VALU_DEP_2)
	v_mov_b32_e32 v127, v133
	scratch_store_b64 off, v[126:127], off offset:304
.LBB124_225:
	s_wait_xcnt 0x0
	s_or_b32 exec_lo, exec_lo, s45
	scratch_load_b64 v[126:127], off, off offset:296
	v_cmp_lt_u32_e64 s0, 37, v0
	s_wait_loadcnt 0x0
	ds_store_b64 v1, v[126:127]
	s_wait_storecnt_dscnt 0x0
	s_barrier_signal -1
	s_barrier_wait -1
	s_wait_xcnt 0x0
	s_and_saveexec_b32 s44, s0
	s_cbranch_execz .LBB124_235
; %bb.226:
	s_and_not1_b32 vcc_lo, exec_lo, s5
	s_cbranch_vccnz .LBB124_228
; %bb.227:
	scratch_load_b64 v[126:127], v59, off
	ds_load_b64 v[128:129], v1
	s_wait_loadcnt_dscnt 0x0
	v_pk_mul_f32 v[130:131], v[128:129], v[126:127] op_sel:[1,1] op_sel_hi:[0,1]
	s_delay_alu instid0(VALU_DEP_1) | instskip(SKIP_1) | instid1(VALU_DEP_2)
	v_pk_fma_f32 v[132:133], v[128:129], v[126:127], v[130:131] op_sel_hi:[1,0,1]
	v_pk_fma_f32 v[126:127], v[128:129], v[126:127], v[130:131] neg_lo:[0,0,1] neg_hi:[0,0,1]
	v_mov_b32_e32 v127, v133
	s_cbranch_execz .LBB124_229
	s_branch .LBB124_230
.LBB124_228:
                                        ; implicit-def: $vgpr126_vgpr127
.LBB124_229:
	ds_load_b64 v[126:127], v1
.LBB124_230:
	s_and_saveexec_b32 s45, s1
	s_cbranch_execz .LBB124_234
; %bb.231:
	v_subrev_nc_u32_e32 v128, 38, v0
	s_movk_i32 s46, 0x320
	s_mov_b32 s1, 0
.LBB124_232:                            ; =>This Inner Loop Header: Depth=1
	scratch_load_b64 v[130:131], off, s43
	v_dual_mov_b32 v129, s46 :: v_dual_add_nc_u32 v128, -1, v128
	s_add_co_i32 s46, s46, 8
	s_wait_xcnt 0x0
	s_add_co_i32 s43, s43, 8
	ds_load_b64 v[132:133], v129
	v_cmp_eq_u32_e32 vcc_lo, 0, v128
	s_or_b32 s1, vcc_lo, s1
	s_wait_loadcnt_dscnt 0x0
	v_pk_mul_f32 v[134:135], v[132:133], v[130:131] op_sel:[1,1] op_sel_hi:[0,1]
	s_delay_alu instid0(VALU_DEP_1) | instskip(SKIP_1) | instid1(VALU_DEP_2)
	v_pk_fma_f32 v[136:137], v[132:133], v[130:131], v[134:135] op_sel_hi:[1,0,1]
	v_pk_fma_f32 v[130:131], v[132:133], v[130:131], v[134:135] neg_lo:[0,0,1] neg_hi:[0,0,1]
	v_mov_b32_e32 v131, v137
	s_delay_alu instid0(VALU_DEP_1)
	v_pk_add_f32 v[126:127], v[126:127], v[130:131]
	s_and_not1_b32 exec_lo, exec_lo, s1
	s_cbranch_execnz .LBB124_232
; %bb.233:
	s_or_b32 exec_lo, exec_lo, s1
.LBB124_234:
	s_delay_alu instid0(SALU_CYCLE_1) | instskip(SKIP_4) | instid1(VALU_DEP_1)
	s_or_b32 exec_lo, exec_lo, s45
	v_mov_b32_e32 v128, 0
	ds_load_b64 v[128:129], v128 offset:296
	s_wait_dscnt 0x0
	v_pk_mul_f32 v[130:131], v[126:127], v[128:129] op_sel:[1,1] op_sel_hi:[0,1]
	v_pk_fma_f32 v[132:133], v[126:127], v[128:129], v[130:131] op_sel_hi:[1,0,1]
	v_pk_fma_f32 v[126:127], v[126:127], v[128:129], v[130:131] neg_lo:[0,0,1] neg_hi:[0,0,1]
	s_delay_alu instid0(VALU_DEP_2)
	v_mov_b32_e32 v127, v133
	scratch_store_b64 off, v[126:127], off offset:296
.LBB124_235:
	s_wait_xcnt 0x0
	s_or_b32 exec_lo, exec_lo, s44
	scratch_load_b64 v[126:127], off, off offset:288
	v_cmp_lt_u32_e64 s1, 36, v0
	s_wait_loadcnt 0x0
	ds_store_b64 v1, v[126:127]
	s_wait_storecnt_dscnt 0x0
	s_barrier_signal -1
	s_barrier_wait -1
	s_wait_xcnt 0x0
	s_and_saveexec_b32 s43, s1
	s_cbranch_execz .LBB124_245
; %bb.236:
	s_and_not1_b32 vcc_lo, exec_lo, s5
	s_cbranch_vccnz .LBB124_238
; %bb.237:
	scratch_load_b64 v[126:127], v59, off
	ds_load_b64 v[128:129], v1
	s_wait_loadcnt_dscnt 0x0
	v_pk_mul_f32 v[130:131], v[128:129], v[126:127] op_sel:[1,1] op_sel_hi:[0,1]
	s_delay_alu instid0(VALU_DEP_1) | instskip(SKIP_1) | instid1(VALU_DEP_2)
	v_pk_fma_f32 v[132:133], v[128:129], v[126:127], v[130:131] op_sel_hi:[1,0,1]
	v_pk_fma_f32 v[126:127], v[128:129], v[126:127], v[130:131] neg_lo:[0,0,1] neg_hi:[0,0,1]
	v_mov_b32_e32 v127, v133
	s_cbranch_execz .LBB124_239
	s_branch .LBB124_240
.LBB124_238:
                                        ; implicit-def: $vgpr126_vgpr127
.LBB124_239:
	ds_load_b64 v[126:127], v1
.LBB124_240:
	s_and_saveexec_b32 s44, s0
	s_cbranch_execz .LBB124_244
; %bb.241:
	v_subrev_nc_u32_e32 v128, 37, v0
	s_movk_i32 s45, 0x318
	s_mov_b32 s0, 0
.LBB124_242:                            ; =>This Inner Loop Header: Depth=1
	scratch_load_b64 v[130:131], off, s42
	v_dual_mov_b32 v129, s45 :: v_dual_add_nc_u32 v128, -1, v128
	s_add_co_i32 s45, s45, 8
	s_wait_xcnt 0x0
	s_add_co_i32 s42, s42, 8
	ds_load_b64 v[132:133], v129
	v_cmp_eq_u32_e32 vcc_lo, 0, v128
	s_or_b32 s0, vcc_lo, s0
	s_wait_loadcnt_dscnt 0x0
	v_pk_mul_f32 v[134:135], v[132:133], v[130:131] op_sel:[1,1] op_sel_hi:[0,1]
	s_delay_alu instid0(VALU_DEP_1) | instskip(SKIP_1) | instid1(VALU_DEP_2)
	v_pk_fma_f32 v[136:137], v[132:133], v[130:131], v[134:135] op_sel_hi:[1,0,1]
	v_pk_fma_f32 v[130:131], v[132:133], v[130:131], v[134:135] neg_lo:[0,0,1] neg_hi:[0,0,1]
	v_mov_b32_e32 v131, v137
	s_delay_alu instid0(VALU_DEP_1)
	v_pk_add_f32 v[126:127], v[126:127], v[130:131]
	s_and_not1_b32 exec_lo, exec_lo, s0
	s_cbranch_execnz .LBB124_242
; %bb.243:
	s_or_b32 exec_lo, exec_lo, s0
.LBB124_244:
	s_delay_alu instid0(SALU_CYCLE_1) | instskip(SKIP_4) | instid1(VALU_DEP_1)
	s_or_b32 exec_lo, exec_lo, s44
	v_mov_b32_e32 v128, 0
	ds_load_b64 v[128:129], v128 offset:288
	s_wait_dscnt 0x0
	v_pk_mul_f32 v[130:131], v[126:127], v[128:129] op_sel:[1,1] op_sel_hi:[0,1]
	v_pk_fma_f32 v[132:133], v[126:127], v[128:129], v[130:131] op_sel_hi:[1,0,1]
	v_pk_fma_f32 v[126:127], v[126:127], v[128:129], v[130:131] neg_lo:[0,0,1] neg_hi:[0,0,1]
	s_delay_alu instid0(VALU_DEP_2)
	v_mov_b32_e32 v127, v133
	scratch_store_b64 off, v[126:127], off offset:288
.LBB124_245:
	s_wait_xcnt 0x0
	s_or_b32 exec_lo, exec_lo, s43
	scratch_load_b64 v[126:127], off, off offset:280
	v_cmp_lt_u32_e64 s0, 35, v0
	s_wait_loadcnt 0x0
	ds_store_b64 v1, v[126:127]
	s_wait_storecnt_dscnt 0x0
	s_barrier_signal -1
	s_barrier_wait -1
	s_wait_xcnt 0x0
	s_and_saveexec_b32 s42, s0
	s_cbranch_execz .LBB124_255
; %bb.246:
	s_and_not1_b32 vcc_lo, exec_lo, s5
	s_cbranch_vccnz .LBB124_248
; %bb.247:
	scratch_load_b64 v[126:127], v59, off
	ds_load_b64 v[128:129], v1
	s_wait_loadcnt_dscnt 0x0
	v_pk_mul_f32 v[130:131], v[128:129], v[126:127] op_sel:[1,1] op_sel_hi:[0,1]
	s_delay_alu instid0(VALU_DEP_1) | instskip(SKIP_1) | instid1(VALU_DEP_2)
	v_pk_fma_f32 v[132:133], v[128:129], v[126:127], v[130:131] op_sel_hi:[1,0,1]
	v_pk_fma_f32 v[126:127], v[128:129], v[126:127], v[130:131] neg_lo:[0,0,1] neg_hi:[0,0,1]
	v_mov_b32_e32 v127, v133
	s_cbranch_execz .LBB124_249
	s_branch .LBB124_250
.LBB124_248:
                                        ; implicit-def: $vgpr126_vgpr127
.LBB124_249:
	ds_load_b64 v[126:127], v1
.LBB124_250:
	s_and_saveexec_b32 s43, s1
	s_cbranch_execz .LBB124_254
; %bb.251:
	v_subrev_nc_u32_e32 v128, 36, v0
	s_movk_i32 s44, 0x310
	s_mov_b32 s1, 0
.LBB124_252:                            ; =>This Inner Loop Header: Depth=1
	scratch_load_b64 v[130:131], off, s41
	v_dual_mov_b32 v129, s44 :: v_dual_add_nc_u32 v128, -1, v128
	s_add_co_i32 s44, s44, 8
	s_wait_xcnt 0x0
	s_add_co_i32 s41, s41, 8
	ds_load_b64 v[132:133], v129
	v_cmp_eq_u32_e32 vcc_lo, 0, v128
	s_or_b32 s1, vcc_lo, s1
	s_wait_loadcnt_dscnt 0x0
	v_pk_mul_f32 v[134:135], v[132:133], v[130:131] op_sel:[1,1] op_sel_hi:[0,1]
	s_delay_alu instid0(VALU_DEP_1) | instskip(SKIP_1) | instid1(VALU_DEP_2)
	v_pk_fma_f32 v[136:137], v[132:133], v[130:131], v[134:135] op_sel_hi:[1,0,1]
	v_pk_fma_f32 v[130:131], v[132:133], v[130:131], v[134:135] neg_lo:[0,0,1] neg_hi:[0,0,1]
	v_mov_b32_e32 v131, v137
	s_delay_alu instid0(VALU_DEP_1)
	v_pk_add_f32 v[126:127], v[126:127], v[130:131]
	s_and_not1_b32 exec_lo, exec_lo, s1
	s_cbranch_execnz .LBB124_252
; %bb.253:
	s_or_b32 exec_lo, exec_lo, s1
.LBB124_254:
	s_delay_alu instid0(SALU_CYCLE_1) | instskip(SKIP_4) | instid1(VALU_DEP_1)
	s_or_b32 exec_lo, exec_lo, s43
	v_mov_b32_e32 v128, 0
	ds_load_b64 v[128:129], v128 offset:280
	s_wait_dscnt 0x0
	v_pk_mul_f32 v[130:131], v[126:127], v[128:129] op_sel:[1,1] op_sel_hi:[0,1]
	v_pk_fma_f32 v[132:133], v[126:127], v[128:129], v[130:131] op_sel_hi:[1,0,1]
	v_pk_fma_f32 v[126:127], v[126:127], v[128:129], v[130:131] neg_lo:[0,0,1] neg_hi:[0,0,1]
	s_delay_alu instid0(VALU_DEP_2)
	v_mov_b32_e32 v127, v133
	scratch_store_b64 off, v[126:127], off offset:280
.LBB124_255:
	s_wait_xcnt 0x0
	s_or_b32 exec_lo, exec_lo, s42
	scratch_load_b64 v[126:127], off, off offset:272
	v_cmp_lt_u32_e64 s1, 34, v0
	s_wait_loadcnt 0x0
	ds_store_b64 v1, v[126:127]
	s_wait_storecnt_dscnt 0x0
	s_barrier_signal -1
	s_barrier_wait -1
	s_wait_xcnt 0x0
	s_and_saveexec_b32 s41, s1
	s_cbranch_execz .LBB124_265
; %bb.256:
	s_and_not1_b32 vcc_lo, exec_lo, s5
	s_cbranch_vccnz .LBB124_258
; %bb.257:
	scratch_load_b64 v[126:127], v59, off
	ds_load_b64 v[128:129], v1
	s_wait_loadcnt_dscnt 0x0
	v_pk_mul_f32 v[130:131], v[128:129], v[126:127] op_sel:[1,1] op_sel_hi:[0,1]
	s_delay_alu instid0(VALU_DEP_1) | instskip(SKIP_1) | instid1(VALU_DEP_2)
	v_pk_fma_f32 v[132:133], v[128:129], v[126:127], v[130:131] op_sel_hi:[1,0,1]
	v_pk_fma_f32 v[126:127], v[128:129], v[126:127], v[130:131] neg_lo:[0,0,1] neg_hi:[0,0,1]
	v_mov_b32_e32 v127, v133
	s_cbranch_execz .LBB124_259
	s_branch .LBB124_260
.LBB124_258:
                                        ; implicit-def: $vgpr126_vgpr127
.LBB124_259:
	ds_load_b64 v[126:127], v1
.LBB124_260:
	s_and_saveexec_b32 s42, s0
	s_cbranch_execz .LBB124_264
; %bb.261:
	v_subrev_nc_u32_e32 v128, 35, v0
	s_movk_i32 s43, 0x308
	s_mov_b32 s0, 0
.LBB124_262:                            ; =>This Inner Loop Header: Depth=1
	scratch_load_b64 v[130:131], off, s40
	v_dual_mov_b32 v129, s43 :: v_dual_add_nc_u32 v128, -1, v128
	s_add_co_i32 s43, s43, 8
	s_wait_xcnt 0x0
	s_add_co_i32 s40, s40, 8
	ds_load_b64 v[132:133], v129
	v_cmp_eq_u32_e32 vcc_lo, 0, v128
	s_or_b32 s0, vcc_lo, s0
	s_wait_loadcnt_dscnt 0x0
	v_pk_mul_f32 v[134:135], v[132:133], v[130:131] op_sel:[1,1] op_sel_hi:[0,1]
	s_delay_alu instid0(VALU_DEP_1) | instskip(SKIP_1) | instid1(VALU_DEP_2)
	v_pk_fma_f32 v[136:137], v[132:133], v[130:131], v[134:135] op_sel_hi:[1,0,1]
	v_pk_fma_f32 v[130:131], v[132:133], v[130:131], v[134:135] neg_lo:[0,0,1] neg_hi:[0,0,1]
	v_mov_b32_e32 v131, v137
	s_delay_alu instid0(VALU_DEP_1)
	v_pk_add_f32 v[126:127], v[126:127], v[130:131]
	s_and_not1_b32 exec_lo, exec_lo, s0
	s_cbranch_execnz .LBB124_262
; %bb.263:
	s_or_b32 exec_lo, exec_lo, s0
.LBB124_264:
	s_delay_alu instid0(SALU_CYCLE_1) | instskip(SKIP_4) | instid1(VALU_DEP_1)
	s_or_b32 exec_lo, exec_lo, s42
	v_mov_b32_e32 v128, 0
	ds_load_b64 v[128:129], v128 offset:272
	s_wait_dscnt 0x0
	v_pk_mul_f32 v[130:131], v[126:127], v[128:129] op_sel:[1,1] op_sel_hi:[0,1]
	v_pk_fma_f32 v[132:133], v[126:127], v[128:129], v[130:131] op_sel_hi:[1,0,1]
	v_pk_fma_f32 v[126:127], v[126:127], v[128:129], v[130:131] neg_lo:[0,0,1] neg_hi:[0,0,1]
	s_delay_alu instid0(VALU_DEP_2)
	v_mov_b32_e32 v127, v133
	scratch_store_b64 off, v[126:127], off offset:272
.LBB124_265:
	s_wait_xcnt 0x0
	s_or_b32 exec_lo, exec_lo, s41
	scratch_load_b64 v[126:127], off, off offset:264
	v_cmp_lt_u32_e64 s0, 33, v0
	s_wait_loadcnt 0x0
	ds_store_b64 v1, v[126:127]
	s_wait_storecnt_dscnt 0x0
	s_barrier_signal -1
	s_barrier_wait -1
	s_wait_xcnt 0x0
	s_and_saveexec_b32 s40, s0
	s_cbranch_execz .LBB124_275
; %bb.266:
	s_and_not1_b32 vcc_lo, exec_lo, s5
	s_cbranch_vccnz .LBB124_268
; %bb.267:
	scratch_load_b64 v[126:127], v59, off
	ds_load_b64 v[128:129], v1
	s_wait_loadcnt_dscnt 0x0
	v_pk_mul_f32 v[130:131], v[128:129], v[126:127] op_sel:[1,1] op_sel_hi:[0,1]
	s_delay_alu instid0(VALU_DEP_1) | instskip(SKIP_1) | instid1(VALU_DEP_2)
	v_pk_fma_f32 v[132:133], v[128:129], v[126:127], v[130:131] op_sel_hi:[1,0,1]
	v_pk_fma_f32 v[126:127], v[128:129], v[126:127], v[130:131] neg_lo:[0,0,1] neg_hi:[0,0,1]
	v_mov_b32_e32 v127, v133
	s_cbranch_execz .LBB124_269
	s_branch .LBB124_270
.LBB124_268:
                                        ; implicit-def: $vgpr126_vgpr127
.LBB124_269:
	ds_load_b64 v[126:127], v1
.LBB124_270:
	s_and_saveexec_b32 s41, s1
	s_cbranch_execz .LBB124_274
; %bb.271:
	v_subrev_nc_u32_e32 v128, 34, v0
	s_movk_i32 s42, 0x300
	s_mov_b32 s1, 0
.LBB124_272:                            ; =>This Inner Loop Header: Depth=1
	scratch_load_b64 v[130:131], off, s39
	v_dual_mov_b32 v129, s42 :: v_dual_add_nc_u32 v128, -1, v128
	s_add_co_i32 s42, s42, 8
	s_wait_xcnt 0x0
	s_add_co_i32 s39, s39, 8
	ds_load_b64 v[132:133], v129
	v_cmp_eq_u32_e32 vcc_lo, 0, v128
	s_or_b32 s1, vcc_lo, s1
	s_wait_loadcnt_dscnt 0x0
	v_pk_mul_f32 v[134:135], v[132:133], v[130:131] op_sel:[1,1] op_sel_hi:[0,1]
	s_delay_alu instid0(VALU_DEP_1) | instskip(SKIP_1) | instid1(VALU_DEP_2)
	v_pk_fma_f32 v[136:137], v[132:133], v[130:131], v[134:135] op_sel_hi:[1,0,1]
	v_pk_fma_f32 v[130:131], v[132:133], v[130:131], v[134:135] neg_lo:[0,0,1] neg_hi:[0,0,1]
	v_mov_b32_e32 v131, v137
	s_delay_alu instid0(VALU_DEP_1)
	v_pk_add_f32 v[126:127], v[126:127], v[130:131]
	s_and_not1_b32 exec_lo, exec_lo, s1
	s_cbranch_execnz .LBB124_272
; %bb.273:
	s_or_b32 exec_lo, exec_lo, s1
.LBB124_274:
	s_delay_alu instid0(SALU_CYCLE_1) | instskip(SKIP_4) | instid1(VALU_DEP_1)
	s_or_b32 exec_lo, exec_lo, s41
	v_mov_b32_e32 v128, 0
	ds_load_b64 v[128:129], v128 offset:264
	s_wait_dscnt 0x0
	v_pk_mul_f32 v[130:131], v[126:127], v[128:129] op_sel:[1,1] op_sel_hi:[0,1]
	v_pk_fma_f32 v[132:133], v[126:127], v[128:129], v[130:131] op_sel_hi:[1,0,1]
	v_pk_fma_f32 v[126:127], v[126:127], v[128:129], v[130:131] neg_lo:[0,0,1] neg_hi:[0,0,1]
	s_delay_alu instid0(VALU_DEP_2)
	v_mov_b32_e32 v127, v133
	scratch_store_b64 off, v[126:127], off offset:264
.LBB124_275:
	s_wait_xcnt 0x0
	s_or_b32 exec_lo, exec_lo, s40
	scratch_load_b64 v[126:127], off, off offset:256
	v_cmp_lt_u32_e64 s1, 32, v0
	s_wait_loadcnt 0x0
	ds_store_b64 v1, v[126:127]
	s_wait_storecnt_dscnt 0x0
	s_barrier_signal -1
	s_barrier_wait -1
	s_wait_xcnt 0x0
	s_and_saveexec_b32 s39, s1
	s_cbranch_execz .LBB124_285
; %bb.276:
	s_and_not1_b32 vcc_lo, exec_lo, s5
	s_cbranch_vccnz .LBB124_278
; %bb.277:
	scratch_load_b64 v[126:127], v59, off
	ds_load_b64 v[128:129], v1
	s_wait_loadcnt_dscnt 0x0
	v_pk_mul_f32 v[130:131], v[128:129], v[126:127] op_sel:[1,1] op_sel_hi:[0,1]
	s_delay_alu instid0(VALU_DEP_1) | instskip(SKIP_1) | instid1(VALU_DEP_2)
	v_pk_fma_f32 v[132:133], v[128:129], v[126:127], v[130:131] op_sel_hi:[1,0,1]
	v_pk_fma_f32 v[126:127], v[128:129], v[126:127], v[130:131] neg_lo:[0,0,1] neg_hi:[0,0,1]
	v_mov_b32_e32 v127, v133
	s_cbranch_execz .LBB124_279
	s_branch .LBB124_280
.LBB124_278:
                                        ; implicit-def: $vgpr126_vgpr127
.LBB124_279:
	ds_load_b64 v[126:127], v1
.LBB124_280:
	s_and_saveexec_b32 s40, s0
	s_cbranch_execz .LBB124_284
; %bb.281:
	v_subrev_nc_u32_e32 v128, 33, v0
	s_movk_i32 s41, 0x2f8
	s_mov_b32 s0, 0
.LBB124_282:                            ; =>This Inner Loop Header: Depth=1
	scratch_load_b64 v[130:131], off, s38
	v_dual_mov_b32 v129, s41 :: v_dual_add_nc_u32 v128, -1, v128
	s_add_co_i32 s41, s41, 8
	s_wait_xcnt 0x0
	s_add_co_i32 s38, s38, 8
	ds_load_b64 v[132:133], v129
	v_cmp_eq_u32_e32 vcc_lo, 0, v128
	s_or_b32 s0, vcc_lo, s0
	s_wait_loadcnt_dscnt 0x0
	v_pk_mul_f32 v[134:135], v[132:133], v[130:131] op_sel:[1,1] op_sel_hi:[0,1]
	s_delay_alu instid0(VALU_DEP_1) | instskip(SKIP_1) | instid1(VALU_DEP_2)
	v_pk_fma_f32 v[136:137], v[132:133], v[130:131], v[134:135] op_sel_hi:[1,0,1]
	v_pk_fma_f32 v[130:131], v[132:133], v[130:131], v[134:135] neg_lo:[0,0,1] neg_hi:[0,0,1]
	v_mov_b32_e32 v131, v137
	s_delay_alu instid0(VALU_DEP_1)
	v_pk_add_f32 v[126:127], v[126:127], v[130:131]
	s_and_not1_b32 exec_lo, exec_lo, s0
	s_cbranch_execnz .LBB124_282
; %bb.283:
	s_or_b32 exec_lo, exec_lo, s0
.LBB124_284:
	s_delay_alu instid0(SALU_CYCLE_1) | instskip(SKIP_4) | instid1(VALU_DEP_1)
	s_or_b32 exec_lo, exec_lo, s40
	v_mov_b32_e32 v128, 0
	ds_load_b64 v[128:129], v128 offset:256
	s_wait_dscnt 0x0
	v_pk_mul_f32 v[130:131], v[126:127], v[128:129] op_sel:[1,1] op_sel_hi:[0,1]
	v_pk_fma_f32 v[132:133], v[126:127], v[128:129], v[130:131] op_sel_hi:[1,0,1]
	v_pk_fma_f32 v[126:127], v[126:127], v[128:129], v[130:131] neg_lo:[0,0,1] neg_hi:[0,0,1]
	s_delay_alu instid0(VALU_DEP_2)
	v_mov_b32_e32 v127, v133
	scratch_store_b64 off, v[126:127], off offset:256
.LBB124_285:
	s_wait_xcnt 0x0
	s_or_b32 exec_lo, exec_lo, s39
	scratch_load_b64 v[126:127], off, off offset:248
	v_cmp_lt_u32_e64 s0, 31, v0
	s_wait_loadcnt 0x0
	ds_store_b64 v1, v[126:127]
	s_wait_storecnt_dscnt 0x0
	s_barrier_signal -1
	s_barrier_wait -1
	s_wait_xcnt 0x0
	s_and_saveexec_b32 s38, s0
	s_cbranch_execz .LBB124_295
; %bb.286:
	s_and_not1_b32 vcc_lo, exec_lo, s5
	s_cbranch_vccnz .LBB124_288
; %bb.287:
	scratch_load_b64 v[126:127], v59, off
	ds_load_b64 v[128:129], v1
	s_wait_loadcnt_dscnt 0x0
	v_pk_mul_f32 v[130:131], v[128:129], v[126:127] op_sel:[1,1] op_sel_hi:[0,1]
	s_delay_alu instid0(VALU_DEP_1) | instskip(SKIP_1) | instid1(VALU_DEP_2)
	v_pk_fma_f32 v[132:133], v[128:129], v[126:127], v[130:131] op_sel_hi:[1,0,1]
	v_pk_fma_f32 v[126:127], v[128:129], v[126:127], v[130:131] neg_lo:[0,0,1] neg_hi:[0,0,1]
	v_mov_b32_e32 v127, v133
	s_cbranch_execz .LBB124_289
	s_branch .LBB124_290
.LBB124_288:
                                        ; implicit-def: $vgpr126_vgpr127
.LBB124_289:
	ds_load_b64 v[126:127], v1
.LBB124_290:
	s_and_saveexec_b32 s39, s1
	s_cbranch_execz .LBB124_294
; %bb.291:
	v_subrev_nc_u32_e32 v128, 32, v0
	s_movk_i32 s40, 0x2f0
	s_mov_b32 s1, 0
.LBB124_292:                            ; =>This Inner Loop Header: Depth=1
	scratch_load_b64 v[130:131], off, s37
	v_dual_mov_b32 v129, s40 :: v_dual_add_nc_u32 v128, -1, v128
	s_add_co_i32 s40, s40, 8
	s_wait_xcnt 0x0
	s_add_co_i32 s37, s37, 8
	ds_load_b64 v[132:133], v129
	v_cmp_eq_u32_e32 vcc_lo, 0, v128
	s_or_b32 s1, vcc_lo, s1
	s_wait_loadcnt_dscnt 0x0
	v_pk_mul_f32 v[134:135], v[132:133], v[130:131] op_sel:[1,1] op_sel_hi:[0,1]
	s_delay_alu instid0(VALU_DEP_1) | instskip(SKIP_1) | instid1(VALU_DEP_2)
	v_pk_fma_f32 v[136:137], v[132:133], v[130:131], v[134:135] op_sel_hi:[1,0,1]
	v_pk_fma_f32 v[130:131], v[132:133], v[130:131], v[134:135] neg_lo:[0,0,1] neg_hi:[0,0,1]
	v_mov_b32_e32 v131, v137
	s_delay_alu instid0(VALU_DEP_1)
	v_pk_add_f32 v[126:127], v[126:127], v[130:131]
	s_and_not1_b32 exec_lo, exec_lo, s1
	s_cbranch_execnz .LBB124_292
; %bb.293:
	s_or_b32 exec_lo, exec_lo, s1
.LBB124_294:
	s_delay_alu instid0(SALU_CYCLE_1) | instskip(SKIP_4) | instid1(VALU_DEP_1)
	s_or_b32 exec_lo, exec_lo, s39
	v_mov_b32_e32 v128, 0
	ds_load_b64 v[128:129], v128 offset:248
	s_wait_dscnt 0x0
	v_pk_mul_f32 v[130:131], v[126:127], v[128:129] op_sel:[1,1] op_sel_hi:[0,1]
	v_pk_fma_f32 v[132:133], v[126:127], v[128:129], v[130:131] op_sel_hi:[1,0,1]
	v_pk_fma_f32 v[126:127], v[126:127], v[128:129], v[130:131] neg_lo:[0,0,1] neg_hi:[0,0,1]
	s_delay_alu instid0(VALU_DEP_2)
	v_mov_b32_e32 v127, v133
	scratch_store_b64 off, v[126:127], off offset:248
.LBB124_295:
	s_wait_xcnt 0x0
	s_or_b32 exec_lo, exec_lo, s38
	scratch_load_b64 v[126:127], off, off offset:240
	v_cmp_lt_u32_e64 s1, 30, v0
	s_wait_loadcnt 0x0
	ds_store_b64 v1, v[126:127]
	s_wait_storecnt_dscnt 0x0
	s_barrier_signal -1
	s_barrier_wait -1
	s_wait_xcnt 0x0
	s_and_saveexec_b32 s37, s1
	s_cbranch_execz .LBB124_305
; %bb.296:
	s_and_not1_b32 vcc_lo, exec_lo, s5
	s_cbranch_vccnz .LBB124_298
; %bb.297:
	scratch_load_b64 v[126:127], v59, off
	ds_load_b64 v[128:129], v1
	s_wait_loadcnt_dscnt 0x0
	v_pk_mul_f32 v[130:131], v[128:129], v[126:127] op_sel:[1,1] op_sel_hi:[0,1]
	s_delay_alu instid0(VALU_DEP_1) | instskip(SKIP_1) | instid1(VALU_DEP_2)
	v_pk_fma_f32 v[132:133], v[128:129], v[126:127], v[130:131] op_sel_hi:[1,0,1]
	v_pk_fma_f32 v[126:127], v[128:129], v[126:127], v[130:131] neg_lo:[0,0,1] neg_hi:[0,0,1]
	v_mov_b32_e32 v127, v133
	s_cbranch_execz .LBB124_299
	s_branch .LBB124_300
.LBB124_298:
                                        ; implicit-def: $vgpr126_vgpr127
.LBB124_299:
	ds_load_b64 v[126:127], v1
.LBB124_300:
	s_and_saveexec_b32 s38, s0
	s_cbranch_execz .LBB124_304
; %bb.301:
	v_subrev_nc_u32_e32 v128, 31, v0
	s_movk_i32 s39, 0x2e8
	s_mov_b32 s0, 0
.LBB124_302:                            ; =>This Inner Loop Header: Depth=1
	scratch_load_b64 v[130:131], off, s36
	v_dual_mov_b32 v129, s39 :: v_dual_add_nc_u32 v128, -1, v128
	s_add_co_i32 s39, s39, 8
	s_wait_xcnt 0x0
	s_add_co_i32 s36, s36, 8
	ds_load_b64 v[132:133], v129
	v_cmp_eq_u32_e32 vcc_lo, 0, v128
	s_or_b32 s0, vcc_lo, s0
	s_wait_loadcnt_dscnt 0x0
	v_pk_mul_f32 v[134:135], v[132:133], v[130:131] op_sel:[1,1] op_sel_hi:[0,1]
	s_delay_alu instid0(VALU_DEP_1) | instskip(SKIP_1) | instid1(VALU_DEP_2)
	v_pk_fma_f32 v[136:137], v[132:133], v[130:131], v[134:135] op_sel_hi:[1,0,1]
	v_pk_fma_f32 v[130:131], v[132:133], v[130:131], v[134:135] neg_lo:[0,0,1] neg_hi:[0,0,1]
	v_mov_b32_e32 v131, v137
	s_delay_alu instid0(VALU_DEP_1)
	v_pk_add_f32 v[126:127], v[126:127], v[130:131]
	s_and_not1_b32 exec_lo, exec_lo, s0
	s_cbranch_execnz .LBB124_302
; %bb.303:
	s_or_b32 exec_lo, exec_lo, s0
.LBB124_304:
	s_delay_alu instid0(SALU_CYCLE_1) | instskip(SKIP_4) | instid1(VALU_DEP_1)
	s_or_b32 exec_lo, exec_lo, s38
	v_mov_b32_e32 v128, 0
	ds_load_b64 v[128:129], v128 offset:240
	s_wait_dscnt 0x0
	v_pk_mul_f32 v[130:131], v[126:127], v[128:129] op_sel:[1,1] op_sel_hi:[0,1]
	v_pk_fma_f32 v[132:133], v[126:127], v[128:129], v[130:131] op_sel_hi:[1,0,1]
	v_pk_fma_f32 v[126:127], v[126:127], v[128:129], v[130:131] neg_lo:[0,0,1] neg_hi:[0,0,1]
	s_delay_alu instid0(VALU_DEP_2)
	v_mov_b32_e32 v127, v133
	scratch_store_b64 off, v[126:127], off offset:240
.LBB124_305:
	s_wait_xcnt 0x0
	s_or_b32 exec_lo, exec_lo, s37
	scratch_load_b64 v[126:127], off, off offset:232
	v_cmp_lt_u32_e64 s0, 29, v0
	s_wait_loadcnt 0x0
	ds_store_b64 v1, v[126:127]
	s_wait_storecnt_dscnt 0x0
	s_barrier_signal -1
	s_barrier_wait -1
	s_wait_xcnt 0x0
	s_and_saveexec_b32 s36, s0
	s_cbranch_execz .LBB124_315
; %bb.306:
	s_and_not1_b32 vcc_lo, exec_lo, s5
	s_cbranch_vccnz .LBB124_308
; %bb.307:
	scratch_load_b64 v[126:127], v59, off
	ds_load_b64 v[128:129], v1
	s_wait_loadcnt_dscnt 0x0
	v_pk_mul_f32 v[130:131], v[128:129], v[126:127] op_sel:[1,1] op_sel_hi:[0,1]
	s_delay_alu instid0(VALU_DEP_1) | instskip(SKIP_1) | instid1(VALU_DEP_2)
	v_pk_fma_f32 v[132:133], v[128:129], v[126:127], v[130:131] op_sel_hi:[1,0,1]
	v_pk_fma_f32 v[126:127], v[128:129], v[126:127], v[130:131] neg_lo:[0,0,1] neg_hi:[0,0,1]
	v_mov_b32_e32 v127, v133
	s_cbranch_execz .LBB124_309
	s_branch .LBB124_310
.LBB124_308:
                                        ; implicit-def: $vgpr126_vgpr127
.LBB124_309:
	ds_load_b64 v[126:127], v1
.LBB124_310:
	s_and_saveexec_b32 s37, s1
	s_cbranch_execz .LBB124_314
; %bb.311:
	v_subrev_nc_u32_e32 v128, 30, v0
	s_movk_i32 s38, 0x2e0
	s_mov_b32 s1, 0
.LBB124_312:                            ; =>This Inner Loop Header: Depth=1
	scratch_load_b64 v[130:131], off, s35
	v_dual_mov_b32 v129, s38 :: v_dual_add_nc_u32 v128, -1, v128
	s_add_co_i32 s38, s38, 8
	s_wait_xcnt 0x0
	s_add_co_i32 s35, s35, 8
	ds_load_b64 v[132:133], v129
	v_cmp_eq_u32_e32 vcc_lo, 0, v128
	s_or_b32 s1, vcc_lo, s1
	s_wait_loadcnt_dscnt 0x0
	v_pk_mul_f32 v[134:135], v[132:133], v[130:131] op_sel:[1,1] op_sel_hi:[0,1]
	s_delay_alu instid0(VALU_DEP_1) | instskip(SKIP_1) | instid1(VALU_DEP_2)
	v_pk_fma_f32 v[136:137], v[132:133], v[130:131], v[134:135] op_sel_hi:[1,0,1]
	v_pk_fma_f32 v[130:131], v[132:133], v[130:131], v[134:135] neg_lo:[0,0,1] neg_hi:[0,0,1]
	v_mov_b32_e32 v131, v137
	s_delay_alu instid0(VALU_DEP_1)
	v_pk_add_f32 v[126:127], v[126:127], v[130:131]
	s_and_not1_b32 exec_lo, exec_lo, s1
	s_cbranch_execnz .LBB124_312
; %bb.313:
	s_or_b32 exec_lo, exec_lo, s1
.LBB124_314:
	s_delay_alu instid0(SALU_CYCLE_1) | instskip(SKIP_4) | instid1(VALU_DEP_1)
	s_or_b32 exec_lo, exec_lo, s37
	v_mov_b32_e32 v128, 0
	ds_load_b64 v[128:129], v128 offset:232
	s_wait_dscnt 0x0
	v_pk_mul_f32 v[130:131], v[126:127], v[128:129] op_sel:[1,1] op_sel_hi:[0,1]
	v_pk_fma_f32 v[132:133], v[126:127], v[128:129], v[130:131] op_sel_hi:[1,0,1]
	v_pk_fma_f32 v[126:127], v[126:127], v[128:129], v[130:131] neg_lo:[0,0,1] neg_hi:[0,0,1]
	s_delay_alu instid0(VALU_DEP_2)
	v_mov_b32_e32 v127, v133
	scratch_store_b64 off, v[126:127], off offset:232
.LBB124_315:
	s_wait_xcnt 0x0
	s_or_b32 exec_lo, exec_lo, s36
	scratch_load_b64 v[126:127], off, off offset:224
	v_cmp_lt_u32_e64 s1, 28, v0
	s_wait_loadcnt 0x0
	ds_store_b64 v1, v[126:127]
	s_wait_storecnt_dscnt 0x0
	s_barrier_signal -1
	s_barrier_wait -1
	s_wait_xcnt 0x0
	s_and_saveexec_b32 s35, s1
	s_cbranch_execz .LBB124_325
; %bb.316:
	s_and_not1_b32 vcc_lo, exec_lo, s5
	s_cbranch_vccnz .LBB124_318
; %bb.317:
	scratch_load_b64 v[126:127], v59, off
	ds_load_b64 v[128:129], v1
	s_wait_loadcnt_dscnt 0x0
	v_pk_mul_f32 v[130:131], v[128:129], v[126:127] op_sel:[1,1] op_sel_hi:[0,1]
	s_delay_alu instid0(VALU_DEP_1) | instskip(SKIP_1) | instid1(VALU_DEP_2)
	v_pk_fma_f32 v[132:133], v[128:129], v[126:127], v[130:131] op_sel_hi:[1,0,1]
	v_pk_fma_f32 v[126:127], v[128:129], v[126:127], v[130:131] neg_lo:[0,0,1] neg_hi:[0,0,1]
	v_mov_b32_e32 v127, v133
	s_cbranch_execz .LBB124_319
	s_branch .LBB124_320
.LBB124_318:
                                        ; implicit-def: $vgpr126_vgpr127
.LBB124_319:
	ds_load_b64 v[126:127], v1
.LBB124_320:
	s_and_saveexec_b32 s36, s0
	s_cbranch_execz .LBB124_324
; %bb.321:
	v_subrev_nc_u32_e32 v128, 29, v0
	s_movk_i32 s37, 0x2d8
	s_mov_b32 s0, 0
.LBB124_322:                            ; =>This Inner Loop Header: Depth=1
	scratch_load_b64 v[130:131], off, s34
	v_dual_mov_b32 v129, s37 :: v_dual_add_nc_u32 v128, -1, v128
	s_add_co_i32 s37, s37, 8
	s_wait_xcnt 0x0
	s_add_co_i32 s34, s34, 8
	ds_load_b64 v[132:133], v129
	v_cmp_eq_u32_e32 vcc_lo, 0, v128
	s_or_b32 s0, vcc_lo, s0
	s_wait_loadcnt_dscnt 0x0
	v_pk_mul_f32 v[134:135], v[132:133], v[130:131] op_sel:[1,1] op_sel_hi:[0,1]
	s_delay_alu instid0(VALU_DEP_1) | instskip(SKIP_1) | instid1(VALU_DEP_2)
	v_pk_fma_f32 v[136:137], v[132:133], v[130:131], v[134:135] op_sel_hi:[1,0,1]
	v_pk_fma_f32 v[130:131], v[132:133], v[130:131], v[134:135] neg_lo:[0,0,1] neg_hi:[0,0,1]
	v_mov_b32_e32 v131, v137
	s_delay_alu instid0(VALU_DEP_1)
	v_pk_add_f32 v[126:127], v[126:127], v[130:131]
	s_and_not1_b32 exec_lo, exec_lo, s0
	s_cbranch_execnz .LBB124_322
; %bb.323:
	s_or_b32 exec_lo, exec_lo, s0
.LBB124_324:
	s_delay_alu instid0(SALU_CYCLE_1) | instskip(SKIP_4) | instid1(VALU_DEP_1)
	s_or_b32 exec_lo, exec_lo, s36
	v_mov_b32_e32 v128, 0
	ds_load_b64 v[128:129], v128 offset:224
	s_wait_dscnt 0x0
	v_pk_mul_f32 v[130:131], v[126:127], v[128:129] op_sel:[1,1] op_sel_hi:[0,1]
	v_pk_fma_f32 v[132:133], v[126:127], v[128:129], v[130:131] op_sel_hi:[1,0,1]
	v_pk_fma_f32 v[126:127], v[126:127], v[128:129], v[130:131] neg_lo:[0,0,1] neg_hi:[0,0,1]
	s_delay_alu instid0(VALU_DEP_2)
	v_mov_b32_e32 v127, v133
	scratch_store_b64 off, v[126:127], off offset:224
.LBB124_325:
	s_wait_xcnt 0x0
	s_or_b32 exec_lo, exec_lo, s35
	scratch_load_b64 v[126:127], off, off offset:216
	v_cmp_lt_u32_e64 s0, 27, v0
	s_wait_loadcnt 0x0
	ds_store_b64 v1, v[126:127]
	s_wait_storecnt_dscnt 0x0
	s_barrier_signal -1
	s_barrier_wait -1
	s_wait_xcnt 0x0
	s_and_saveexec_b32 s34, s0
	s_cbranch_execz .LBB124_335
; %bb.326:
	s_and_not1_b32 vcc_lo, exec_lo, s5
	s_cbranch_vccnz .LBB124_328
; %bb.327:
	scratch_load_b64 v[126:127], v59, off
	ds_load_b64 v[128:129], v1
	s_wait_loadcnt_dscnt 0x0
	v_pk_mul_f32 v[130:131], v[128:129], v[126:127] op_sel:[1,1] op_sel_hi:[0,1]
	s_delay_alu instid0(VALU_DEP_1) | instskip(SKIP_1) | instid1(VALU_DEP_2)
	v_pk_fma_f32 v[132:133], v[128:129], v[126:127], v[130:131] op_sel_hi:[1,0,1]
	v_pk_fma_f32 v[126:127], v[128:129], v[126:127], v[130:131] neg_lo:[0,0,1] neg_hi:[0,0,1]
	v_mov_b32_e32 v127, v133
	s_cbranch_execz .LBB124_329
	s_branch .LBB124_330
.LBB124_328:
                                        ; implicit-def: $vgpr126_vgpr127
.LBB124_329:
	ds_load_b64 v[126:127], v1
.LBB124_330:
	s_and_saveexec_b32 s35, s1
	s_cbranch_execz .LBB124_334
; %bb.331:
	v_subrev_nc_u32_e32 v128, 28, v0
	s_movk_i32 s36, 0x2d0
	s_mov_b32 s1, 0
.LBB124_332:                            ; =>This Inner Loop Header: Depth=1
	scratch_load_b64 v[130:131], off, s33
	v_dual_mov_b32 v129, s36 :: v_dual_add_nc_u32 v128, -1, v128
	s_add_co_i32 s36, s36, 8
	s_wait_xcnt 0x0
	s_add_co_i32 s33, s33, 8
	ds_load_b64 v[132:133], v129
	v_cmp_eq_u32_e32 vcc_lo, 0, v128
	s_or_b32 s1, vcc_lo, s1
	s_wait_loadcnt_dscnt 0x0
	v_pk_mul_f32 v[134:135], v[132:133], v[130:131] op_sel:[1,1] op_sel_hi:[0,1]
	s_delay_alu instid0(VALU_DEP_1) | instskip(SKIP_1) | instid1(VALU_DEP_2)
	v_pk_fma_f32 v[136:137], v[132:133], v[130:131], v[134:135] op_sel_hi:[1,0,1]
	v_pk_fma_f32 v[130:131], v[132:133], v[130:131], v[134:135] neg_lo:[0,0,1] neg_hi:[0,0,1]
	v_mov_b32_e32 v131, v137
	s_delay_alu instid0(VALU_DEP_1)
	v_pk_add_f32 v[126:127], v[126:127], v[130:131]
	s_and_not1_b32 exec_lo, exec_lo, s1
	s_cbranch_execnz .LBB124_332
; %bb.333:
	s_or_b32 exec_lo, exec_lo, s1
.LBB124_334:
	s_delay_alu instid0(SALU_CYCLE_1) | instskip(SKIP_4) | instid1(VALU_DEP_1)
	s_or_b32 exec_lo, exec_lo, s35
	v_mov_b32_e32 v128, 0
	ds_load_b64 v[128:129], v128 offset:216
	s_wait_dscnt 0x0
	v_pk_mul_f32 v[130:131], v[126:127], v[128:129] op_sel:[1,1] op_sel_hi:[0,1]
	v_pk_fma_f32 v[132:133], v[126:127], v[128:129], v[130:131] op_sel_hi:[1,0,1]
	v_pk_fma_f32 v[126:127], v[126:127], v[128:129], v[130:131] neg_lo:[0,0,1] neg_hi:[0,0,1]
	s_delay_alu instid0(VALU_DEP_2)
	v_mov_b32_e32 v127, v133
	scratch_store_b64 off, v[126:127], off offset:216
.LBB124_335:
	s_wait_xcnt 0x0
	s_or_b32 exec_lo, exec_lo, s34
	scratch_load_b64 v[126:127], off, off offset:208
	v_cmp_lt_u32_e64 s1, 26, v0
	s_wait_loadcnt 0x0
	ds_store_b64 v1, v[126:127]
	s_wait_storecnt_dscnt 0x0
	s_barrier_signal -1
	s_barrier_wait -1
	s_wait_xcnt 0x0
	s_and_saveexec_b32 s33, s1
	s_cbranch_execz .LBB124_345
; %bb.336:
	s_and_not1_b32 vcc_lo, exec_lo, s5
	s_cbranch_vccnz .LBB124_338
; %bb.337:
	scratch_load_b64 v[126:127], v59, off
	ds_load_b64 v[128:129], v1
	s_wait_loadcnt_dscnt 0x0
	v_pk_mul_f32 v[130:131], v[128:129], v[126:127] op_sel:[1,1] op_sel_hi:[0,1]
	s_delay_alu instid0(VALU_DEP_1) | instskip(SKIP_1) | instid1(VALU_DEP_2)
	v_pk_fma_f32 v[132:133], v[128:129], v[126:127], v[130:131] op_sel_hi:[1,0,1]
	v_pk_fma_f32 v[126:127], v[128:129], v[126:127], v[130:131] neg_lo:[0,0,1] neg_hi:[0,0,1]
	v_mov_b32_e32 v127, v133
	s_cbranch_execz .LBB124_339
	s_branch .LBB124_340
.LBB124_338:
                                        ; implicit-def: $vgpr126_vgpr127
.LBB124_339:
	ds_load_b64 v[126:127], v1
.LBB124_340:
	s_and_saveexec_b32 s34, s0
	s_cbranch_execz .LBB124_344
; %bb.341:
	v_subrev_nc_u32_e32 v128, 27, v0
	s_movk_i32 s35, 0x2c8
	s_mov_b32 s0, 0
.LBB124_342:                            ; =>This Inner Loop Header: Depth=1
	scratch_load_b64 v[130:131], off, s31
	v_dual_mov_b32 v129, s35 :: v_dual_add_nc_u32 v128, -1, v128
	s_add_co_i32 s35, s35, 8
	s_wait_xcnt 0x0
	s_add_co_i32 s31, s31, 8
	ds_load_b64 v[132:133], v129
	v_cmp_eq_u32_e32 vcc_lo, 0, v128
	s_or_b32 s0, vcc_lo, s0
	s_wait_loadcnt_dscnt 0x0
	v_pk_mul_f32 v[134:135], v[132:133], v[130:131] op_sel:[1,1] op_sel_hi:[0,1]
	s_delay_alu instid0(VALU_DEP_1) | instskip(SKIP_1) | instid1(VALU_DEP_2)
	v_pk_fma_f32 v[136:137], v[132:133], v[130:131], v[134:135] op_sel_hi:[1,0,1]
	v_pk_fma_f32 v[130:131], v[132:133], v[130:131], v[134:135] neg_lo:[0,0,1] neg_hi:[0,0,1]
	v_mov_b32_e32 v131, v137
	s_delay_alu instid0(VALU_DEP_1)
	v_pk_add_f32 v[126:127], v[126:127], v[130:131]
	s_and_not1_b32 exec_lo, exec_lo, s0
	s_cbranch_execnz .LBB124_342
; %bb.343:
	s_or_b32 exec_lo, exec_lo, s0
.LBB124_344:
	s_delay_alu instid0(SALU_CYCLE_1) | instskip(SKIP_4) | instid1(VALU_DEP_1)
	s_or_b32 exec_lo, exec_lo, s34
	v_mov_b32_e32 v128, 0
	ds_load_b64 v[128:129], v128 offset:208
	s_wait_dscnt 0x0
	v_pk_mul_f32 v[130:131], v[126:127], v[128:129] op_sel:[1,1] op_sel_hi:[0,1]
	v_pk_fma_f32 v[132:133], v[126:127], v[128:129], v[130:131] op_sel_hi:[1,0,1]
	v_pk_fma_f32 v[126:127], v[126:127], v[128:129], v[130:131] neg_lo:[0,0,1] neg_hi:[0,0,1]
	s_delay_alu instid0(VALU_DEP_2)
	v_mov_b32_e32 v127, v133
	scratch_store_b64 off, v[126:127], off offset:208
.LBB124_345:
	s_wait_xcnt 0x0
	s_or_b32 exec_lo, exec_lo, s33
	scratch_load_b64 v[126:127], off, off offset:200
	v_cmp_lt_u32_e64 s0, 25, v0
	s_wait_loadcnt 0x0
	ds_store_b64 v1, v[126:127]
	s_wait_storecnt_dscnt 0x0
	s_barrier_signal -1
	s_barrier_wait -1
	s_wait_xcnt 0x0
	s_and_saveexec_b32 s31, s0
	s_cbranch_execz .LBB124_355
; %bb.346:
	s_and_not1_b32 vcc_lo, exec_lo, s5
	s_cbranch_vccnz .LBB124_348
; %bb.347:
	scratch_load_b64 v[126:127], v59, off
	ds_load_b64 v[128:129], v1
	s_wait_loadcnt_dscnt 0x0
	v_pk_mul_f32 v[130:131], v[128:129], v[126:127] op_sel:[1,1] op_sel_hi:[0,1]
	s_delay_alu instid0(VALU_DEP_1) | instskip(SKIP_1) | instid1(VALU_DEP_2)
	v_pk_fma_f32 v[132:133], v[128:129], v[126:127], v[130:131] op_sel_hi:[1,0,1]
	v_pk_fma_f32 v[126:127], v[128:129], v[126:127], v[130:131] neg_lo:[0,0,1] neg_hi:[0,0,1]
	v_mov_b32_e32 v127, v133
	s_cbranch_execz .LBB124_349
	s_branch .LBB124_350
.LBB124_348:
                                        ; implicit-def: $vgpr126_vgpr127
.LBB124_349:
	ds_load_b64 v[126:127], v1
.LBB124_350:
	s_and_saveexec_b32 s33, s1
	s_cbranch_execz .LBB124_354
; %bb.351:
	v_subrev_nc_u32_e32 v128, 26, v0
	s_movk_i32 s34, 0x2c0
	s_mov_b32 s1, 0
.LBB124_352:                            ; =>This Inner Loop Header: Depth=1
	scratch_load_b64 v[130:131], off, s30
	v_dual_mov_b32 v129, s34 :: v_dual_add_nc_u32 v128, -1, v128
	s_add_co_i32 s34, s34, 8
	s_wait_xcnt 0x0
	s_add_co_i32 s30, s30, 8
	ds_load_b64 v[132:133], v129
	v_cmp_eq_u32_e32 vcc_lo, 0, v128
	s_or_b32 s1, vcc_lo, s1
	s_wait_loadcnt_dscnt 0x0
	v_pk_mul_f32 v[134:135], v[132:133], v[130:131] op_sel:[1,1] op_sel_hi:[0,1]
	s_delay_alu instid0(VALU_DEP_1) | instskip(SKIP_1) | instid1(VALU_DEP_2)
	v_pk_fma_f32 v[136:137], v[132:133], v[130:131], v[134:135] op_sel_hi:[1,0,1]
	v_pk_fma_f32 v[130:131], v[132:133], v[130:131], v[134:135] neg_lo:[0,0,1] neg_hi:[0,0,1]
	v_mov_b32_e32 v131, v137
	s_delay_alu instid0(VALU_DEP_1)
	v_pk_add_f32 v[126:127], v[126:127], v[130:131]
	s_and_not1_b32 exec_lo, exec_lo, s1
	s_cbranch_execnz .LBB124_352
; %bb.353:
	s_or_b32 exec_lo, exec_lo, s1
.LBB124_354:
	s_delay_alu instid0(SALU_CYCLE_1) | instskip(SKIP_4) | instid1(VALU_DEP_1)
	s_or_b32 exec_lo, exec_lo, s33
	v_mov_b32_e32 v128, 0
	ds_load_b64 v[128:129], v128 offset:200
	s_wait_dscnt 0x0
	v_pk_mul_f32 v[130:131], v[126:127], v[128:129] op_sel:[1,1] op_sel_hi:[0,1]
	v_pk_fma_f32 v[132:133], v[126:127], v[128:129], v[130:131] op_sel_hi:[1,0,1]
	v_pk_fma_f32 v[126:127], v[126:127], v[128:129], v[130:131] neg_lo:[0,0,1] neg_hi:[0,0,1]
	s_delay_alu instid0(VALU_DEP_2)
	v_mov_b32_e32 v127, v133
	scratch_store_b64 off, v[126:127], off offset:200
.LBB124_355:
	s_wait_xcnt 0x0
	s_or_b32 exec_lo, exec_lo, s31
	scratch_load_b64 v[126:127], off, off offset:192
	v_cmp_lt_u32_e64 s1, 24, v0
	s_wait_loadcnt 0x0
	ds_store_b64 v1, v[126:127]
	s_wait_storecnt_dscnt 0x0
	s_barrier_signal -1
	s_barrier_wait -1
	s_wait_xcnt 0x0
	s_and_saveexec_b32 s30, s1
	s_cbranch_execz .LBB124_365
; %bb.356:
	s_and_not1_b32 vcc_lo, exec_lo, s5
	s_cbranch_vccnz .LBB124_358
; %bb.357:
	scratch_load_b64 v[126:127], v59, off
	ds_load_b64 v[128:129], v1
	s_wait_loadcnt_dscnt 0x0
	v_pk_mul_f32 v[130:131], v[128:129], v[126:127] op_sel:[1,1] op_sel_hi:[0,1]
	s_delay_alu instid0(VALU_DEP_1) | instskip(SKIP_1) | instid1(VALU_DEP_2)
	v_pk_fma_f32 v[132:133], v[128:129], v[126:127], v[130:131] op_sel_hi:[1,0,1]
	v_pk_fma_f32 v[126:127], v[128:129], v[126:127], v[130:131] neg_lo:[0,0,1] neg_hi:[0,0,1]
	v_mov_b32_e32 v127, v133
	s_cbranch_execz .LBB124_359
	s_branch .LBB124_360
.LBB124_358:
                                        ; implicit-def: $vgpr126_vgpr127
.LBB124_359:
	ds_load_b64 v[126:127], v1
.LBB124_360:
	s_and_saveexec_b32 s31, s0
	s_cbranch_execz .LBB124_364
; %bb.361:
	v_subrev_nc_u32_e32 v128, 25, v0
	s_movk_i32 s33, 0x2b8
	s_mov_b32 s0, 0
.LBB124_362:                            ; =>This Inner Loop Header: Depth=1
	scratch_load_b64 v[130:131], off, s29
	v_dual_mov_b32 v129, s33 :: v_dual_add_nc_u32 v128, -1, v128
	s_add_co_i32 s33, s33, 8
	s_wait_xcnt 0x0
	s_add_co_i32 s29, s29, 8
	ds_load_b64 v[132:133], v129
	v_cmp_eq_u32_e32 vcc_lo, 0, v128
	s_or_b32 s0, vcc_lo, s0
	s_wait_loadcnt_dscnt 0x0
	v_pk_mul_f32 v[134:135], v[132:133], v[130:131] op_sel:[1,1] op_sel_hi:[0,1]
	s_delay_alu instid0(VALU_DEP_1) | instskip(SKIP_1) | instid1(VALU_DEP_2)
	v_pk_fma_f32 v[136:137], v[132:133], v[130:131], v[134:135] op_sel_hi:[1,0,1]
	v_pk_fma_f32 v[130:131], v[132:133], v[130:131], v[134:135] neg_lo:[0,0,1] neg_hi:[0,0,1]
	v_mov_b32_e32 v131, v137
	s_delay_alu instid0(VALU_DEP_1)
	v_pk_add_f32 v[126:127], v[126:127], v[130:131]
	s_and_not1_b32 exec_lo, exec_lo, s0
	s_cbranch_execnz .LBB124_362
; %bb.363:
	s_or_b32 exec_lo, exec_lo, s0
.LBB124_364:
	s_delay_alu instid0(SALU_CYCLE_1) | instskip(SKIP_4) | instid1(VALU_DEP_1)
	s_or_b32 exec_lo, exec_lo, s31
	v_mov_b32_e32 v128, 0
	ds_load_b64 v[128:129], v128 offset:192
	s_wait_dscnt 0x0
	v_pk_mul_f32 v[130:131], v[126:127], v[128:129] op_sel:[1,1] op_sel_hi:[0,1]
	v_pk_fma_f32 v[132:133], v[126:127], v[128:129], v[130:131] op_sel_hi:[1,0,1]
	v_pk_fma_f32 v[126:127], v[126:127], v[128:129], v[130:131] neg_lo:[0,0,1] neg_hi:[0,0,1]
	s_delay_alu instid0(VALU_DEP_2)
	v_mov_b32_e32 v127, v133
	scratch_store_b64 off, v[126:127], off offset:192
.LBB124_365:
	s_wait_xcnt 0x0
	s_or_b32 exec_lo, exec_lo, s30
	scratch_load_b64 v[126:127], off, off offset:184
	v_cmp_lt_u32_e64 s0, 23, v0
	s_wait_loadcnt 0x0
	ds_store_b64 v1, v[126:127]
	s_wait_storecnt_dscnt 0x0
	s_barrier_signal -1
	s_barrier_wait -1
	s_wait_xcnt 0x0
	s_and_saveexec_b32 s29, s0
	s_cbranch_execz .LBB124_375
; %bb.366:
	s_and_not1_b32 vcc_lo, exec_lo, s5
	s_cbranch_vccnz .LBB124_368
; %bb.367:
	scratch_load_b64 v[126:127], v59, off
	ds_load_b64 v[128:129], v1
	s_wait_loadcnt_dscnt 0x0
	v_pk_mul_f32 v[130:131], v[128:129], v[126:127] op_sel:[1,1] op_sel_hi:[0,1]
	s_delay_alu instid0(VALU_DEP_1) | instskip(SKIP_1) | instid1(VALU_DEP_2)
	v_pk_fma_f32 v[132:133], v[128:129], v[126:127], v[130:131] op_sel_hi:[1,0,1]
	v_pk_fma_f32 v[126:127], v[128:129], v[126:127], v[130:131] neg_lo:[0,0,1] neg_hi:[0,0,1]
	v_mov_b32_e32 v127, v133
	s_cbranch_execz .LBB124_369
	s_branch .LBB124_370
.LBB124_368:
                                        ; implicit-def: $vgpr126_vgpr127
.LBB124_369:
	ds_load_b64 v[126:127], v1
.LBB124_370:
	s_and_saveexec_b32 s30, s1
	s_cbranch_execz .LBB124_374
; %bb.371:
	v_subrev_nc_u32_e32 v128, 24, v0
	s_movk_i32 s31, 0x2b0
	s_mov_b32 s1, 0
.LBB124_372:                            ; =>This Inner Loop Header: Depth=1
	scratch_load_b64 v[130:131], off, s28
	v_dual_mov_b32 v129, s31 :: v_dual_add_nc_u32 v128, -1, v128
	s_add_co_i32 s31, s31, 8
	s_wait_xcnt 0x0
	s_add_co_i32 s28, s28, 8
	ds_load_b64 v[132:133], v129
	v_cmp_eq_u32_e32 vcc_lo, 0, v128
	s_or_b32 s1, vcc_lo, s1
	s_wait_loadcnt_dscnt 0x0
	v_pk_mul_f32 v[134:135], v[132:133], v[130:131] op_sel:[1,1] op_sel_hi:[0,1]
	s_delay_alu instid0(VALU_DEP_1) | instskip(SKIP_1) | instid1(VALU_DEP_2)
	v_pk_fma_f32 v[136:137], v[132:133], v[130:131], v[134:135] op_sel_hi:[1,0,1]
	v_pk_fma_f32 v[130:131], v[132:133], v[130:131], v[134:135] neg_lo:[0,0,1] neg_hi:[0,0,1]
	v_mov_b32_e32 v131, v137
	s_delay_alu instid0(VALU_DEP_1)
	v_pk_add_f32 v[126:127], v[126:127], v[130:131]
	s_and_not1_b32 exec_lo, exec_lo, s1
	s_cbranch_execnz .LBB124_372
; %bb.373:
	s_or_b32 exec_lo, exec_lo, s1
.LBB124_374:
	s_delay_alu instid0(SALU_CYCLE_1) | instskip(SKIP_4) | instid1(VALU_DEP_1)
	s_or_b32 exec_lo, exec_lo, s30
	v_mov_b32_e32 v128, 0
	ds_load_b64 v[128:129], v128 offset:184
	s_wait_dscnt 0x0
	v_pk_mul_f32 v[130:131], v[126:127], v[128:129] op_sel:[1,1] op_sel_hi:[0,1]
	v_pk_fma_f32 v[132:133], v[126:127], v[128:129], v[130:131] op_sel_hi:[1,0,1]
	v_pk_fma_f32 v[126:127], v[126:127], v[128:129], v[130:131] neg_lo:[0,0,1] neg_hi:[0,0,1]
	s_delay_alu instid0(VALU_DEP_2)
	v_mov_b32_e32 v127, v133
	scratch_store_b64 off, v[126:127], off offset:184
.LBB124_375:
	s_wait_xcnt 0x0
	s_or_b32 exec_lo, exec_lo, s29
	scratch_load_b64 v[126:127], off, off offset:176
	v_cmp_lt_u32_e64 s1, 22, v0
	s_wait_loadcnt 0x0
	ds_store_b64 v1, v[126:127]
	s_wait_storecnt_dscnt 0x0
	s_barrier_signal -1
	s_barrier_wait -1
	s_wait_xcnt 0x0
	s_and_saveexec_b32 s28, s1
	s_cbranch_execz .LBB124_385
; %bb.376:
	s_and_not1_b32 vcc_lo, exec_lo, s5
	s_cbranch_vccnz .LBB124_378
; %bb.377:
	scratch_load_b64 v[126:127], v59, off
	ds_load_b64 v[128:129], v1
	s_wait_loadcnt_dscnt 0x0
	v_pk_mul_f32 v[130:131], v[128:129], v[126:127] op_sel:[1,1] op_sel_hi:[0,1]
	s_delay_alu instid0(VALU_DEP_1) | instskip(SKIP_1) | instid1(VALU_DEP_2)
	v_pk_fma_f32 v[132:133], v[128:129], v[126:127], v[130:131] op_sel_hi:[1,0,1]
	v_pk_fma_f32 v[126:127], v[128:129], v[126:127], v[130:131] neg_lo:[0,0,1] neg_hi:[0,0,1]
	v_mov_b32_e32 v127, v133
	s_cbranch_execz .LBB124_379
	s_branch .LBB124_380
.LBB124_378:
                                        ; implicit-def: $vgpr126_vgpr127
.LBB124_379:
	ds_load_b64 v[126:127], v1
.LBB124_380:
	s_and_saveexec_b32 s29, s0
	s_cbranch_execz .LBB124_384
; %bb.381:
	v_subrev_nc_u32_e32 v128, 23, v0
	s_movk_i32 s30, 0x2a8
	s_mov_b32 s0, 0
.LBB124_382:                            ; =>This Inner Loop Header: Depth=1
	scratch_load_b64 v[130:131], off, s27
	v_dual_mov_b32 v129, s30 :: v_dual_add_nc_u32 v128, -1, v128
	s_add_co_i32 s30, s30, 8
	s_wait_xcnt 0x0
	s_add_co_i32 s27, s27, 8
	ds_load_b64 v[132:133], v129
	v_cmp_eq_u32_e32 vcc_lo, 0, v128
	s_or_b32 s0, vcc_lo, s0
	s_wait_loadcnt_dscnt 0x0
	v_pk_mul_f32 v[134:135], v[132:133], v[130:131] op_sel:[1,1] op_sel_hi:[0,1]
	s_delay_alu instid0(VALU_DEP_1) | instskip(SKIP_1) | instid1(VALU_DEP_2)
	v_pk_fma_f32 v[136:137], v[132:133], v[130:131], v[134:135] op_sel_hi:[1,0,1]
	v_pk_fma_f32 v[130:131], v[132:133], v[130:131], v[134:135] neg_lo:[0,0,1] neg_hi:[0,0,1]
	v_mov_b32_e32 v131, v137
	s_delay_alu instid0(VALU_DEP_1)
	v_pk_add_f32 v[126:127], v[126:127], v[130:131]
	s_and_not1_b32 exec_lo, exec_lo, s0
	s_cbranch_execnz .LBB124_382
; %bb.383:
	s_or_b32 exec_lo, exec_lo, s0
.LBB124_384:
	s_delay_alu instid0(SALU_CYCLE_1) | instskip(SKIP_4) | instid1(VALU_DEP_1)
	s_or_b32 exec_lo, exec_lo, s29
	v_mov_b32_e32 v128, 0
	ds_load_b64 v[128:129], v128 offset:176
	s_wait_dscnt 0x0
	v_pk_mul_f32 v[130:131], v[126:127], v[128:129] op_sel:[1,1] op_sel_hi:[0,1]
	v_pk_fma_f32 v[132:133], v[126:127], v[128:129], v[130:131] op_sel_hi:[1,0,1]
	v_pk_fma_f32 v[126:127], v[126:127], v[128:129], v[130:131] neg_lo:[0,0,1] neg_hi:[0,0,1]
	s_delay_alu instid0(VALU_DEP_2)
	v_mov_b32_e32 v127, v133
	scratch_store_b64 off, v[126:127], off offset:176
.LBB124_385:
	s_wait_xcnt 0x0
	s_or_b32 exec_lo, exec_lo, s28
	scratch_load_b64 v[126:127], off, off offset:168
	v_cmp_lt_u32_e64 s0, 21, v0
	s_wait_loadcnt 0x0
	ds_store_b64 v1, v[126:127]
	s_wait_storecnt_dscnt 0x0
	s_barrier_signal -1
	s_barrier_wait -1
	s_wait_xcnt 0x0
	s_and_saveexec_b32 s27, s0
	s_cbranch_execz .LBB124_395
; %bb.386:
	s_and_not1_b32 vcc_lo, exec_lo, s5
	s_cbranch_vccnz .LBB124_388
; %bb.387:
	scratch_load_b64 v[126:127], v59, off
	ds_load_b64 v[128:129], v1
	s_wait_loadcnt_dscnt 0x0
	v_pk_mul_f32 v[130:131], v[128:129], v[126:127] op_sel:[1,1] op_sel_hi:[0,1]
	s_delay_alu instid0(VALU_DEP_1) | instskip(SKIP_1) | instid1(VALU_DEP_2)
	v_pk_fma_f32 v[132:133], v[128:129], v[126:127], v[130:131] op_sel_hi:[1,0,1]
	v_pk_fma_f32 v[126:127], v[128:129], v[126:127], v[130:131] neg_lo:[0,0,1] neg_hi:[0,0,1]
	v_mov_b32_e32 v127, v133
	s_cbranch_execz .LBB124_389
	s_branch .LBB124_390
.LBB124_388:
                                        ; implicit-def: $vgpr126_vgpr127
.LBB124_389:
	ds_load_b64 v[126:127], v1
.LBB124_390:
	s_and_saveexec_b32 s28, s1
	s_cbranch_execz .LBB124_394
; %bb.391:
	v_subrev_nc_u32_e32 v128, 22, v0
	s_movk_i32 s29, 0x2a0
	s_mov_b32 s1, 0
.LBB124_392:                            ; =>This Inner Loop Header: Depth=1
	scratch_load_b64 v[130:131], off, s26
	v_dual_mov_b32 v129, s29 :: v_dual_add_nc_u32 v128, -1, v128
	s_add_co_i32 s29, s29, 8
	s_wait_xcnt 0x0
	s_add_co_i32 s26, s26, 8
	ds_load_b64 v[132:133], v129
	v_cmp_eq_u32_e32 vcc_lo, 0, v128
	s_or_b32 s1, vcc_lo, s1
	s_wait_loadcnt_dscnt 0x0
	v_pk_mul_f32 v[134:135], v[132:133], v[130:131] op_sel:[1,1] op_sel_hi:[0,1]
	s_delay_alu instid0(VALU_DEP_1) | instskip(SKIP_1) | instid1(VALU_DEP_2)
	v_pk_fma_f32 v[136:137], v[132:133], v[130:131], v[134:135] op_sel_hi:[1,0,1]
	v_pk_fma_f32 v[130:131], v[132:133], v[130:131], v[134:135] neg_lo:[0,0,1] neg_hi:[0,0,1]
	v_mov_b32_e32 v131, v137
	s_delay_alu instid0(VALU_DEP_1)
	v_pk_add_f32 v[126:127], v[126:127], v[130:131]
	s_and_not1_b32 exec_lo, exec_lo, s1
	s_cbranch_execnz .LBB124_392
; %bb.393:
	s_or_b32 exec_lo, exec_lo, s1
.LBB124_394:
	s_delay_alu instid0(SALU_CYCLE_1) | instskip(SKIP_4) | instid1(VALU_DEP_1)
	s_or_b32 exec_lo, exec_lo, s28
	v_mov_b32_e32 v128, 0
	ds_load_b64 v[128:129], v128 offset:168
	s_wait_dscnt 0x0
	v_pk_mul_f32 v[130:131], v[126:127], v[128:129] op_sel:[1,1] op_sel_hi:[0,1]
	v_pk_fma_f32 v[132:133], v[126:127], v[128:129], v[130:131] op_sel_hi:[1,0,1]
	v_pk_fma_f32 v[126:127], v[126:127], v[128:129], v[130:131] neg_lo:[0,0,1] neg_hi:[0,0,1]
	s_delay_alu instid0(VALU_DEP_2)
	v_mov_b32_e32 v127, v133
	scratch_store_b64 off, v[126:127], off offset:168
.LBB124_395:
	s_wait_xcnt 0x0
	s_or_b32 exec_lo, exec_lo, s27
	scratch_load_b64 v[126:127], off, off offset:160
	v_cmp_lt_u32_e64 s1, 20, v0
	s_wait_loadcnt 0x0
	ds_store_b64 v1, v[126:127]
	s_wait_storecnt_dscnt 0x0
	s_barrier_signal -1
	s_barrier_wait -1
	s_wait_xcnt 0x0
	s_and_saveexec_b32 s26, s1
	s_cbranch_execz .LBB124_405
; %bb.396:
	s_and_not1_b32 vcc_lo, exec_lo, s5
	s_cbranch_vccnz .LBB124_398
; %bb.397:
	scratch_load_b64 v[126:127], v59, off
	ds_load_b64 v[128:129], v1
	s_wait_loadcnt_dscnt 0x0
	v_pk_mul_f32 v[130:131], v[128:129], v[126:127] op_sel:[1,1] op_sel_hi:[0,1]
	s_delay_alu instid0(VALU_DEP_1) | instskip(SKIP_1) | instid1(VALU_DEP_2)
	v_pk_fma_f32 v[132:133], v[128:129], v[126:127], v[130:131] op_sel_hi:[1,0,1]
	v_pk_fma_f32 v[126:127], v[128:129], v[126:127], v[130:131] neg_lo:[0,0,1] neg_hi:[0,0,1]
	v_mov_b32_e32 v127, v133
	s_cbranch_execz .LBB124_399
	s_branch .LBB124_400
.LBB124_398:
                                        ; implicit-def: $vgpr126_vgpr127
.LBB124_399:
	ds_load_b64 v[126:127], v1
.LBB124_400:
	s_and_saveexec_b32 s27, s0
	s_cbranch_execz .LBB124_404
; %bb.401:
	v_subrev_nc_u32_e32 v128, 21, v0
	s_movk_i32 s28, 0x298
	s_mov_b32 s0, 0
.LBB124_402:                            ; =>This Inner Loop Header: Depth=1
	scratch_load_b64 v[130:131], off, s25
	v_dual_mov_b32 v129, s28 :: v_dual_add_nc_u32 v128, -1, v128
	s_add_co_i32 s28, s28, 8
	s_wait_xcnt 0x0
	s_add_co_i32 s25, s25, 8
	ds_load_b64 v[132:133], v129
	v_cmp_eq_u32_e32 vcc_lo, 0, v128
	s_or_b32 s0, vcc_lo, s0
	s_wait_loadcnt_dscnt 0x0
	v_pk_mul_f32 v[134:135], v[132:133], v[130:131] op_sel:[1,1] op_sel_hi:[0,1]
	s_delay_alu instid0(VALU_DEP_1) | instskip(SKIP_1) | instid1(VALU_DEP_2)
	v_pk_fma_f32 v[136:137], v[132:133], v[130:131], v[134:135] op_sel_hi:[1,0,1]
	v_pk_fma_f32 v[130:131], v[132:133], v[130:131], v[134:135] neg_lo:[0,0,1] neg_hi:[0,0,1]
	v_mov_b32_e32 v131, v137
	s_delay_alu instid0(VALU_DEP_1)
	v_pk_add_f32 v[126:127], v[126:127], v[130:131]
	s_and_not1_b32 exec_lo, exec_lo, s0
	s_cbranch_execnz .LBB124_402
; %bb.403:
	s_or_b32 exec_lo, exec_lo, s0
.LBB124_404:
	s_delay_alu instid0(SALU_CYCLE_1) | instskip(SKIP_4) | instid1(VALU_DEP_1)
	s_or_b32 exec_lo, exec_lo, s27
	v_mov_b32_e32 v128, 0
	ds_load_b64 v[128:129], v128 offset:160
	s_wait_dscnt 0x0
	v_pk_mul_f32 v[130:131], v[126:127], v[128:129] op_sel:[1,1] op_sel_hi:[0,1]
	v_pk_fma_f32 v[132:133], v[126:127], v[128:129], v[130:131] op_sel_hi:[1,0,1]
	v_pk_fma_f32 v[126:127], v[126:127], v[128:129], v[130:131] neg_lo:[0,0,1] neg_hi:[0,0,1]
	s_delay_alu instid0(VALU_DEP_2)
	v_mov_b32_e32 v127, v133
	scratch_store_b64 off, v[126:127], off offset:160
.LBB124_405:
	s_wait_xcnt 0x0
	s_or_b32 exec_lo, exec_lo, s26
	scratch_load_b64 v[126:127], off, off offset:152
	v_cmp_lt_u32_e64 s0, 19, v0
	s_wait_loadcnt 0x0
	ds_store_b64 v1, v[126:127]
	s_wait_storecnt_dscnt 0x0
	s_barrier_signal -1
	s_barrier_wait -1
	s_wait_xcnt 0x0
	s_and_saveexec_b32 s25, s0
	s_cbranch_execz .LBB124_415
; %bb.406:
	s_and_not1_b32 vcc_lo, exec_lo, s5
	s_cbranch_vccnz .LBB124_408
; %bb.407:
	scratch_load_b64 v[126:127], v59, off
	ds_load_b64 v[128:129], v1
	s_wait_loadcnt_dscnt 0x0
	v_pk_mul_f32 v[130:131], v[128:129], v[126:127] op_sel:[1,1] op_sel_hi:[0,1]
	s_delay_alu instid0(VALU_DEP_1) | instskip(SKIP_1) | instid1(VALU_DEP_2)
	v_pk_fma_f32 v[132:133], v[128:129], v[126:127], v[130:131] op_sel_hi:[1,0,1]
	v_pk_fma_f32 v[126:127], v[128:129], v[126:127], v[130:131] neg_lo:[0,0,1] neg_hi:[0,0,1]
	v_mov_b32_e32 v127, v133
	s_cbranch_execz .LBB124_409
	s_branch .LBB124_410
.LBB124_408:
                                        ; implicit-def: $vgpr126_vgpr127
.LBB124_409:
	ds_load_b64 v[126:127], v1
.LBB124_410:
	s_and_saveexec_b32 s26, s1
	s_cbranch_execz .LBB124_414
; %bb.411:
	v_subrev_nc_u32_e32 v128, 20, v0
	s_movk_i32 s27, 0x290
	s_mov_b32 s1, 0
.LBB124_412:                            ; =>This Inner Loop Header: Depth=1
	scratch_load_b64 v[130:131], off, s24
	v_dual_mov_b32 v129, s27 :: v_dual_add_nc_u32 v128, -1, v128
	s_add_co_i32 s27, s27, 8
	s_wait_xcnt 0x0
	s_add_co_i32 s24, s24, 8
	ds_load_b64 v[132:133], v129
	v_cmp_eq_u32_e32 vcc_lo, 0, v128
	s_or_b32 s1, vcc_lo, s1
	s_wait_loadcnt_dscnt 0x0
	v_pk_mul_f32 v[134:135], v[132:133], v[130:131] op_sel:[1,1] op_sel_hi:[0,1]
	s_delay_alu instid0(VALU_DEP_1) | instskip(SKIP_1) | instid1(VALU_DEP_2)
	v_pk_fma_f32 v[136:137], v[132:133], v[130:131], v[134:135] op_sel_hi:[1,0,1]
	v_pk_fma_f32 v[130:131], v[132:133], v[130:131], v[134:135] neg_lo:[0,0,1] neg_hi:[0,0,1]
	v_mov_b32_e32 v131, v137
	s_delay_alu instid0(VALU_DEP_1)
	v_pk_add_f32 v[126:127], v[126:127], v[130:131]
	s_and_not1_b32 exec_lo, exec_lo, s1
	s_cbranch_execnz .LBB124_412
; %bb.413:
	s_or_b32 exec_lo, exec_lo, s1
.LBB124_414:
	s_delay_alu instid0(SALU_CYCLE_1) | instskip(SKIP_4) | instid1(VALU_DEP_1)
	s_or_b32 exec_lo, exec_lo, s26
	v_mov_b32_e32 v128, 0
	ds_load_b64 v[128:129], v128 offset:152
	s_wait_dscnt 0x0
	v_pk_mul_f32 v[130:131], v[126:127], v[128:129] op_sel:[1,1] op_sel_hi:[0,1]
	v_pk_fma_f32 v[132:133], v[126:127], v[128:129], v[130:131] op_sel_hi:[1,0,1]
	v_pk_fma_f32 v[126:127], v[126:127], v[128:129], v[130:131] neg_lo:[0,0,1] neg_hi:[0,0,1]
	s_delay_alu instid0(VALU_DEP_2)
	v_mov_b32_e32 v127, v133
	scratch_store_b64 off, v[126:127], off offset:152
.LBB124_415:
	s_wait_xcnt 0x0
	s_or_b32 exec_lo, exec_lo, s25
	scratch_load_b64 v[126:127], off, off offset:144
	v_cmp_lt_u32_e64 s1, 18, v0
	s_wait_loadcnt 0x0
	ds_store_b64 v1, v[126:127]
	s_wait_storecnt_dscnt 0x0
	s_barrier_signal -1
	s_barrier_wait -1
	s_wait_xcnt 0x0
	s_and_saveexec_b32 s24, s1
	s_cbranch_execz .LBB124_425
; %bb.416:
	s_and_not1_b32 vcc_lo, exec_lo, s5
	s_cbranch_vccnz .LBB124_418
; %bb.417:
	scratch_load_b64 v[126:127], v59, off
	ds_load_b64 v[128:129], v1
	s_wait_loadcnt_dscnt 0x0
	v_pk_mul_f32 v[130:131], v[128:129], v[126:127] op_sel:[1,1] op_sel_hi:[0,1]
	s_delay_alu instid0(VALU_DEP_1) | instskip(SKIP_1) | instid1(VALU_DEP_2)
	v_pk_fma_f32 v[132:133], v[128:129], v[126:127], v[130:131] op_sel_hi:[1,0,1]
	v_pk_fma_f32 v[126:127], v[128:129], v[126:127], v[130:131] neg_lo:[0,0,1] neg_hi:[0,0,1]
	v_mov_b32_e32 v127, v133
	s_cbranch_execz .LBB124_419
	s_branch .LBB124_420
.LBB124_418:
                                        ; implicit-def: $vgpr126_vgpr127
.LBB124_419:
	ds_load_b64 v[126:127], v1
.LBB124_420:
	s_and_saveexec_b32 s25, s0
	s_cbranch_execz .LBB124_424
; %bb.421:
	v_subrev_nc_u32_e32 v128, 19, v0
	s_movk_i32 s26, 0x288
	s_mov_b32 s0, 0
.LBB124_422:                            ; =>This Inner Loop Header: Depth=1
	scratch_load_b64 v[130:131], off, s23
	v_dual_mov_b32 v129, s26 :: v_dual_add_nc_u32 v128, -1, v128
	s_add_co_i32 s26, s26, 8
	s_wait_xcnt 0x0
	s_add_co_i32 s23, s23, 8
	ds_load_b64 v[132:133], v129
	v_cmp_eq_u32_e32 vcc_lo, 0, v128
	s_or_b32 s0, vcc_lo, s0
	s_wait_loadcnt_dscnt 0x0
	v_pk_mul_f32 v[134:135], v[132:133], v[130:131] op_sel:[1,1] op_sel_hi:[0,1]
	s_delay_alu instid0(VALU_DEP_1) | instskip(SKIP_1) | instid1(VALU_DEP_2)
	v_pk_fma_f32 v[136:137], v[132:133], v[130:131], v[134:135] op_sel_hi:[1,0,1]
	v_pk_fma_f32 v[130:131], v[132:133], v[130:131], v[134:135] neg_lo:[0,0,1] neg_hi:[0,0,1]
	v_mov_b32_e32 v131, v137
	s_delay_alu instid0(VALU_DEP_1)
	v_pk_add_f32 v[126:127], v[126:127], v[130:131]
	s_and_not1_b32 exec_lo, exec_lo, s0
	s_cbranch_execnz .LBB124_422
; %bb.423:
	s_or_b32 exec_lo, exec_lo, s0
.LBB124_424:
	s_delay_alu instid0(SALU_CYCLE_1) | instskip(SKIP_4) | instid1(VALU_DEP_1)
	s_or_b32 exec_lo, exec_lo, s25
	v_mov_b32_e32 v128, 0
	ds_load_b64 v[128:129], v128 offset:144
	s_wait_dscnt 0x0
	v_pk_mul_f32 v[130:131], v[126:127], v[128:129] op_sel:[1,1] op_sel_hi:[0,1]
	v_pk_fma_f32 v[132:133], v[126:127], v[128:129], v[130:131] op_sel_hi:[1,0,1]
	v_pk_fma_f32 v[126:127], v[126:127], v[128:129], v[130:131] neg_lo:[0,0,1] neg_hi:[0,0,1]
	s_delay_alu instid0(VALU_DEP_2)
	v_mov_b32_e32 v127, v133
	scratch_store_b64 off, v[126:127], off offset:144
.LBB124_425:
	s_wait_xcnt 0x0
	s_or_b32 exec_lo, exec_lo, s24
	scratch_load_b64 v[126:127], off, off offset:136
	v_cmp_lt_u32_e64 s0, 17, v0
	s_wait_loadcnt 0x0
	ds_store_b64 v1, v[126:127]
	s_wait_storecnt_dscnt 0x0
	s_barrier_signal -1
	s_barrier_wait -1
	s_wait_xcnt 0x0
	s_and_saveexec_b32 s23, s0
	s_cbranch_execz .LBB124_435
; %bb.426:
	s_and_not1_b32 vcc_lo, exec_lo, s5
	s_cbranch_vccnz .LBB124_428
; %bb.427:
	scratch_load_b64 v[126:127], v59, off
	ds_load_b64 v[128:129], v1
	s_wait_loadcnt_dscnt 0x0
	v_pk_mul_f32 v[130:131], v[128:129], v[126:127] op_sel:[1,1] op_sel_hi:[0,1]
	s_delay_alu instid0(VALU_DEP_1) | instskip(SKIP_1) | instid1(VALU_DEP_2)
	v_pk_fma_f32 v[132:133], v[128:129], v[126:127], v[130:131] op_sel_hi:[1,0,1]
	v_pk_fma_f32 v[126:127], v[128:129], v[126:127], v[130:131] neg_lo:[0,0,1] neg_hi:[0,0,1]
	v_mov_b32_e32 v127, v133
	s_cbranch_execz .LBB124_429
	s_branch .LBB124_430
.LBB124_428:
                                        ; implicit-def: $vgpr126_vgpr127
.LBB124_429:
	ds_load_b64 v[126:127], v1
.LBB124_430:
	s_and_saveexec_b32 s24, s1
	s_cbranch_execz .LBB124_434
; %bb.431:
	v_subrev_nc_u32_e32 v128, 18, v0
	s_movk_i32 s25, 0x280
	s_mov_b32 s1, 0
.LBB124_432:                            ; =>This Inner Loop Header: Depth=1
	scratch_load_b64 v[130:131], off, s22
	v_dual_mov_b32 v129, s25 :: v_dual_add_nc_u32 v128, -1, v128
	s_add_co_i32 s25, s25, 8
	s_wait_xcnt 0x0
	s_add_co_i32 s22, s22, 8
	ds_load_b64 v[132:133], v129
	v_cmp_eq_u32_e32 vcc_lo, 0, v128
	s_or_b32 s1, vcc_lo, s1
	s_wait_loadcnt_dscnt 0x0
	v_pk_mul_f32 v[134:135], v[132:133], v[130:131] op_sel:[1,1] op_sel_hi:[0,1]
	s_delay_alu instid0(VALU_DEP_1) | instskip(SKIP_1) | instid1(VALU_DEP_2)
	v_pk_fma_f32 v[136:137], v[132:133], v[130:131], v[134:135] op_sel_hi:[1,0,1]
	v_pk_fma_f32 v[130:131], v[132:133], v[130:131], v[134:135] neg_lo:[0,0,1] neg_hi:[0,0,1]
	v_mov_b32_e32 v131, v137
	s_delay_alu instid0(VALU_DEP_1)
	v_pk_add_f32 v[126:127], v[126:127], v[130:131]
	s_and_not1_b32 exec_lo, exec_lo, s1
	s_cbranch_execnz .LBB124_432
; %bb.433:
	s_or_b32 exec_lo, exec_lo, s1
.LBB124_434:
	s_delay_alu instid0(SALU_CYCLE_1) | instskip(SKIP_4) | instid1(VALU_DEP_1)
	s_or_b32 exec_lo, exec_lo, s24
	v_mov_b32_e32 v128, 0
	ds_load_b64 v[128:129], v128 offset:136
	s_wait_dscnt 0x0
	v_pk_mul_f32 v[130:131], v[126:127], v[128:129] op_sel:[1,1] op_sel_hi:[0,1]
	v_pk_fma_f32 v[132:133], v[126:127], v[128:129], v[130:131] op_sel_hi:[1,0,1]
	v_pk_fma_f32 v[126:127], v[126:127], v[128:129], v[130:131] neg_lo:[0,0,1] neg_hi:[0,0,1]
	s_delay_alu instid0(VALU_DEP_2)
	v_mov_b32_e32 v127, v133
	scratch_store_b64 off, v[126:127], off offset:136
.LBB124_435:
	s_wait_xcnt 0x0
	s_or_b32 exec_lo, exec_lo, s23
	scratch_load_b64 v[126:127], off, off offset:128
	v_cmp_lt_u32_e64 s1, 16, v0
	s_wait_loadcnt 0x0
	ds_store_b64 v1, v[126:127]
	s_wait_storecnt_dscnt 0x0
	s_barrier_signal -1
	s_barrier_wait -1
	s_wait_xcnt 0x0
	s_and_saveexec_b32 s22, s1
	s_cbranch_execz .LBB124_445
; %bb.436:
	s_and_not1_b32 vcc_lo, exec_lo, s5
	s_cbranch_vccnz .LBB124_438
; %bb.437:
	scratch_load_b64 v[126:127], v59, off
	ds_load_b64 v[128:129], v1
	s_wait_loadcnt_dscnt 0x0
	v_pk_mul_f32 v[130:131], v[128:129], v[126:127] op_sel:[1,1] op_sel_hi:[0,1]
	s_delay_alu instid0(VALU_DEP_1) | instskip(SKIP_1) | instid1(VALU_DEP_2)
	v_pk_fma_f32 v[132:133], v[128:129], v[126:127], v[130:131] op_sel_hi:[1,0,1]
	v_pk_fma_f32 v[126:127], v[128:129], v[126:127], v[130:131] neg_lo:[0,0,1] neg_hi:[0,0,1]
	v_mov_b32_e32 v127, v133
	s_cbranch_execz .LBB124_439
	s_branch .LBB124_440
.LBB124_438:
                                        ; implicit-def: $vgpr126_vgpr127
.LBB124_439:
	ds_load_b64 v[126:127], v1
.LBB124_440:
	s_and_saveexec_b32 s23, s0
	s_cbranch_execz .LBB124_444
; %bb.441:
	v_subrev_nc_u32_e32 v128, 17, v0
	s_movk_i32 s24, 0x278
	s_mov_b32 s0, 0
.LBB124_442:                            ; =>This Inner Loop Header: Depth=1
	scratch_load_b64 v[130:131], off, s21
	v_dual_mov_b32 v129, s24 :: v_dual_add_nc_u32 v128, -1, v128
	s_add_co_i32 s24, s24, 8
	s_wait_xcnt 0x0
	s_add_co_i32 s21, s21, 8
	ds_load_b64 v[132:133], v129
	v_cmp_eq_u32_e32 vcc_lo, 0, v128
	s_or_b32 s0, vcc_lo, s0
	s_wait_loadcnt_dscnt 0x0
	v_pk_mul_f32 v[134:135], v[132:133], v[130:131] op_sel:[1,1] op_sel_hi:[0,1]
	s_delay_alu instid0(VALU_DEP_1) | instskip(SKIP_1) | instid1(VALU_DEP_2)
	v_pk_fma_f32 v[136:137], v[132:133], v[130:131], v[134:135] op_sel_hi:[1,0,1]
	v_pk_fma_f32 v[130:131], v[132:133], v[130:131], v[134:135] neg_lo:[0,0,1] neg_hi:[0,0,1]
	v_mov_b32_e32 v131, v137
	s_delay_alu instid0(VALU_DEP_1)
	v_pk_add_f32 v[126:127], v[126:127], v[130:131]
	s_and_not1_b32 exec_lo, exec_lo, s0
	s_cbranch_execnz .LBB124_442
; %bb.443:
	s_or_b32 exec_lo, exec_lo, s0
.LBB124_444:
	s_delay_alu instid0(SALU_CYCLE_1) | instskip(SKIP_4) | instid1(VALU_DEP_1)
	s_or_b32 exec_lo, exec_lo, s23
	v_mov_b32_e32 v128, 0
	ds_load_b64 v[128:129], v128 offset:128
	s_wait_dscnt 0x0
	v_pk_mul_f32 v[130:131], v[126:127], v[128:129] op_sel:[1,1] op_sel_hi:[0,1]
	v_pk_fma_f32 v[132:133], v[126:127], v[128:129], v[130:131] op_sel_hi:[1,0,1]
	v_pk_fma_f32 v[126:127], v[126:127], v[128:129], v[130:131] neg_lo:[0,0,1] neg_hi:[0,0,1]
	s_delay_alu instid0(VALU_DEP_2)
	v_mov_b32_e32 v127, v133
	scratch_store_b64 off, v[126:127], off offset:128
.LBB124_445:
	s_wait_xcnt 0x0
	s_or_b32 exec_lo, exec_lo, s22
	scratch_load_b64 v[126:127], off, off offset:120
	v_cmp_lt_u32_e64 s0, 15, v0
	s_wait_loadcnt 0x0
	ds_store_b64 v1, v[126:127]
	s_wait_storecnt_dscnt 0x0
	s_barrier_signal -1
	s_barrier_wait -1
	s_wait_xcnt 0x0
	s_and_saveexec_b32 s21, s0
	s_cbranch_execz .LBB124_455
; %bb.446:
	s_and_not1_b32 vcc_lo, exec_lo, s5
	s_cbranch_vccnz .LBB124_448
; %bb.447:
	scratch_load_b64 v[126:127], v59, off
	ds_load_b64 v[128:129], v1
	s_wait_loadcnt_dscnt 0x0
	v_pk_mul_f32 v[130:131], v[128:129], v[126:127] op_sel:[1,1] op_sel_hi:[0,1]
	s_delay_alu instid0(VALU_DEP_1) | instskip(SKIP_1) | instid1(VALU_DEP_2)
	v_pk_fma_f32 v[132:133], v[128:129], v[126:127], v[130:131] op_sel_hi:[1,0,1]
	v_pk_fma_f32 v[126:127], v[128:129], v[126:127], v[130:131] neg_lo:[0,0,1] neg_hi:[0,0,1]
	v_mov_b32_e32 v127, v133
	s_cbranch_execz .LBB124_449
	s_branch .LBB124_450
.LBB124_448:
                                        ; implicit-def: $vgpr126_vgpr127
.LBB124_449:
	ds_load_b64 v[126:127], v1
.LBB124_450:
	s_and_saveexec_b32 s22, s1
	s_cbranch_execz .LBB124_454
; %bb.451:
	v_add_nc_u32_e32 v128, -16, v0
	s_movk_i32 s23, 0x270
	s_mov_b32 s1, 0
.LBB124_452:                            ; =>This Inner Loop Header: Depth=1
	scratch_load_b64 v[130:131], off, s20
	v_dual_mov_b32 v129, s23 :: v_dual_add_nc_u32 v128, -1, v128
	s_add_co_i32 s23, s23, 8
	s_wait_xcnt 0x0
	s_add_co_i32 s20, s20, 8
	ds_load_b64 v[132:133], v129
	v_cmp_eq_u32_e32 vcc_lo, 0, v128
	s_or_b32 s1, vcc_lo, s1
	s_wait_loadcnt_dscnt 0x0
	v_pk_mul_f32 v[134:135], v[132:133], v[130:131] op_sel:[1,1] op_sel_hi:[0,1]
	s_delay_alu instid0(VALU_DEP_1) | instskip(SKIP_1) | instid1(VALU_DEP_2)
	v_pk_fma_f32 v[136:137], v[132:133], v[130:131], v[134:135] op_sel_hi:[1,0,1]
	v_pk_fma_f32 v[130:131], v[132:133], v[130:131], v[134:135] neg_lo:[0,0,1] neg_hi:[0,0,1]
	v_mov_b32_e32 v131, v137
	s_delay_alu instid0(VALU_DEP_1)
	v_pk_add_f32 v[126:127], v[126:127], v[130:131]
	s_and_not1_b32 exec_lo, exec_lo, s1
	s_cbranch_execnz .LBB124_452
; %bb.453:
	s_or_b32 exec_lo, exec_lo, s1
.LBB124_454:
	s_delay_alu instid0(SALU_CYCLE_1) | instskip(SKIP_4) | instid1(VALU_DEP_1)
	s_or_b32 exec_lo, exec_lo, s22
	v_mov_b32_e32 v128, 0
	ds_load_b64 v[128:129], v128 offset:120
	s_wait_dscnt 0x0
	v_pk_mul_f32 v[130:131], v[126:127], v[128:129] op_sel:[1,1] op_sel_hi:[0,1]
	v_pk_fma_f32 v[132:133], v[126:127], v[128:129], v[130:131] op_sel_hi:[1,0,1]
	v_pk_fma_f32 v[126:127], v[126:127], v[128:129], v[130:131] neg_lo:[0,0,1] neg_hi:[0,0,1]
	s_delay_alu instid0(VALU_DEP_2)
	v_mov_b32_e32 v127, v133
	scratch_store_b64 off, v[126:127], off offset:120
.LBB124_455:
	s_wait_xcnt 0x0
	s_or_b32 exec_lo, exec_lo, s21
	scratch_load_b64 v[126:127], off, off offset:112
	v_cmp_lt_u32_e64 s1, 14, v0
	s_wait_loadcnt 0x0
	ds_store_b64 v1, v[126:127]
	s_wait_storecnt_dscnt 0x0
	s_barrier_signal -1
	s_barrier_wait -1
	s_wait_xcnt 0x0
	s_and_saveexec_b32 s20, s1
	s_cbranch_execz .LBB124_465
; %bb.456:
	s_and_not1_b32 vcc_lo, exec_lo, s5
	s_cbranch_vccnz .LBB124_458
; %bb.457:
	scratch_load_b64 v[126:127], v59, off
	ds_load_b64 v[128:129], v1
	s_wait_loadcnt_dscnt 0x0
	v_pk_mul_f32 v[130:131], v[128:129], v[126:127] op_sel:[1,1] op_sel_hi:[0,1]
	s_delay_alu instid0(VALU_DEP_1) | instskip(SKIP_1) | instid1(VALU_DEP_2)
	v_pk_fma_f32 v[132:133], v[128:129], v[126:127], v[130:131] op_sel_hi:[1,0,1]
	v_pk_fma_f32 v[126:127], v[128:129], v[126:127], v[130:131] neg_lo:[0,0,1] neg_hi:[0,0,1]
	v_mov_b32_e32 v127, v133
	s_cbranch_execz .LBB124_459
	s_branch .LBB124_460
.LBB124_458:
                                        ; implicit-def: $vgpr126_vgpr127
.LBB124_459:
	ds_load_b64 v[126:127], v1
.LBB124_460:
	s_and_saveexec_b32 s21, s0
	s_cbranch_execz .LBB124_464
; %bb.461:
	v_add_nc_u32_e32 v128, -15, v0
	s_movk_i32 s22, 0x268
	s_mov_b32 s0, 0
.LBB124_462:                            ; =>This Inner Loop Header: Depth=1
	scratch_load_b64 v[130:131], off, s19
	v_dual_mov_b32 v129, s22 :: v_dual_add_nc_u32 v128, -1, v128
	s_add_co_i32 s22, s22, 8
	s_wait_xcnt 0x0
	s_add_co_i32 s19, s19, 8
	ds_load_b64 v[132:133], v129
	v_cmp_eq_u32_e32 vcc_lo, 0, v128
	s_or_b32 s0, vcc_lo, s0
	s_wait_loadcnt_dscnt 0x0
	v_pk_mul_f32 v[134:135], v[132:133], v[130:131] op_sel:[1,1] op_sel_hi:[0,1]
	s_delay_alu instid0(VALU_DEP_1) | instskip(SKIP_1) | instid1(VALU_DEP_2)
	v_pk_fma_f32 v[136:137], v[132:133], v[130:131], v[134:135] op_sel_hi:[1,0,1]
	v_pk_fma_f32 v[130:131], v[132:133], v[130:131], v[134:135] neg_lo:[0,0,1] neg_hi:[0,0,1]
	v_mov_b32_e32 v131, v137
	s_delay_alu instid0(VALU_DEP_1)
	v_pk_add_f32 v[126:127], v[126:127], v[130:131]
	s_and_not1_b32 exec_lo, exec_lo, s0
	s_cbranch_execnz .LBB124_462
; %bb.463:
	s_or_b32 exec_lo, exec_lo, s0
.LBB124_464:
	s_delay_alu instid0(SALU_CYCLE_1) | instskip(SKIP_4) | instid1(VALU_DEP_1)
	s_or_b32 exec_lo, exec_lo, s21
	v_mov_b32_e32 v128, 0
	ds_load_b64 v[128:129], v128 offset:112
	s_wait_dscnt 0x0
	v_pk_mul_f32 v[130:131], v[126:127], v[128:129] op_sel:[1,1] op_sel_hi:[0,1]
	v_pk_fma_f32 v[132:133], v[126:127], v[128:129], v[130:131] op_sel_hi:[1,0,1]
	v_pk_fma_f32 v[126:127], v[126:127], v[128:129], v[130:131] neg_lo:[0,0,1] neg_hi:[0,0,1]
	s_delay_alu instid0(VALU_DEP_2)
	v_mov_b32_e32 v127, v133
	scratch_store_b64 off, v[126:127], off offset:112
.LBB124_465:
	s_wait_xcnt 0x0
	s_or_b32 exec_lo, exec_lo, s20
	scratch_load_b64 v[126:127], off, off offset:104
	v_cmp_lt_u32_e64 s0, 13, v0
	s_wait_loadcnt 0x0
	ds_store_b64 v1, v[126:127]
	s_wait_storecnt_dscnt 0x0
	s_barrier_signal -1
	s_barrier_wait -1
	s_wait_xcnt 0x0
	s_and_saveexec_b32 s19, s0
	s_cbranch_execz .LBB124_475
; %bb.466:
	s_and_not1_b32 vcc_lo, exec_lo, s5
	s_cbranch_vccnz .LBB124_468
; %bb.467:
	scratch_load_b64 v[126:127], v59, off
	ds_load_b64 v[128:129], v1
	s_wait_loadcnt_dscnt 0x0
	v_pk_mul_f32 v[130:131], v[128:129], v[126:127] op_sel:[1,1] op_sel_hi:[0,1]
	s_delay_alu instid0(VALU_DEP_1) | instskip(SKIP_1) | instid1(VALU_DEP_2)
	v_pk_fma_f32 v[132:133], v[128:129], v[126:127], v[130:131] op_sel_hi:[1,0,1]
	v_pk_fma_f32 v[126:127], v[128:129], v[126:127], v[130:131] neg_lo:[0,0,1] neg_hi:[0,0,1]
	v_mov_b32_e32 v127, v133
	s_cbranch_execz .LBB124_469
	s_branch .LBB124_470
.LBB124_468:
                                        ; implicit-def: $vgpr126_vgpr127
.LBB124_469:
	ds_load_b64 v[126:127], v1
.LBB124_470:
	s_and_saveexec_b32 s20, s1
	s_cbranch_execz .LBB124_474
; %bb.471:
	v_add_nc_u32_e32 v128, -14, v0
	s_movk_i32 s21, 0x260
	s_mov_b32 s1, 0
.LBB124_472:                            ; =>This Inner Loop Header: Depth=1
	scratch_load_b64 v[130:131], off, s18
	v_dual_mov_b32 v129, s21 :: v_dual_add_nc_u32 v128, -1, v128
	s_add_co_i32 s21, s21, 8
	s_wait_xcnt 0x0
	s_add_co_i32 s18, s18, 8
	ds_load_b64 v[132:133], v129
	v_cmp_eq_u32_e32 vcc_lo, 0, v128
	s_or_b32 s1, vcc_lo, s1
	s_wait_loadcnt_dscnt 0x0
	v_pk_mul_f32 v[134:135], v[132:133], v[130:131] op_sel:[1,1] op_sel_hi:[0,1]
	s_delay_alu instid0(VALU_DEP_1) | instskip(SKIP_1) | instid1(VALU_DEP_2)
	v_pk_fma_f32 v[136:137], v[132:133], v[130:131], v[134:135] op_sel_hi:[1,0,1]
	v_pk_fma_f32 v[130:131], v[132:133], v[130:131], v[134:135] neg_lo:[0,0,1] neg_hi:[0,0,1]
	v_mov_b32_e32 v131, v137
	s_delay_alu instid0(VALU_DEP_1)
	v_pk_add_f32 v[126:127], v[126:127], v[130:131]
	s_and_not1_b32 exec_lo, exec_lo, s1
	s_cbranch_execnz .LBB124_472
; %bb.473:
	s_or_b32 exec_lo, exec_lo, s1
.LBB124_474:
	s_delay_alu instid0(SALU_CYCLE_1) | instskip(SKIP_4) | instid1(VALU_DEP_1)
	s_or_b32 exec_lo, exec_lo, s20
	v_mov_b32_e32 v128, 0
	ds_load_b64 v[128:129], v128 offset:104
	s_wait_dscnt 0x0
	v_pk_mul_f32 v[130:131], v[126:127], v[128:129] op_sel:[1,1] op_sel_hi:[0,1]
	v_pk_fma_f32 v[132:133], v[126:127], v[128:129], v[130:131] op_sel_hi:[1,0,1]
	v_pk_fma_f32 v[126:127], v[126:127], v[128:129], v[130:131] neg_lo:[0,0,1] neg_hi:[0,0,1]
	s_delay_alu instid0(VALU_DEP_2)
	v_mov_b32_e32 v127, v133
	scratch_store_b64 off, v[126:127], off offset:104
.LBB124_475:
	s_wait_xcnt 0x0
	s_or_b32 exec_lo, exec_lo, s19
	scratch_load_b64 v[126:127], off, off offset:96
	v_cmp_lt_u32_e64 s1, 12, v0
	s_wait_loadcnt 0x0
	ds_store_b64 v1, v[126:127]
	s_wait_storecnt_dscnt 0x0
	s_barrier_signal -1
	s_barrier_wait -1
	s_wait_xcnt 0x0
	s_and_saveexec_b32 s18, s1
	s_cbranch_execz .LBB124_485
; %bb.476:
	s_and_not1_b32 vcc_lo, exec_lo, s5
	s_cbranch_vccnz .LBB124_478
; %bb.477:
	scratch_load_b64 v[126:127], v59, off
	ds_load_b64 v[128:129], v1
	s_wait_loadcnt_dscnt 0x0
	v_pk_mul_f32 v[130:131], v[128:129], v[126:127] op_sel:[1,1] op_sel_hi:[0,1]
	s_delay_alu instid0(VALU_DEP_1) | instskip(SKIP_1) | instid1(VALU_DEP_2)
	v_pk_fma_f32 v[132:133], v[128:129], v[126:127], v[130:131] op_sel_hi:[1,0,1]
	v_pk_fma_f32 v[126:127], v[128:129], v[126:127], v[130:131] neg_lo:[0,0,1] neg_hi:[0,0,1]
	v_mov_b32_e32 v127, v133
	s_cbranch_execz .LBB124_479
	s_branch .LBB124_480
.LBB124_478:
                                        ; implicit-def: $vgpr126_vgpr127
.LBB124_479:
	ds_load_b64 v[126:127], v1
.LBB124_480:
	s_and_saveexec_b32 s19, s0
	s_cbranch_execz .LBB124_484
; %bb.481:
	v_add_nc_u32_e32 v128, -13, v0
	s_movk_i32 s20, 0x258
	s_mov_b32 s0, 0
.LBB124_482:                            ; =>This Inner Loop Header: Depth=1
	scratch_load_b64 v[130:131], off, s17
	v_dual_mov_b32 v129, s20 :: v_dual_add_nc_u32 v128, -1, v128
	s_add_co_i32 s20, s20, 8
	s_wait_xcnt 0x0
	s_add_co_i32 s17, s17, 8
	ds_load_b64 v[132:133], v129
	v_cmp_eq_u32_e32 vcc_lo, 0, v128
	s_or_b32 s0, vcc_lo, s0
	s_wait_loadcnt_dscnt 0x0
	v_pk_mul_f32 v[134:135], v[132:133], v[130:131] op_sel:[1,1] op_sel_hi:[0,1]
	s_delay_alu instid0(VALU_DEP_1) | instskip(SKIP_1) | instid1(VALU_DEP_2)
	v_pk_fma_f32 v[136:137], v[132:133], v[130:131], v[134:135] op_sel_hi:[1,0,1]
	v_pk_fma_f32 v[130:131], v[132:133], v[130:131], v[134:135] neg_lo:[0,0,1] neg_hi:[0,0,1]
	v_mov_b32_e32 v131, v137
	s_delay_alu instid0(VALU_DEP_1)
	v_pk_add_f32 v[126:127], v[126:127], v[130:131]
	s_and_not1_b32 exec_lo, exec_lo, s0
	s_cbranch_execnz .LBB124_482
; %bb.483:
	s_or_b32 exec_lo, exec_lo, s0
.LBB124_484:
	s_delay_alu instid0(SALU_CYCLE_1) | instskip(SKIP_4) | instid1(VALU_DEP_1)
	s_or_b32 exec_lo, exec_lo, s19
	v_mov_b32_e32 v128, 0
	ds_load_b64 v[128:129], v128 offset:96
	s_wait_dscnt 0x0
	v_pk_mul_f32 v[130:131], v[126:127], v[128:129] op_sel:[1,1] op_sel_hi:[0,1]
	v_pk_fma_f32 v[132:133], v[126:127], v[128:129], v[130:131] op_sel_hi:[1,0,1]
	v_pk_fma_f32 v[126:127], v[126:127], v[128:129], v[130:131] neg_lo:[0,0,1] neg_hi:[0,0,1]
	s_delay_alu instid0(VALU_DEP_2)
	v_mov_b32_e32 v127, v133
	scratch_store_b64 off, v[126:127], off offset:96
.LBB124_485:
	s_wait_xcnt 0x0
	s_or_b32 exec_lo, exec_lo, s18
	scratch_load_b64 v[126:127], off, off offset:88
	v_cmp_lt_u32_e64 s0, 11, v0
	s_wait_loadcnt 0x0
	ds_store_b64 v1, v[126:127]
	s_wait_storecnt_dscnt 0x0
	s_barrier_signal -1
	s_barrier_wait -1
	s_wait_xcnt 0x0
	s_and_saveexec_b32 s17, s0
	s_cbranch_execz .LBB124_495
; %bb.486:
	s_and_not1_b32 vcc_lo, exec_lo, s5
	s_cbranch_vccnz .LBB124_488
; %bb.487:
	scratch_load_b64 v[126:127], v59, off
	ds_load_b64 v[128:129], v1
	s_wait_loadcnt_dscnt 0x0
	v_pk_mul_f32 v[130:131], v[128:129], v[126:127] op_sel:[1,1] op_sel_hi:[0,1]
	s_delay_alu instid0(VALU_DEP_1) | instskip(SKIP_1) | instid1(VALU_DEP_2)
	v_pk_fma_f32 v[132:133], v[128:129], v[126:127], v[130:131] op_sel_hi:[1,0,1]
	v_pk_fma_f32 v[126:127], v[128:129], v[126:127], v[130:131] neg_lo:[0,0,1] neg_hi:[0,0,1]
	v_mov_b32_e32 v127, v133
	s_cbranch_execz .LBB124_489
	s_branch .LBB124_490
.LBB124_488:
                                        ; implicit-def: $vgpr126_vgpr127
.LBB124_489:
	ds_load_b64 v[126:127], v1
.LBB124_490:
	s_and_saveexec_b32 s18, s1
	s_cbranch_execz .LBB124_494
; %bb.491:
	v_add_nc_u32_e32 v128, -12, v0
	s_movk_i32 s19, 0x250
	s_mov_b32 s1, 0
.LBB124_492:                            ; =>This Inner Loop Header: Depth=1
	scratch_load_b64 v[130:131], off, s16
	v_dual_mov_b32 v129, s19 :: v_dual_add_nc_u32 v128, -1, v128
	s_add_co_i32 s19, s19, 8
	s_wait_xcnt 0x0
	s_add_co_i32 s16, s16, 8
	ds_load_b64 v[132:133], v129
	v_cmp_eq_u32_e32 vcc_lo, 0, v128
	s_or_b32 s1, vcc_lo, s1
	s_wait_loadcnt_dscnt 0x0
	v_pk_mul_f32 v[134:135], v[132:133], v[130:131] op_sel:[1,1] op_sel_hi:[0,1]
	s_delay_alu instid0(VALU_DEP_1) | instskip(SKIP_1) | instid1(VALU_DEP_2)
	v_pk_fma_f32 v[136:137], v[132:133], v[130:131], v[134:135] op_sel_hi:[1,0,1]
	v_pk_fma_f32 v[130:131], v[132:133], v[130:131], v[134:135] neg_lo:[0,0,1] neg_hi:[0,0,1]
	v_mov_b32_e32 v131, v137
	s_delay_alu instid0(VALU_DEP_1)
	v_pk_add_f32 v[126:127], v[126:127], v[130:131]
	s_and_not1_b32 exec_lo, exec_lo, s1
	s_cbranch_execnz .LBB124_492
; %bb.493:
	s_or_b32 exec_lo, exec_lo, s1
.LBB124_494:
	s_delay_alu instid0(SALU_CYCLE_1) | instskip(SKIP_4) | instid1(VALU_DEP_1)
	s_or_b32 exec_lo, exec_lo, s18
	v_mov_b32_e32 v128, 0
	ds_load_b64 v[128:129], v128 offset:88
	s_wait_dscnt 0x0
	v_pk_mul_f32 v[130:131], v[126:127], v[128:129] op_sel:[1,1] op_sel_hi:[0,1]
	v_pk_fma_f32 v[132:133], v[126:127], v[128:129], v[130:131] op_sel_hi:[1,0,1]
	v_pk_fma_f32 v[126:127], v[126:127], v[128:129], v[130:131] neg_lo:[0,0,1] neg_hi:[0,0,1]
	s_delay_alu instid0(VALU_DEP_2)
	v_mov_b32_e32 v127, v133
	scratch_store_b64 off, v[126:127], off offset:88
.LBB124_495:
	s_wait_xcnt 0x0
	s_or_b32 exec_lo, exec_lo, s17
	scratch_load_b64 v[126:127], off, off offset:80
	v_cmp_lt_u32_e64 s1, 10, v0
	s_wait_loadcnt 0x0
	ds_store_b64 v1, v[126:127]
	s_wait_storecnt_dscnt 0x0
	s_barrier_signal -1
	s_barrier_wait -1
	s_wait_xcnt 0x0
	s_and_saveexec_b32 s16, s1
	s_cbranch_execz .LBB124_505
; %bb.496:
	s_and_not1_b32 vcc_lo, exec_lo, s5
	s_cbranch_vccnz .LBB124_498
; %bb.497:
	scratch_load_b64 v[126:127], v59, off
	ds_load_b64 v[128:129], v1
	s_wait_loadcnt_dscnt 0x0
	v_pk_mul_f32 v[130:131], v[128:129], v[126:127] op_sel:[1,1] op_sel_hi:[0,1]
	s_delay_alu instid0(VALU_DEP_1) | instskip(SKIP_1) | instid1(VALU_DEP_2)
	v_pk_fma_f32 v[132:133], v[128:129], v[126:127], v[130:131] op_sel_hi:[1,0,1]
	v_pk_fma_f32 v[126:127], v[128:129], v[126:127], v[130:131] neg_lo:[0,0,1] neg_hi:[0,0,1]
	v_mov_b32_e32 v127, v133
	s_cbranch_execz .LBB124_499
	s_branch .LBB124_500
.LBB124_498:
                                        ; implicit-def: $vgpr126_vgpr127
.LBB124_499:
	ds_load_b64 v[126:127], v1
.LBB124_500:
	s_and_saveexec_b32 s17, s0
	s_cbranch_execz .LBB124_504
; %bb.501:
	v_add_nc_u32_e32 v128, -11, v0
	s_movk_i32 s18, 0x248
	s_mov_b32 s0, 0
.LBB124_502:                            ; =>This Inner Loop Header: Depth=1
	scratch_load_b64 v[130:131], off, s15
	v_dual_mov_b32 v129, s18 :: v_dual_add_nc_u32 v128, -1, v128
	s_add_co_i32 s18, s18, 8
	s_wait_xcnt 0x0
	s_add_co_i32 s15, s15, 8
	ds_load_b64 v[132:133], v129
	v_cmp_eq_u32_e32 vcc_lo, 0, v128
	s_or_b32 s0, vcc_lo, s0
	s_wait_loadcnt_dscnt 0x0
	v_pk_mul_f32 v[134:135], v[132:133], v[130:131] op_sel:[1,1] op_sel_hi:[0,1]
	s_delay_alu instid0(VALU_DEP_1) | instskip(SKIP_1) | instid1(VALU_DEP_2)
	v_pk_fma_f32 v[136:137], v[132:133], v[130:131], v[134:135] op_sel_hi:[1,0,1]
	v_pk_fma_f32 v[130:131], v[132:133], v[130:131], v[134:135] neg_lo:[0,0,1] neg_hi:[0,0,1]
	v_mov_b32_e32 v131, v137
	s_delay_alu instid0(VALU_DEP_1)
	v_pk_add_f32 v[126:127], v[126:127], v[130:131]
	s_and_not1_b32 exec_lo, exec_lo, s0
	s_cbranch_execnz .LBB124_502
; %bb.503:
	s_or_b32 exec_lo, exec_lo, s0
.LBB124_504:
	s_delay_alu instid0(SALU_CYCLE_1) | instskip(SKIP_4) | instid1(VALU_DEP_1)
	s_or_b32 exec_lo, exec_lo, s17
	v_mov_b32_e32 v128, 0
	ds_load_b64 v[128:129], v128 offset:80
	s_wait_dscnt 0x0
	v_pk_mul_f32 v[130:131], v[126:127], v[128:129] op_sel:[1,1] op_sel_hi:[0,1]
	v_pk_fma_f32 v[132:133], v[126:127], v[128:129], v[130:131] op_sel_hi:[1,0,1]
	v_pk_fma_f32 v[126:127], v[126:127], v[128:129], v[130:131] neg_lo:[0,0,1] neg_hi:[0,0,1]
	s_delay_alu instid0(VALU_DEP_2)
	v_mov_b32_e32 v127, v133
	scratch_store_b64 off, v[126:127], off offset:80
.LBB124_505:
	s_wait_xcnt 0x0
	s_or_b32 exec_lo, exec_lo, s16
	scratch_load_b64 v[126:127], off, off offset:72
	v_cmp_lt_u32_e64 s0, 9, v0
	s_wait_loadcnt 0x0
	ds_store_b64 v1, v[126:127]
	s_wait_storecnt_dscnt 0x0
	s_barrier_signal -1
	s_barrier_wait -1
	s_wait_xcnt 0x0
	s_and_saveexec_b32 s15, s0
	s_cbranch_execz .LBB124_515
; %bb.506:
	s_and_not1_b32 vcc_lo, exec_lo, s5
	s_cbranch_vccnz .LBB124_508
; %bb.507:
	scratch_load_b64 v[126:127], v59, off
	ds_load_b64 v[128:129], v1
	s_wait_loadcnt_dscnt 0x0
	v_pk_mul_f32 v[130:131], v[128:129], v[126:127] op_sel:[1,1] op_sel_hi:[0,1]
	s_delay_alu instid0(VALU_DEP_1) | instskip(SKIP_1) | instid1(VALU_DEP_2)
	v_pk_fma_f32 v[132:133], v[128:129], v[126:127], v[130:131] op_sel_hi:[1,0,1]
	v_pk_fma_f32 v[126:127], v[128:129], v[126:127], v[130:131] neg_lo:[0,0,1] neg_hi:[0,0,1]
	v_mov_b32_e32 v127, v133
	s_cbranch_execz .LBB124_509
	s_branch .LBB124_510
.LBB124_508:
                                        ; implicit-def: $vgpr126_vgpr127
.LBB124_509:
	ds_load_b64 v[126:127], v1
.LBB124_510:
	s_and_saveexec_b32 s16, s1
	s_cbranch_execz .LBB124_514
; %bb.511:
	v_add_nc_u32_e32 v128, -10, v0
	s_movk_i32 s17, 0x240
	s_mov_b32 s1, 0
.LBB124_512:                            ; =>This Inner Loop Header: Depth=1
	scratch_load_b64 v[130:131], off, s14
	v_dual_mov_b32 v129, s17 :: v_dual_add_nc_u32 v128, -1, v128
	s_add_co_i32 s17, s17, 8
	s_wait_xcnt 0x0
	s_add_co_i32 s14, s14, 8
	ds_load_b64 v[132:133], v129
	v_cmp_eq_u32_e32 vcc_lo, 0, v128
	s_or_b32 s1, vcc_lo, s1
	s_wait_loadcnt_dscnt 0x0
	v_pk_mul_f32 v[134:135], v[132:133], v[130:131] op_sel:[1,1] op_sel_hi:[0,1]
	s_delay_alu instid0(VALU_DEP_1) | instskip(SKIP_1) | instid1(VALU_DEP_2)
	v_pk_fma_f32 v[136:137], v[132:133], v[130:131], v[134:135] op_sel_hi:[1,0,1]
	v_pk_fma_f32 v[130:131], v[132:133], v[130:131], v[134:135] neg_lo:[0,0,1] neg_hi:[0,0,1]
	v_mov_b32_e32 v131, v137
	s_delay_alu instid0(VALU_DEP_1)
	v_pk_add_f32 v[126:127], v[126:127], v[130:131]
	s_and_not1_b32 exec_lo, exec_lo, s1
	s_cbranch_execnz .LBB124_512
; %bb.513:
	s_or_b32 exec_lo, exec_lo, s1
.LBB124_514:
	s_delay_alu instid0(SALU_CYCLE_1) | instskip(SKIP_4) | instid1(VALU_DEP_1)
	s_or_b32 exec_lo, exec_lo, s16
	v_mov_b32_e32 v128, 0
	ds_load_b64 v[128:129], v128 offset:72
	s_wait_dscnt 0x0
	v_pk_mul_f32 v[130:131], v[126:127], v[128:129] op_sel:[1,1] op_sel_hi:[0,1]
	v_pk_fma_f32 v[132:133], v[126:127], v[128:129], v[130:131] op_sel_hi:[1,0,1]
	v_pk_fma_f32 v[126:127], v[126:127], v[128:129], v[130:131] neg_lo:[0,0,1] neg_hi:[0,0,1]
	s_delay_alu instid0(VALU_DEP_2)
	v_mov_b32_e32 v127, v133
	scratch_store_b64 off, v[126:127], off offset:72
.LBB124_515:
	s_wait_xcnt 0x0
	s_or_b32 exec_lo, exec_lo, s15
	scratch_load_b64 v[126:127], off, off offset:64
	v_cmp_lt_u32_e64 s1, 8, v0
	s_wait_loadcnt 0x0
	ds_store_b64 v1, v[126:127]
	s_wait_storecnt_dscnt 0x0
	s_barrier_signal -1
	s_barrier_wait -1
	s_wait_xcnt 0x0
	s_and_saveexec_b32 s14, s1
	s_cbranch_execz .LBB124_525
; %bb.516:
	s_and_not1_b32 vcc_lo, exec_lo, s5
	s_cbranch_vccnz .LBB124_518
; %bb.517:
	scratch_load_b64 v[126:127], v59, off
	ds_load_b64 v[128:129], v1
	s_wait_loadcnt_dscnt 0x0
	v_pk_mul_f32 v[130:131], v[128:129], v[126:127] op_sel:[1,1] op_sel_hi:[0,1]
	s_delay_alu instid0(VALU_DEP_1) | instskip(SKIP_1) | instid1(VALU_DEP_2)
	v_pk_fma_f32 v[132:133], v[128:129], v[126:127], v[130:131] op_sel_hi:[1,0,1]
	v_pk_fma_f32 v[126:127], v[128:129], v[126:127], v[130:131] neg_lo:[0,0,1] neg_hi:[0,0,1]
	v_mov_b32_e32 v127, v133
	s_cbranch_execz .LBB124_519
	s_branch .LBB124_520
.LBB124_518:
                                        ; implicit-def: $vgpr126_vgpr127
.LBB124_519:
	ds_load_b64 v[126:127], v1
.LBB124_520:
	s_and_saveexec_b32 s15, s0
	s_cbranch_execz .LBB124_524
; %bb.521:
	v_add_nc_u32_e32 v128, -9, v0
	s_movk_i32 s16, 0x238
	s_mov_b32 s0, 0
.LBB124_522:                            ; =>This Inner Loop Header: Depth=1
	scratch_load_b64 v[130:131], off, s13
	v_dual_mov_b32 v129, s16 :: v_dual_add_nc_u32 v128, -1, v128
	s_add_co_i32 s16, s16, 8
	s_wait_xcnt 0x0
	s_add_co_i32 s13, s13, 8
	ds_load_b64 v[132:133], v129
	v_cmp_eq_u32_e32 vcc_lo, 0, v128
	s_or_b32 s0, vcc_lo, s0
	s_wait_loadcnt_dscnt 0x0
	v_pk_mul_f32 v[134:135], v[132:133], v[130:131] op_sel:[1,1] op_sel_hi:[0,1]
	s_delay_alu instid0(VALU_DEP_1) | instskip(SKIP_1) | instid1(VALU_DEP_2)
	v_pk_fma_f32 v[136:137], v[132:133], v[130:131], v[134:135] op_sel_hi:[1,0,1]
	v_pk_fma_f32 v[130:131], v[132:133], v[130:131], v[134:135] neg_lo:[0,0,1] neg_hi:[0,0,1]
	v_mov_b32_e32 v131, v137
	s_delay_alu instid0(VALU_DEP_1)
	v_pk_add_f32 v[126:127], v[126:127], v[130:131]
	s_and_not1_b32 exec_lo, exec_lo, s0
	s_cbranch_execnz .LBB124_522
; %bb.523:
	s_or_b32 exec_lo, exec_lo, s0
.LBB124_524:
	s_delay_alu instid0(SALU_CYCLE_1) | instskip(SKIP_4) | instid1(VALU_DEP_1)
	s_or_b32 exec_lo, exec_lo, s15
	v_mov_b32_e32 v128, 0
	ds_load_b64 v[128:129], v128 offset:64
	s_wait_dscnt 0x0
	v_pk_mul_f32 v[130:131], v[126:127], v[128:129] op_sel:[1,1] op_sel_hi:[0,1]
	v_pk_fma_f32 v[132:133], v[126:127], v[128:129], v[130:131] op_sel_hi:[1,0,1]
	v_pk_fma_f32 v[126:127], v[126:127], v[128:129], v[130:131] neg_lo:[0,0,1] neg_hi:[0,0,1]
	s_delay_alu instid0(VALU_DEP_2)
	v_mov_b32_e32 v127, v133
	scratch_store_b64 off, v[126:127], off offset:64
.LBB124_525:
	s_wait_xcnt 0x0
	s_or_b32 exec_lo, exec_lo, s14
	scratch_load_b64 v[126:127], off, off offset:56
	v_cmp_lt_u32_e64 s0, 7, v0
	s_wait_loadcnt 0x0
	ds_store_b64 v1, v[126:127]
	s_wait_storecnt_dscnt 0x0
	s_barrier_signal -1
	s_barrier_wait -1
	s_wait_xcnt 0x0
	s_and_saveexec_b32 s13, s0
	s_cbranch_execz .LBB124_535
; %bb.526:
	s_and_not1_b32 vcc_lo, exec_lo, s5
	s_cbranch_vccnz .LBB124_528
; %bb.527:
	scratch_load_b64 v[126:127], v59, off
	ds_load_b64 v[128:129], v1
	s_wait_loadcnt_dscnt 0x0
	v_pk_mul_f32 v[130:131], v[128:129], v[126:127] op_sel:[1,1] op_sel_hi:[0,1]
	s_delay_alu instid0(VALU_DEP_1) | instskip(SKIP_1) | instid1(VALU_DEP_2)
	v_pk_fma_f32 v[132:133], v[128:129], v[126:127], v[130:131] op_sel_hi:[1,0,1]
	v_pk_fma_f32 v[126:127], v[128:129], v[126:127], v[130:131] neg_lo:[0,0,1] neg_hi:[0,0,1]
	v_mov_b32_e32 v127, v133
	s_cbranch_execz .LBB124_529
	s_branch .LBB124_530
.LBB124_528:
                                        ; implicit-def: $vgpr126_vgpr127
.LBB124_529:
	ds_load_b64 v[126:127], v1
.LBB124_530:
	s_and_saveexec_b32 s14, s1
	s_cbranch_execz .LBB124_534
; %bb.531:
	v_add_nc_u32_e32 v128, -8, v0
	s_movk_i32 s15, 0x230
	s_mov_b32 s1, 0
.LBB124_532:                            ; =>This Inner Loop Header: Depth=1
	scratch_load_b64 v[130:131], off, s12
	v_dual_mov_b32 v129, s15 :: v_dual_add_nc_u32 v128, -1, v128
	s_add_co_i32 s15, s15, 8
	s_wait_xcnt 0x0
	s_add_co_i32 s12, s12, 8
	ds_load_b64 v[132:133], v129
	v_cmp_eq_u32_e32 vcc_lo, 0, v128
	s_or_b32 s1, vcc_lo, s1
	s_wait_loadcnt_dscnt 0x0
	v_pk_mul_f32 v[134:135], v[132:133], v[130:131] op_sel:[1,1] op_sel_hi:[0,1]
	s_delay_alu instid0(VALU_DEP_1) | instskip(SKIP_1) | instid1(VALU_DEP_2)
	v_pk_fma_f32 v[136:137], v[132:133], v[130:131], v[134:135] op_sel_hi:[1,0,1]
	v_pk_fma_f32 v[130:131], v[132:133], v[130:131], v[134:135] neg_lo:[0,0,1] neg_hi:[0,0,1]
	v_mov_b32_e32 v131, v137
	s_delay_alu instid0(VALU_DEP_1)
	v_pk_add_f32 v[126:127], v[126:127], v[130:131]
	s_and_not1_b32 exec_lo, exec_lo, s1
	s_cbranch_execnz .LBB124_532
; %bb.533:
	s_or_b32 exec_lo, exec_lo, s1
.LBB124_534:
	s_delay_alu instid0(SALU_CYCLE_1) | instskip(SKIP_4) | instid1(VALU_DEP_1)
	s_or_b32 exec_lo, exec_lo, s14
	v_mov_b32_e32 v128, 0
	ds_load_b64 v[128:129], v128 offset:56
	s_wait_dscnt 0x0
	v_pk_mul_f32 v[130:131], v[126:127], v[128:129] op_sel:[1,1] op_sel_hi:[0,1]
	v_pk_fma_f32 v[132:133], v[126:127], v[128:129], v[130:131] op_sel_hi:[1,0,1]
	v_pk_fma_f32 v[126:127], v[126:127], v[128:129], v[130:131] neg_lo:[0,0,1] neg_hi:[0,0,1]
	s_delay_alu instid0(VALU_DEP_2)
	v_mov_b32_e32 v127, v133
	scratch_store_b64 off, v[126:127], off offset:56
.LBB124_535:
	s_wait_xcnt 0x0
	s_or_b32 exec_lo, exec_lo, s13
	scratch_load_b64 v[126:127], off, off offset:48
	v_cmp_lt_u32_e64 s1, 6, v0
	s_wait_loadcnt 0x0
	ds_store_b64 v1, v[126:127]
	s_wait_storecnt_dscnt 0x0
	s_barrier_signal -1
	s_barrier_wait -1
	s_wait_xcnt 0x0
	s_and_saveexec_b32 s12, s1
	s_cbranch_execz .LBB124_545
; %bb.536:
	s_and_not1_b32 vcc_lo, exec_lo, s5
	s_cbranch_vccnz .LBB124_538
; %bb.537:
	scratch_load_b64 v[126:127], v59, off
	ds_load_b64 v[128:129], v1
	s_wait_loadcnt_dscnt 0x0
	v_pk_mul_f32 v[130:131], v[128:129], v[126:127] op_sel:[1,1] op_sel_hi:[0,1]
	s_delay_alu instid0(VALU_DEP_1) | instskip(SKIP_1) | instid1(VALU_DEP_2)
	v_pk_fma_f32 v[132:133], v[128:129], v[126:127], v[130:131] op_sel_hi:[1,0,1]
	v_pk_fma_f32 v[126:127], v[128:129], v[126:127], v[130:131] neg_lo:[0,0,1] neg_hi:[0,0,1]
	v_mov_b32_e32 v127, v133
	s_cbranch_execz .LBB124_539
	s_branch .LBB124_540
.LBB124_538:
                                        ; implicit-def: $vgpr126_vgpr127
.LBB124_539:
	ds_load_b64 v[126:127], v1
.LBB124_540:
	s_and_saveexec_b32 s13, s0
	s_cbranch_execz .LBB124_544
; %bb.541:
	v_add_nc_u32_e32 v128, -7, v0
	s_movk_i32 s14, 0x228
	s_mov_b32 s0, 0
.LBB124_542:                            ; =>This Inner Loop Header: Depth=1
	scratch_load_b64 v[130:131], off, s11
	v_dual_mov_b32 v129, s14 :: v_dual_add_nc_u32 v128, -1, v128
	s_add_co_i32 s14, s14, 8
	s_wait_xcnt 0x0
	s_add_co_i32 s11, s11, 8
	ds_load_b64 v[132:133], v129
	v_cmp_eq_u32_e32 vcc_lo, 0, v128
	s_or_b32 s0, vcc_lo, s0
	s_wait_loadcnt_dscnt 0x0
	v_pk_mul_f32 v[134:135], v[132:133], v[130:131] op_sel:[1,1] op_sel_hi:[0,1]
	s_delay_alu instid0(VALU_DEP_1) | instskip(SKIP_1) | instid1(VALU_DEP_2)
	v_pk_fma_f32 v[136:137], v[132:133], v[130:131], v[134:135] op_sel_hi:[1,0,1]
	v_pk_fma_f32 v[130:131], v[132:133], v[130:131], v[134:135] neg_lo:[0,0,1] neg_hi:[0,0,1]
	v_mov_b32_e32 v131, v137
	s_delay_alu instid0(VALU_DEP_1)
	v_pk_add_f32 v[126:127], v[126:127], v[130:131]
	s_and_not1_b32 exec_lo, exec_lo, s0
	s_cbranch_execnz .LBB124_542
; %bb.543:
	s_or_b32 exec_lo, exec_lo, s0
.LBB124_544:
	s_delay_alu instid0(SALU_CYCLE_1) | instskip(SKIP_4) | instid1(VALU_DEP_1)
	s_or_b32 exec_lo, exec_lo, s13
	v_mov_b32_e32 v128, 0
	ds_load_b64 v[128:129], v128 offset:48
	s_wait_dscnt 0x0
	v_pk_mul_f32 v[130:131], v[126:127], v[128:129] op_sel:[1,1] op_sel_hi:[0,1]
	v_pk_fma_f32 v[132:133], v[126:127], v[128:129], v[130:131] op_sel_hi:[1,0,1]
	v_pk_fma_f32 v[126:127], v[126:127], v[128:129], v[130:131] neg_lo:[0,0,1] neg_hi:[0,0,1]
	s_delay_alu instid0(VALU_DEP_2)
	v_mov_b32_e32 v127, v133
	scratch_store_b64 off, v[126:127], off offset:48
.LBB124_545:
	s_wait_xcnt 0x0
	s_or_b32 exec_lo, exec_lo, s12
	scratch_load_b64 v[126:127], off, off offset:40
	v_cmp_lt_u32_e64 s0, 5, v0
	s_wait_loadcnt 0x0
	ds_store_b64 v1, v[126:127]
	s_wait_storecnt_dscnt 0x0
	s_barrier_signal -1
	s_barrier_wait -1
	s_wait_xcnt 0x0
	s_and_saveexec_b32 s11, s0
	s_cbranch_execz .LBB124_555
; %bb.546:
	s_and_not1_b32 vcc_lo, exec_lo, s5
	s_cbranch_vccnz .LBB124_548
; %bb.547:
	scratch_load_b64 v[126:127], v59, off
	ds_load_b64 v[128:129], v1
	s_wait_loadcnt_dscnt 0x0
	v_pk_mul_f32 v[130:131], v[128:129], v[126:127] op_sel:[1,1] op_sel_hi:[0,1]
	s_delay_alu instid0(VALU_DEP_1) | instskip(SKIP_1) | instid1(VALU_DEP_2)
	v_pk_fma_f32 v[132:133], v[128:129], v[126:127], v[130:131] op_sel_hi:[1,0,1]
	v_pk_fma_f32 v[126:127], v[128:129], v[126:127], v[130:131] neg_lo:[0,0,1] neg_hi:[0,0,1]
	v_mov_b32_e32 v127, v133
	s_cbranch_execz .LBB124_549
	s_branch .LBB124_550
.LBB124_548:
                                        ; implicit-def: $vgpr126_vgpr127
.LBB124_549:
	ds_load_b64 v[126:127], v1
.LBB124_550:
	s_and_saveexec_b32 s12, s1
	s_cbranch_execz .LBB124_554
; %bb.551:
	v_add_nc_u32_e32 v128, -6, v0
	s_movk_i32 s13, 0x220
	s_mov_b32 s1, 0
.LBB124_552:                            ; =>This Inner Loop Header: Depth=1
	scratch_load_b64 v[130:131], off, s10
	v_dual_mov_b32 v129, s13 :: v_dual_add_nc_u32 v128, -1, v128
	s_add_co_i32 s13, s13, 8
	s_wait_xcnt 0x0
	s_add_co_i32 s10, s10, 8
	ds_load_b64 v[132:133], v129
	v_cmp_eq_u32_e32 vcc_lo, 0, v128
	s_or_b32 s1, vcc_lo, s1
	s_wait_loadcnt_dscnt 0x0
	v_pk_mul_f32 v[134:135], v[132:133], v[130:131] op_sel:[1,1] op_sel_hi:[0,1]
	s_delay_alu instid0(VALU_DEP_1) | instskip(SKIP_1) | instid1(VALU_DEP_2)
	v_pk_fma_f32 v[136:137], v[132:133], v[130:131], v[134:135] op_sel_hi:[1,0,1]
	v_pk_fma_f32 v[130:131], v[132:133], v[130:131], v[134:135] neg_lo:[0,0,1] neg_hi:[0,0,1]
	v_mov_b32_e32 v131, v137
	s_delay_alu instid0(VALU_DEP_1)
	v_pk_add_f32 v[126:127], v[126:127], v[130:131]
	s_and_not1_b32 exec_lo, exec_lo, s1
	s_cbranch_execnz .LBB124_552
; %bb.553:
	s_or_b32 exec_lo, exec_lo, s1
.LBB124_554:
	s_delay_alu instid0(SALU_CYCLE_1) | instskip(SKIP_4) | instid1(VALU_DEP_1)
	s_or_b32 exec_lo, exec_lo, s12
	v_mov_b32_e32 v128, 0
	ds_load_b64 v[128:129], v128 offset:40
	s_wait_dscnt 0x0
	v_pk_mul_f32 v[130:131], v[126:127], v[128:129] op_sel:[1,1] op_sel_hi:[0,1]
	v_pk_fma_f32 v[132:133], v[126:127], v[128:129], v[130:131] op_sel_hi:[1,0,1]
	v_pk_fma_f32 v[126:127], v[126:127], v[128:129], v[130:131] neg_lo:[0,0,1] neg_hi:[0,0,1]
	s_delay_alu instid0(VALU_DEP_2)
	v_mov_b32_e32 v127, v133
	scratch_store_b64 off, v[126:127], off offset:40
.LBB124_555:
	s_wait_xcnt 0x0
	s_or_b32 exec_lo, exec_lo, s11
	scratch_load_b64 v[126:127], off, off offset:32
	v_cmp_lt_u32_e64 s1, 4, v0
	s_wait_loadcnt 0x0
	ds_store_b64 v1, v[126:127]
	s_wait_storecnt_dscnt 0x0
	s_barrier_signal -1
	s_barrier_wait -1
	s_wait_xcnt 0x0
	s_and_saveexec_b32 s10, s1
	s_cbranch_execz .LBB124_565
; %bb.556:
	s_and_not1_b32 vcc_lo, exec_lo, s5
	s_cbranch_vccnz .LBB124_558
; %bb.557:
	scratch_load_b64 v[126:127], v59, off
	ds_load_b64 v[128:129], v1
	s_wait_loadcnt_dscnt 0x0
	v_pk_mul_f32 v[130:131], v[128:129], v[126:127] op_sel:[1,1] op_sel_hi:[0,1]
	s_delay_alu instid0(VALU_DEP_1) | instskip(SKIP_1) | instid1(VALU_DEP_2)
	v_pk_fma_f32 v[132:133], v[128:129], v[126:127], v[130:131] op_sel_hi:[1,0,1]
	v_pk_fma_f32 v[126:127], v[128:129], v[126:127], v[130:131] neg_lo:[0,0,1] neg_hi:[0,0,1]
	v_mov_b32_e32 v127, v133
	s_cbranch_execz .LBB124_559
	s_branch .LBB124_560
.LBB124_558:
                                        ; implicit-def: $vgpr126_vgpr127
.LBB124_559:
	ds_load_b64 v[126:127], v1
.LBB124_560:
	s_and_saveexec_b32 s11, s0
	s_cbranch_execz .LBB124_564
; %bb.561:
	v_add_nc_u32_e32 v128, -5, v0
	s_movk_i32 s12, 0x218
	s_mov_b32 s0, 0
.LBB124_562:                            ; =>This Inner Loop Header: Depth=1
	scratch_load_b64 v[130:131], off, s9
	v_dual_mov_b32 v129, s12 :: v_dual_add_nc_u32 v128, -1, v128
	s_add_co_i32 s12, s12, 8
	s_wait_xcnt 0x0
	s_add_co_i32 s9, s9, 8
	ds_load_b64 v[132:133], v129
	v_cmp_eq_u32_e32 vcc_lo, 0, v128
	s_or_b32 s0, vcc_lo, s0
	s_wait_loadcnt_dscnt 0x0
	v_pk_mul_f32 v[134:135], v[132:133], v[130:131] op_sel:[1,1] op_sel_hi:[0,1]
	s_delay_alu instid0(VALU_DEP_1) | instskip(SKIP_1) | instid1(VALU_DEP_2)
	v_pk_fma_f32 v[136:137], v[132:133], v[130:131], v[134:135] op_sel_hi:[1,0,1]
	v_pk_fma_f32 v[130:131], v[132:133], v[130:131], v[134:135] neg_lo:[0,0,1] neg_hi:[0,0,1]
	v_mov_b32_e32 v131, v137
	s_delay_alu instid0(VALU_DEP_1)
	v_pk_add_f32 v[126:127], v[126:127], v[130:131]
	s_and_not1_b32 exec_lo, exec_lo, s0
	s_cbranch_execnz .LBB124_562
; %bb.563:
	s_or_b32 exec_lo, exec_lo, s0
.LBB124_564:
	s_delay_alu instid0(SALU_CYCLE_1) | instskip(SKIP_4) | instid1(VALU_DEP_1)
	s_or_b32 exec_lo, exec_lo, s11
	v_mov_b32_e32 v128, 0
	ds_load_b64 v[128:129], v128 offset:32
	s_wait_dscnt 0x0
	v_pk_mul_f32 v[130:131], v[126:127], v[128:129] op_sel:[1,1] op_sel_hi:[0,1]
	v_pk_fma_f32 v[132:133], v[126:127], v[128:129], v[130:131] op_sel_hi:[1,0,1]
	v_pk_fma_f32 v[126:127], v[126:127], v[128:129], v[130:131] neg_lo:[0,0,1] neg_hi:[0,0,1]
	s_delay_alu instid0(VALU_DEP_2)
	v_mov_b32_e32 v127, v133
	scratch_store_b64 off, v[126:127], off offset:32
.LBB124_565:
	s_wait_xcnt 0x0
	s_or_b32 exec_lo, exec_lo, s10
	scratch_load_b64 v[126:127], off, off offset:24
	v_cmp_lt_u32_e64 s0, 3, v0
	s_wait_loadcnt 0x0
	ds_store_b64 v1, v[126:127]
	s_wait_storecnt_dscnt 0x0
	s_barrier_signal -1
	s_barrier_wait -1
	s_wait_xcnt 0x0
	s_and_saveexec_b32 s9, s0
	s_cbranch_execz .LBB124_575
; %bb.566:
	s_and_not1_b32 vcc_lo, exec_lo, s5
	s_cbranch_vccnz .LBB124_568
; %bb.567:
	scratch_load_b64 v[126:127], v59, off
	ds_load_b64 v[128:129], v1
	s_wait_loadcnt_dscnt 0x0
	v_pk_mul_f32 v[130:131], v[128:129], v[126:127] op_sel:[1,1] op_sel_hi:[0,1]
	s_delay_alu instid0(VALU_DEP_1) | instskip(SKIP_1) | instid1(VALU_DEP_2)
	v_pk_fma_f32 v[132:133], v[128:129], v[126:127], v[130:131] op_sel_hi:[1,0,1]
	v_pk_fma_f32 v[126:127], v[128:129], v[126:127], v[130:131] neg_lo:[0,0,1] neg_hi:[0,0,1]
	v_mov_b32_e32 v127, v133
	s_cbranch_execz .LBB124_569
	s_branch .LBB124_570
.LBB124_568:
                                        ; implicit-def: $vgpr126_vgpr127
.LBB124_569:
	ds_load_b64 v[126:127], v1
.LBB124_570:
	s_and_saveexec_b32 s10, s1
	s_cbranch_execz .LBB124_574
; %bb.571:
	v_add_nc_u32_e32 v128, -4, v0
	s_movk_i32 s11, 0x210
	s_mov_b32 s1, 0
.LBB124_572:                            ; =>This Inner Loop Header: Depth=1
	scratch_load_b64 v[130:131], off, s8
	v_dual_mov_b32 v129, s11 :: v_dual_add_nc_u32 v128, -1, v128
	s_add_co_i32 s11, s11, 8
	s_wait_xcnt 0x0
	s_add_co_i32 s8, s8, 8
	ds_load_b64 v[132:133], v129
	v_cmp_eq_u32_e32 vcc_lo, 0, v128
	s_or_b32 s1, vcc_lo, s1
	s_wait_loadcnt_dscnt 0x0
	v_pk_mul_f32 v[134:135], v[132:133], v[130:131] op_sel:[1,1] op_sel_hi:[0,1]
	s_delay_alu instid0(VALU_DEP_1) | instskip(SKIP_1) | instid1(VALU_DEP_2)
	v_pk_fma_f32 v[136:137], v[132:133], v[130:131], v[134:135] op_sel_hi:[1,0,1]
	v_pk_fma_f32 v[130:131], v[132:133], v[130:131], v[134:135] neg_lo:[0,0,1] neg_hi:[0,0,1]
	v_mov_b32_e32 v131, v137
	s_delay_alu instid0(VALU_DEP_1)
	v_pk_add_f32 v[126:127], v[126:127], v[130:131]
	s_and_not1_b32 exec_lo, exec_lo, s1
	s_cbranch_execnz .LBB124_572
; %bb.573:
	s_or_b32 exec_lo, exec_lo, s1
.LBB124_574:
	s_delay_alu instid0(SALU_CYCLE_1) | instskip(SKIP_4) | instid1(VALU_DEP_1)
	s_or_b32 exec_lo, exec_lo, s10
	v_mov_b32_e32 v128, 0
	ds_load_b64 v[128:129], v128 offset:24
	s_wait_dscnt 0x0
	v_pk_mul_f32 v[130:131], v[126:127], v[128:129] op_sel:[1,1] op_sel_hi:[0,1]
	v_pk_fma_f32 v[132:133], v[126:127], v[128:129], v[130:131] op_sel_hi:[1,0,1]
	v_pk_fma_f32 v[126:127], v[126:127], v[128:129], v[130:131] neg_lo:[0,0,1] neg_hi:[0,0,1]
	s_delay_alu instid0(VALU_DEP_2)
	v_mov_b32_e32 v127, v133
	scratch_store_b64 off, v[126:127], off offset:24
.LBB124_575:
	s_wait_xcnt 0x0
	s_or_b32 exec_lo, exec_lo, s9
	scratch_load_b64 v[126:127], off, off offset:16
	v_cmp_lt_u32_e64 s1, 2, v0
	s_wait_loadcnt 0x0
	ds_store_b64 v1, v[126:127]
	s_wait_storecnt_dscnt 0x0
	s_barrier_signal -1
	s_barrier_wait -1
	s_wait_xcnt 0x0
	s_and_saveexec_b32 s8, s1
	s_cbranch_execz .LBB124_585
; %bb.576:
	s_and_not1_b32 vcc_lo, exec_lo, s5
	s_cbranch_vccnz .LBB124_578
; %bb.577:
	scratch_load_b64 v[126:127], v59, off
	ds_load_b64 v[128:129], v1
	s_wait_loadcnt_dscnt 0x0
	v_pk_mul_f32 v[130:131], v[128:129], v[126:127] op_sel:[1,1] op_sel_hi:[0,1]
	s_delay_alu instid0(VALU_DEP_1) | instskip(SKIP_1) | instid1(VALU_DEP_2)
	v_pk_fma_f32 v[132:133], v[128:129], v[126:127], v[130:131] op_sel_hi:[1,0,1]
	v_pk_fma_f32 v[126:127], v[128:129], v[126:127], v[130:131] neg_lo:[0,0,1] neg_hi:[0,0,1]
	v_mov_b32_e32 v127, v133
	s_cbranch_execz .LBB124_579
	s_branch .LBB124_580
.LBB124_578:
                                        ; implicit-def: $vgpr126_vgpr127
.LBB124_579:
	ds_load_b64 v[126:127], v1
.LBB124_580:
	s_and_saveexec_b32 s9, s0
	s_cbranch_execz .LBB124_584
; %bb.581:
	v_add_nc_u32_e32 v128, -3, v0
	s_movk_i32 s10, 0x208
	s_mov_b32 s0, 0
.LBB124_582:                            ; =>This Inner Loop Header: Depth=1
	scratch_load_b64 v[130:131], off, s7
	v_dual_mov_b32 v129, s10 :: v_dual_add_nc_u32 v128, -1, v128
	s_add_co_i32 s10, s10, 8
	s_wait_xcnt 0x0
	s_add_co_i32 s7, s7, 8
	ds_load_b64 v[132:133], v129
	v_cmp_eq_u32_e32 vcc_lo, 0, v128
	s_or_b32 s0, vcc_lo, s0
	s_wait_loadcnt_dscnt 0x0
	v_pk_mul_f32 v[134:135], v[132:133], v[130:131] op_sel:[1,1] op_sel_hi:[0,1]
	s_delay_alu instid0(VALU_DEP_1) | instskip(SKIP_1) | instid1(VALU_DEP_2)
	v_pk_fma_f32 v[136:137], v[132:133], v[130:131], v[134:135] op_sel_hi:[1,0,1]
	v_pk_fma_f32 v[130:131], v[132:133], v[130:131], v[134:135] neg_lo:[0,0,1] neg_hi:[0,0,1]
	v_mov_b32_e32 v131, v137
	s_delay_alu instid0(VALU_DEP_1)
	v_pk_add_f32 v[126:127], v[126:127], v[130:131]
	s_and_not1_b32 exec_lo, exec_lo, s0
	s_cbranch_execnz .LBB124_582
; %bb.583:
	s_or_b32 exec_lo, exec_lo, s0
.LBB124_584:
	s_delay_alu instid0(SALU_CYCLE_1) | instskip(SKIP_4) | instid1(VALU_DEP_1)
	s_or_b32 exec_lo, exec_lo, s9
	v_mov_b32_e32 v128, 0
	ds_load_b64 v[128:129], v128 offset:16
	s_wait_dscnt 0x0
	v_pk_mul_f32 v[130:131], v[126:127], v[128:129] op_sel:[1,1] op_sel_hi:[0,1]
	v_pk_fma_f32 v[132:133], v[126:127], v[128:129], v[130:131] op_sel_hi:[1,0,1]
	v_pk_fma_f32 v[126:127], v[126:127], v[128:129], v[130:131] neg_lo:[0,0,1] neg_hi:[0,0,1]
	s_delay_alu instid0(VALU_DEP_2)
	v_mov_b32_e32 v127, v133
	scratch_store_b64 off, v[126:127], off offset:16
.LBB124_585:
	s_wait_xcnt 0x0
	s_or_b32 exec_lo, exec_lo, s8
	scratch_load_b64 v[126:127], off, off offset:8
	v_cmp_lt_u32_e64 s0, 1, v0
	s_wait_loadcnt 0x0
	ds_store_b64 v1, v[126:127]
	s_wait_storecnt_dscnt 0x0
	s_barrier_signal -1
	s_barrier_wait -1
	s_wait_xcnt 0x0
	s_and_saveexec_b32 s7, s0
	s_cbranch_execz .LBB124_595
; %bb.586:
	s_and_not1_b32 vcc_lo, exec_lo, s5
	s_cbranch_vccnz .LBB124_588
; %bb.587:
	scratch_load_b64 v[126:127], v59, off
	ds_load_b64 v[128:129], v1
	s_wait_loadcnt_dscnt 0x0
	v_pk_mul_f32 v[130:131], v[128:129], v[126:127] op_sel:[1,1] op_sel_hi:[0,1]
	s_delay_alu instid0(VALU_DEP_1) | instskip(SKIP_1) | instid1(VALU_DEP_2)
	v_pk_fma_f32 v[132:133], v[128:129], v[126:127], v[130:131] op_sel_hi:[1,0,1]
	v_pk_fma_f32 v[126:127], v[128:129], v[126:127], v[130:131] neg_lo:[0,0,1] neg_hi:[0,0,1]
	v_mov_b32_e32 v127, v133
	s_cbranch_execz .LBB124_589
	s_branch .LBB124_590
.LBB124_588:
                                        ; implicit-def: $vgpr126_vgpr127
.LBB124_589:
	ds_load_b64 v[126:127], v1
.LBB124_590:
	s_and_saveexec_b32 s8, s1
	s_cbranch_execz .LBB124_594
; %bb.591:
	v_add_nc_u32_e32 v128, -2, v0
	s_movk_i32 s9, 0x200
	s_mov_b32 s1, 0
.LBB124_592:                            ; =>This Inner Loop Header: Depth=1
	scratch_load_b64 v[130:131], off, s6
	v_dual_mov_b32 v129, s9 :: v_dual_add_nc_u32 v128, -1, v128
	s_add_co_i32 s9, s9, 8
	s_wait_xcnt 0x0
	s_add_co_i32 s6, s6, 8
	ds_load_b64 v[132:133], v129
	v_cmp_eq_u32_e32 vcc_lo, 0, v128
	s_or_b32 s1, vcc_lo, s1
	s_wait_loadcnt_dscnt 0x0
	v_pk_mul_f32 v[134:135], v[132:133], v[130:131] op_sel:[1,1] op_sel_hi:[0,1]
	s_delay_alu instid0(VALU_DEP_1) | instskip(SKIP_1) | instid1(VALU_DEP_2)
	v_pk_fma_f32 v[136:137], v[132:133], v[130:131], v[134:135] op_sel_hi:[1,0,1]
	v_pk_fma_f32 v[130:131], v[132:133], v[130:131], v[134:135] neg_lo:[0,0,1] neg_hi:[0,0,1]
	v_mov_b32_e32 v131, v137
	s_delay_alu instid0(VALU_DEP_1)
	v_pk_add_f32 v[126:127], v[126:127], v[130:131]
	s_and_not1_b32 exec_lo, exec_lo, s1
	s_cbranch_execnz .LBB124_592
; %bb.593:
	s_or_b32 exec_lo, exec_lo, s1
.LBB124_594:
	s_delay_alu instid0(SALU_CYCLE_1) | instskip(SKIP_4) | instid1(VALU_DEP_1)
	s_or_b32 exec_lo, exec_lo, s8
	v_mov_b32_e32 v128, 0
	ds_load_b64 v[128:129], v128 offset:8
	s_wait_dscnt 0x0
	v_pk_mul_f32 v[130:131], v[126:127], v[128:129] op_sel:[1,1] op_sel_hi:[0,1]
	v_pk_fma_f32 v[132:133], v[126:127], v[128:129], v[130:131] op_sel_hi:[1,0,1]
	v_pk_fma_f32 v[126:127], v[126:127], v[128:129], v[130:131] neg_lo:[0,0,1] neg_hi:[0,0,1]
	s_delay_alu instid0(VALU_DEP_2)
	v_mov_b32_e32 v127, v133
	scratch_store_b64 off, v[126:127], off offset:8
.LBB124_595:
	s_wait_xcnt 0x0
	s_or_b32 exec_lo, exec_lo, s7
	scratch_load_b64 v[126:127], off, off
	s_mov_b32 s6, 0
	s_mov_b32 s1, 0
	s_mov_b32 s8, exec_lo
                                        ; implicit-def: $vgpr182
                                        ; implicit-def: $sgpr7
	s_wait_loadcnt 0x0
	ds_store_b64 v1, v[126:127]
	s_wait_storecnt_dscnt 0x0
	s_barrier_signal -1
	s_barrier_wait -1
	s_wait_xcnt 0x0
	v_cmpx_ne_u32_e32 0, v0
	s_cbranch_execz .LBB124_605
; %bb.596:
	s_and_not1_b32 vcc_lo, exec_lo, s5
	s_cbranch_vccnz .LBB124_598
; %bb.597:
	scratch_load_b64 v[128:129], v59, off
	ds_load_b64 v[130:131], v1
	s_wait_loadcnt_dscnt 0x0
	v_dual_mul_f32 v126, v131, v129 :: v_dual_mul_f32 v127, v130, v129
	s_delay_alu instid0(VALU_DEP_1)
	v_dual_fma_f32 v126, v130, v128, -v126 :: v_dual_fmac_f32 v127, v131, v128
	s_and_not1_b32 vcc_lo, exec_lo, s1
	s_cbranch_vccz .LBB124_599
	s_branch .LBB124_600
.LBB124_598:
                                        ; implicit-def: $vgpr126
.LBB124_599:
	ds_load_b64 v[126:127], v1
.LBB124_600:
	s_and_saveexec_b32 s1, s0
	s_cbranch_execz .LBB124_604
; %bb.601:
	v_add_nc_u32_e32 v128, -1, v0
	s_movk_i32 s7, 0x1f8
	s_mov_b32 s0, 0
.LBB124_602:                            ; =>This Inner Loop Header: Depth=1
	scratch_load_b64 v[130:131], off, s4
	v_mov_b32_e32 v129, s7
	s_add_co_i32 s7, s7, 8
	s_wait_xcnt 0x0
	s_add_co_i32 s4, s4, 8
	v_add_nc_u32_e32 v128, -1, v128
	ds_load_b64 v[132:133], v129
	v_cmp_eq_u32_e32 vcc_lo, 0, v128
	s_or_b32 s0, vcc_lo, s0
	s_wait_loadcnt_dscnt 0x0
	v_dual_mul_f32 v129, v133, v131 :: v_dual_mul_f32 v131, v132, v131
	s_delay_alu instid0(VALU_DEP_1) | instskip(NEXT) | instid1(VALU_DEP_1)
	v_dual_fma_f32 v129, v132, v130, -v129 :: v_dual_fmac_f32 v131, v133, v130
	v_dual_add_f32 v126, v126, v129 :: v_dual_add_f32 v127, v127, v131
	s_and_not1_b32 exec_lo, exec_lo, s0
	s_cbranch_execnz .LBB124_602
; %bb.603:
	s_or_b32 exec_lo, exec_lo, s0
.LBB124_604:
	s_delay_alu instid0(SALU_CYCLE_1)
	s_or_b32 exec_lo, exec_lo, s1
	v_mov_b32_e32 v128, 0
	s_mov_b32 s1, exec_lo
	s_or_b32 s7, 0, 4
	ds_load_b64 v[128:129], v128
	s_wait_dscnt 0x0
	v_dual_mul_f32 v130, v127, v129 :: v_dual_mul_f32 v182, v126, v129
	s_delay_alu instid0(VALU_DEP_1) | instskip(NEXT) | instid1(VALU_DEP_2)
	v_fma_f32 v126, v126, v128, -v130
	v_fmac_f32_e32 v182, v127, v128
	scratch_store_b32 off, v126, off
.LBB124_605:
	s_wait_xcnt 0x0
	s_or_b32 exec_lo, exec_lo, s8
	s_delay_alu instid0(SALU_CYCLE_1)
	s_and_b32 vcc_lo, exec_lo, s6
	s_cbranch_vccz .LBB124_1201
.LBB124_606:
	scratch_load_b64 v[126:127], off, off offset:8
	v_cmp_eq_u32_e64 s0, 0, v0
	s_wait_loadcnt 0x0
	ds_store_b64 v1, v[126:127]
	s_wait_storecnt_dscnt 0x0
	s_barrier_signal -1
	s_barrier_wait -1
	s_wait_xcnt 0x0
	s_and_saveexec_b32 s4, s0
	s_cbranch_execz .LBB124_612
; %bb.607:
	s_and_b32 vcc_lo, exec_lo, s5
	s_cbranch_vccz .LBB124_609
; %bb.608:
	scratch_load_b64 v[126:127], v59, off
	ds_load_b64 v[128:129], v1
	s_wait_loadcnt_dscnt 0x0
	v_pk_mul_f32 v[130:131], v[128:129], v[126:127] op_sel:[1,1] op_sel_hi:[0,1]
	v_pk_mul_f32 v[132:133], v[128:129], v[126:127] op_sel_hi:[1,0]
	s_delay_alu instid0(VALU_DEP_2) | instskip(NEXT) | instid1(VALU_DEP_2)
	v_pk_fma_f32 v[126:127], v[128:129], v[126:127], v[130:131] op_sel_hi:[1,0,1]
	v_sub_f32_e32 v126, v132, v130
	s_cbranch_execz .LBB124_610
	s_branch .LBB124_611
.LBB124_609:
                                        ; implicit-def: $vgpr127
.LBB124_610:
	ds_load_b64 v[126:127], v1
.LBB124_611:
	s_wait_dscnt 0x0
	v_dual_mov_b32 v128, 0 :: v_dual_mov_b32 v130, v127
	v_mov_b32_e32 v131, v126
	ds_load_b64 v[128:129], v128 offset:8
	s_wait_dscnt 0x0
	v_pk_mul_f32 v[130:131], v[130:131], v[128:129] op_sel:[0,1]
	s_delay_alu instid0(VALU_DEP_1) | instskip(SKIP_1) | instid1(VALU_DEP_2)
	v_pk_fma_f32 v[132:133], v[126:127], v[128:129], v[130:131] op_sel_hi:[1,0,1]
	v_pk_fma_f32 v[126:127], v[126:127], v[128:129], v[130:131] neg_lo:[0,0,1] neg_hi:[0,0,1]
	v_mov_b32_e32 v127, v133
	scratch_store_b64 off, v[126:127], off offset:8
.LBB124_612:
	s_wait_xcnt 0x0
	s_or_b32 exec_lo, exec_lo, s4
	scratch_load_b64 v[126:127], off, off offset:16
	v_cndmask_b32_e64 v128, 0, 1, s5
	s_mov_b32 s4, exec_lo
	s_wait_loadcnt 0x0
	ds_store_b64 v1, v[126:127]
	s_wait_storecnt_dscnt 0x0
	s_barrier_signal -1
	s_barrier_wait -1
	s_wait_xcnt 0x0
	v_cmpx_gt_u32_e32 2, v0
	s_cbranch_execz .LBB124_620
; %bb.613:
	s_and_not1_b32 vcc_lo, exec_lo, s5
	s_cbranch_vccnz .LBB124_615
; %bb.614:
	scratch_load_b64 v[126:127], v59, off
	ds_load_b64 v[130:131], v1
	s_wait_loadcnt_dscnt 0x0
	v_pk_mul_f32 v[132:133], v[130:131], v[126:127] op_sel:[1,1] op_sel_hi:[0,1]
	s_delay_alu instid0(VALU_DEP_1) | instskip(SKIP_1) | instid1(VALU_DEP_2)
	v_pk_fma_f32 v[134:135], v[130:131], v[126:127], v[132:133] op_sel_hi:[1,0,1]
	v_pk_fma_f32 v[126:127], v[130:131], v[126:127], v[132:133] neg_lo:[0,0,1] neg_hi:[0,0,1]
	v_mov_b32_e32 v127, v135
	s_cbranch_execz .LBB124_616
	s_branch .LBB124_617
.LBB124_615:
                                        ; implicit-def: $vgpr126_vgpr127
.LBB124_616:
	ds_load_b64 v[126:127], v1
.LBB124_617:
	s_and_saveexec_b32 s5, s0
	s_cbranch_execz .LBB124_619
; %bb.618:
	scratch_load_b64 v[130:131], off, off offset:8
	v_mov_b32_e32 v129, 0
	ds_load_b64 v[132:133], v129 offset:504
	s_wait_loadcnt_dscnt 0x0
	v_pk_mul_f32 v[134:135], v[132:133], v[130:131] op_sel:[1,1] op_sel_hi:[0,1]
	s_delay_alu instid0(VALU_DEP_1) | instskip(SKIP_1) | instid1(VALU_DEP_2)
	v_pk_fma_f32 v[136:137], v[132:133], v[130:131], v[134:135] op_sel_hi:[1,0,1]
	v_pk_fma_f32 v[130:131], v[132:133], v[130:131], v[134:135] neg_lo:[0,0,1] neg_hi:[0,0,1]
	v_mov_b32_e32 v131, v137
	s_delay_alu instid0(VALU_DEP_1)
	v_pk_add_f32 v[126:127], v[126:127], v[130:131]
.LBB124_619:
	s_or_b32 exec_lo, exec_lo, s5
	v_mov_b32_e32 v129, 0
	ds_load_b64 v[130:131], v129 offset:16
	s_wait_dscnt 0x0
	v_pk_mul_f32 v[132:133], v[126:127], v[130:131] op_sel:[1,1] op_sel_hi:[0,1]
	s_delay_alu instid0(VALU_DEP_1) | instskip(SKIP_1) | instid1(VALU_DEP_2)
	v_pk_fma_f32 v[134:135], v[126:127], v[130:131], v[132:133] op_sel_hi:[1,0,1]
	v_pk_fma_f32 v[126:127], v[126:127], v[130:131], v[132:133] neg_lo:[0,0,1] neg_hi:[0,0,1]
	v_mov_b32_e32 v127, v135
	scratch_store_b64 off, v[126:127], off offset:16
.LBB124_620:
	s_wait_xcnt 0x0
	s_or_b32 exec_lo, exec_lo, s4
	scratch_load_b64 v[126:127], off, off offset:24
	s_mov_b32 s4, exec_lo
	s_wait_loadcnt 0x0
	ds_store_b64 v1, v[126:127]
	s_wait_storecnt_dscnt 0x0
	s_barrier_signal -1
	s_barrier_wait -1
	s_wait_xcnt 0x0
	v_cmpx_gt_u32_e32 3, v0
	s_cbranch_execz .LBB124_630
; %bb.621:
	v_cmp_ne_u32_e32 vcc_lo, 1, v128
	s_cbranch_vccnz .LBB124_623
; %bb.622:
	scratch_load_b64 v[126:127], v59, off
	ds_load_b64 v[130:131], v1
	s_wait_loadcnt_dscnt 0x0
	v_pk_mul_f32 v[132:133], v[130:131], v[126:127] op_sel:[1,1] op_sel_hi:[0,1]
	s_delay_alu instid0(VALU_DEP_1) | instskip(SKIP_1) | instid1(VALU_DEP_2)
	v_pk_fma_f32 v[134:135], v[130:131], v[126:127], v[132:133] op_sel_hi:[1,0,1]
	v_pk_fma_f32 v[126:127], v[130:131], v[126:127], v[132:133] neg_lo:[0,0,1] neg_hi:[0,0,1]
	v_mov_b32_e32 v127, v135
	s_cbranch_execz .LBB124_624
	s_branch .LBB124_625
.LBB124_623:
                                        ; implicit-def: $vgpr126_vgpr127
.LBB124_624:
	ds_load_b64 v[126:127], v1
.LBB124_625:
	s_mov_b32 s5, exec_lo
	v_cmpx_ne_u32_e32 2, v0
	s_cbranch_execz .LBB124_629
; %bb.626:
	scratch_load_b64 v[130:131], v59, off offset:8
	ds_load_b64 v[132:133], v1 offset:8
	s_wait_loadcnt_dscnt 0x0
	v_pk_mul_f32 v[134:135], v[132:133], v[130:131] op_sel:[1,1] op_sel_hi:[0,1]
	s_delay_alu instid0(VALU_DEP_1) | instskip(SKIP_1) | instid1(VALU_DEP_2)
	v_pk_fma_f32 v[136:137], v[132:133], v[130:131], v[134:135] op_sel_hi:[1,0,1]
	v_pk_fma_f32 v[130:131], v[132:133], v[130:131], v[134:135] neg_lo:[0,0,1] neg_hi:[0,0,1]
	v_mov_b32_e32 v131, v137
	s_delay_alu instid0(VALU_DEP_1)
	v_pk_add_f32 v[126:127], v[126:127], v[130:131]
	s_and_saveexec_b32 s6, s0
	s_cbranch_execz .LBB124_628
; %bb.627:
	scratch_load_b64 v[130:131], off, off offset:16
	v_mov_b32_e32 v129, 0
	ds_load_b64 v[132:133], v129 offset:512
	s_wait_loadcnt_dscnt 0x0
	v_pk_mul_f32 v[134:135], v[132:133], v[130:131] op_sel:[1,1] op_sel_hi:[0,1]
	s_delay_alu instid0(VALU_DEP_1) | instskip(SKIP_1) | instid1(VALU_DEP_2)
	v_pk_fma_f32 v[136:137], v[132:133], v[130:131], v[134:135] op_sel_hi:[1,0,1]
	v_pk_fma_f32 v[130:131], v[132:133], v[130:131], v[134:135] neg_lo:[0,0,1] neg_hi:[0,0,1]
	v_mov_b32_e32 v131, v137
	s_delay_alu instid0(VALU_DEP_1)
	v_pk_add_f32 v[126:127], v[126:127], v[130:131]
.LBB124_628:
	s_or_b32 exec_lo, exec_lo, s6
.LBB124_629:
	s_delay_alu instid0(SALU_CYCLE_1) | instskip(SKIP_4) | instid1(VALU_DEP_1)
	s_or_b32 exec_lo, exec_lo, s5
	v_mov_b32_e32 v129, 0
	ds_load_b64 v[130:131], v129 offset:24
	s_wait_dscnt 0x0
	v_pk_mul_f32 v[132:133], v[126:127], v[130:131] op_sel:[1,1] op_sel_hi:[0,1]
	v_pk_fma_f32 v[134:135], v[126:127], v[130:131], v[132:133] op_sel_hi:[1,0,1]
	v_pk_fma_f32 v[126:127], v[126:127], v[130:131], v[132:133] neg_lo:[0,0,1] neg_hi:[0,0,1]
	s_delay_alu instid0(VALU_DEP_2)
	v_mov_b32_e32 v127, v135
	scratch_store_b64 off, v[126:127], off offset:24
.LBB124_630:
	s_wait_xcnt 0x0
	s_or_b32 exec_lo, exec_lo, s4
	scratch_load_b64 v[126:127], off, off offset:32
	s_mov_b32 s0, exec_lo
	s_wait_loadcnt 0x0
	ds_store_b64 v1, v[126:127]
	s_wait_storecnt_dscnt 0x0
	s_barrier_signal -1
	s_barrier_wait -1
	s_wait_xcnt 0x0
	v_cmpx_gt_u32_e32 4, v0
	s_cbranch_execz .LBB124_640
; %bb.631:
	v_cmp_ne_u32_e32 vcc_lo, 1, v128
	s_cbranch_vccnz .LBB124_633
; %bb.632:
	scratch_load_b64 v[126:127], v59, off
	ds_load_b64 v[130:131], v1
	s_wait_loadcnt_dscnt 0x0
	v_pk_mul_f32 v[132:133], v[130:131], v[126:127] op_sel:[1,1] op_sel_hi:[0,1]
	s_delay_alu instid0(VALU_DEP_1) | instskip(SKIP_1) | instid1(VALU_DEP_2)
	v_pk_fma_f32 v[134:135], v[130:131], v[126:127], v[132:133] op_sel_hi:[1,0,1]
	v_pk_fma_f32 v[126:127], v[130:131], v[126:127], v[132:133] neg_lo:[0,0,1] neg_hi:[0,0,1]
	v_mov_b32_e32 v127, v135
	s_cbranch_execz .LBB124_634
	s_branch .LBB124_635
.LBB124_633:
                                        ; implicit-def: $vgpr126_vgpr127
.LBB124_634:
	ds_load_b64 v[126:127], v1
.LBB124_635:
	s_mov_b32 s4, exec_lo
	v_cmpx_ne_u32_e32 3, v0
	s_cbranch_execz .LBB124_639
; %bb.636:
	v_add_nc_u32_e32 v129, 0x1f8, v58
	v_add3_u32 v130, 0, v58, 8
	v_mov_b32_e32 v131, v0
	s_mov_b32 s5, 0
.LBB124_637:                            ; =>This Inner Loop Header: Depth=1
	scratch_load_b64 v[132:133], v130, off
	ds_load_b64 v[134:135], v129
	s_wait_xcnt 0x0
	v_dual_add_nc_u32 v129, 8, v129 :: v_dual_add_nc_u32 v130, 8, v130
	s_wait_loadcnt_dscnt 0x0
	v_pk_mul_f32 v[136:137], v[134:135], v[132:133] op_sel:[1,1] op_sel_hi:[0,1]
	s_delay_alu instid0(VALU_DEP_1) | instskip(SKIP_2) | instid1(VALU_DEP_3)
	v_pk_fma_f32 v[138:139], v[134:135], v[132:133], v[136:137] op_sel_hi:[1,0,1]
	v_add_nc_u32_e32 v131, 1, v131
	v_pk_fma_f32 v[132:133], v[134:135], v[132:133], v[136:137] neg_lo:[0,0,1] neg_hi:[0,0,1]
	v_mov_b32_e32 v133, v139
	s_delay_alu instid0(VALU_DEP_3) | instskip(NEXT) | instid1(VALU_DEP_2)
	v_cmp_lt_u32_e32 vcc_lo, 2, v131
	v_pk_add_f32 v[126:127], v[126:127], v[132:133]
	s_or_b32 s5, vcc_lo, s5
	s_delay_alu instid0(SALU_CYCLE_1)
	s_and_not1_b32 exec_lo, exec_lo, s5
	s_cbranch_execnz .LBB124_637
; %bb.638:
	s_or_b32 exec_lo, exec_lo, s5
.LBB124_639:
	s_delay_alu instid0(SALU_CYCLE_1) | instskip(SKIP_4) | instid1(VALU_DEP_1)
	s_or_b32 exec_lo, exec_lo, s4
	v_mov_b32_e32 v129, 0
	ds_load_b64 v[130:131], v129 offset:32
	s_wait_dscnt 0x0
	v_pk_mul_f32 v[132:133], v[126:127], v[130:131] op_sel:[1,1] op_sel_hi:[0,1]
	v_pk_fma_f32 v[134:135], v[126:127], v[130:131], v[132:133] op_sel_hi:[1,0,1]
	v_pk_fma_f32 v[126:127], v[126:127], v[130:131], v[132:133] neg_lo:[0,0,1] neg_hi:[0,0,1]
	s_delay_alu instid0(VALU_DEP_2)
	v_mov_b32_e32 v127, v135
	scratch_store_b64 off, v[126:127], off offset:32
.LBB124_640:
	s_wait_xcnt 0x0
	s_or_b32 exec_lo, exec_lo, s0
	scratch_load_b64 v[126:127], off, off offset:40
	s_mov_b32 s0, exec_lo
	s_wait_loadcnt 0x0
	ds_store_b64 v1, v[126:127]
	s_wait_storecnt_dscnt 0x0
	s_barrier_signal -1
	s_barrier_wait -1
	s_wait_xcnt 0x0
	v_cmpx_gt_u32_e32 5, v0
	s_cbranch_execz .LBB124_650
; %bb.641:
	v_cmp_ne_u32_e32 vcc_lo, 1, v128
	s_cbranch_vccnz .LBB124_643
; %bb.642:
	scratch_load_b64 v[126:127], v59, off
	ds_load_b64 v[130:131], v1
	s_wait_loadcnt_dscnt 0x0
	v_pk_mul_f32 v[132:133], v[130:131], v[126:127] op_sel:[1,1] op_sel_hi:[0,1]
	s_delay_alu instid0(VALU_DEP_1) | instskip(SKIP_1) | instid1(VALU_DEP_2)
	v_pk_fma_f32 v[134:135], v[130:131], v[126:127], v[132:133] op_sel_hi:[1,0,1]
	v_pk_fma_f32 v[126:127], v[130:131], v[126:127], v[132:133] neg_lo:[0,0,1] neg_hi:[0,0,1]
	v_mov_b32_e32 v127, v135
	s_cbranch_execz .LBB124_644
	s_branch .LBB124_645
.LBB124_643:
                                        ; implicit-def: $vgpr126_vgpr127
.LBB124_644:
	ds_load_b64 v[126:127], v1
.LBB124_645:
	s_mov_b32 s4, exec_lo
	v_cmpx_ne_u32_e32 4, v0
	s_cbranch_execz .LBB124_649
; %bb.646:
	v_add_nc_u32_e32 v129, 0x1f8, v58
	v_add3_u32 v130, 0, v58, 8
	v_mov_b32_e32 v131, v0
	s_mov_b32 s5, 0
.LBB124_647:                            ; =>This Inner Loop Header: Depth=1
	scratch_load_b64 v[132:133], v130, off
	ds_load_b64 v[134:135], v129
	s_wait_xcnt 0x0
	v_dual_add_nc_u32 v129, 8, v129 :: v_dual_add_nc_u32 v130, 8, v130
	s_wait_loadcnt_dscnt 0x0
	v_pk_mul_f32 v[136:137], v[134:135], v[132:133] op_sel:[1,1] op_sel_hi:[0,1]
	s_delay_alu instid0(VALU_DEP_1) | instskip(SKIP_2) | instid1(VALU_DEP_3)
	v_pk_fma_f32 v[138:139], v[134:135], v[132:133], v[136:137] op_sel_hi:[1,0,1]
	v_add_nc_u32_e32 v131, 1, v131
	v_pk_fma_f32 v[132:133], v[134:135], v[132:133], v[136:137] neg_lo:[0,0,1] neg_hi:[0,0,1]
	v_mov_b32_e32 v133, v139
	s_delay_alu instid0(VALU_DEP_3) | instskip(NEXT) | instid1(VALU_DEP_2)
	v_cmp_lt_u32_e32 vcc_lo, 3, v131
	v_pk_add_f32 v[126:127], v[126:127], v[132:133]
	s_or_b32 s5, vcc_lo, s5
	s_delay_alu instid0(SALU_CYCLE_1)
	s_and_not1_b32 exec_lo, exec_lo, s5
	s_cbranch_execnz .LBB124_647
; %bb.648:
	s_or_b32 exec_lo, exec_lo, s5
.LBB124_649:
	s_delay_alu instid0(SALU_CYCLE_1) | instskip(SKIP_4) | instid1(VALU_DEP_1)
	s_or_b32 exec_lo, exec_lo, s4
	v_mov_b32_e32 v129, 0
	ds_load_b64 v[130:131], v129 offset:40
	s_wait_dscnt 0x0
	v_pk_mul_f32 v[132:133], v[126:127], v[130:131] op_sel:[1,1] op_sel_hi:[0,1]
	v_pk_fma_f32 v[134:135], v[126:127], v[130:131], v[132:133] op_sel_hi:[1,0,1]
	v_pk_fma_f32 v[126:127], v[126:127], v[130:131], v[132:133] neg_lo:[0,0,1] neg_hi:[0,0,1]
	s_delay_alu instid0(VALU_DEP_2)
	v_mov_b32_e32 v127, v135
	scratch_store_b64 off, v[126:127], off offset:40
.LBB124_650:
	s_wait_xcnt 0x0
	s_or_b32 exec_lo, exec_lo, s0
	scratch_load_b64 v[126:127], off, off offset:48
	s_mov_b32 s0, exec_lo
	s_wait_loadcnt 0x0
	ds_store_b64 v1, v[126:127]
	s_wait_storecnt_dscnt 0x0
	s_barrier_signal -1
	s_barrier_wait -1
	s_wait_xcnt 0x0
	v_cmpx_gt_u32_e32 6, v0
	s_cbranch_execz .LBB124_660
; %bb.651:
	v_cmp_ne_u32_e32 vcc_lo, 1, v128
	s_cbranch_vccnz .LBB124_653
; %bb.652:
	scratch_load_b64 v[126:127], v59, off
	ds_load_b64 v[130:131], v1
	s_wait_loadcnt_dscnt 0x0
	v_pk_mul_f32 v[132:133], v[130:131], v[126:127] op_sel:[1,1] op_sel_hi:[0,1]
	s_delay_alu instid0(VALU_DEP_1) | instskip(SKIP_1) | instid1(VALU_DEP_2)
	v_pk_fma_f32 v[134:135], v[130:131], v[126:127], v[132:133] op_sel_hi:[1,0,1]
	v_pk_fma_f32 v[126:127], v[130:131], v[126:127], v[132:133] neg_lo:[0,0,1] neg_hi:[0,0,1]
	v_mov_b32_e32 v127, v135
	s_cbranch_execz .LBB124_654
	s_branch .LBB124_655
.LBB124_653:
                                        ; implicit-def: $vgpr126_vgpr127
.LBB124_654:
	ds_load_b64 v[126:127], v1
.LBB124_655:
	s_mov_b32 s4, exec_lo
	v_cmpx_ne_u32_e32 5, v0
	s_cbranch_execz .LBB124_659
; %bb.656:
	v_add_nc_u32_e32 v129, 0x1f8, v58
	v_add3_u32 v130, 0, v58, 8
	v_mov_b32_e32 v131, v0
	s_mov_b32 s5, 0
.LBB124_657:                            ; =>This Inner Loop Header: Depth=1
	scratch_load_b64 v[132:133], v130, off
	ds_load_b64 v[134:135], v129
	s_wait_xcnt 0x0
	v_dual_add_nc_u32 v129, 8, v129 :: v_dual_add_nc_u32 v130, 8, v130
	s_wait_loadcnt_dscnt 0x0
	v_pk_mul_f32 v[136:137], v[134:135], v[132:133] op_sel:[1,1] op_sel_hi:[0,1]
	s_delay_alu instid0(VALU_DEP_1) | instskip(SKIP_2) | instid1(VALU_DEP_3)
	v_pk_fma_f32 v[138:139], v[134:135], v[132:133], v[136:137] op_sel_hi:[1,0,1]
	v_add_nc_u32_e32 v131, 1, v131
	v_pk_fma_f32 v[132:133], v[134:135], v[132:133], v[136:137] neg_lo:[0,0,1] neg_hi:[0,0,1]
	v_mov_b32_e32 v133, v139
	s_delay_alu instid0(VALU_DEP_3) | instskip(NEXT) | instid1(VALU_DEP_2)
	v_cmp_lt_u32_e32 vcc_lo, 4, v131
	v_pk_add_f32 v[126:127], v[126:127], v[132:133]
	s_or_b32 s5, vcc_lo, s5
	s_delay_alu instid0(SALU_CYCLE_1)
	s_and_not1_b32 exec_lo, exec_lo, s5
	s_cbranch_execnz .LBB124_657
; %bb.658:
	s_or_b32 exec_lo, exec_lo, s5
.LBB124_659:
	s_delay_alu instid0(SALU_CYCLE_1) | instskip(SKIP_4) | instid1(VALU_DEP_1)
	s_or_b32 exec_lo, exec_lo, s4
	v_mov_b32_e32 v129, 0
	ds_load_b64 v[130:131], v129 offset:48
	s_wait_dscnt 0x0
	v_pk_mul_f32 v[132:133], v[126:127], v[130:131] op_sel:[1,1] op_sel_hi:[0,1]
	v_pk_fma_f32 v[134:135], v[126:127], v[130:131], v[132:133] op_sel_hi:[1,0,1]
	v_pk_fma_f32 v[126:127], v[126:127], v[130:131], v[132:133] neg_lo:[0,0,1] neg_hi:[0,0,1]
	s_delay_alu instid0(VALU_DEP_2)
	v_mov_b32_e32 v127, v135
	scratch_store_b64 off, v[126:127], off offset:48
.LBB124_660:
	s_wait_xcnt 0x0
	s_or_b32 exec_lo, exec_lo, s0
	scratch_load_b64 v[126:127], off, off offset:56
	s_mov_b32 s0, exec_lo
	s_wait_loadcnt 0x0
	ds_store_b64 v1, v[126:127]
	s_wait_storecnt_dscnt 0x0
	s_barrier_signal -1
	s_barrier_wait -1
	s_wait_xcnt 0x0
	v_cmpx_gt_u32_e32 7, v0
	s_cbranch_execz .LBB124_670
; %bb.661:
	v_cmp_ne_u32_e32 vcc_lo, 1, v128
	s_cbranch_vccnz .LBB124_663
; %bb.662:
	scratch_load_b64 v[126:127], v59, off
	ds_load_b64 v[130:131], v1
	s_wait_loadcnt_dscnt 0x0
	v_pk_mul_f32 v[132:133], v[130:131], v[126:127] op_sel:[1,1] op_sel_hi:[0,1]
	s_delay_alu instid0(VALU_DEP_1) | instskip(SKIP_1) | instid1(VALU_DEP_2)
	v_pk_fma_f32 v[134:135], v[130:131], v[126:127], v[132:133] op_sel_hi:[1,0,1]
	v_pk_fma_f32 v[126:127], v[130:131], v[126:127], v[132:133] neg_lo:[0,0,1] neg_hi:[0,0,1]
	v_mov_b32_e32 v127, v135
	s_cbranch_execz .LBB124_664
	s_branch .LBB124_665
.LBB124_663:
                                        ; implicit-def: $vgpr126_vgpr127
.LBB124_664:
	ds_load_b64 v[126:127], v1
.LBB124_665:
	s_mov_b32 s4, exec_lo
	v_cmpx_ne_u32_e32 6, v0
	s_cbranch_execz .LBB124_669
; %bb.666:
	v_add_nc_u32_e32 v129, 0x1f8, v58
	v_add3_u32 v130, 0, v58, 8
	v_mov_b32_e32 v131, v0
	s_mov_b32 s5, 0
.LBB124_667:                            ; =>This Inner Loop Header: Depth=1
	scratch_load_b64 v[132:133], v130, off
	ds_load_b64 v[134:135], v129
	s_wait_xcnt 0x0
	v_dual_add_nc_u32 v129, 8, v129 :: v_dual_add_nc_u32 v130, 8, v130
	s_wait_loadcnt_dscnt 0x0
	v_pk_mul_f32 v[136:137], v[134:135], v[132:133] op_sel:[1,1] op_sel_hi:[0,1]
	s_delay_alu instid0(VALU_DEP_1) | instskip(SKIP_2) | instid1(VALU_DEP_3)
	v_pk_fma_f32 v[138:139], v[134:135], v[132:133], v[136:137] op_sel_hi:[1,0,1]
	v_add_nc_u32_e32 v131, 1, v131
	v_pk_fma_f32 v[132:133], v[134:135], v[132:133], v[136:137] neg_lo:[0,0,1] neg_hi:[0,0,1]
	v_mov_b32_e32 v133, v139
	s_delay_alu instid0(VALU_DEP_3) | instskip(NEXT) | instid1(VALU_DEP_2)
	v_cmp_lt_u32_e32 vcc_lo, 5, v131
	v_pk_add_f32 v[126:127], v[126:127], v[132:133]
	s_or_b32 s5, vcc_lo, s5
	s_delay_alu instid0(SALU_CYCLE_1)
	s_and_not1_b32 exec_lo, exec_lo, s5
	s_cbranch_execnz .LBB124_667
; %bb.668:
	s_or_b32 exec_lo, exec_lo, s5
.LBB124_669:
	s_delay_alu instid0(SALU_CYCLE_1) | instskip(SKIP_4) | instid1(VALU_DEP_1)
	s_or_b32 exec_lo, exec_lo, s4
	v_mov_b32_e32 v129, 0
	ds_load_b64 v[130:131], v129 offset:56
	s_wait_dscnt 0x0
	v_pk_mul_f32 v[132:133], v[126:127], v[130:131] op_sel:[1,1] op_sel_hi:[0,1]
	v_pk_fma_f32 v[134:135], v[126:127], v[130:131], v[132:133] op_sel_hi:[1,0,1]
	v_pk_fma_f32 v[126:127], v[126:127], v[130:131], v[132:133] neg_lo:[0,0,1] neg_hi:[0,0,1]
	s_delay_alu instid0(VALU_DEP_2)
	v_mov_b32_e32 v127, v135
	scratch_store_b64 off, v[126:127], off offset:56
.LBB124_670:
	s_wait_xcnt 0x0
	s_or_b32 exec_lo, exec_lo, s0
	scratch_load_b64 v[126:127], off, off offset:64
	s_mov_b32 s0, exec_lo
	s_wait_loadcnt 0x0
	ds_store_b64 v1, v[126:127]
	s_wait_storecnt_dscnt 0x0
	s_barrier_signal -1
	s_barrier_wait -1
	s_wait_xcnt 0x0
	v_cmpx_gt_u32_e32 8, v0
	s_cbranch_execz .LBB124_680
; %bb.671:
	v_cmp_ne_u32_e32 vcc_lo, 1, v128
	s_cbranch_vccnz .LBB124_673
; %bb.672:
	scratch_load_b64 v[126:127], v59, off
	ds_load_b64 v[130:131], v1
	s_wait_loadcnt_dscnt 0x0
	v_pk_mul_f32 v[132:133], v[130:131], v[126:127] op_sel:[1,1] op_sel_hi:[0,1]
	s_delay_alu instid0(VALU_DEP_1) | instskip(SKIP_1) | instid1(VALU_DEP_2)
	v_pk_fma_f32 v[134:135], v[130:131], v[126:127], v[132:133] op_sel_hi:[1,0,1]
	v_pk_fma_f32 v[126:127], v[130:131], v[126:127], v[132:133] neg_lo:[0,0,1] neg_hi:[0,0,1]
	v_mov_b32_e32 v127, v135
	s_cbranch_execz .LBB124_674
	s_branch .LBB124_675
.LBB124_673:
                                        ; implicit-def: $vgpr126_vgpr127
.LBB124_674:
	ds_load_b64 v[126:127], v1
.LBB124_675:
	s_mov_b32 s4, exec_lo
	v_cmpx_ne_u32_e32 7, v0
	s_cbranch_execz .LBB124_679
; %bb.676:
	v_add_nc_u32_e32 v129, 0x1f8, v58
	v_add3_u32 v130, 0, v58, 8
	v_mov_b32_e32 v131, v0
	s_mov_b32 s5, 0
.LBB124_677:                            ; =>This Inner Loop Header: Depth=1
	scratch_load_b64 v[132:133], v130, off
	ds_load_b64 v[134:135], v129
	s_wait_xcnt 0x0
	v_dual_add_nc_u32 v129, 8, v129 :: v_dual_add_nc_u32 v130, 8, v130
	s_wait_loadcnt_dscnt 0x0
	v_pk_mul_f32 v[136:137], v[134:135], v[132:133] op_sel:[1,1] op_sel_hi:[0,1]
	s_delay_alu instid0(VALU_DEP_1) | instskip(SKIP_2) | instid1(VALU_DEP_3)
	v_pk_fma_f32 v[138:139], v[134:135], v[132:133], v[136:137] op_sel_hi:[1,0,1]
	v_add_nc_u32_e32 v131, 1, v131
	v_pk_fma_f32 v[132:133], v[134:135], v[132:133], v[136:137] neg_lo:[0,0,1] neg_hi:[0,0,1]
	v_mov_b32_e32 v133, v139
	s_delay_alu instid0(VALU_DEP_3) | instskip(NEXT) | instid1(VALU_DEP_2)
	v_cmp_lt_u32_e32 vcc_lo, 6, v131
	v_pk_add_f32 v[126:127], v[126:127], v[132:133]
	s_or_b32 s5, vcc_lo, s5
	s_delay_alu instid0(SALU_CYCLE_1)
	s_and_not1_b32 exec_lo, exec_lo, s5
	s_cbranch_execnz .LBB124_677
; %bb.678:
	s_or_b32 exec_lo, exec_lo, s5
.LBB124_679:
	s_delay_alu instid0(SALU_CYCLE_1) | instskip(SKIP_4) | instid1(VALU_DEP_1)
	s_or_b32 exec_lo, exec_lo, s4
	v_mov_b32_e32 v129, 0
	ds_load_b64 v[130:131], v129 offset:64
	s_wait_dscnt 0x0
	v_pk_mul_f32 v[132:133], v[126:127], v[130:131] op_sel:[1,1] op_sel_hi:[0,1]
	v_pk_fma_f32 v[134:135], v[126:127], v[130:131], v[132:133] op_sel_hi:[1,0,1]
	v_pk_fma_f32 v[126:127], v[126:127], v[130:131], v[132:133] neg_lo:[0,0,1] neg_hi:[0,0,1]
	s_delay_alu instid0(VALU_DEP_2)
	v_mov_b32_e32 v127, v135
	scratch_store_b64 off, v[126:127], off offset:64
.LBB124_680:
	s_wait_xcnt 0x0
	s_or_b32 exec_lo, exec_lo, s0
	scratch_load_b64 v[126:127], off, off offset:72
	s_mov_b32 s0, exec_lo
	s_wait_loadcnt 0x0
	ds_store_b64 v1, v[126:127]
	s_wait_storecnt_dscnt 0x0
	s_barrier_signal -1
	s_barrier_wait -1
	s_wait_xcnt 0x0
	v_cmpx_gt_u32_e32 9, v0
	s_cbranch_execz .LBB124_690
; %bb.681:
	v_cmp_ne_u32_e32 vcc_lo, 1, v128
	s_cbranch_vccnz .LBB124_683
; %bb.682:
	scratch_load_b64 v[126:127], v59, off
	ds_load_b64 v[130:131], v1
	s_wait_loadcnt_dscnt 0x0
	v_pk_mul_f32 v[132:133], v[130:131], v[126:127] op_sel:[1,1] op_sel_hi:[0,1]
	s_delay_alu instid0(VALU_DEP_1) | instskip(SKIP_1) | instid1(VALU_DEP_2)
	v_pk_fma_f32 v[134:135], v[130:131], v[126:127], v[132:133] op_sel_hi:[1,0,1]
	v_pk_fma_f32 v[126:127], v[130:131], v[126:127], v[132:133] neg_lo:[0,0,1] neg_hi:[0,0,1]
	v_mov_b32_e32 v127, v135
	s_cbranch_execz .LBB124_684
	s_branch .LBB124_685
.LBB124_683:
                                        ; implicit-def: $vgpr126_vgpr127
.LBB124_684:
	ds_load_b64 v[126:127], v1
.LBB124_685:
	s_mov_b32 s4, exec_lo
	v_cmpx_ne_u32_e32 8, v0
	s_cbranch_execz .LBB124_689
; %bb.686:
	v_add_nc_u32_e32 v129, 0x1f8, v58
	v_add3_u32 v130, 0, v58, 8
	v_mov_b32_e32 v131, v0
	s_mov_b32 s5, 0
.LBB124_687:                            ; =>This Inner Loop Header: Depth=1
	scratch_load_b64 v[132:133], v130, off
	ds_load_b64 v[134:135], v129
	s_wait_xcnt 0x0
	v_dual_add_nc_u32 v129, 8, v129 :: v_dual_add_nc_u32 v130, 8, v130
	s_wait_loadcnt_dscnt 0x0
	v_pk_mul_f32 v[136:137], v[134:135], v[132:133] op_sel:[1,1] op_sel_hi:[0,1]
	s_delay_alu instid0(VALU_DEP_1) | instskip(SKIP_2) | instid1(VALU_DEP_3)
	v_pk_fma_f32 v[138:139], v[134:135], v[132:133], v[136:137] op_sel_hi:[1,0,1]
	v_add_nc_u32_e32 v131, 1, v131
	v_pk_fma_f32 v[132:133], v[134:135], v[132:133], v[136:137] neg_lo:[0,0,1] neg_hi:[0,0,1]
	v_mov_b32_e32 v133, v139
	s_delay_alu instid0(VALU_DEP_3) | instskip(NEXT) | instid1(VALU_DEP_2)
	v_cmp_lt_u32_e32 vcc_lo, 7, v131
	v_pk_add_f32 v[126:127], v[126:127], v[132:133]
	s_or_b32 s5, vcc_lo, s5
	s_delay_alu instid0(SALU_CYCLE_1)
	s_and_not1_b32 exec_lo, exec_lo, s5
	s_cbranch_execnz .LBB124_687
; %bb.688:
	s_or_b32 exec_lo, exec_lo, s5
.LBB124_689:
	s_delay_alu instid0(SALU_CYCLE_1) | instskip(SKIP_4) | instid1(VALU_DEP_1)
	s_or_b32 exec_lo, exec_lo, s4
	v_mov_b32_e32 v129, 0
	ds_load_b64 v[130:131], v129 offset:72
	s_wait_dscnt 0x0
	v_pk_mul_f32 v[132:133], v[126:127], v[130:131] op_sel:[1,1] op_sel_hi:[0,1]
	v_pk_fma_f32 v[134:135], v[126:127], v[130:131], v[132:133] op_sel_hi:[1,0,1]
	v_pk_fma_f32 v[126:127], v[126:127], v[130:131], v[132:133] neg_lo:[0,0,1] neg_hi:[0,0,1]
	s_delay_alu instid0(VALU_DEP_2)
	v_mov_b32_e32 v127, v135
	scratch_store_b64 off, v[126:127], off offset:72
.LBB124_690:
	s_wait_xcnt 0x0
	s_or_b32 exec_lo, exec_lo, s0
	scratch_load_b64 v[126:127], off, off offset:80
	s_mov_b32 s0, exec_lo
	s_wait_loadcnt 0x0
	ds_store_b64 v1, v[126:127]
	s_wait_storecnt_dscnt 0x0
	s_barrier_signal -1
	s_barrier_wait -1
	s_wait_xcnt 0x0
	v_cmpx_gt_u32_e32 10, v0
	s_cbranch_execz .LBB124_700
; %bb.691:
	v_cmp_ne_u32_e32 vcc_lo, 1, v128
	s_cbranch_vccnz .LBB124_693
; %bb.692:
	scratch_load_b64 v[126:127], v59, off
	ds_load_b64 v[130:131], v1
	s_wait_loadcnt_dscnt 0x0
	v_pk_mul_f32 v[132:133], v[130:131], v[126:127] op_sel:[1,1] op_sel_hi:[0,1]
	s_delay_alu instid0(VALU_DEP_1) | instskip(SKIP_1) | instid1(VALU_DEP_2)
	v_pk_fma_f32 v[134:135], v[130:131], v[126:127], v[132:133] op_sel_hi:[1,0,1]
	v_pk_fma_f32 v[126:127], v[130:131], v[126:127], v[132:133] neg_lo:[0,0,1] neg_hi:[0,0,1]
	v_mov_b32_e32 v127, v135
	s_cbranch_execz .LBB124_694
	s_branch .LBB124_695
.LBB124_693:
                                        ; implicit-def: $vgpr126_vgpr127
.LBB124_694:
	ds_load_b64 v[126:127], v1
.LBB124_695:
	s_mov_b32 s4, exec_lo
	v_cmpx_ne_u32_e32 9, v0
	s_cbranch_execz .LBB124_699
; %bb.696:
	v_add_nc_u32_e32 v129, 0x1f8, v58
	v_add3_u32 v130, 0, v58, 8
	v_mov_b32_e32 v131, v0
	s_mov_b32 s5, 0
.LBB124_697:                            ; =>This Inner Loop Header: Depth=1
	scratch_load_b64 v[132:133], v130, off
	ds_load_b64 v[134:135], v129
	s_wait_xcnt 0x0
	v_dual_add_nc_u32 v129, 8, v129 :: v_dual_add_nc_u32 v130, 8, v130
	s_wait_loadcnt_dscnt 0x0
	v_pk_mul_f32 v[136:137], v[134:135], v[132:133] op_sel:[1,1] op_sel_hi:[0,1]
	s_delay_alu instid0(VALU_DEP_1) | instskip(SKIP_2) | instid1(VALU_DEP_3)
	v_pk_fma_f32 v[138:139], v[134:135], v[132:133], v[136:137] op_sel_hi:[1,0,1]
	v_add_nc_u32_e32 v131, 1, v131
	v_pk_fma_f32 v[132:133], v[134:135], v[132:133], v[136:137] neg_lo:[0,0,1] neg_hi:[0,0,1]
	v_mov_b32_e32 v133, v139
	s_delay_alu instid0(VALU_DEP_3) | instskip(NEXT) | instid1(VALU_DEP_2)
	v_cmp_lt_u32_e32 vcc_lo, 8, v131
	v_pk_add_f32 v[126:127], v[126:127], v[132:133]
	s_or_b32 s5, vcc_lo, s5
	s_delay_alu instid0(SALU_CYCLE_1)
	s_and_not1_b32 exec_lo, exec_lo, s5
	s_cbranch_execnz .LBB124_697
; %bb.698:
	s_or_b32 exec_lo, exec_lo, s5
.LBB124_699:
	s_delay_alu instid0(SALU_CYCLE_1) | instskip(SKIP_4) | instid1(VALU_DEP_1)
	s_or_b32 exec_lo, exec_lo, s4
	v_mov_b32_e32 v129, 0
	ds_load_b64 v[130:131], v129 offset:80
	s_wait_dscnt 0x0
	v_pk_mul_f32 v[132:133], v[126:127], v[130:131] op_sel:[1,1] op_sel_hi:[0,1]
	v_pk_fma_f32 v[134:135], v[126:127], v[130:131], v[132:133] op_sel_hi:[1,0,1]
	v_pk_fma_f32 v[126:127], v[126:127], v[130:131], v[132:133] neg_lo:[0,0,1] neg_hi:[0,0,1]
	s_delay_alu instid0(VALU_DEP_2)
	v_mov_b32_e32 v127, v135
	scratch_store_b64 off, v[126:127], off offset:80
.LBB124_700:
	s_wait_xcnt 0x0
	s_or_b32 exec_lo, exec_lo, s0
	scratch_load_b64 v[126:127], off, off offset:88
	s_mov_b32 s0, exec_lo
	s_wait_loadcnt 0x0
	ds_store_b64 v1, v[126:127]
	s_wait_storecnt_dscnt 0x0
	s_barrier_signal -1
	s_barrier_wait -1
	s_wait_xcnt 0x0
	v_cmpx_gt_u32_e32 11, v0
	s_cbranch_execz .LBB124_710
; %bb.701:
	v_cmp_ne_u32_e32 vcc_lo, 1, v128
	s_cbranch_vccnz .LBB124_703
; %bb.702:
	scratch_load_b64 v[126:127], v59, off
	ds_load_b64 v[130:131], v1
	s_wait_loadcnt_dscnt 0x0
	v_pk_mul_f32 v[132:133], v[130:131], v[126:127] op_sel:[1,1] op_sel_hi:[0,1]
	s_delay_alu instid0(VALU_DEP_1) | instskip(SKIP_1) | instid1(VALU_DEP_2)
	v_pk_fma_f32 v[134:135], v[130:131], v[126:127], v[132:133] op_sel_hi:[1,0,1]
	v_pk_fma_f32 v[126:127], v[130:131], v[126:127], v[132:133] neg_lo:[0,0,1] neg_hi:[0,0,1]
	v_mov_b32_e32 v127, v135
	s_cbranch_execz .LBB124_704
	s_branch .LBB124_705
.LBB124_703:
                                        ; implicit-def: $vgpr126_vgpr127
.LBB124_704:
	ds_load_b64 v[126:127], v1
.LBB124_705:
	s_mov_b32 s4, exec_lo
	v_cmpx_ne_u32_e32 10, v0
	s_cbranch_execz .LBB124_709
; %bb.706:
	v_add_nc_u32_e32 v129, 0x1f8, v58
	v_add3_u32 v130, 0, v58, 8
	v_mov_b32_e32 v131, v0
	s_mov_b32 s5, 0
.LBB124_707:                            ; =>This Inner Loop Header: Depth=1
	scratch_load_b64 v[132:133], v130, off
	ds_load_b64 v[134:135], v129
	s_wait_xcnt 0x0
	v_dual_add_nc_u32 v129, 8, v129 :: v_dual_add_nc_u32 v130, 8, v130
	s_wait_loadcnt_dscnt 0x0
	v_pk_mul_f32 v[136:137], v[134:135], v[132:133] op_sel:[1,1] op_sel_hi:[0,1]
	s_delay_alu instid0(VALU_DEP_1) | instskip(SKIP_2) | instid1(VALU_DEP_3)
	v_pk_fma_f32 v[138:139], v[134:135], v[132:133], v[136:137] op_sel_hi:[1,0,1]
	v_add_nc_u32_e32 v131, 1, v131
	v_pk_fma_f32 v[132:133], v[134:135], v[132:133], v[136:137] neg_lo:[0,0,1] neg_hi:[0,0,1]
	v_mov_b32_e32 v133, v139
	s_delay_alu instid0(VALU_DEP_3) | instskip(NEXT) | instid1(VALU_DEP_2)
	v_cmp_lt_u32_e32 vcc_lo, 9, v131
	v_pk_add_f32 v[126:127], v[126:127], v[132:133]
	s_or_b32 s5, vcc_lo, s5
	s_delay_alu instid0(SALU_CYCLE_1)
	s_and_not1_b32 exec_lo, exec_lo, s5
	s_cbranch_execnz .LBB124_707
; %bb.708:
	s_or_b32 exec_lo, exec_lo, s5
.LBB124_709:
	s_delay_alu instid0(SALU_CYCLE_1) | instskip(SKIP_4) | instid1(VALU_DEP_1)
	s_or_b32 exec_lo, exec_lo, s4
	v_mov_b32_e32 v129, 0
	ds_load_b64 v[130:131], v129 offset:88
	s_wait_dscnt 0x0
	v_pk_mul_f32 v[132:133], v[126:127], v[130:131] op_sel:[1,1] op_sel_hi:[0,1]
	v_pk_fma_f32 v[134:135], v[126:127], v[130:131], v[132:133] op_sel_hi:[1,0,1]
	v_pk_fma_f32 v[126:127], v[126:127], v[130:131], v[132:133] neg_lo:[0,0,1] neg_hi:[0,0,1]
	s_delay_alu instid0(VALU_DEP_2)
	v_mov_b32_e32 v127, v135
	scratch_store_b64 off, v[126:127], off offset:88
.LBB124_710:
	s_wait_xcnt 0x0
	s_or_b32 exec_lo, exec_lo, s0
	scratch_load_b64 v[126:127], off, off offset:96
	s_mov_b32 s0, exec_lo
	s_wait_loadcnt 0x0
	ds_store_b64 v1, v[126:127]
	s_wait_storecnt_dscnt 0x0
	s_barrier_signal -1
	s_barrier_wait -1
	s_wait_xcnt 0x0
	v_cmpx_gt_u32_e32 12, v0
	s_cbranch_execz .LBB124_720
; %bb.711:
	v_cmp_ne_u32_e32 vcc_lo, 1, v128
	s_cbranch_vccnz .LBB124_713
; %bb.712:
	scratch_load_b64 v[126:127], v59, off
	ds_load_b64 v[130:131], v1
	s_wait_loadcnt_dscnt 0x0
	v_pk_mul_f32 v[132:133], v[130:131], v[126:127] op_sel:[1,1] op_sel_hi:[0,1]
	s_delay_alu instid0(VALU_DEP_1) | instskip(SKIP_1) | instid1(VALU_DEP_2)
	v_pk_fma_f32 v[134:135], v[130:131], v[126:127], v[132:133] op_sel_hi:[1,0,1]
	v_pk_fma_f32 v[126:127], v[130:131], v[126:127], v[132:133] neg_lo:[0,0,1] neg_hi:[0,0,1]
	v_mov_b32_e32 v127, v135
	s_cbranch_execz .LBB124_714
	s_branch .LBB124_715
.LBB124_713:
                                        ; implicit-def: $vgpr126_vgpr127
.LBB124_714:
	ds_load_b64 v[126:127], v1
.LBB124_715:
	s_mov_b32 s4, exec_lo
	v_cmpx_ne_u32_e32 11, v0
	s_cbranch_execz .LBB124_719
; %bb.716:
	v_add_nc_u32_e32 v129, 0x1f8, v58
	v_add3_u32 v130, 0, v58, 8
	v_mov_b32_e32 v131, v0
	s_mov_b32 s5, 0
.LBB124_717:                            ; =>This Inner Loop Header: Depth=1
	scratch_load_b64 v[132:133], v130, off
	ds_load_b64 v[134:135], v129
	s_wait_xcnt 0x0
	v_dual_add_nc_u32 v129, 8, v129 :: v_dual_add_nc_u32 v130, 8, v130
	s_wait_loadcnt_dscnt 0x0
	v_pk_mul_f32 v[136:137], v[134:135], v[132:133] op_sel:[1,1] op_sel_hi:[0,1]
	s_delay_alu instid0(VALU_DEP_1) | instskip(SKIP_2) | instid1(VALU_DEP_3)
	v_pk_fma_f32 v[138:139], v[134:135], v[132:133], v[136:137] op_sel_hi:[1,0,1]
	v_add_nc_u32_e32 v131, 1, v131
	v_pk_fma_f32 v[132:133], v[134:135], v[132:133], v[136:137] neg_lo:[0,0,1] neg_hi:[0,0,1]
	v_mov_b32_e32 v133, v139
	s_delay_alu instid0(VALU_DEP_3) | instskip(NEXT) | instid1(VALU_DEP_2)
	v_cmp_lt_u32_e32 vcc_lo, 10, v131
	v_pk_add_f32 v[126:127], v[126:127], v[132:133]
	s_or_b32 s5, vcc_lo, s5
	s_delay_alu instid0(SALU_CYCLE_1)
	s_and_not1_b32 exec_lo, exec_lo, s5
	s_cbranch_execnz .LBB124_717
; %bb.718:
	s_or_b32 exec_lo, exec_lo, s5
.LBB124_719:
	s_delay_alu instid0(SALU_CYCLE_1) | instskip(SKIP_4) | instid1(VALU_DEP_1)
	s_or_b32 exec_lo, exec_lo, s4
	v_mov_b32_e32 v129, 0
	ds_load_b64 v[130:131], v129 offset:96
	s_wait_dscnt 0x0
	v_pk_mul_f32 v[132:133], v[126:127], v[130:131] op_sel:[1,1] op_sel_hi:[0,1]
	v_pk_fma_f32 v[134:135], v[126:127], v[130:131], v[132:133] op_sel_hi:[1,0,1]
	v_pk_fma_f32 v[126:127], v[126:127], v[130:131], v[132:133] neg_lo:[0,0,1] neg_hi:[0,0,1]
	s_delay_alu instid0(VALU_DEP_2)
	v_mov_b32_e32 v127, v135
	scratch_store_b64 off, v[126:127], off offset:96
.LBB124_720:
	s_wait_xcnt 0x0
	s_or_b32 exec_lo, exec_lo, s0
	scratch_load_b64 v[126:127], off, off offset:104
	s_mov_b32 s0, exec_lo
	s_wait_loadcnt 0x0
	ds_store_b64 v1, v[126:127]
	s_wait_storecnt_dscnt 0x0
	s_barrier_signal -1
	s_barrier_wait -1
	s_wait_xcnt 0x0
	v_cmpx_gt_u32_e32 13, v0
	s_cbranch_execz .LBB124_730
; %bb.721:
	v_cmp_ne_u32_e32 vcc_lo, 1, v128
	s_cbranch_vccnz .LBB124_723
; %bb.722:
	scratch_load_b64 v[126:127], v59, off
	ds_load_b64 v[130:131], v1
	s_wait_loadcnt_dscnt 0x0
	v_pk_mul_f32 v[132:133], v[130:131], v[126:127] op_sel:[1,1] op_sel_hi:[0,1]
	s_delay_alu instid0(VALU_DEP_1) | instskip(SKIP_1) | instid1(VALU_DEP_2)
	v_pk_fma_f32 v[134:135], v[130:131], v[126:127], v[132:133] op_sel_hi:[1,0,1]
	v_pk_fma_f32 v[126:127], v[130:131], v[126:127], v[132:133] neg_lo:[0,0,1] neg_hi:[0,0,1]
	v_mov_b32_e32 v127, v135
	s_cbranch_execz .LBB124_724
	s_branch .LBB124_725
.LBB124_723:
                                        ; implicit-def: $vgpr126_vgpr127
.LBB124_724:
	ds_load_b64 v[126:127], v1
.LBB124_725:
	s_mov_b32 s4, exec_lo
	v_cmpx_ne_u32_e32 12, v0
	s_cbranch_execz .LBB124_729
; %bb.726:
	v_add_nc_u32_e32 v129, 0x1f8, v58
	v_add3_u32 v130, 0, v58, 8
	v_mov_b32_e32 v131, v0
	s_mov_b32 s5, 0
.LBB124_727:                            ; =>This Inner Loop Header: Depth=1
	scratch_load_b64 v[132:133], v130, off
	ds_load_b64 v[134:135], v129
	s_wait_xcnt 0x0
	v_dual_add_nc_u32 v129, 8, v129 :: v_dual_add_nc_u32 v130, 8, v130
	s_wait_loadcnt_dscnt 0x0
	v_pk_mul_f32 v[136:137], v[134:135], v[132:133] op_sel:[1,1] op_sel_hi:[0,1]
	s_delay_alu instid0(VALU_DEP_1) | instskip(SKIP_2) | instid1(VALU_DEP_3)
	v_pk_fma_f32 v[138:139], v[134:135], v[132:133], v[136:137] op_sel_hi:[1,0,1]
	v_add_nc_u32_e32 v131, 1, v131
	v_pk_fma_f32 v[132:133], v[134:135], v[132:133], v[136:137] neg_lo:[0,0,1] neg_hi:[0,0,1]
	v_mov_b32_e32 v133, v139
	s_delay_alu instid0(VALU_DEP_3) | instskip(NEXT) | instid1(VALU_DEP_2)
	v_cmp_lt_u32_e32 vcc_lo, 11, v131
	v_pk_add_f32 v[126:127], v[126:127], v[132:133]
	s_or_b32 s5, vcc_lo, s5
	s_delay_alu instid0(SALU_CYCLE_1)
	s_and_not1_b32 exec_lo, exec_lo, s5
	s_cbranch_execnz .LBB124_727
; %bb.728:
	s_or_b32 exec_lo, exec_lo, s5
.LBB124_729:
	s_delay_alu instid0(SALU_CYCLE_1) | instskip(SKIP_4) | instid1(VALU_DEP_1)
	s_or_b32 exec_lo, exec_lo, s4
	v_mov_b32_e32 v129, 0
	ds_load_b64 v[130:131], v129 offset:104
	s_wait_dscnt 0x0
	v_pk_mul_f32 v[132:133], v[126:127], v[130:131] op_sel:[1,1] op_sel_hi:[0,1]
	v_pk_fma_f32 v[134:135], v[126:127], v[130:131], v[132:133] op_sel_hi:[1,0,1]
	v_pk_fma_f32 v[126:127], v[126:127], v[130:131], v[132:133] neg_lo:[0,0,1] neg_hi:[0,0,1]
	s_delay_alu instid0(VALU_DEP_2)
	v_mov_b32_e32 v127, v135
	scratch_store_b64 off, v[126:127], off offset:104
.LBB124_730:
	s_wait_xcnt 0x0
	s_or_b32 exec_lo, exec_lo, s0
	scratch_load_b64 v[126:127], off, off offset:112
	s_mov_b32 s0, exec_lo
	s_wait_loadcnt 0x0
	ds_store_b64 v1, v[126:127]
	s_wait_storecnt_dscnt 0x0
	s_barrier_signal -1
	s_barrier_wait -1
	s_wait_xcnt 0x0
	v_cmpx_gt_u32_e32 14, v0
	s_cbranch_execz .LBB124_740
; %bb.731:
	v_cmp_ne_u32_e32 vcc_lo, 1, v128
	s_cbranch_vccnz .LBB124_733
; %bb.732:
	scratch_load_b64 v[126:127], v59, off
	ds_load_b64 v[130:131], v1
	s_wait_loadcnt_dscnt 0x0
	v_pk_mul_f32 v[132:133], v[130:131], v[126:127] op_sel:[1,1] op_sel_hi:[0,1]
	s_delay_alu instid0(VALU_DEP_1) | instskip(SKIP_1) | instid1(VALU_DEP_2)
	v_pk_fma_f32 v[134:135], v[130:131], v[126:127], v[132:133] op_sel_hi:[1,0,1]
	v_pk_fma_f32 v[126:127], v[130:131], v[126:127], v[132:133] neg_lo:[0,0,1] neg_hi:[0,0,1]
	v_mov_b32_e32 v127, v135
	s_cbranch_execz .LBB124_734
	s_branch .LBB124_735
.LBB124_733:
                                        ; implicit-def: $vgpr126_vgpr127
.LBB124_734:
	ds_load_b64 v[126:127], v1
.LBB124_735:
	s_mov_b32 s4, exec_lo
	v_cmpx_ne_u32_e32 13, v0
	s_cbranch_execz .LBB124_739
; %bb.736:
	v_add_nc_u32_e32 v129, 0x1f8, v58
	v_add3_u32 v130, 0, v58, 8
	v_mov_b32_e32 v131, v0
	s_mov_b32 s5, 0
.LBB124_737:                            ; =>This Inner Loop Header: Depth=1
	scratch_load_b64 v[132:133], v130, off
	ds_load_b64 v[134:135], v129
	s_wait_xcnt 0x0
	v_dual_add_nc_u32 v129, 8, v129 :: v_dual_add_nc_u32 v130, 8, v130
	s_wait_loadcnt_dscnt 0x0
	v_pk_mul_f32 v[136:137], v[134:135], v[132:133] op_sel:[1,1] op_sel_hi:[0,1]
	s_delay_alu instid0(VALU_DEP_1) | instskip(SKIP_2) | instid1(VALU_DEP_3)
	v_pk_fma_f32 v[138:139], v[134:135], v[132:133], v[136:137] op_sel_hi:[1,0,1]
	v_add_nc_u32_e32 v131, 1, v131
	v_pk_fma_f32 v[132:133], v[134:135], v[132:133], v[136:137] neg_lo:[0,0,1] neg_hi:[0,0,1]
	v_mov_b32_e32 v133, v139
	s_delay_alu instid0(VALU_DEP_3) | instskip(NEXT) | instid1(VALU_DEP_2)
	v_cmp_lt_u32_e32 vcc_lo, 12, v131
	v_pk_add_f32 v[126:127], v[126:127], v[132:133]
	s_or_b32 s5, vcc_lo, s5
	s_delay_alu instid0(SALU_CYCLE_1)
	s_and_not1_b32 exec_lo, exec_lo, s5
	s_cbranch_execnz .LBB124_737
; %bb.738:
	s_or_b32 exec_lo, exec_lo, s5
.LBB124_739:
	s_delay_alu instid0(SALU_CYCLE_1) | instskip(SKIP_4) | instid1(VALU_DEP_1)
	s_or_b32 exec_lo, exec_lo, s4
	v_mov_b32_e32 v129, 0
	ds_load_b64 v[130:131], v129 offset:112
	s_wait_dscnt 0x0
	v_pk_mul_f32 v[132:133], v[126:127], v[130:131] op_sel:[1,1] op_sel_hi:[0,1]
	v_pk_fma_f32 v[134:135], v[126:127], v[130:131], v[132:133] op_sel_hi:[1,0,1]
	v_pk_fma_f32 v[126:127], v[126:127], v[130:131], v[132:133] neg_lo:[0,0,1] neg_hi:[0,0,1]
	s_delay_alu instid0(VALU_DEP_2)
	v_mov_b32_e32 v127, v135
	scratch_store_b64 off, v[126:127], off offset:112
.LBB124_740:
	s_wait_xcnt 0x0
	s_or_b32 exec_lo, exec_lo, s0
	scratch_load_b64 v[126:127], off, off offset:120
	s_mov_b32 s0, exec_lo
	s_wait_loadcnt 0x0
	ds_store_b64 v1, v[126:127]
	s_wait_storecnt_dscnt 0x0
	s_barrier_signal -1
	s_barrier_wait -1
	s_wait_xcnt 0x0
	v_cmpx_gt_u32_e32 15, v0
	s_cbranch_execz .LBB124_750
; %bb.741:
	v_cmp_ne_u32_e32 vcc_lo, 1, v128
	s_cbranch_vccnz .LBB124_743
; %bb.742:
	scratch_load_b64 v[126:127], v59, off
	ds_load_b64 v[130:131], v1
	s_wait_loadcnt_dscnt 0x0
	v_pk_mul_f32 v[132:133], v[130:131], v[126:127] op_sel:[1,1] op_sel_hi:[0,1]
	s_delay_alu instid0(VALU_DEP_1) | instskip(SKIP_1) | instid1(VALU_DEP_2)
	v_pk_fma_f32 v[134:135], v[130:131], v[126:127], v[132:133] op_sel_hi:[1,0,1]
	v_pk_fma_f32 v[126:127], v[130:131], v[126:127], v[132:133] neg_lo:[0,0,1] neg_hi:[0,0,1]
	v_mov_b32_e32 v127, v135
	s_cbranch_execz .LBB124_744
	s_branch .LBB124_745
.LBB124_743:
                                        ; implicit-def: $vgpr126_vgpr127
.LBB124_744:
	ds_load_b64 v[126:127], v1
.LBB124_745:
	s_mov_b32 s4, exec_lo
	v_cmpx_ne_u32_e32 14, v0
	s_cbranch_execz .LBB124_749
; %bb.746:
	v_add_nc_u32_e32 v129, 0x1f8, v58
	v_add3_u32 v130, 0, v58, 8
	v_mov_b32_e32 v131, v0
	s_mov_b32 s5, 0
.LBB124_747:                            ; =>This Inner Loop Header: Depth=1
	scratch_load_b64 v[132:133], v130, off
	ds_load_b64 v[134:135], v129
	s_wait_xcnt 0x0
	v_dual_add_nc_u32 v129, 8, v129 :: v_dual_add_nc_u32 v130, 8, v130
	s_wait_loadcnt_dscnt 0x0
	v_pk_mul_f32 v[136:137], v[134:135], v[132:133] op_sel:[1,1] op_sel_hi:[0,1]
	s_delay_alu instid0(VALU_DEP_1) | instskip(SKIP_2) | instid1(VALU_DEP_3)
	v_pk_fma_f32 v[138:139], v[134:135], v[132:133], v[136:137] op_sel_hi:[1,0,1]
	v_add_nc_u32_e32 v131, 1, v131
	v_pk_fma_f32 v[132:133], v[134:135], v[132:133], v[136:137] neg_lo:[0,0,1] neg_hi:[0,0,1]
	v_mov_b32_e32 v133, v139
	s_delay_alu instid0(VALU_DEP_3) | instskip(NEXT) | instid1(VALU_DEP_2)
	v_cmp_lt_u32_e32 vcc_lo, 13, v131
	v_pk_add_f32 v[126:127], v[126:127], v[132:133]
	s_or_b32 s5, vcc_lo, s5
	s_delay_alu instid0(SALU_CYCLE_1)
	s_and_not1_b32 exec_lo, exec_lo, s5
	s_cbranch_execnz .LBB124_747
; %bb.748:
	s_or_b32 exec_lo, exec_lo, s5
.LBB124_749:
	s_delay_alu instid0(SALU_CYCLE_1) | instskip(SKIP_4) | instid1(VALU_DEP_1)
	s_or_b32 exec_lo, exec_lo, s4
	v_mov_b32_e32 v129, 0
	ds_load_b64 v[130:131], v129 offset:120
	s_wait_dscnt 0x0
	v_pk_mul_f32 v[132:133], v[126:127], v[130:131] op_sel:[1,1] op_sel_hi:[0,1]
	v_pk_fma_f32 v[134:135], v[126:127], v[130:131], v[132:133] op_sel_hi:[1,0,1]
	v_pk_fma_f32 v[126:127], v[126:127], v[130:131], v[132:133] neg_lo:[0,0,1] neg_hi:[0,0,1]
	s_delay_alu instid0(VALU_DEP_2)
	v_mov_b32_e32 v127, v135
	scratch_store_b64 off, v[126:127], off offset:120
.LBB124_750:
	s_wait_xcnt 0x0
	s_or_b32 exec_lo, exec_lo, s0
	scratch_load_b64 v[126:127], off, off offset:128
	s_mov_b32 s0, exec_lo
	s_wait_loadcnt 0x0
	ds_store_b64 v1, v[126:127]
	s_wait_storecnt_dscnt 0x0
	s_barrier_signal -1
	s_barrier_wait -1
	s_wait_xcnt 0x0
	v_cmpx_gt_u32_e32 16, v0
	s_cbranch_execz .LBB124_760
; %bb.751:
	v_cmp_ne_u32_e32 vcc_lo, 1, v128
	s_cbranch_vccnz .LBB124_753
; %bb.752:
	scratch_load_b64 v[126:127], v59, off
	ds_load_b64 v[130:131], v1
	s_wait_loadcnt_dscnt 0x0
	v_pk_mul_f32 v[132:133], v[130:131], v[126:127] op_sel:[1,1] op_sel_hi:[0,1]
	s_delay_alu instid0(VALU_DEP_1) | instskip(SKIP_1) | instid1(VALU_DEP_2)
	v_pk_fma_f32 v[134:135], v[130:131], v[126:127], v[132:133] op_sel_hi:[1,0,1]
	v_pk_fma_f32 v[126:127], v[130:131], v[126:127], v[132:133] neg_lo:[0,0,1] neg_hi:[0,0,1]
	v_mov_b32_e32 v127, v135
	s_cbranch_execz .LBB124_754
	s_branch .LBB124_755
.LBB124_753:
                                        ; implicit-def: $vgpr126_vgpr127
.LBB124_754:
	ds_load_b64 v[126:127], v1
.LBB124_755:
	s_mov_b32 s4, exec_lo
	v_cmpx_ne_u32_e32 15, v0
	s_cbranch_execz .LBB124_759
; %bb.756:
	v_add_nc_u32_e32 v129, 0x1f8, v58
	v_add3_u32 v130, 0, v58, 8
	v_mov_b32_e32 v131, v0
	s_mov_b32 s5, 0
.LBB124_757:                            ; =>This Inner Loop Header: Depth=1
	scratch_load_b64 v[132:133], v130, off
	ds_load_b64 v[134:135], v129
	s_wait_xcnt 0x0
	v_dual_add_nc_u32 v129, 8, v129 :: v_dual_add_nc_u32 v130, 8, v130
	s_wait_loadcnt_dscnt 0x0
	v_pk_mul_f32 v[136:137], v[134:135], v[132:133] op_sel:[1,1] op_sel_hi:[0,1]
	s_delay_alu instid0(VALU_DEP_1) | instskip(SKIP_2) | instid1(VALU_DEP_3)
	v_pk_fma_f32 v[138:139], v[134:135], v[132:133], v[136:137] op_sel_hi:[1,0,1]
	v_add_nc_u32_e32 v131, 1, v131
	v_pk_fma_f32 v[132:133], v[134:135], v[132:133], v[136:137] neg_lo:[0,0,1] neg_hi:[0,0,1]
	v_mov_b32_e32 v133, v139
	s_delay_alu instid0(VALU_DEP_3) | instskip(NEXT) | instid1(VALU_DEP_2)
	v_cmp_lt_u32_e32 vcc_lo, 14, v131
	v_pk_add_f32 v[126:127], v[126:127], v[132:133]
	s_or_b32 s5, vcc_lo, s5
	s_delay_alu instid0(SALU_CYCLE_1)
	s_and_not1_b32 exec_lo, exec_lo, s5
	s_cbranch_execnz .LBB124_757
; %bb.758:
	s_or_b32 exec_lo, exec_lo, s5
.LBB124_759:
	s_delay_alu instid0(SALU_CYCLE_1) | instskip(SKIP_4) | instid1(VALU_DEP_1)
	s_or_b32 exec_lo, exec_lo, s4
	v_mov_b32_e32 v129, 0
	ds_load_b64 v[130:131], v129 offset:128
	s_wait_dscnt 0x0
	v_pk_mul_f32 v[132:133], v[126:127], v[130:131] op_sel:[1,1] op_sel_hi:[0,1]
	v_pk_fma_f32 v[134:135], v[126:127], v[130:131], v[132:133] op_sel_hi:[1,0,1]
	v_pk_fma_f32 v[126:127], v[126:127], v[130:131], v[132:133] neg_lo:[0,0,1] neg_hi:[0,0,1]
	s_delay_alu instid0(VALU_DEP_2)
	v_mov_b32_e32 v127, v135
	scratch_store_b64 off, v[126:127], off offset:128
.LBB124_760:
	s_wait_xcnt 0x0
	s_or_b32 exec_lo, exec_lo, s0
	scratch_load_b64 v[126:127], off, off offset:136
	s_mov_b32 s0, exec_lo
	s_wait_loadcnt 0x0
	ds_store_b64 v1, v[126:127]
	s_wait_storecnt_dscnt 0x0
	s_barrier_signal -1
	s_barrier_wait -1
	s_wait_xcnt 0x0
	v_cmpx_gt_u32_e32 17, v0
	s_cbranch_execz .LBB124_770
; %bb.761:
	v_cmp_ne_u32_e32 vcc_lo, 1, v128
	s_cbranch_vccnz .LBB124_763
; %bb.762:
	scratch_load_b64 v[126:127], v59, off
	ds_load_b64 v[130:131], v1
	s_wait_loadcnt_dscnt 0x0
	v_pk_mul_f32 v[132:133], v[130:131], v[126:127] op_sel:[1,1] op_sel_hi:[0,1]
	s_delay_alu instid0(VALU_DEP_1) | instskip(SKIP_1) | instid1(VALU_DEP_2)
	v_pk_fma_f32 v[134:135], v[130:131], v[126:127], v[132:133] op_sel_hi:[1,0,1]
	v_pk_fma_f32 v[126:127], v[130:131], v[126:127], v[132:133] neg_lo:[0,0,1] neg_hi:[0,0,1]
	v_mov_b32_e32 v127, v135
	s_cbranch_execz .LBB124_764
	s_branch .LBB124_765
.LBB124_763:
                                        ; implicit-def: $vgpr126_vgpr127
.LBB124_764:
	ds_load_b64 v[126:127], v1
.LBB124_765:
	s_mov_b32 s4, exec_lo
	v_cmpx_ne_u32_e32 16, v0
	s_cbranch_execz .LBB124_769
; %bb.766:
	v_add_nc_u32_e32 v129, 0x1f8, v58
	v_add3_u32 v130, 0, v58, 8
	v_mov_b32_e32 v131, v0
	s_mov_b32 s5, 0
.LBB124_767:                            ; =>This Inner Loop Header: Depth=1
	scratch_load_b64 v[132:133], v130, off
	ds_load_b64 v[134:135], v129
	s_wait_xcnt 0x0
	v_dual_add_nc_u32 v129, 8, v129 :: v_dual_add_nc_u32 v130, 8, v130
	s_wait_loadcnt_dscnt 0x0
	v_pk_mul_f32 v[136:137], v[134:135], v[132:133] op_sel:[1,1] op_sel_hi:[0,1]
	s_delay_alu instid0(VALU_DEP_1) | instskip(SKIP_2) | instid1(VALU_DEP_3)
	v_pk_fma_f32 v[138:139], v[134:135], v[132:133], v[136:137] op_sel_hi:[1,0,1]
	v_add_nc_u32_e32 v131, 1, v131
	v_pk_fma_f32 v[132:133], v[134:135], v[132:133], v[136:137] neg_lo:[0,0,1] neg_hi:[0,0,1]
	v_mov_b32_e32 v133, v139
	s_delay_alu instid0(VALU_DEP_3) | instskip(NEXT) | instid1(VALU_DEP_2)
	v_cmp_lt_u32_e32 vcc_lo, 15, v131
	v_pk_add_f32 v[126:127], v[126:127], v[132:133]
	s_or_b32 s5, vcc_lo, s5
	s_delay_alu instid0(SALU_CYCLE_1)
	s_and_not1_b32 exec_lo, exec_lo, s5
	s_cbranch_execnz .LBB124_767
; %bb.768:
	s_or_b32 exec_lo, exec_lo, s5
.LBB124_769:
	s_delay_alu instid0(SALU_CYCLE_1) | instskip(SKIP_4) | instid1(VALU_DEP_1)
	s_or_b32 exec_lo, exec_lo, s4
	v_mov_b32_e32 v129, 0
	ds_load_b64 v[130:131], v129 offset:136
	s_wait_dscnt 0x0
	v_pk_mul_f32 v[132:133], v[126:127], v[130:131] op_sel:[1,1] op_sel_hi:[0,1]
	v_pk_fma_f32 v[134:135], v[126:127], v[130:131], v[132:133] op_sel_hi:[1,0,1]
	v_pk_fma_f32 v[126:127], v[126:127], v[130:131], v[132:133] neg_lo:[0,0,1] neg_hi:[0,0,1]
	s_delay_alu instid0(VALU_DEP_2)
	v_mov_b32_e32 v127, v135
	scratch_store_b64 off, v[126:127], off offset:136
.LBB124_770:
	s_wait_xcnt 0x0
	s_or_b32 exec_lo, exec_lo, s0
	scratch_load_b64 v[126:127], off, off offset:144
	s_mov_b32 s0, exec_lo
	s_wait_loadcnt 0x0
	ds_store_b64 v1, v[126:127]
	s_wait_storecnt_dscnt 0x0
	s_barrier_signal -1
	s_barrier_wait -1
	s_wait_xcnt 0x0
	v_cmpx_gt_u32_e32 18, v0
	s_cbranch_execz .LBB124_780
; %bb.771:
	v_cmp_ne_u32_e32 vcc_lo, 1, v128
	s_cbranch_vccnz .LBB124_773
; %bb.772:
	scratch_load_b64 v[126:127], v59, off
	ds_load_b64 v[130:131], v1
	s_wait_loadcnt_dscnt 0x0
	v_pk_mul_f32 v[132:133], v[130:131], v[126:127] op_sel:[1,1] op_sel_hi:[0,1]
	s_delay_alu instid0(VALU_DEP_1) | instskip(SKIP_1) | instid1(VALU_DEP_2)
	v_pk_fma_f32 v[134:135], v[130:131], v[126:127], v[132:133] op_sel_hi:[1,0,1]
	v_pk_fma_f32 v[126:127], v[130:131], v[126:127], v[132:133] neg_lo:[0,0,1] neg_hi:[0,0,1]
	v_mov_b32_e32 v127, v135
	s_cbranch_execz .LBB124_774
	s_branch .LBB124_775
.LBB124_773:
                                        ; implicit-def: $vgpr126_vgpr127
.LBB124_774:
	ds_load_b64 v[126:127], v1
.LBB124_775:
	s_mov_b32 s4, exec_lo
	v_cmpx_ne_u32_e32 17, v0
	s_cbranch_execz .LBB124_779
; %bb.776:
	v_add_nc_u32_e32 v129, 0x1f8, v58
	v_add3_u32 v130, 0, v58, 8
	v_mov_b32_e32 v131, v0
	s_mov_b32 s5, 0
.LBB124_777:                            ; =>This Inner Loop Header: Depth=1
	scratch_load_b64 v[132:133], v130, off
	ds_load_b64 v[134:135], v129
	s_wait_xcnt 0x0
	v_dual_add_nc_u32 v129, 8, v129 :: v_dual_add_nc_u32 v130, 8, v130
	s_wait_loadcnt_dscnt 0x0
	v_pk_mul_f32 v[136:137], v[134:135], v[132:133] op_sel:[1,1] op_sel_hi:[0,1]
	s_delay_alu instid0(VALU_DEP_1) | instskip(SKIP_2) | instid1(VALU_DEP_3)
	v_pk_fma_f32 v[138:139], v[134:135], v[132:133], v[136:137] op_sel_hi:[1,0,1]
	v_add_nc_u32_e32 v131, 1, v131
	v_pk_fma_f32 v[132:133], v[134:135], v[132:133], v[136:137] neg_lo:[0,0,1] neg_hi:[0,0,1]
	v_mov_b32_e32 v133, v139
	s_delay_alu instid0(VALU_DEP_3) | instskip(NEXT) | instid1(VALU_DEP_2)
	v_cmp_lt_u32_e32 vcc_lo, 16, v131
	v_pk_add_f32 v[126:127], v[126:127], v[132:133]
	s_or_b32 s5, vcc_lo, s5
	s_delay_alu instid0(SALU_CYCLE_1)
	s_and_not1_b32 exec_lo, exec_lo, s5
	s_cbranch_execnz .LBB124_777
; %bb.778:
	s_or_b32 exec_lo, exec_lo, s5
.LBB124_779:
	s_delay_alu instid0(SALU_CYCLE_1) | instskip(SKIP_4) | instid1(VALU_DEP_1)
	s_or_b32 exec_lo, exec_lo, s4
	v_mov_b32_e32 v129, 0
	ds_load_b64 v[130:131], v129 offset:144
	s_wait_dscnt 0x0
	v_pk_mul_f32 v[132:133], v[126:127], v[130:131] op_sel:[1,1] op_sel_hi:[0,1]
	v_pk_fma_f32 v[134:135], v[126:127], v[130:131], v[132:133] op_sel_hi:[1,0,1]
	v_pk_fma_f32 v[126:127], v[126:127], v[130:131], v[132:133] neg_lo:[0,0,1] neg_hi:[0,0,1]
	s_delay_alu instid0(VALU_DEP_2)
	v_mov_b32_e32 v127, v135
	scratch_store_b64 off, v[126:127], off offset:144
.LBB124_780:
	s_wait_xcnt 0x0
	s_or_b32 exec_lo, exec_lo, s0
	scratch_load_b64 v[126:127], off, off offset:152
	s_mov_b32 s0, exec_lo
	s_wait_loadcnt 0x0
	ds_store_b64 v1, v[126:127]
	s_wait_storecnt_dscnt 0x0
	s_barrier_signal -1
	s_barrier_wait -1
	s_wait_xcnt 0x0
	v_cmpx_gt_u32_e32 19, v0
	s_cbranch_execz .LBB124_790
; %bb.781:
	v_cmp_ne_u32_e32 vcc_lo, 1, v128
	s_cbranch_vccnz .LBB124_783
; %bb.782:
	scratch_load_b64 v[126:127], v59, off
	ds_load_b64 v[130:131], v1
	s_wait_loadcnt_dscnt 0x0
	v_pk_mul_f32 v[132:133], v[130:131], v[126:127] op_sel:[1,1] op_sel_hi:[0,1]
	s_delay_alu instid0(VALU_DEP_1) | instskip(SKIP_1) | instid1(VALU_DEP_2)
	v_pk_fma_f32 v[134:135], v[130:131], v[126:127], v[132:133] op_sel_hi:[1,0,1]
	v_pk_fma_f32 v[126:127], v[130:131], v[126:127], v[132:133] neg_lo:[0,0,1] neg_hi:[0,0,1]
	v_mov_b32_e32 v127, v135
	s_cbranch_execz .LBB124_784
	s_branch .LBB124_785
.LBB124_783:
                                        ; implicit-def: $vgpr126_vgpr127
.LBB124_784:
	ds_load_b64 v[126:127], v1
.LBB124_785:
	s_mov_b32 s4, exec_lo
	v_cmpx_ne_u32_e32 18, v0
	s_cbranch_execz .LBB124_789
; %bb.786:
	v_add_nc_u32_e32 v129, 0x1f8, v58
	v_add3_u32 v130, 0, v58, 8
	v_mov_b32_e32 v131, v0
	s_mov_b32 s5, 0
.LBB124_787:                            ; =>This Inner Loop Header: Depth=1
	scratch_load_b64 v[132:133], v130, off
	ds_load_b64 v[134:135], v129
	s_wait_xcnt 0x0
	v_dual_add_nc_u32 v129, 8, v129 :: v_dual_add_nc_u32 v130, 8, v130
	s_wait_loadcnt_dscnt 0x0
	v_pk_mul_f32 v[136:137], v[134:135], v[132:133] op_sel:[1,1] op_sel_hi:[0,1]
	s_delay_alu instid0(VALU_DEP_1) | instskip(SKIP_2) | instid1(VALU_DEP_3)
	v_pk_fma_f32 v[138:139], v[134:135], v[132:133], v[136:137] op_sel_hi:[1,0,1]
	v_add_nc_u32_e32 v131, 1, v131
	v_pk_fma_f32 v[132:133], v[134:135], v[132:133], v[136:137] neg_lo:[0,0,1] neg_hi:[0,0,1]
	v_mov_b32_e32 v133, v139
	s_delay_alu instid0(VALU_DEP_3) | instskip(NEXT) | instid1(VALU_DEP_2)
	v_cmp_lt_u32_e32 vcc_lo, 17, v131
	v_pk_add_f32 v[126:127], v[126:127], v[132:133]
	s_or_b32 s5, vcc_lo, s5
	s_delay_alu instid0(SALU_CYCLE_1)
	s_and_not1_b32 exec_lo, exec_lo, s5
	s_cbranch_execnz .LBB124_787
; %bb.788:
	s_or_b32 exec_lo, exec_lo, s5
.LBB124_789:
	s_delay_alu instid0(SALU_CYCLE_1) | instskip(SKIP_4) | instid1(VALU_DEP_1)
	s_or_b32 exec_lo, exec_lo, s4
	v_mov_b32_e32 v129, 0
	ds_load_b64 v[130:131], v129 offset:152
	s_wait_dscnt 0x0
	v_pk_mul_f32 v[132:133], v[126:127], v[130:131] op_sel:[1,1] op_sel_hi:[0,1]
	v_pk_fma_f32 v[134:135], v[126:127], v[130:131], v[132:133] op_sel_hi:[1,0,1]
	v_pk_fma_f32 v[126:127], v[126:127], v[130:131], v[132:133] neg_lo:[0,0,1] neg_hi:[0,0,1]
	s_delay_alu instid0(VALU_DEP_2)
	v_mov_b32_e32 v127, v135
	scratch_store_b64 off, v[126:127], off offset:152
.LBB124_790:
	s_wait_xcnt 0x0
	s_or_b32 exec_lo, exec_lo, s0
	scratch_load_b64 v[126:127], off, off offset:160
	s_mov_b32 s0, exec_lo
	s_wait_loadcnt 0x0
	ds_store_b64 v1, v[126:127]
	s_wait_storecnt_dscnt 0x0
	s_barrier_signal -1
	s_barrier_wait -1
	s_wait_xcnt 0x0
	v_cmpx_gt_u32_e32 20, v0
	s_cbranch_execz .LBB124_800
; %bb.791:
	v_cmp_ne_u32_e32 vcc_lo, 1, v128
	s_cbranch_vccnz .LBB124_793
; %bb.792:
	scratch_load_b64 v[126:127], v59, off
	ds_load_b64 v[130:131], v1
	s_wait_loadcnt_dscnt 0x0
	v_pk_mul_f32 v[132:133], v[130:131], v[126:127] op_sel:[1,1] op_sel_hi:[0,1]
	s_delay_alu instid0(VALU_DEP_1) | instskip(SKIP_1) | instid1(VALU_DEP_2)
	v_pk_fma_f32 v[134:135], v[130:131], v[126:127], v[132:133] op_sel_hi:[1,0,1]
	v_pk_fma_f32 v[126:127], v[130:131], v[126:127], v[132:133] neg_lo:[0,0,1] neg_hi:[0,0,1]
	v_mov_b32_e32 v127, v135
	s_cbranch_execz .LBB124_794
	s_branch .LBB124_795
.LBB124_793:
                                        ; implicit-def: $vgpr126_vgpr127
.LBB124_794:
	ds_load_b64 v[126:127], v1
.LBB124_795:
	s_mov_b32 s4, exec_lo
	v_cmpx_ne_u32_e32 19, v0
	s_cbranch_execz .LBB124_799
; %bb.796:
	v_add_nc_u32_e32 v129, 0x1f8, v58
	v_add3_u32 v130, 0, v58, 8
	v_mov_b32_e32 v131, v0
	s_mov_b32 s5, 0
.LBB124_797:                            ; =>This Inner Loop Header: Depth=1
	scratch_load_b64 v[132:133], v130, off
	ds_load_b64 v[134:135], v129
	s_wait_xcnt 0x0
	v_dual_add_nc_u32 v129, 8, v129 :: v_dual_add_nc_u32 v130, 8, v130
	s_wait_loadcnt_dscnt 0x0
	v_pk_mul_f32 v[136:137], v[134:135], v[132:133] op_sel:[1,1] op_sel_hi:[0,1]
	s_delay_alu instid0(VALU_DEP_1) | instskip(SKIP_2) | instid1(VALU_DEP_3)
	v_pk_fma_f32 v[138:139], v[134:135], v[132:133], v[136:137] op_sel_hi:[1,0,1]
	v_add_nc_u32_e32 v131, 1, v131
	v_pk_fma_f32 v[132:133], v[134:135], v[132:133], v[136:137] neg_lo:[0,0,1] neg_hi:[0,0,1]
	v_mov_b32_e32 v133, v139
	s_delay_alu instid0(VALU_DEP_3) | instskip(NEXT) | instid1(VALU_DEP_2)
	v_cmp_lt_u32_e32 vcc_lo, 18, v131
	v_pk_add_f32 v[126:127], v[126:127], v[132:133]
	s_or_b32 s5, vcc_lo, s5
	s_delay_alu instid0(SALU_CYCLE_1)
	s_and_not1_b32 exec_lo, exec_lo, s5
	s_cbranch_execnz .LBB124_797
; %bb.798:
	s_or_b32 exec_lo, exec_lo, s5
.LBB124_799:
	s_delay_alu instid0(SALU_CYCLE_1) | instskip(SKIP_4) | instid1(VALU_DEP_1)
	s_or_b32 exec_lo, exec_lo, s4
	v_mov_b32_e32 v129, 0
	ds_load_b64 v[130:131], v129 offset:160
	s_wait_dscnt 0x0
	v_pk_mul_f32 v[132:133], v[126:127], v[130:131] op_sel:[1,1] op_sel_hi:[0,1]
	v_pk_fma_f32 v[134:135], v[126:127], v[130:131], v[132:133] op_sel_hi:[1,0,1]
	v_pk_fma_f32 v[126:127], v[126:127], v[130:131], v[132:133] neg_lo:[0,0,1] neg_hi:[0,0,1]
	s_delay_alu instid0(VALU_DEP_2)
	v_mov_b32_e32 v127, v135
	scratch_store_b64 off, v[126:127], off offset:160
.LBB124_800:
	s_wait_xcnt 0x0
	s_or_b32 exec_lo, exec_lo, s0
	scratch_load_b64 v[126:127], off, off offset:168
	s_mov_b32 s0, exec_lo
	s_wait_loadcnt 0x0
	ds_store_b64 v1, v[126:127]
	s_wait_storecnt_dscnt 0x0
	s_barrier_signal -1
	s_barrier_wait -1
	s_wait_xcnt 0x0
	v_cmpx_gt_u32_e32 21, v0
	s_cbranch_execz .LBB124_810
; %bb.801:
	v_cmp_ne_u32_e32 vcc_lo, 1, v128
	s_cbranch_vccnz .LBB124_803
; %bb.802:
	scratch_load_b64 v[126:127], v59, off
	ds_load_b64 v[130:131], v1
	s_wait_loadcnt_dscnt 0x0
	v_pk_mul_f32 v[132:133], v[130:131], v[126:127] op_sel:[1,1] op_sel_hi:[0,1]
	s_delay_alu instid0(VALU_DEP_1) | instskip(SKIP_1) | instid1(VALU_DEP_2)
	v_pk_fma_f32 v[134:135], v[130:131], v[126:127], v[132:133] op_sel_hi:[1,0,1]
	v_pk_fma_f32 v[126:127], v[130:131], v[126:127], v[132:133] neg_lo:[0,0,1] neg_hi:[0,0,1]
	v_mov_b32_e32 v127, v135
	s_cbranch_execz .LBB124_804
	s_branch .LBB124_805
.LBB124_803:
                                        ; implicit-def: $vgpr126_vgpr127
.LBB124_804:
	ds_load_b64 v[126:127], v1
.LBB124_805:
	s_mov_b32 s4, exec_lo
	v_cmpx_ne_u32_e32 20, v0
	s_cbranch_execz .LBB124_809
; %bb.806:
	v_add_nc_u32_e32 v129, 0x1f8, v58
	v_add3_u32 v130, 0, v58, 8
	v_mov_b32_e32 v131, v0
	s_mov_b32 s5, 0
.LBB124_807:                            ; =>This Inner Loop Header: Depth=1
	scratch_load_b64 v[132:133], v130, off
	ds_load_b64 v[134:135], v129
	s_wait_xcnt 0x0
	v_dual_add_nc_u32 v129, 8, v129 :: v_dual_add_nc_u32 v130, 8, v130
	s_wait_loadcnt_dscnt 0x0
	v_pk_mul_f32 v[136:137], v[134:135], v[132:133] op_sel:[1,1] op_sel_hi:[0,1]
	s_delay_alu instid0(VALU_DEP_1) | instskip(SKIP_2) | instid1(VALU_DEP_3)
	v_pk_fma_f32 v[138:139], v[134:135], v[132:133], v[136:137] op_sel_hi:[1,0,1]
	v_add_nc_u32_e32 v131, 1, v131
	v_pk_fma_f32 v[132:133], v[134:135], v[132:133], v[136:137] neg_lo:[0,0,1] neg_hi:[0,0,1]
	v_mov_b32_e32 v133, v139
	s_delay_alu instid0(VALU_DEP_3) | instskip(NEXT) | instid1(VALU_DEP_2)
	v_cmp_lt_u32_e32 vcc_lo, 19, v131
	v_pk_add_f32 v[126:127], v[126:127], v[132:133]
	s_or_b32 s5, vcc_lo, s5
	s_delay_alu instid0(SALU_CYCLE_1)
	s_and_not1_b32 exec_lo, exec_lo, s5
	s_cbranch_execnz .LBB124_807
; %bb.808:
	s_or_b32 exec_lo, exec_lo, s5
.LBB124_809:
	s_delay_alu instid0(SALU_CYCLE_1) | instskip(SKIP_4) | instid1(VALU_DEP_1)
	s_or_b32 exec_lo, exec_lo, s4
	v_mov_b32_e32 v129, 0
	ds_load_b64 v[130:131], v129 offset:168
	s_wait_dscnt 0x0
	v_pk_mul_f32 v[132:133], v[126:127], v[130:131] op_sel:[1,1] op_sel_hi:[0,1]
	v_pk_fma_f32 v[134:135], v[126:127], v[130:131], v[132:133] op_sel_hi:[1,0,1]
	v_pk_fma_f32 v[126:127], v[126:127], v[130:131], v[132:133] neg_lo:[0,0,1] neg_hi:[0,0,1]
	s_delay_alu instid0(VALU_DEP_2)
	v_mov_b32_e32 v127, v135
	scratch_store_b64 off, v[126:127], off offset:168
.LBB124_810:
	s_wait_xcnt 0x0
	s_or_b32 exec_lo, exec_lo, s0
	scratch_load_b64 v[126:127], off, off offset:176
	s_mov_b32 s0, exec_lo
	s_wait_loadcnt 0x0
	ds_store_b64 v1, v[126:127]
	s_wait_storecnt_dscnt 0x0
	s_barrier_signal -1
	s_barrier_wait -1
	s_wait_xcnt 0x0
	v_cmpx_gt_u32_e32 22, v0
	s_cbranch_execz .LBB124_820
; %bb.811:
	v_cmp_ne_u32_e32 vcc_lo, 1, v128
	s_cbranch_vccnz .LBB124_813
; %bb.812:
	scratch_load_b64 v[126:127], v59, off
	ds_load_b64 v[130:131], v1
	s_wait_loadcnt_dscnt 0x0
	v_pk_mul_f32 v[132:133], v[130:131], v[126:127] op_sel:[1,1] op_sel_hi:[0,1]
	s_delay_alu instid0(VALU_DEP_1) | instskip(SKIP_1) | instid1(VALU_DEP_2)
	v_pk_fma_f32 v[134:135], v[130:131], v[126:127], v[132:133] op_sel_hi:[1,0,1]
	v_pk_fma_f32 v[126:127], v[130:131], v[126:127], v[132:133] neg_lo:[0,0,1] neg_hi:[0,0,1]
	v_mov_b32_e32 v127, v135
	s_cbranch_execz .LBB124_814
	s_branch .LBB124_815
.LBB124_813:
                                        ; implicit-def: $vgpr126_vgpr127
.LBB124_814:
	ds_load_b64 v[126:127], v1
.LBB124_815:
	s_mov_b32 s4, exec_lo
	v_cmpx_ne_u32_e32 21, v0
	s_cbranch_execz .LBB124_819
; %bb.816:
	v_add_nc_u32_e32 v129, 0x1f8, v58
	v_add3_u32 v130, 0, v58, 8
	v_mov_b32_e32 v131, v0
	s_mov_b32 s5, 0
.LBB124_817:                            ; =>This Inner Loop Header: Depth=1
	scratch_load_b64 v[132:133], v130, off
	ds_load_b64 v[134:135], v129
	s_wait_xcnt 0x0
	v_dual_add_nc_u32 v129, 8, v129 :: v_dual_add_nc_u32 v130, 8, v130
	s_wait_loadcnt_dscnt 0x0
	v_pk_mul_f32 v[136:137], v[134:135], v[132:133] op_sel:[1,1] op_sel_hi:[0,1]
	s_delay_alu instid0(VALU_DEP_1) | instskip(SKIP_2) | instid1(VALU_DEP_3)
	v_pk_fma_f32 v[138:139], v[134:135], v[132:133], v[136:137] op_sel_hi:[1,0,1]
	v_add_nc_u32_e32 v131, 1, v131
	v_pk_fma_f32 v[132:133], v[134:135], v[132:133], v[136:137] neg_lo:[0,0,1] neg_hi:[0,0,1]
	v_mov_b32_e32 v133, v139
	s_delay_alu instid0(VALU_DEP_3) | instskip(NEXT) | instid1(VALU_DEP_2)
	v_cmp_lt_u32_e32 vcc_lo, 20, v131
	v_pk_add_f32 v[126:127], v[126:127], v[132:133]
	s_or_b32 s5, vcc_lo, s5
	s_delay_alu instid0(SALU_CYCLE_1)
	s_and_not1_b32 exec_lo, exec_lo, s5
	s_cbranch_execnz .LBB124_817
; %bb.818:
	s_or_b32 exec_lo, exec_lo, s5
.LBB124_819:
	s_delay_alu instid0(SALU_CYCLE_1) | instskip(SKIP_4) | instid1(VALU_DEP_1)
	s_or_b32 exec_lo, exec_lo, s4
	v_mov_b32_e32 v129, 0
	ds_load_b64 v[130:131], v129 offset:176
	s_wait_dscnt 0x0
	v_pk_mul_f32 v[132:133], v[126:127], v[130:131] op_sel:[1,1] op_sel_hi:[0,1]
	v_pk_fma_f32 v[134:135], v[126:127], v[130:131], v[132:133] op_sel_hi:[1,0,1]
	v_pk_fma_f32 v[126:127], v[126:127], v[130:131], v[132:133] neg_lo:[0,0,1] neg_hi:[0,0,1]
	s_delay_alu instid0(VALU_DEP_2)
	v_mov_b32_e32 v127, v135
	scratch_store_b64 off, v[126:127], off offset:176
.LBB124_820:
	s_wait_xcnt 0x0
	s_or_b32 exec_lo, exec_lo, s0
	scratch_load_b64 v[126:127], off, off offset:184
	s_mov_b32 s0, exec_lo
	s_wait_loadcnt 0x0
	ds_store_b64 v1, v[126:127]
	s_wait_storecnt_dscnt 0x0
	s_barrier_signal -1
	s_barrier_wait -1
	s_wait_xcnt 0x0
	v_cmpx_gt_u32_e32 23, v0
	s_cbranch_execz .LBB124_830
; %bb.821:
	v_cmp_ne_u32_e32 vcc_lo, 1, v128
	s_cbranch_vccnz .LBB124_823
; %bb.822:
	scratch_load_b64 v[126:127], v59, off
	ds_load_b64 v[130:131], v1
	s_wait_loadcnt_dscnt 0x0
	v_pk_mul_f32 v[132:133], v[130:131], v[126:127] op_sel:[1,1] op_sel_hi:[0,1]
	s_delay_alu instid0(VALU_DEP_1) | instskip(SKIP_1) | instid1(VALU_DEP_2)
	v_pk_fma_f32 v[134:135], v[130:131], v[126:127], v[132:133] op_sel_hi:[1,0,1]
	v_pk_fma_f32 v[126:127], v[130:131], v[126:127], v[132:133] neg_lo:[0,0,1] neg_hi:[0,0,1]
	v_mov_b32_e32 v127, v135
	s_cbranch_execz .LBB124_824
	s_branch .LBB124_825
.LBB124_823:
                                        ; implicit-def: $vgpr126_vgpr127
.LBB124_824:
	ds_load_b64 v[126:127], v1
.LBB124_825:
	s_mov_b32 s4, exec_lo
	v_cmpx_ne_u32_e32 22, v0
	s_cbranch_execz .LBB124_829
; %bb.826:
	v_add_nc_u32_e32 v129, 0x1f8, v58
	v_add3_u32 v130, 0, v58, 8
	v_mov_b32_e32 v131, v0
	s_mov_b32 s5, 0
.LBB124_827:                            ; =>This Inner Loop Header: Depth=1
	scratch_load_b64 v[132:133], v130, off
	ds_load_b64 v[134:135], v129
	s_wait_xcnt 0x0
	v_dual_add_nc_u32 v129, 8, v129 :: v_dual_add_nc_u32 v130, 8, v130
	s_wait_loadcnt_dscnt 0x0
	v_pk_mul_f32 v[136:137], v[134:135], v[132:133] op_sel:[1,1] op_sel_hi:[0,1]
	s_delay_alu instid0(VALU_DEP_1) | instskip(SKIP_2) | instid1(VALU_DEP_3)
	v_pk_fma_f32 v[138:139], v[134:135], v[132:133], v[136:137] op_sel_hi:[1,0,1]
	v_add_nc_u32_e32 v131, 1, v131
	v_pk_fma_f32 v[132:133], v[134:135], v[132:133], v[136:137] neg_lo:[0,0,1] neg_hi:[0,0,1]
	v_mov_b32_e32 v133, v139
	s_delay_alu instid0(VALU_DEP_3) | instskip(NEXT) | instid1(VALU_DEP_2)
	v_cmp_lt_u32_e32 vcc_lo, 21, v131
	v_pk_add_f32 v[126:127], v[126:127], v[132:133]
	s_or_b32 s5, vcc_lo, s5
	s_delay_alu instid0(SALU_CYCLE_1)
	s_and_not1_b32 exec_lo, exec_lo, s5
	s_cbranch_execnz .LBB124_827
; %bb.828:
	s_or_b32 exec_lo, exec_lo, s5
.LBB124_829:
	s_delay_alu instid0(SALU_CYCLE_1) | instskip(SKIP_4) | instid1(VALU_DEP_1)
	s_or_b32 exec_lo, exec_lo, s4
	v_mov_b32_e32 v129, 0
	ds_load_b64 v[130:131], v129 offset:184
	s_wait_dscnt 0x0
	v_pk_mul_f32 v[132:133], v[126:127], v[130:131] op_sel:[1,1] op_sel_hi:[0,1]
	v_pk_fma_f32 v[134:135], v[126:127], v[130:131], v[132:133] op_sel_hi:[1,0,1]
	v_pk_fma_f32 v[126:127], v[126:127], v[130:131], v[132:133] neg_lo:[0,0,1] neg_hi:[0,0,1]
	s_delay_alu instid0(VALU_DEP_2)
	v_mov_b32_e32 v127, v135
	scratch_store_b64 off, v[126:127], off offset:184
.LBB124_830:
	s_wait_xcnt 0x0
	s_or_b32 exec_lo, exec_lo, s0
	scratch_load_b64 v[126:127], off, off offset:192
	s_mov_b32 s0, exec_lo
	s_wait_loadcnt 0x0
	ds_store_b64 v1, v[126:127]
	s_wait_storecnt_dscnt 0x0
	s_barrier_signal -1
	s_barrier_wait -1
	s_wait_xcnt 0x0
	v_cmpx_gt_u32_e32 24, v0
	s_cbranch_execz .LBB124_840
; %bb.831:
	v_cmp_ne_u32_e32 vcc_lo, 1, v128
	s_cbranch_vccnz .LBB124_833
; %bb.832:
	scratch_load_b64 v[126:127], v59, off
	ds_load_b64 v[130:131], v1
	s_wait_loadcnt_dscnt 0x0
	v_pk_mul_f32 v[132:133], v[130:131], v[126:127] op_sel:[1,1] op_sel_hi:[0,1]
	s_delay_alu instid0(VALU_DEP_1) | instskip(SKIP_1) | instid1(VALU_DEP_2)
	v_pk_fma_f32 v[134:135], v[130:131], v[126:127], v[132:133] op_sel_hi:[1,0,1]
	v_pk_fma_f32 v[126:127], v[130:131], v[126:127], v[132:133] neg_lo:[0,0,1] neg_hi:[0,0,1]
	v_mov_b32_e32 v127, v135
	s_cbranch_execz .LBB124_834
	s_branch .LBB124_835
.LBB124_833:
                                        ; implicit-def: $vgpr126_vgpr127
.LBB124_834:
	ds_load_b64 v[126:127], v1
.LBB124_835:
	s_mov_b32 s4, exec_lo
	v_cmpx_ne_u32_e32 23, v0
	s_cbranch_execz .LBB124_839
; %bb.836:
	v_add_nc_u32_e32 v129, 0x1f8, v58
	v_add3_u32 v130, 0, v58, 8
	v_mov_b32_e32 v131, v0
	s_mov_b32 s5, 0
.LBB124_837:                            ; =>This Inner Loop Header: Depth=1
	scratch_load_b64 v[132:133], v130, off
	ds_load_b64 v[134:135], v129
	s_wait_xcnt 0x0
	v_dual_add_nc_u32 v129, 8, v129 :: v_dual_add_nc_u32 v130, 8, v130
	s_wait_loadcnt_dscnt 0x0
	v_pk_mul_f32 v[136:137], v[134:135], v[132:133] op_sel:[1,1] op_sel_hi:[0,1]
	s_delay_alu instid0(VALU_DEP_1) | instskip(SKIP_2) | instid1(VALU_DEP_3)
	v_pk_fma_f32 v[138:139], v[134:135], v[132:133], v[136:137] op_sel_hi:[1,0,1]
	v_add_nc_u32_e32 v131, 1, v131
	v_pk_fma_f32 v[132:133], v[134:135], v[132:133], v[136:137] neg_lo:[0,0,1] neg_hi:[0,0,1]
	v_mov_b32_e32 v133, v139
	s_delay_alu instid0(VALU_DEP_3) | instskip(NEXT) | instid1(VALU_DEP_2)
	v_cmp_lt_u32_e32 vcc_lo, 22, v131
	v_pk_add_f32 v[126:127], v[126:127], v[132:133]
	s_or_b32 s5, vcc_lo, s5
	s_delay_alu instid0(SALU_CYCLE_1)
	s_and_not1_b32 exec_lo, exec_lo, s5
	s_cbranch_execnz .LBB124_837
; %bb.838:
	s_or_b32 exec_lo, exec_lo, s5
.LBB124_839:
	s_delay_alu instid0(SALU_CYCLE_1) | instskip(SKIP_4) | instid1(VALU_DEP_1)
	s_or_b32 exec_lo, exec_lo, s4
	v_mov_b32_e32 v129, 0
	ds_load_b64 v[130:131], v129 offset:192
	s_wait_dscnt 0x0
	v_pk_mul_f32 v[132:133], v[126:127], v[130:131] op_sel:[1,1] op_sel_hi:[0,1]
	v_pk_fma_f32 v[134:135], v[126:127], v[130:131], v[132:133] op_sel_hi:[1,0,1]
	v_pk_fma_f32 v[126:127], v[126:127], v[130:131], v[132:133] neg_lo:[0,0,1] neg_hi:[0,0,1]
	s_delay_alu instid0(VALU_DEP_2)
	v_mov_b32_e32 v127, v135
	scratch_store_b64 off, v[126:127], off offset:192
.LBB124_840:
	s_wait_xcnt 0x0
	s_or_b32 exec_lo, exec_lo, s0
	scratch_load_b64 v[126:127], off, off offset:200
	s_mov_b32 s0, exec_lo
	s_wait_loadcnt 0x0
	ds_store_b64 v1, v[126:127]
	s_wait_storecnt_dscnt 0x0
	s_barrier_signal -1
	s_barrier_wait -1
	s_wait_xcnt 0x0
	v_cmpx_gt_u32_e32 25, v0
	s_cbranch_execz .LBB124_850
; %bb.841:
	v_cmp_ne_u32_e32 vcc_lo, 1, v128
	s_cbranch_vccnz .LBB124_843
; %bb.842:
	scratch_load_b64 v[126:127], v59, off
	ds_load_b64 v[130:131], v1
	s_wait_loadcnt_dscnt 0x0
	v_pk_mul_f32 v[132:133], v[130:131], v[126:127] op_sel:[1,1] op_sel_hi:[0,1]
	s_delay_alu instid0(VALU_DEP_1) | instskip(SKIP_1) | instid1(VALU_DEP_2)
	v_pk_fma_f32 v[134:135], v[130:131], v[126:127], v[132:133] op_sel_hi:[1,0,1]
	v_pk_fma_f32 v[126:127], v[130:131], v[126:127], v[132:133] neg_lo:[0,0,1] neg_hi:[0,0,1]
	v_mov_b32_e32 v127, v135
	s_cbranch_execz .LBB124_844
	s_branch .LBB124_845
.LBB124_843:
                                        ; implicit-def: $vgpr126_vgpr127
.LBB124_844:
	ds_load_b64 v[126:127], v1
.LBB124_845:
	s_mov_b32 s4, exec_lo
	v_cmpx_ne_u32_e32 24, v0
	s_cbranch_execz .LBB124_849
; %bb.846:
	v_add_nc_u32_e32 v129, 0x1f8, v58
	v_add3_u32 v130, 0, v58, 8
	v_mov_b32_e32 v131, v0
	s_mov_b32 s5, 0
.LBB124_847:                            ; =>This Inner Loop Header: Depth=1
	scratch_load_b64 v[132:133], v130, off
	ds_load_b64 v[134:135], v129
	s_wait_xcnt 0x0
	v_dual_add_nc_u32 v129, 8, v129 :: v_dual_add_nc_u32 v130, 8, v130
	s_wait_loadcnt_dscnt 0x0
	v_pk_mul_f32 v[136:137], v[134:135], v[132:133] op_sel:[1,1] op_sel_hi:[0,1]
	s_delay_alu instid0(VALU_DEP_1) | instskip(SKIP_2) | instid1(VALU_DEP_3)
	v_pk_fma_f32 v[138:139], v[134:135], v[132:133], v[136:137] op_sel_hi:[1,0,1]
	v_add_nc_u32_e32 v131, 1, v131
	v_pk_fma_f32 v[132:133], v[134:135], v[132:133], v[136:137] neg_lo:[0,0,1] neg_hi:[0,0,1]
	v_mov_b32_e32 v133, v139
	s_delay_alu instid0(VALU_DEP_3) | instskip(NEXT) | instid1(VALU_DEP_2)
	v_cmp_lt_u32_e32 vcc_lo, 23, v131
	v_pk_add_f32 v[126:127], v[126:127], v[132:133]
	s_or_b32 s5, vcc_lo, s5
	s_delay_alu instid0(SALU_CYCLE_1)
	s_and_not1_b32 exec_lo, exec_lo, s5
	s_cbranch_execnz .LBB124_847
; %bb.848:
	s_or_b32 exec_lo, exec_lo, s5
.LBB124_849:
	s_delay_alu instid0(SALU_CYCLE_1) | instskip(SKIP_4) | instid1(VALU_DEP_1)
	s_or_b32 exec_lo, exec_lo, s4
	v_mov_b32_e32 v129, 0
	ds_load_b64 v[130:131], v129 offset:200
	s_wait_dscnt 0x0
	v_pk_mul_f32 v[132:133], v[126:127], v[130:131] op_sel:[1,1] op_sel_hi:[0,1]
	v_pk_fma_f32 v[134:135], v[126:127], v[130:131], v[132:133] op_sel_hi:[1,0,1]
	v_pk_fma_f32 v[126:127], v[126:127], v[130:131], v[132:133] neg_lo:[0,0,1] neg_hi:[0,0,1]
	s_delay_alu instid0(VALU_DEP_2)
	v_mov_b32_e32 v127, v135
	scratch_store_b64 off, v[126:127], off offset:200
.LBB124_850:
	s_wait_xcnt 0x0
	s_or_b32 exec_lo, exec_lo, s0
	scratch_load_b64 v[126:127], off, off offset:208
	s_mov_b32 s0, exec_lo
	s_wait_loadcnt 0x0
	ds_store_b64 v1, v[126:127]
	s_wait_storecnt_dscnt 0x0
	s_barrier_signal -1
	s_barrier_wait -1
	s_wait_xcnt 0x0
	v_cmpx_gt_u32_e32 26, v0
	s_cbranch_execz .LBB124_860
; %bb.851:
	v_cmp_ne_u32_e32 vcc_lo, 1, v128
	s_cbranch_vccnz .LBB124_853
; %bb.852:
	scratch_load_b64 v[126:127], v59, off
	ds_load_b64 v[130:131], v1
	s_wait_loadcnt_dscnt 0x0
	v_pk_mul_f32 v[132:133], v[130:131], v[126:127] op_sel:[1,1] op_sel_hi:[0,1]
	s_delay_alu instid0(VALU_DEP_1) | instskip(SKIP_1) | instid1(VALU_DEP_2)
	v_pk_fma_f32 v[134:135], v[130:131], v[126:127], v[132:133] op_sel_hi:[1,0,1]
	v_pk_fma_f32 v[126:127], v[130:131], v[126:127], v[132:133] neg_lo:[0,0,1] neg_hi:[0,0,1]
	v_mov_b32_e32 v127, v135
	s_cbranch_execz .LBB124_854
	s_branch .LBB124_855
.LBB124_853:
                                        ; implicit-def: $vgpr126_vgpr127
.LBB124_854:
	ds_load_b64 v[126:127], v1
.LBB124_855:
	s_mov_b32 s4, exec_lo
	v_cmpx_ne_u32_e32 25, v0
	s_cbranch_execz .LBB124_859
; %bb.856:
	v_add_nc_u32_e32 v129, 0x1f8, v58
	v_add3_u32 v130, 0, v58, 8
	v_mov_b32_e32 v131, v0
	s_mov_b32 s5, 0
.LBB124_857:                            ; =>This Inner Loop Header: Depth=1
	scratch_load_b64 v[132:133], v130, off
	ds_load_b64 v[134:135], v129
	s_wait_xcnt 0x0
	v_dual_add_nc_u32 v129, 8, v129 :: v_dual_add_nc_u32 v130, 8, v130
	s_wait_loadcnt_dscnt 0x0
	v_pk_mul_f32 v[136:137], v[134:135], v[132:133] op_sel:[1,1] op_sel_hi:[0,1]
	s_delay_alu instid0(VALU_DEP_1) | instskip(SKIP_2) | instid1(VALU_DEP_3)
	v_pk_fma_f32 v[138:139], v[134:135], v[132:133], v[136:137] op_sel_hi:[1,0,1]
	v_add_nc_u32_e32 v131, 1, v131
	v_pk_fma_f32 v[132:133], v[134:135], v[132:133], v[136:137] neg_lo:[0,0,1] neg_hi:[0,0,1]
	v_mov_b32_e32 v133, v139
	s_delay_alu instid0(VALU_DEP_3) | instskip(NEXT) | instid1(VALU_DEP_2)
	v_cmp_lt_u32_e32 vcc_lo, 24, v131
	v_pk_add_f32 v[126:127], v[126:127], v[132:133]
	s_or_b32 s5, vcc_lo, s5
	s_delay_alu instid0(SALU_CYCLE_1)
	s_and_not1_b32 exec_lo, exec_lo, s5
	s_cbranch_execnz .LBB124_857
; %bb.858:
	s_or_b32 exec_lo, exec_lo, s5
.LBB124_859:
	s_delay_alu instid0(SALU_CYCLE_1) | instskip(SKIP_4) | instid1(VALU_DEP_1)
	s_or_b32 exec_lo, exec_lo, s4
	v_mov_b32_e32 v129, 0
	ds_load_b64 v[130:131], v129 offset:208
	s_wait_dscnt 0x0
	v_pk_mul_f32 v[132:133], v[126:127], v[130:131] op_sel:[1,1] op_sel_hi:[0,1]
	v_pk_fma_f32 v[134:135], v[126:127], v[130:131], v[132:133] op_sel_hi:[1,0,1]
	v_pk_fma_f32 v[126:127], v[126:127], v[130:131], v[132:133] neg_lo:[0,0,1] neg_hi:[0,0,1]
	s_delay_alu instid0(VALU_DEP_2)
	v_mov_b32_e32 v127, v135
	scratch_store_b64 off, v[126:127], off offset:208
.LBB124_860:
	s_wait_xcnt 0x0
	s_or_b32 exec_lo, exec_lo, s0
	scratch_load_b64 v[126:127], off, off offset:216
	s_mov_b32 s0, exec_lo
	s_wait_loadcnt 0x0
	ds_store_b64 v1, v[126:127]
	s_wait_storecnt_dscnt 0x0
	s_barrier_signal -1
	s_barrier_wait -1
	s_wait_xcnt 0x0
	v_cmpx_gt_u32_e32 27, v0
	s_cbranch_execz .LBB124_870
; %bb.861:
	v_cmp_ne_u32_e32 vcc_lo, 1, v128
	s_cbranch_vccnz .LBB124_863
; %bb.862:
	scratch_load_b64 v[126:127], v59, off
	ds_load_b64 v[130:131], v1
	s_wait_loadcnt_dscnt 0x0
	v_pk_mul_f32 v[132:133], v[130:131], v[126:127] op_sel:[1,1] op_sel_hi:[0,1]
	s_delay_alu instid0(VALU_DEP_1) | instskip(SKIP_1) | instid1(VALU_DEP_2)
	v_pk_fma_f32 v[134:135], v[130:131], v[126:127], v[132:133] op_sel_hi:[1,0,1]
	v_pk_fma_f32 v[126:127], v[130:131], v[126:127], v[132:133] neg_lo:[0,0,1] neg_hi:[0,0,1]
	v_mov_b32_e32 v127, v135
	s_cbranch_execz .LBB124_864
	s_branch .LBB124_865
.LBB124_863:
                                        ; implicit-def: $vgpr126_vgpr127
.LBB124_864:
	ds_load_b64 v[126:127], v1
.LBB124_865:
	s_mov_b32 s4, exec_lo
	v_cmpx_ne_u32_e32 26, v0
	s_cbranch_execz .LBB124_869
; %bb.866:
	v_add_nc_u32_e32 v129, 0x1f8, v58
	v_add3_u32 v130, 0, v58, 8
	v_mov_b32_e32 v131, v0
	s_mov_b32 s5, 0
.LBB124_867:                            ; =>This Inner Loop Header: Depth=1
	scratch_load_b64 v[132:133], v130, off
	ds_load_b64 v[134:135], v129
	s_wait_xcnt 0x0
	v_dual_add_nc_u32 v129, 8, v129 :: v_dual_add_nc_u32 v130, 8, v130
	s_wait_loadcnt_dscnt 0x0
	v_pk_mul_f32 v[136:137], v[134:135], v[132:133] op_sel:[1,1] op_sel_hi:[0,1]
	s_delay_alu instid0(VALU_DEP_1) | instskip(SKIP_2) | instid1(VALU_DEP_3)
	v_pk_fma_f32 v[138:139], v[134:135], v[132:133], v[136:137] op_sel_hi:[1,0,1]
	v_add_nc_u32_e32 v131, 1, v131
	v_pk_fma_f32 v[132:133], v[134:135], v[132:133], v[136:137] neg_lo:[0,0,1] neg_hi:[0,0,1]
	v_mov_b32_e32 v133, v139
	s_delay_alu instid0(VALU_DEP_3) | instskip(NEXT) | instid1(VALU_DEP_2)
	v_cmp_lt_u32_e32 vcc_lo, 25, v131
	v_pk_add_f32 v[126:127], v[126:127], v[132:133]
	s_or_b32 s5, vcc_lo, s5
	s_delay_alu instid0(SALU_CYCLE_1)
	s_and_not1_b32 exec_lo, exec_lo, s5
	s_cbranch_execnz .LBB124_867
; %bb.868:
	s_or_b32 exec_lo, exec_lo, s5
.LBB124_869:
	s_delay_alu instid0(SALU_CYCLE_1) | instskip(SKIP_4) | instid1(VALU_DEP_1)
	s_or_b32 exec_lo, exec_lo, s4
	v_mov_b32_e32 v129, 0
	ds_load_b64 v[130:131], v129 offset:216
	s_wait_dscnt 0x0
	v_pk_mul_f32 v[132:133], v[126:127], v[130:131] op_sel:[1,1] op_sel_hi:[0,1]
	v_pk_fma_f32 v[134:135], v[126:127], v[130:131], v[132:133] op_sel_hi:[1,0,1]
	v_pk_fma_f32 v[126:127], v[126:127], v[130:131], v[132:133] neg_lo:[0,0,1] neg_hi:[0,0,1]
	s_delay_alu instid0(VALU_DEP_2)
	v_mov_b32_e32 v127, v135
	scratch_store_b64 off, v[126:127], off offset:216
.LBB124_870:
	s_wait_xcnt 0x0
	s_or_b32 exec_lo, exec_lo, s0
	scratch_load_b64 v[126:127], off, off offset:224
	s_mov_b32 s0, exec_lo
	s_wait_loadcnt 0x0
	ds_store_b64 v1, v[126:127]
	s_wait_storecnt_dscnt 0x0
	s_barrier_signal -1
	s_barrier_wait -1
	s_wait_xcnt 0x0
	v_cmpx_gt_u32_e32 28, v0
	s_cbranch_execz .LBB124_880
; %bb.871:
	v_cmp_ne_u32_e32 vcc_lo, 1, v128
	s_cbranch_vccnz .LBB124_873
; %bb.872:
	scratch_load_b64 v[126:127], v59, off
	ds_load_b64 v[130:131], v1
	s_wait_loadcnt_dscnt 0x0
	v_pk_mul_f32 v[132:133], v[130:131], v[126:127] op_sel:[1,1] op_sel_hi:[0,1]
	s_delay_alu instid0(VALU_DEP_1) | instskip(SKIP_1) | instid1(VALU_DEP_2)
	v_pk_fma_f32 v[134:135], v[130:131], v[126:127], v[132:133] op_sel_hi:[1,0,1]
	v_pk_fma_f32 v[126:127], v[130:131], v[126:127], v[132:133] neg_lo:[0,0,1] neg_hi:[0,0,1]
	v_mov_b32_e32 v127, v135
	s_cbranch_execz .LBB124_874
	s_branch .LBB124_875
.LBB124_873:
                                        ; implicit-def: $vgpr126_vgpr127
.LBB124_874:
	ds_load_b64 v[126:127], v1
.LBB124_875:
	s_mov_b32 s4, exec_lo
	v_cmpx_ne_u32_e32 27, v0
	s_cbranch_execz .LBB124_879
; %bb.876:
	v_add_nc_u32_e32 v129, 0x1f8, v58
	v_add3_u32 v130, 0, v58, 8
	v_mov_b32_e32 v131, v0
	s_mov_b32 s5, 0
.LBB124_877:                            ; =>This Inner Loop Header: Depth=1
	scratch_load_b64 v[132:133], v130, off
	ds_load_b64 v[134:135], v129
	s_wait_xcnt 0x0
	v_dual_add_nc_u32 v129, 8, v129 :: v_dual_add_nc_u32 v130, 8, v130
	s_wait_loadcnt_dscnt 0x0
	v_pk_mul_f32 v[136:137], v[134:135], v[132:133] op_sel:[1,1] op_sel_hi:[0,1]
	s_delay_alu instid0(VALU_DEP_1) | instskip(SKIP_2) | instid1(VALU_DEP_3)
	v_pk_fma_f32 v[138:139], v[134:135], v[132:133], v[136:137] op_sel_hi:[1,0,1]
	v_add_nc_u32_e32 v131, 1, v131
	v_pk_fma_f32 v[132:133], v[134:135], v[132:133], v[136:137] neg_lo:[0,0,1] neg_hi:[0,0,1]
	v_mov_b32_e32 v133, v139
	s_delay_alu instid0(VALU_DEP_3) | instskip(NEXT) | instid1(VALU_DEP_2)
	v_cmp_lt_u32_e32 vcc_lo, 26, v131
	v_pk_add_f32 v[126:127], v[126:127], v[132:133]
	s_or_b32 s5, vcc_lo, s5
	s_delay_alu instid0(SALU_CYCLE_1)
	s_and_not1_b32 exec_lo, exec_lo, s5
	s_cbranch_execnz .LBB124_877
; %bb.878:
	s_or_b32 exec_lo, exec_lo, s5
.LBB124_879:
	s_delay_alu instid0(SALU_CYCLE_1) | instskip(SKIP_4) | instid1(VALU_DEP_1)
	s_or_b32 exec_lo, exec_lo, s4
	v_mov_b32_e32 v129, 0
	ds_load_b64 v[130:131], v129 offset:224
	s_wait_dscnt 0x0
	v_pk_mul_f32 v[132:133], v[126:127], v[130:131] op_sel:[1,1] op_sel_hi:[0,1]
	v_pk_fma_f32 v[134:135], v[126:127], v[130:131], v[132:133] op_sel_hi:[1,0,1]
	v_pk_fma_f32 v[126:127], v[126:127], v[130:131], v[132:133] neg_lo:[0,0,1] neg_hi:[0,0,1]
	s_delay_alu instid0(VALU_DEP_2)
	v_mov_b32_e32 v127, v135
	scratch_store_b64 off, v[126:127], off offset:224
.LBB124_880:
	s_wait_xcnt 0x0
	s_or_b32 exec_lo, exec_lo, s0
	scratch_load_b64 v[126:127], off, off offset:232
	s_mov_b32 s0, exec_lo
	s_wait_loadcnt 0x0
	ds_store_b64 v1, v[126:127]
	s_wait_storecnt_dscnt 0x0
	s_barrier_signal -1
	s_barrier_wait -1
	s_wait_xcnt 0x0
	v_cmpx_gt_u32_e32 29, v0
	s_cbranch_execz .LBB124_890
; %bb.881:
	v_cmp_ne_u32_e32 vcc_lo, 1, v128
	s_cbranch_vccnz .LBB124_883
; %bb.882:
	scratch_load_b64 v[126:127], v59, off
	ds_load_b64 v[130:131], v1
	s_wait_loadcnt_dscnt 0x0
	v_pk_mul_f32 v[132:133], v[130:131], v[126:127] op_sel:[1,1] op_sel_hi:[0,1]
	s_delay_alu instid0(VALU_DEP_1) | instskip(SKIP_1) | instid1(VALU_DEP_2)
	v_pk_fma_f32 v[134:135], v[130:131], v[126:127], v[132:133] op_sel_hi:[1,0,1]
	v_pk_fma_f32 v[126:127], v[130:131], v[126:127], v[132:133] neg_lo:[0,0,1] neg_hi:[0,0,1]
	v_mov_b32_e32 v127, v135
	s_cbranch_execz .LBB124_884
	s_branch .LBB124_885
.LBB124_883:
                                        ; implicit-def: $vgpr126_vgpr127
.LBB124_884:
	ds_load_b64 v[126:127], v1
.LBB124_885:
	s_mov_b32 s4, exec_lo
	v_cmpx_ne_u32_e32 28, v0
	s_cbranch_execz .LBB124_889
; %bb.886:
	v_add_nc_u32_e32 v129, 0x1f8, v58
	v_add3_u32 v130, 0, v58, 8
	v_mov_b32_e32 v131, v0
	s_mov_b32 s5, 0
.LBB124_887:                            ; =>This Inner Loop Header: Depth=1
	scratch_load_b64 v[132:133], v130, off
	ds_load_b64 v[134:135], v129
	s_wait_xcnt 0x0
	v_dual_add_nc_u32 v129, 8, v129 :: v_dual_add_nc_u32 v130, 8, v130
	s_wait_loadcnt_dscnt 0x0
	v_pk_mul_f32 v[136:137], v[134:135], v[132:133] op_sel:[1,1] op_sel_hi:[0,1]
	s_delay_alu instid0(VALU_DEP_1) | instskip(SKIP_2) | instid1(VALU_DEP_3)
	v_pk_fma_f32 v[138:139], v[134:135], v[132:133], v[136:137] op_sel_hi:[1,0,1]
	v_add_nc_u32_e32 v131, 1, v131
	v_pk_fma_f32 v[132:133], v[134:135], v[132:133], v[136:137] neg_lo:[0,0,1] neg_hi:[0,0,1]
	v_mov_b32_e32 v133, v139
	s_delay_alu instid0(VALU_DEP_3) | instskip(NEXT) | instid1(VALU_DEP_2)
	v_cmp_lt_u32_e32 vcc_lo, 27, v131
	v_pk_add_f32 v[126:127], v[126:127], v[132:133]
	s_or_b32 s5, vcc_lo, s5
	s_delay_alu instid0(SALU_CYCLE_1)
	s_and_not1_b32 exec_lo, exec_lo, s5
	s_cbranch_execnz .LBB124_887
; %bb.888:
	s_or_b32 exec_lo, exec_lo, s5
.LBB124_889:
	s_delay_alu instid0(SALU_CYCLE_1) | instskip(SKIP_4) | instid1(VALU_DEP_1)
	s_or_b32 exec_lo, exec_lo, s4
	v_mov_b32_e32 v129, 0
	ds_load_b64 v[130:131], v129 offset:232
	s_wait_dscnt 0x0
	v_pk_mul_f32 v[132:133], v[126:127], v[130:131] op_sel:[1,1] op_sel_hi:[0,1]
	v_pk_fma_f32 v[134:135], v[126:127], v[130:131], v[132:133] op_sel_hi:[1,0,1]
	v_pk_fma_f32 v[126:127], v[126:127], v[130:131], v[132:133] neg_lo:[0,0,1] neg_hi:[0,0,1]
	s_delay_alu instid0(VALU_DEP_2)
	v_mov_b32_e32 v127, v135
	scratch_store_b64 off, v[126:127], off offset:232
.LBB124_890:
	s_wait_xcnt 0x0
	s_or_b32 exec_lo, exec_lo, s0
	scratch_load_b64 v[126:127], off, off offset:240
	s_mov_b32 s0, exec_lo
	s_wait_loadcnt 0x0
	ds_store_b64 v1, v[126:127]
	s_wait_storecnt_dscnt 0x0
	s_barrier_signal -1
	s_barrier_wait -1
	s_wait_xcnt 0x0
	v_cmpx_gt_u32_e32 30, v0
	s_cbranch_execz .LBB124_900
; %bb.891:
	v_cmp_ne_u32_e32 vcc_lo, 1, v128
	s_cbranch_vccnz .LBB124_893
; %bb.892:
	scratch_load_b64 v[126:127], v59, off
	ds_load_b64 v[130:131], v1
	s_wait_loadcnt_dscnt 0x0
	v_pk_mul_f32 v[132:133], v[130:131], v[126:127] op_sel:[1,1] op_sel_hi:[0,1]
	s_delay_alu instid0(VALU_DEP_1) | instskip(SKIP_1) | instid1(VALU_DEP_2)
	v_pk_fma_f32 v[134:135], v[130:131], v[126:127], v[132:133] op_sel_hi:[1,0,1]
	v_pk_fma_f32 v[126:127], v[130:131], v[126:127], v[132:133] neg_lo:[0,0,1] neg_hi:[0,0,1]
	v_mov_b32_e32 v127, v135
	s_cbranch_execz .LBB124_894
	s_branch .LBB124_895
.LBB124_893:
                                        ; implicit-def: $vgpr126_vgpr127
.LBB124_894:
	ds_load_b64 v[126:127], v1
.LBB124_895:
	s_mov_b32 s4, exec_lo
	v_cmpx_ne_u32_e32 29, v0
	s_cbranch_execz .LBB124_899
; %bb.896:
	v_add_nc_u32_e32 v129, 0x1f8, v58
	v_add3_u32 v130, 0, v58, 8
	v_mov_b32_e32 v131, v0
	s_mov_b32 s5, 0
.LBB124_897:                            ; =>This Inner Loop Header: Depth=1
	scratch_load_b64 v[132:133], v130, off
	ds_load_b64 v[134:135], v129
	s_wait_xcnt 0x0
	v_dual_add_nc_u32 v129, 8, v129 :: v_dual_add_nc_u32 v130, 8, v130
	s_wait_loadcnt_dscnt 0x0
	v_pk_mul_f32 v[136:137], v[134:135], v[132:133] op_sel:[1,1] op_sel_hi:[0,1]
	s_delay_alu instid0(VALU_DEP_1) | instskip(SKIP_2) | instid1(VALU_DEP_3)
	v_pk_fma_f32 v[138:139], v[134:135], v[132:133], v[136:137] op_sel_hi:[1,0,1]
	v_add_nc_u32_e32 v131, 1, v131
	v_pk_fma_f32 v[132:133], v[134:135], v[132:133], v[136:137] neg_lo:[0,0,1] neg_hi:[0,0,1]
	v_mov_b32_e32 v133, v139
	s_delay_alu instid0(VALU_DEP_3) | instskip(NEXT) | instid1(VALU_DEP_2)
	v_cmp_lt_u32_e32 vcc_lo, 28, v131
	v_pk_add_f32 v[126:127], v[126:127], v[132:133]
	s_or_b32 s5, vcc_lo, s5
	s_delay_alu instid0(SALU_CYCLE_1)
	s_and_not1_b32 exec_lo, exec_lo, s5
	s_cbranch_execnz .LBB124_897
; %bb.898:
	s_or_b32 exec_lo, exec_lo, s5
.LBB124_899:
	s_delay_alu instid0(SALU_CYCLE_1) | instskip(SKIP_4) | instid1(VALU_DEP_1)
	s_or_b32 exec_lo, exec_lo, s4
	v_mov_b32_e32 v129, 0
	ds_load_b64 v[130:131], v129 offset:240
	s_wait_dscnt 0x0
	v_pk_mul_f32 v[132:133], v[126:127], v[130:131] op_sel:[1,1] op_sel_hi:[0,1]
	v_pk_fma_f32 v[134:135], v[126:127], v[130:131], v[132:133] op_sel_hi:[1,0,1]
	v_pk_fma_f32 v[126:127], v[126:127], v[130:131], v[132:133] neg_lo:[0,0,1] neg_hi:[0,0,1]
	s_delay_alu instid0(VALU_DEP_2)
	v_mov_b32_e32 v127, v135
	scratch_store_b64 off, v[126:127], off offset:240
.LBB124_900:
	s_wait_xcnt 0x0
	s_or_b32 exec_lo, exec_lo, s0
	scratch_load_b64 v[126:127], off, off offset:248
	s_mov_b32 s0, exec_lo
	s_wait_loadcnt 0x0
	ds_store_b64 v1, v[126:127]
	s_wait_storecnt_dscnt 0x0
	s_barrier_signal -1
	s_barrier_wait -1
	s_wait_xcnt 0x0
	v_cmpx_gt_u32_e32 31, v0
	s_cbranch_execz .LBB124_910
; %bb.901:
	v_cmp_ne_u32_e32 vcc_lo, 1, v128
	s_cbranch_vccnz .LBB124_903
; %bb.902:
	scratch_load_b64 v[126:127], v59, off
	ds_load_b64 v[130:131], v1
	s_wait_loadcnt_dscnt 0x0
	v_pk_mul_f32 v[132:133], v[130:131], v[126:127] op_sel:[1,1] op_sel_hi:[0,1]
	s_delay_alu instid0(VALU_DEP_1) | instskip(SKIP_1) | instid1(VALU_DEP_2)
	v_pk_fma_f32 v[134:135], v[130:131], v[126:127], v[132:133] op_sel_hi:[1,0,1]
	v_pk_fma_f32 v[126:127], v[130:131], v[126:127], v[132:133] neg_lo:[0,0,1] neg_hi:[0,0,1]
	v_mov_b32_e32 v127, v135
	s_cbranch_execz .LBB124_904
	s_branch .LBB124_905
.LBB124_903:
                                        ; implicit-def: $vgpr126_vgpr127
.LBB124_904:
	ds_load_b64 v[126:127], v1
.LBB124_905:
	s_mov_b32 s4, exec_lo
	v_cmpx_ne_u32_e32 30, v0
	s_cbranch_execz .LBB124_909
; %bb.906:
	v_add_nc_u32_e32 v129, 0x1f8, v58
	v_add3_u32 v130, 0, v58, 8
	v_mov_b32_e32 v131, v0
	s_mov_b32 s5, 0
.LBB124_907:                            ; =>This Inner Loop Header: Depth=1
	scratch_load_b64 v[132:133], v130, off
	ds_load_b64 v[134:135], v129
	s_wait_xcnt 0x0
	v_dual_add_nc_u32 v129, 8, v129 :: v_dual_add_nc_u32 v130, 8, v130
	s_wait_loadcnt_dscnt 0x0
	v_pk_mul_f32 v[136:137], v[134:135], v[132:133] op_sel:[1,1] op_sel_hi:[0,1]
	s_delay_alu instid0(VALU_DEP_1) | instskip(SKIP_2) | instid1(VALU_DEP_3)
	v_pk_fma_f32 v[138:139], v[134:135], v[132:133], v[136:137] op_sel_hi:[1,0,1]
	v_add_nc_u32_e32 v131, 1, v131
	v_pk_fma_f32 v[132:133], v[134:135], v[132:133], v[136:137] neg_lo:[0,0,1] neg_hi:[0,0,1]
	v_mov_b32_e32 v133, v139
	s_delay_alu instid0(VALU_DEP_3) | instskip(NEXT) | instid1(VALU_DEP_2)
	v_cmp_lt_u32_e32 vcc_lo, 29, v131
	v_pk_add_f32 v[126:127], v[126:127], v[132:133]
	s_or_b32 s5, vcc_lo, s5
	s_delay_alu instid0(SALU_CYCLE_1)
	s_and_not1_b32 exec_lo, exec_lo, s5
	s_cbranch_execnz .LBB124_907
; %bb.908:
	s_or_b32 exec_lo, exec_lo, s5
.LBB124_909:
	s_delay_alu instid0(SALU_CYCLE_1) | instskip(SKIP_4) | instid1(VALU_DEP_1)
	s_or_b32 exec_lo, exec_lo, s4
	v_mov_b32_e32 v129, 0
	ds_load_b64 v[130:131], v129 offset:248
	s_wait_dscnt 0x0
	v_pk_mul_f32 v[132:133], v[126:127], v[130:131] op_sel:[1,1] op_sel_hi:[0,1]
	v_pk_fma_f32 v[134:135], v[126:127], v[130:131], v[132:133] op_sel_hi:[1,0,1]
	v_pk_fma_f32 v[126:127], v[126:127], v[130:131], v[132:133] neg_lo:[0,0,1] neg_hi:[0,0,1]
	s_delay_alu instid0(VALU_DEP_2)
	v_mov_b32_e32 v127, v135
	scratch_store_b64 off, v[126:127], off offset:248
.LBB124_910:
	s_wait_xcnt 0x0
	s_or_b32 exec_lo, exec_lo, s0
	scratch_load_b64 v[126:127], off, off offset:256
	s_mov_b32 s0, exec_lo
	s_wait_loadcnt 0x0
	ds_store_b64 v1, v[126:127]
	s_wait_storecnt_dscnt 0x0
	s_barrier_signal -1
	s_barrier_wait -1
	s_wait_xcnt 0x0
	v_cmpx_gt_u32_e32 32, v0
	s_cbranch_execz .LBB124_920
; %bb.911:
	v_cmp_ne_u32_e32 vcc_lo, 1, v128
	s_cbranch_vccnz .LBB124_913
; %bb.912:
	scratch_load_b64 v[126:127], v59, off
	ds_load_b64 v[130:131], v1
	s_wait_loadcnt_dscnt 0x0
	v_pk_mul_f32 v[132:133], v[130:131], v[126:127] op_sel:[1,1] op_sel_hi:[0,1]
	s_delay_alu instid0(VALU_DEP_1) | instskip(SKIP_1) | instid1(VALU_DEP_2)
	v_pk_fma_f32 v[134:135], v[130:131], v[126:127], v[132:133] op_sel_hi:[1,0,1]
	v_pk_fma_f32 v[126:127], v[130:131], v[126:127], v[132:133] neg_lo:[0,0,1] neg_hi:[0,0,1]
	v_mov_b32_e32 v127, v135
	s_cbranch_execz .LBB124_914
	s_branch .LBB124_915
.LBB124_913:
                                        ; implicit-def: $vgpr126_vgpr127
.LBB124_914:
	ds_load_b64 v[126:127], v1
.LBB124_915:
	s_mov_b32 s4, exec_lo
	v_cmpx_ne_u32_e32 31, v0
	s_cbranch_execz .LBB124_919
; %bb.916:
	v_add_nc_u32_e32 v129, 0x1f8, v58
	v_add3_u32 v130, 0, v58, 8
	v_mov_b32_e32 v131, v0
	s_mov_b32 s5, 0
.LBB124_917:                            ; =>This Inner Loop Header: Depth=1
	scratch_load_b64 v[132:133], v130, off
	ds_load_b64 v[134:135], v129
	s_wait_xcnt 0x0
	v_dual_add_nc_u32 v129, 8, v129 :: v_dual_add_nc_u32 v130, 8, v130
	s_wait_loadcnt_dscnt 0x0
	v_pk_mul_f32 v[136:137], v[134:135], v[132:133] op_sel:[1,1] op_sel_hi:[0,1]
	s_delay_alu instid0(VALU_DEP_1) | instskip(SKIP_2) | instid1(VALU_DEP_3)
	v_pk_fma_f32 v[138:139], v[134:135], v[132:133], v[136:137] op_sel_hi:[1,0,1]
	v_add_nc_u32_e32 v131, 1, v131
	v_pk_fma_f32 v[132:133], v[134:135], v[132:133], v[136:137] neg_lo:[0,0,1] neg_hi:[0,0,1]
	v_mov_b32_e32 v133, v139
	s_delay_alu instid0(VALU_DEP_3) | instskip(NEXT) | instid1(VALU_DEP_2)
	v_cmp_lt_u32_e32 vcc_lo, 30, v131
	v_pk_add_f32 v[126:127], v[126:127], v[132:133]
	s_or_b32 s5, vcc_lo, s5
	s_delay_alu instid0(SALU_CYCLE_1)
	s_and_not1_b32 exec_lo, exec_lo, s5
	s_cbranch_execnz .LBB124_917
; %bb.918:
	s_or_b32 exec_lo, exec_lo, s5
.LBB124_919:
	s_delay_alu instid0(SALU_CYCLE_1) | instskip(SKIP_4) | instid1(VALU_DEP_1)
	s_or_b32 exec_lo, exec_lo, s4
	v_mov_b32_e32 v129, 0
	ds_load_b64 v[130:131], v129 offset:256
	s_wait_dscnt 0x0
	v_pk_mul_f32 v[132:133], v[126:127], v[130:131] op_sel:[1,1] op_sel_hi:[0,1]
	v_pk_fma_f32 v[134:135], v[126:127], v[130:131], v[132:133] op_sel_hi:[1,0,1]
	v_pk_fma_f32 v[126:127], v[126:127], v[130:131], v[132:133] neg_lo:[0,0,1] neg_hi:[0,0,1]
	s_delay_alu instid0(VALU_DEP_2)
	v_mov_b32_e32 v127, v135
	scratch_store_b64 off, v[126:127], off offset:256
.LBB124_920:
	s_wait_xcnt 0x0
	s_or_b32 exec_lo, exec_lo, s0
	scratch_load_b64 v[126:127], off, off offset:264
	s_mov_b32 s0, exec_lo
	s_wait_loadcnt 0x0
	ds_store_b64 v1, v[126:127]
	s_wait_storecnt_dscnt 0x0
	s_barrier_signal -1
	s_barrier_wait -1
	s_wait_xcnt 0x0
	v_cmpx_gt_u32_e32 33, v0
	s_cbranch_execz .LBB124_930
; %bb.921:
	v_cmp_ne_u32_e32 vcc_lo, 1, v128
	s_cbranch_vccnz .LBB124_923
; %bb.922:
	scratch_load_b64 v[126:127], v59, off
	ds_load_b64 v[130:131], v1
	s_wait_loadcnt_dscnt 0x0
	v_pk_mul_f32 v[132:133], v[130:131], v[126:127] op_sel:[1,1] op_sel_hi:[0,1]
	s_delay_alu instid0(VALU_DEP_1) | instskip(SKIP_1) | instid1(VALU_DEP_2)
	v_pk_fma_f32 v[134:135], v[130:131], v[126:127], v[132:133] op_sel_hi:[1,0,1]
	v_pk_fma_f32 v[126:127], v[130:131], v[126:127], v[132:133] neg_lo:[0,0,1] neg_hi:[0,0,1]
	v_mov_b32_e32 v127, v135
	s_cbranch_execz .LBB124_924
	s_branch .LBB124_925
.LBB124_923:
                                        ; implicit-def: $vgpr126_vgpr127
.LBB124_924:
	ds_load_b64 v[126:127], v1
.LBB124_925:
	s_mov_b32 s4, exec_lo
	v_cmpx_ne_u32_e32 32, v0
	s_cbranch_execz .LBB124_929
; %bb.926:
	v_add_nc_u32_e32 v129, 0x1f8, v58
	v_add3_u32 v130, 0, v58, 8
	v_mov_b32_e32 v131, v0
	s_mov_b32 s5, 0
.LBB124_927:                            ; =>This Inner Loop Header: Depth=1
	scratch_load_b64 v[132:133], v130, off
	ds_load_b64 v[134:135], v129
	s_wait_xcnt 0x0
	v_dual_add_nc_u32 v129, 8, v129 :: v_dual_add_nc_u32 v130, 8, v130
	s_wait_loadcnt_dscnt 0x0
	v_pk_mul_f32 v[136:137], v[134:135], v[132:133] op_sel:[1,1] op_sel_hi:[0,1]
	s_delay_alu instid0(VALU_DEP_1) | instskip(SKIP_2) | instid1(VALU_DEP_3)
	v_pk_fma_f32 v[138:139], v[134:135], v[132:133], v[136:137] op_sel_hi:[1,0,1]
	v_add_nc_u32_e32 v131, 1, v131
	v_pk_fma_f32 v[132:133], v[134:135], v[132:133], v[136:137] neg_lo:[0,0,1] neg_hi:[0,0,1]
	v_mov_b32_e32 v133, v139
	s_delay_alu instid0(VALU_DEP_3) | instskip(NEXT) | instid1(VALU_DEP_2)
	v_cmp_lt_u32_e32 vcc_lo, 31, v131
	v_pk_add_f32 v[126:127], v[126:127], v[132:133]
	s_or_b32 s5, vcc_lo, s5
	s_delay_alu instid0(SALU_CYCLE_1)
	s_and_not1_b32 exec_lo, exec_lo, s5
	s_cbranch_execnz .LBB124_927
; %bb.928:
	s_or_b32 exec_lo, exec_lo, s5
.LBB124_929:
	s_delay_alu instid0(SALU_CYCLE_1) | instskip(SKIP_4) | instid1(VALU_DEP_1)
	s_or_b32 exec_lo, exec_lo, s4
	v_mov_b32_e32 v129, 0
	ds_load_b64 v[130:131], v129 offset:264
	s_wait_dscnt 0x0
	v_pk_mul_f32 v[132:133], v[126:127], v[130:131] op_sel:[1,1] op_sel_hi:[0,1]
	v_pk_fma_f32 v[134:135], v[126:127], v[130:131], v[132:133] op_sel_hi:[1,0,1]
	v_pk_fma_f32 v[126:127], v[126:127], v[130:131], v[132:133] neg_lo:[0,0,1] neg_hi:[0,0,1]
	s_delay_alu instid0(VALU_DEP_2)
	v_mov_b32_e32 v127, v135
	scratch_store_b64 off, v[126:127], off offset:264
.LBB124_930:
	s_wait_xcnt 0x0
	s_or_b32 exec_lo, exec_lo, s0
	scratch_load_b64 v[126:127], off, off offset:272
	s_mov_b32 s0, exec_lo
	s_wait_loadcnt 0x0
	ds_store_b64 v1, v[126:127]
	s_wait_storecnt_dscnt 0x0
	s_barrier_signal -1
	s_barrier_wait -1
	s_wait_xcnt 0x0
	v_cmpx_gt_u32_e32 34, v0
	s_cbranch_execz .LBB124_940
; %bb.931:
	v_cmp_ne_u32_e32 vcc_lo, 1, v128
	s_cbranch_vccnz .LBB124_933
; %bb.932:
	scratch_load_b64 v[126:127], v59, off
	ds_load_b64 v[130:131], v1
	s_wait_loadcnt_dscnt 0x0
	v_pk_mul_f32 v[132:133], v[130:131], v[126:127] op_sel:[1,1] op_sel_hi:[0,1]
	s_delay_alu instid0(VALU_DEP_1) | instskip(SKIP_1) | instid1(VALU_DEP_2)
	v_pk_fma_f32 v[134:135], v[130:131], v[126:127], v[132:133] op_sel_hi:[1,0,1]
	v_pk_fma_f32 v[126:127], v[130:131], v[126:127], v[132:133] neg_lo:[0,0,1] neg_hi:[0,0,1]
	v_mov_b32_e32 v127, v135
	s_cbranch_execz .LBB124_934
	s_branch .LBB124_935
.LBB124_933:
                                        ; implicit-def: $vgpr126_vgpr127
.LBB124_934:
	ds_load_b64 v[126:127], v1
.LBB124_935:
	s_mov_b32 s4, exec_lo
	v_cmpx_ne_u32_e32 33, v0
	s_cbranch_execz .LBB124_939
; %bb.936:
	v_add_nc_u32_e32 v129, 0x1f8, v58
	v_add3_u32 v130, 0, v58, 8
	v_mov_b32_e32 v131, v0
	s_mov_b32 s5, 0
.LBB124_937:                            ; =>This Inner Loop Header: Depth=1
	scratch_load_b64 v[132:133], v130, off
	ds_load_b64 v[134:135], v129
	s_wait_xcnt 0x0
	v_dual_add_nc_u32 v129, 8, v129 :: v_dual_add_nc_u32 v130, 8, v130
	s_wait_loadcnt_dscnt 0x0
	v_pk_mul_f32 v[136:137], v[134:135], v[132:133] op_sel:[1,1] op_sel_hi:[0,1]
	s_delay_alu instid0(VALU_DEP_1) | instskip(SKIP_2) | instid1(VALU_DEP_3)
	v_pk_fma_f32 v[138:139], v[134:135], v[132:133], v[136:137] op_sel_hi:[1,0,1]
	v_add_nc_u32_e32 v131, 1, v131
	v_pk_fma_f32 v[132:133], v[134:135], v[132:133], v[136:137] neg_lo:[0,0,1] neg_hi:[0,0,1]
	v_mov_b32_e32 v133, v139
	s_delay_alu instid0(VALU_DEP_3) | instskip(NEXT) | instid1(VALU_DEP_2)
	v_cmp_lt_u32_e32 vcc_lo, 32, v131
	v_pk_add_f32 v[126:127], v[126:127], v[132:133]
	s_or_b32 s5, vcc_lo, s5
	s_delay_alu instid0(SALU_CYCLE_1)
	s_and_not1_b32 exec_lo, exec_lo, s5
	s_cbranch_execnz .LBB124_937
; %bb.938:
	s_or_b32 exec_lo, exec_lo, s5
.LBB124_939:
	s_delay_alu instid0(SALU_CYCLE_1) | instskip(SKIP_4) | instid1(VALU_DEP_1)
	s_or_b32 exec_lo, exec_lo, s4
	v_mov_b32_e32 v129, 0
	ds_load_b64 v[130:131], v129 offset:272
	s_wait_dscnt 0x0
	v_pk_mul_f32 v[132:133], v[126:127], v[130:131] op_sel:[1,1] op_sel_hi:[0,1]
	v_pk_fma_f32 v[134:135], v[126:127], v[130:131], v[132:133] op_sel_hi:[1,0,1]
	v_pk_fma_f32 v[126:127], v[126:127], v[130:131], v[132:133] neg_lo:[0,0,1] neg_hi:[0,0,1]
	s_delay_alu instid0(VALU_DEP_2)
	v_mov_b32_e32 v127, v135
	scratch_store_b64 off, v[126:127], off offset:272
.LBB124_940:
	s_wait_xcnt 0x0
	s_or_b32 exec_lo, exec_lo, s0
	scratch_load_b64 v[126:127], off, off offset:280
	s_mov_b32 s0, exec_lo
	s_wait_loadcnt 0x0
	ds_store_b64 v1, v[126:127]
	s_wait_storecnt_dscnt 0x0
	s_barrier_signal -1
	s_barrier_wait -1
	s_wait_xcnt 0x0
	v_cmpx_gt_u32_e32 35, v0
	s_cbranch_execz .LBB124_950
; %bb.941:
	v_cmp_ne_u32_e32 vcc_lo, 1, v128
	s_cbranch_vccnz .LBB124_943
; %bb.942:
	scratch_load_b64 v[126:127], v59, off
	ds_load_b64 v[130:131], v1
	s_wait_loadcnt_dscnt 0x0
	v_pk_mul_f32 v[132:133], v[130:131], v[126:127] op_sel:[1,1] op_sel_hi:[0,1]
	s_delay_alu instid0(VALU_DEP_1) | instskip(SKIP_1) | instid1(VALU_DEP_2)
	v_pk_fma_f32 v[134:135], v[130:131], v[126:127], v[132:133] op_sel_hi:[1,0,1]
	v_pk_fma_f32 v[126:127], v[130:131], v[126:127], v[132:133] neg_lo:[0,0,1] neg_hi:[0,0,1]
	v_mov_b32_e32 v127, v135
	s_cbranch_execz .LBB124_944
	s_branch .LBB124_945
.LBB124_943:
                                        ; implicit-def: $vgpr126_vgpr127
.LBB124_944:
	ds_load_b64 v[126:127], v1
.LBB124_945:
	s_mov_b32 s4, exec_lo
	v_cmpx_ne_u32_e32 34, v0
	s_cbranch_execz .LBB124_949
; %bb.946:
	v_add_nc_u32_e32 v129, 0x1f8, v58
	v_add3_u32 v130, 0, v58, 8
	v_mov_b32_e32 v131, v0
	s_mov_b32 s5, 0
.LBB124_947:                            ; =>This Inner Loop Header: Depth=1
	scratch_load_b64 v[132:133], v130, off
	ds_load_b64 v[134:135], v129
	s_wait_xcnt 0x0
	v_dual_add_nc_u32 v129, 8, v129 :: v_dual_add_nc_u32 v130, 8, v130
	s_wait_loadcnt_dscnt 0x0
	v_pk_mul_f32 v[136:137], v[134:135], v[132:133] op_sel:[1,1] op_sel_hi:[0,1]
	s_delay_alu instid0(VALU_DEP_1) | instskip(SKIP_2) | instid1(VALU_DEP_3)
	v_pk_fma_f32 v[138:139], v[134:135], v[132:133], v[136:137] op_sel_hi:[1,0,1]
	v_add_nc_u32_e32 v131, 1, v131
	v_pk_fma_f32 v[132:133], v[134:135], v[132:133], v[136:137] neg_lo:[0,0,1] neg_hi:[0,0,1]
	v_mov_b32_e32 v133, v139
	s_delay_alu instid0(VALU_DEP_3) | instskip(NEXT) | instid1(VALU_DEP_2)
	v_cmp_lt_u32_e32 vcc_lo, 33, v131
	v_pk_add_f32 v[126:127], v[126:127], v[132:133]
	s_or_b32 s5, vcc_lo, s5
	s_delay_alu instid0(SALU_CYCLE_1)
	s_and_not1_b32 exec_lo, exec_lo, s5
	s_cbranch_execnz .LBB124_947
; %bb.948:
	s_or_b32 exec_lo, exec_lo, s5
.LBB124_949:
	s_delay_alu instid0(SALU_CYCLE_1) | instskip(SKIP_4) | instid1(VALU_DEP_1)
	s_or_b32 exec_lo, exec_lo, s4
	v_mov_b32_e32 v129, 0
	ds_load_b64 v[130:131], v129 offset:280
	s_wait_dscnt 0x0
	v_pk_mul_f32 v[132:133], v[126:127], v[130:131] op_sel:[1,1] op_sel_hi:[0,1]
	v_pk_fma_f32 v[134:135], v[126:127], v[130:131], v[132:133] op_sel_hi:[1,0,1]
	v_pk_fma_f32 v[126:127], v[126:127], v[130:131], v[132:133] neg_lo:[0,0,1] neg_hi:[0,0,1]
	s_delay_alu instid0(VALU_DEP_2)
	v_mov_b32_e32 v127, v135
	scratch_store_b64 off, v[126:127], off offset:280
.LBB124_950:
	s_wait_xcnt 0x0
	s_or_b32 exec_lo, exec_lo, s0
	scratch_load_b64 v[126:127], off, off offset:288
	s_mov_b32 s0, exec_lo
	s_wait_loadcnt 0x0
	ds_store_b64 v1, v[126:127]
	s_wait_storecnt_dscnt 0x0
	s_barrier_signal -1
	s_barrier_wait -1
	s_wait_xcnt 0x0
	v_cmpx_gt_u32_e32 36, v0
	s_cbranch_execz .LBB124_960
; %bb.951:
	v_cmp_ne_u32_e32 vcc_lo, 1, v128
	s_cbranch_vccnz .LBB124_953
; %bb.952:
	scratch_load_b64 v[126:127], v59, off
	ds_load_b64 v[130:131], v1
	s_wait_loadcnt_dscnt 0x0
	v_pk_mul_f32 v[132:133], v[130:131], v[126:127] op_sel:[1,1] op_sel_hi:[0,1]
	s_delay_alu instid0(VALU_DEP_1) | instskip(SKIP_1) | instid1(VALU_DEP_2)
	v_pk_fma_f32 v[134:135], v[130:131], v[126:127], v[132:133] op_sel_hi:[1,0,1]
	v_pk_fma_f32 v[126:127], v[130:131], v[126:127], v[132:133] neg_lo:[0,0,1] neg_hi:[0,0,1]
	v_mov_b32_e32 v127, v135
	s_cbranch_execz .LBB124_954
	s_branch .LBB124_955
.LBB124_953:
                                        ; implicit-def: $vgpr126_vgpr127
.LBB124_954:
	ds_load_b64 v[126:127], v1
.LBB124_955:
	s_mov_b32 s4, exec_lo
	v_cmpx_ne_u32_e32 35, v0
	s_cbranch_execz .LBB124_959
; %bb.956:
	v_add_nc_u32_e32 v129, 0x1f8, v58
	v_add3_u32 v130, 0, v58, 8
	v_mov_b32_e32 v131, v0
	s_mov_b32 s5, 0
.LBB124_957:                            ; =>This Inner Loop Header: Depth=1
	scratch_load_b64 v[132:133], v130, off
	ds_load_b64 v[134:135], v129
	s_wait_xcnt 0x0
	v_dual_add_nc_u32 v129, 8, v129 :: v_dual_add_nc_u32 v130, 8, v130
	s_wait_loadcnt_dscnt 0x0
	v_pk_mul_f32 v[136:137], v[134:135], v[132:133] op_sel:[1,1] op_sel_hi:[0,1]
	s_delay_alu instid0(VALU_DEP_1) | instskip(SKIP_2) | instid1(VALU_DEP_3)
	v_pk_fma_f32 v[138:139], v[134:135], v[132:133], v[136:137] op_sel_hi:[1,0,1]
	v_add_nc_u32_e32 v131, 1, v131
	v_pk_fma_f32 v[132:133], v[134:135], v[132:133], v[136:137] neg_lo:[0,0,1] neg_hi:[0,0,1]
	v_mov_b32_e32 v133, v139
	s_delay_alu instid0(VALU_DEP_3) | instskip(NEXT) | instid1(VALU_DEP_2)
	v_cmp_lt_u32_e32 vcc_lo, 34, v131
	v_pk_add_f32 v[126:127], v[126:127], v[132:133]
	s_or_b32 s5, vcc_lo, s5
	s_delay_alu instid0(SALU_CYCLE_1)
	s_and_not1_b32 exec_lo, exec_lo, s5
	s_cbranch_execnz .LBB124_957
; %bb.958:
	s_or_b32 exec_lo, exec_lo, s5
.LBB124_959:
	s_delay_alu instid0(SALU_CYCLE_1) | instskip(SKIP_4) | instid1(VALU_DEP_1)
	s_or_b32 exec_lo, exec_lo, s4
	v_mov_b32_e32 v129, 0
	ds_load_b64 v[130:131], v129 offset:288
	s_wait_dscnt 0x0
	v_pk_mul_f32 v[132:133], v[126:127], v[130:131] op_sel:[1,1] op_sel_hi:[0,1]
	v_pk_fma_f32 v[134:135], v[126:127], v[130:131], v[132:133] op_sel_hi:[1,0,1]
	v_pk_fma_f32 v[126:127], v[126:127], v[130:131], v[132:133] neg_lo:[0,0,1] neg_hi:[0,0,1]
	s_delay_alu instid0(VALU_DEP_2)
	v_mov_b32_e32 v127, v135
	scratch_store_b64 off, v[126:127], off offset:288
.LBB124_960:
	s_wait_xcnt 0x0
	s_or_b32 exec_lo, exec_lo, s0
	scratch_load_b64 v[126:127], off, off offset:296
	s_mov_b32 s0, exec_lo
	s_wait_loadcnt 0x0
	ds_store_b64 v1, v[126:127]
	s_wait_storecnt_dscnt 0x0
	s_barrier_signal -1
	s_barrier_wait -1
	s_wait_xcnt 0x0
	v_cmpx_gt_u32_e32 37, v0
	s_cbranch_execz .LBB124_970
; %bb.961:
	v_cmp_ne_u32_e32 vcc_lo, 1, v128
	s_cbranch_vccnz .LBB124_963
; %bb.962:
	scratch_load_b64 v[126:127], v59, off
	ds_load_b64 v[130:131], v1
	s_wait_loadcnt_dscnt 0x0
	v_pk_mul_f32 v[132:133], v[130:131], v[126:127] op_sel:[1,1] op_sel_hi:[0,1]
	s_delay_alu instid0(VALU_DEP_1) | instskip(SKIP_1) | instid1(VALU_DEP_2)
	v_pk_fma_f32 v[134:135], v[130:131], v[126:127], v[132:133] op_sel_hi:[1,0,1]
	v_pk_fma_f32 v[126:127], v[130:131], v[126:127], v[132:133] neg_lo:[0,0,1] neg_hi:[0,0,1]
	v_mov_b32_e32 v127, v135
	s_cbranch_execz .LBB124_964
	s_branch .LBB124_965
.LBB124_963:
                                        ; implicit-def: $vgpr126_vgpr127
.LBB124_964:
	ds_load_b64 v[126:127], v1
.LBB124_965:
	s_mov_b32 s4, exec_lo
	v_cmpx_ne_u32_e32 36, v0
	s_cbranch_execz .LBB124_969
; %bb.966:
	v_add_nc_u32_e32 v129, 0x1f8, v58
	v_add3_u32 v130, 0, v58, 8
	v_mov_b32_e32 v131, v0
	s_mov_b32 s5, 0
.LBB124_967:                            ; =>This Inner Loop Header: Depth=1
	scratch_load_b64 v[132:133], v130, off
	ds_load_b64 v[134:135], v129
	s_wait_xcnt 0x0
	v_dual_add_nc_u32 v129, 8, v129 :: v_dual_add_nc_u32 v130, 8, v130
	s_wait_loadcnt_dscnt 0x0
	v_pk_mul_f32 v[136:137], v[134:135], v[132:133] op_sel:[1,1] op_sel_hi:[0,1]
	s_delay_alu instid0(VALU_DEP_1) | instskip(SKIP_2) | instid1(VALU_DEP_3)
	v_pk_fma_f32 v[138:139], v[134:135], v[132:133], v[136:137] op_sel_hi:[1,0,1]
	v_add_nc_u32_e32 v131, 1, v131
	v_pk_fma_f32 v[132:133], v[134:135], v[132:133], v[136:137] neg_lo:[0,0,1] neg_hi:[0,0,1]
	v_mov_b32_e32 v133, v139
	s_delay_alu instid0(VALU_DEP_3) | instskip(NEXT) | instid1(VALU_DEP_2)
	v_cmp_lt_u32_e32 vcc_lo, 35, v131
	v_pk_add_f32 v[126:127], v[126:127], v[132:133]
	s_or_b32 s5, vcc_lo, s5
	s_delay_alu instid0(SALU_CYCLE_1)
	s_and_not1_b32 exec_lo, exec_lo, s5
	s_cbranch_execnz .LBB124_967
; %bb.968:
	s_or_b32 exec_lo, exec_lo, s5
.LBB124_969:
	s_delay_alu instid0(SALU_CYCLE_1) | instskip(SKIP_4) | instid1(VALU_DEP_1)
	s_or_b32 exec_lo, exec_lo, s4
	v_mov_b32_e32 v129, 0
	ds_load_b64 v[130:131], v129 offset:296
	s_wait_dscnt 0x0
	v_pk_mul_f32 v[132:133], v[126:127], v[130:131] op_sel:[1,1] op_sel_hi:[0,1]
	v_pk_fma_f32 v[134:135], v[126:127], v[130:131], v[132:133] op_sel_hi:[1,0,1]
	v_pk_fma_f32 v[126:127], v[126:127], v[130:131], v[132:133] neg_lo:[0,0,1] neg_hi:[0,0,1]
	s_delay_alu instid0(VALU_DEP_2)
	v_mov_b32_e32 v127, v135
	scratch_store_b64 off, v[126:127], off offset:296
.LBB124_970:
	s_wait_xcnt 0x0
	s_or_b32 exec_lo, exec_lo, s0
	scratch_load_b64 v[126:127], off, off offset:304
	s_mov_b32 s0, exec_lo
	s_wait_loadcnt 0x0
	ds_store_b64 v1, v[126:127]
	s_wait_storecnt_dscnt 0x0
	s_barrier_signal -1
	s_barrier_wait -1
	s_wait_xcnt 0x0
	v_cmpx_gt_u32_e32 38, v0
	s_cbranch_execz .LBB124_980
; %bb.971:
	v_cmp_ne_u32_e32 vcc_lo, 1, v128
	s_cbranch_vccnz .LBB124_973
; %bb.972:
	scratch_load_b64 v[126:127], v59, off
	ds_load_b64 v[130:131], v1
	s_wait_loadcnt_dscnt 0x0
	v_pk_mul_f32 v[132:133], v[130:131], v[126:127] op_sel:[1,1] op_sel_hi:[0,1]
	s_delay_alu instid0(VALU_DEP_1) | instskip(SKIP_1) | instid1(VALU_DEP_2)
	v_pk_fma_f32 v[134:135], v[130:131], v[126:127], v[132:133] op_sel_hi:[1,0,1]
	v_pk_fma_f32 v[126:127], v[130:131], v[126:127], v[132:133] neg_lo:[0,0,1] neg_hi:[0,0,1]
	v_mov_b32_e32 v127, v135
	s_cbranch_execz .LBB124_974
	s_branch .LBB124_975
.LBB124_973:
                                        ; implicit-def: $vgpr126_vgpr127
.LBB124_974:
	ds_load_b64 v[126:127], v1
.LBB124_975:
	s_mov_b32 s4, exec_lo
	v_cmpx_ne_u32_e32 37, v0
	s_cbranch_execz .LBB124_979
; %bb.976:
	v_add_nc_u32_e32 v129, 0x1f8, v58
	v_add3_u32 v130, 0, v58, 8
	v_mov_b32_e32 v131, v0
	s_mov_b32 s5, 0
.LBB124_977:                            ; =>This Inner Loop Header: Depth=1
	scratch_load_b64 v[132:133], v130, off
	ds_load_b64 v[134:135], v129
	s_wait_xcnt 0x0
	v_dual_add_nc_u32 v129, 8, v129 :: v_dual_add_nc_u32 v130, 8, v130
	s_wait_loadcnt_dscnt 0x0
	v_pk_mul_f32 v[136:137], v[134:135], v[132:133] op_sel:[1,1] op_sel_hi:[0,1]
	s_delay_alu instid0(VALU_DEP_1) | instskip(SKIP_2) | instid1(VALU_DEP_3)
	v_pk_fma_f32 v[138:139], v[134:135], v[132:133], v[136:137] op_sel_hi:[1,0,1]
	v_add_nc_u32_e32 v131, 1, v131
	v_pk_fma_f32 v[132:133], v[134:135], v[132:133], v[136:137] neg_lo:[0,0,1] neg_hi:[0,0,1]
	v_mov_b32_e32 v133, v139
	s_delay_alu instid0(VALU_DEP_3) | instskip(NEXT) | instid1(VALU_DEP_2)
	v_cmp_lt_u32_e32 vcc_lo, 36, v131
	v_pk_add_f32 v[126:127], v[126:127], v[132:133]
	s_or_b32 s5, vcc_lo, s5
	s_delay_alu instid0(SALU_CYCLE_1)
	s_and_not1_b32 exec_lo, exec_lo, s5
	s_cbranch_execnz .LBB124_977
; %bb.978:
	s_or_b32 exec_lo, exec_lo, s5
.LBB124_979:
	s_delay_alu instid0(SALU_CYCLE_1) | instskip(SKIP_4) | instid1(VALU_DEP_1)
	s_or_b32 exec_lo, exec_lo, s4
	v_mov_b32_e32 v129, 0
	ds_load_b64 v[130:131], v129 offset:304
	s_wait_dscnt 0x0
	v_pk_mul_f32 v[132:133], v[126:127], v[130:131] op_sel:[1,1] op_sel_hi:[0,1]
	v_pk_fma_f32 v[134:135], v[126:127], v[130:131], v[132:133] op_sel_hi:[1,0,1]
	v_pk_fma_f32 v[126:127], v[126:127], v[130:131], v[132:133] neg_lo:[0,0,1] neg_hi:[0,0,1]
	s_delay_alu instid0(VALU_DEP_2)
	v_mov_b32_e32 v127, v135
	scratch_store_b64 off, v[126:127], off offset:304
.LBB124_980:
	s_wait_xcnt 0x0
	s_or_b32 exec_lo, exec_lo, s0
	scratch_load_b64 v[126:127], off, off offset:312
	s_mov_b32 s0, exec_lo
	s_wait_loadcnt 0x0
	ds_store_b64 v1, v[126:127]
	s_wait_storecnt_dscnt 0x0
	s_barrier_signal -1
	s_barrier_wait -1
	s_wait_xcnt 0x0
	v_cmpx_gt_u32_e32 39, v0
	s_cbranch_execz .LBB124_990
; %bb.981:
	v_cmp_ne_u32_e32 vcc_lo, 1, v128
	s_cbranch_vccnz .LBB124_983
; %bb.982:
	scratch_load_b64 v[126:127], v59, off
	ds_load_b64 v[130:131], v1
	s_wait_loadcnt_dscnt 0x0
	v_pk_mul_f32 v[132:133], v[130:131], v[126:127] op_sel:[1,1] op_sel_hi:[0,1]
	s_delay_alu instid0(VALU_DEP_1) | instskip(SKIP_1) | instid1(VALU_DEP_2)
	v_pk_fma_f32 v[134:135], v[130:131], v[126:127], v[132:133] op_sel_hi:[1,0,1]
	v_pk_fma_f32 v[126:127], v[130:131], v[126:127], v[132:133] neg_lo:[0,0,1] neg_hi:[0,0,1]
	v_mov_b32_e32 v127, v135
	s_cbranch_execz .LBB124_984
	s_branch .LBB124_985
.LBB124_983:
                                        ; implicit-def: $vgpr126_vgpr127
.LBB124_984:
	ds_load_b64 v[126:127], v1
.LBB124_985:
	s_mov_b32 s4, exec_lo
	v_cmpx_ne_u32_e32 38, v0
	s_cbranch_execz .LBB124_989
; %bb.986:
	v_add_nc_u32_e32 v129, 0x1f8, v58
	v_add3_u32 v130, 0, v58, 8
	v_mov_b32_e32 v131, v0
	s_mov_b32 s5, 0
.LBB124_987:                            ; =>This Inner Loop Header: Depth=1
	scratch_load_b64 v[132:133], v130, off
	ds_load_b64 v[134:135], v129
	s_wait_xcnt 0x0
	v_dual_add_nc_u32 v129, 8, v129 :: v_dual_add_nc_u32 v130, 8, v130
	s_wait_loadcnt_dscnt 0x0
	v_pk_mul_f32 v[136:137], v[134:135], v[132:133] op_sel:[1,1] op_sel_hi:[0,1]
	s_delay_alu instid0(VALU_DEP_1) | instskip(SKIP_2) | instid1(VALU_DEP_3)
	v_pk_fma_f32 v[138:139], v[134:135], v[132:133], v[136:137] op_sel_hi:[1,0,1]
	v_add_nc_u32_e32 v131, 1, v131
	v_pk_fma_f32 v[132:133], v[134:135], v[132:133], v[136:137] neg_lo:[0,0,1] neg_hi:[0,0,1]
	v_mov_b32_e32 v133, v139
	s_delay_alu instid0(VALU_DEP_3) | instskip(NEXT) | instid1(VALU_DEP_2)
	v_cmp_lt_u32_e32 vcc_lo, 37, v131
	v_pk_add_f32 v[126:127], v[126:127], v[132:133]
	s_or_b32 s5, vcc_lo, s5
	s_delay_alu instid0(SALU_CYCLE_1)
	s_and_not1_b32 exec_lo, exec_lo, s5
	s_cbranch_execnz .LBB124_987
; %bb.988:
	s_or_b32 exec_lo, exec_lo, s5
.LBB124_989:
	s_delay_alu instid0(SALU_CYCLE_1) | instskip(SKIP_4) | instid1(VALU_DEP_1)
	s_or_b32 exec_lo, exec_lo, s4
	v_mov_b32_e32 v129, 0
	ds_load_b64 v[130:131], v129 offset:312
	s_wait_dscnt 0x0
	v_pk_mul_f32 v[132:133], v[126:127], v[130:131] op_sel:[1,1] op_sel_hi:[0,1]
	v_pk_fma_f32 v[134:135], v[126:127], v[130:131], v[132:133] op_sel_hi:[1,0,1]
	v_pk_fma_f32 v[126:127], v[126:127], v[130:131], v[132:133] neg_lo:[0,0,1] neg_hi:[0,0,1]
	s_delay_alu instid0(VALU_DEP_2)
	v_mov_b32_e32 v127, v135
	scratch_store_b64 off, v[126:127], off offset:312
.LBB124_990:
	s_wait_xcnt 0x0
	s_or_b32 exec_lo, exec_lo, s0
	scratch_load_b64 v[126:127], off, off offset:320
	s_mov_b32 s0, exec_lo
	s_wait_loadcnt 0x0
	ds_store_b64 v1, v[126:127]
	s_wait_storecnt_dscnt 0x0
	s_barrier_signal -1
	s_barrier_wait -1
	s_wait_xcnt 0x0
	v_cmpx_gt_u32_e32 40, v0
	s_cbranch_execz .LBB124_1000
; %bb.991:
	v_cmp_ne_u32_e32 vcc_lo, 1, v128
	s_cbranch_vccnz .LBB124_993
; %bb.992:
	scratch_load_b64 v[126:127], v59, off
	ds_load_b64 v[130:131], v1
	s_wait_loadcnt_dscnt 0x0
	v_pk_mul_f32 v[132:133], v[130:131], v[126:127] op_sel:[1,1] op_sel_hi:[0,1]
	s_delay_alu instid0(VALU_DEP_1) | instskip(SKIP_1) | instid1(VALU_DEP_2)
	v_pk_fma_f32 v[134:135], v[130:131], v[126:127], v[132:133] op_sel_hi:[1,0,1]
	v_pk_fma_f32 v[126:127], v[130:131], v[126:127], v[132:133] neg_lo:[0,0,1] neg_hi:[0,0,1]
	v_mov_b32_e32 v127, v135
	s_cbranch_execz .LBB124_994
	s_branch .LBB124_995
.LBB124_993:
                                        ; implicit-def: $vgpr126_vgpr127
.LBB124_994:
	ds_load_b64 v[126:127], v1
.LBB124_995:
	s_mov_b32 s4, exec_lo
	v_cmpx_ne_u32_e32 39, v0
	s_cbranch_execz .LBB124_999
; %bb.996:
	v_add_nc_u32_e32 v129, 0x1f8, v58
	v_add3_u32 v130, 0, v58, 8
	v_mov_b32_e32 v131, v0
	s_mov_b32 s5, 0
.LBB124_997:                            ; =>This Inner Loop Header: Depth=1
	scratch_load_b64 v[132:133], v130, off
	ds_load_b64 v[134:135], v129
	s_wait_xcnt 0x0
	v_dual_add_nc_u32 v129, 8, v129 :: v_dual_add_nc_u32 v130, 8, v130
	s_wait_loadcnt_dscnt 0x0
	v_pk_mul_f32 v[136:137], v[134:135], v[132:133] op_sel:[1,1] op_sel_hi:[0,1]
	s_delay_alu instid0(VALU_DEP_1) | instskip(SKIP_2) | instid1(VALU_DEP_3)
	v_pk_fma_f32 v[138:139], v[134:135], v[132:133], v[136:137] op_sel_hi:[1,0,1]
	v_add_nc_u32_e32 v131, 1, v131
	v_pk_fma_f32 v[132:133], v[134:135], v[132:133], v[136:137] neg_lo:[0,0,1] neg_hi:[0,0,1]
	v_mov_b32_e32 v133, v139
	s_delay_alu instid0(VALU_DEP_3) | instskip(NEXT) | instid1(VALU_DEP_2)
	v_cmp_lt_u32_e32 vcc_lo, 38, v131
	v_pk_add_f32 v[126:127], v[126:127], v[132:133]
	s_or_b32 s5, vcc_lo, s5
	s_delay_alu instid0(SALU_CYCLE_1)
	s_and_not1_b32 exec_lo, exec_lo, s5
	s_cbranch_execnz .LBB124_997
; %bb.998:
	s_or_b32 exec_lo, exec_lo, s5
.LBB124_999:
	s_delay_alu instid0(SALU_CYCLE_1) | instskip(SKIP_4) | instid1(VALU_DEP_1)
	s_or_b32 exec_lo, exec_lo, s4
	v_mov_b32_e32 v129, 0
	ds_load_b64 v[130:131], v129 offset:320
	s_wait_dscnt 0x0
	v_pk_mul_f32 v[132:133], v[126:127], v[130:131] op_sel:[1,1] op_sel_hi:[0,1]
	v_pk_fma_f32 v[134:135], v[126:127], v[130:131], v[132:133] op_sel_hi:[1,0,1]
	v_pk_fma_f32 v[126:127], v[126:127], v[130:131], v[132:133] neg_lo:[0,0,1] neg_hi:[0,0,1]
	s_delay_alu instid0(VALU_DEP_2)
	v_mov_b32_e32 v127, v135
	scratch_store_b64 off, v[126:127], off offset:320
.LBB124_1000:
	s_wait_xcnt 0x0
	s_or_b32 exec_lo, exec_lo, s0
	scratch_load_b64 v[126:127], off, off offset:328
	s_mov_b32 s0, exec_lo
	s_wait_loadcnt 0x0
	ds_store_b64 v1, v[126:127]
	s_wait_storecnt_dscnt 0x0
	s_barrier_signal -1
	s_barrier_wait -1
	s_wait_xcnt 0x0
	v_cmpx_gt_u32_e32 41, v0
	s_cbranch_execz .LBB124_1010
; %bb.1001:
	v_cmp_ne_u32_e32 vcc_lo, 1, v128
	s_cbranch_vccnz .LBB124_1003
; %bb.1002:
	scratch_load_b64 v[126:127], v59, off
	ds_load_b64 v[130:131], v1
	s_wait_loadcnt_dscnt 0x0
	v_pk_mul_f32 v[132:133], v[130:131], v[126:127] op_sel:[1,1] op_sel_hi:[0,1]
	s_delay_alu instid0(VALU_DEP_1) | instskip(SKIP_1) | instid1(VALU_DEP_2)
	v_pk_fma_f32 v[134:135], v[130:131], v[126:127], v[132:133] op_sel_hi:[1,0,1]
	v_pk_fma_f32 v[126:127], v[130:131], v[126:127], v[132:133] neg_lo:[0,0,1] neg_hi:[0,0,1]
	v_mov_b32_e32 v127, v135
	s_cbranch_execz .LBB124_1004
	s_branch .LBB124_1005
.LBB124_1003:
                                        ; implicit-def: $vgpr126_vgpr127
.LBB124_1004:
	ds_load_b64 v[126:127], v1
.LBB124_1005:
	s_mov_b32 s4, exec_lo
	v_cmpx_ne_u32_e32 40, v0
	s_cbranch_execz .LBB124_1009
; %bb.1006:
	v_add_nc_u32_e32 v129, 0x1f8, v58
	v_add3_u32 v130, 0, v58, 8
	v_mov_b32_e32 v131, v0
	s_mov_b32 s5, 0
.LBB124_1007:                           ; =>This Inner Loop Header: Depth=1
	scratch_load_b64 v[132:133], v130, off
	ds_load_b64 v[134:135], v129
	s_wait_xcnt 0x0
	v_dual_add_nc_u32 v129, 8, v129 :: v_dual_add_nc_u32 v130, 8, v130
	s_wait_loadcnt_dscnt 0x0
	v_pk_mul_f32 v[136:137], v[134:135], v[132:133] op_sel:[1,1] op_sel_hi:[0,1]
	s_delay_alu instid0(VALU_DEP_1) | instskip(SKIP_2) | instid1(VALU_DEP_3)
	v_pk_fma_f32 v[138:139], v[134:135], v[132:133], v[136:137] op_sel_hi:[1,0,1]
	v_add_nc_u32_e32 v131, 1, v131
	v_pk_fma_f32 v[132:133], v[134:135], v[132:133], v[136:137] neg_lo:[0,0,1] neg_hi:[0,0,1]
	v_mov_b32_e32 v133, v139
	s_delay_alu instid0(VALU_DEP_3) | instskip(NEXT) | instid1(VALU_DEP_2)
	v_cmp_lt_u32_e32 vcc_lo, 39, v131
	v_pk_add_f32 v[126:127], v[126:127], v[132:133]
	s_or_b32 s5, vcc_lo, s5
	s_delay_alu instid0(SALU_CYCLE_1)
	s_and_not1_b32 exec_lo, exec_lo, s5
	s_cbranch_execnz .LBB124_1007
; %bb.1008:
	s_or_b32 exec_lo, exec_lo, s5
.LBB124_1009:
	s_delay_alu instid0(SALU_CYCLE_1) | instskip(SKIP_4) | instid1(VALU_DEP_1)
	s_or_b32 exec_lo, exec_lo, s4
	v_mov_b32_e32 v129, 0
	ds_load_b64 v[130:131], v129 offset:328
	s_wait_dscnt 0x0
	v_pk_mul_f32 v[132:133], v[126:127], v[130:131] op_sel:[1,1] op_sel_hi:[0,1]
	v_pk_fma_f32 v[134:135], v[126:127], v[130:131], v[132:133] op_sel_hi:[1,0,1]
	v_pk_fma_f32 v[126:127], v[126:127], v[130:131], v[132:133] neg_lo:[0,0,1] neg_hi:[0,0,1]
	s_delay_alu instid0(VALU_DEP_2)
	v_mov_b32_e32 v127, v135
	scratch_store_b64 off, v[126:127], off offset:328
.LBB124_1010:
	s_wait_xcnt 0x0
	s_or_b32 exec_lo, exec_lo, s0
	scratch_load_b64 v[126:127], off, off offset:336
	s_mov_b32 s0, exec_lo
	s_wait_loadcnt 0x0
	ds_store_b64 v1, v[126:127]
	s_wait_storecnt_dscnt 0x0
	s_barrier_signal -1
	s_barrier_wait -1
	s_wait_xcnt 0x0
	v_cmpx_gt_u32_e32 42, v0
	s_cbranch_execz .LBB124_1020
; %bb.1011:
	v_cmp_ne_u32_e32 vcc_lo, 1, v128
	s_cbranch_vccnz .LBB124_1013
; %bb.1012:
	scratch_load_b64 v[126:127], v59, off
	ds_load_b64 v[130:131], v1
	s_wait_loadcnt_dscnt 0x0
	v_pk_mul_f32 v[132:133], v[130:131], v[126:127] op_sel:[1,1] op_sel_hi:[0,1]
	s_delay_alu instid0(VALU_DEP_1) | instskip(SKIP_1) | instid1(VALU_DEP_2)
	v_pk_fma_f32 v[134:135], v[130:131], v[126:127], v[132:133] op_sel_hi:[1,0,1]
	v_pk_fma_f32 v[126:127], v[130:131], v[126:127], v[132:133] neg_lo:[0,0,1] neg_hi:[0,0,1]
	v_mov_b32_e32 v127, v135
	s_cbranch_execz .LBB124_1014
	s_branch .LBB124_1015
.LBB124_1013:
                                        ; implicit-def: $vgpr126_vgpr127
.LBB124_1014:
	ds_load_b64 v[126:127], v1
.LBB124_1015:
	s_mov_b32 s4, exec_lo
	v_cmpx_ne_u32_e32 41, v0
	s_cbranch_execz .LBB124_1019
; %bb.1016:
	v_add_nc_u32_e32 v129, 0x1f8, v58
	v_add3_u32 v130, 0, v58, 8
	v_mov_b32_e32 v131, v0
	s_mov_b32 s5, 0
.LBB124_1017:                           ; =>This Inner Loop Header: Depth=1
	scratch_load_b64 v[132:133], v130, off
	ds_load_b64 v[134:135], v129
	s_wait_xcnt 0x0
	v_dual_add_nc_u32 v129, 8, v129 :: v_dual_add_nc_u32 v130, 8, v130
	s_wait_loadcnt_dscnt 0x0
	v_pk_mul_f32 v[136:137], v[134:135], v[132:133] op_sel:[1,1] op_sel_hi:[0,1]
	s_delay_alu instid0(VALU_DEP_1) | instskip(SKIP_2) | instid1(VALU_DEP_3)
	v_pk_fma_f32 v[138:139], v[134:135], v[132:133], v[136:137] op_sel_hi:[1,0,1]
	v_add_nc_u32_e32 v131, 1, v131
	v_pk_fma_f32 v[132:133], v[134:135], v[132:133], v[136:137] neg_lo:[0,0,1] neg_hi:[0,0,1]
	v_mov_b32_e32 v133, v139
	s_delay_alu instid0(VALU_DEP_3) | instskip(NEXT) | instid1(VALU_DEP_2)
	v_cmp_lt_u32_e32 vcc_lo, 40, v131
	v_pk_add_f32 v[126:127], v[126:127], v[132:133]
	s_or_b32 s5, vcc_lo, s5
	s_delay_alu instid0(SALU_CYCLE_1)
	s_and_not1_b32 exec_lo, exec_lo, s5
	s_cbranch_execnz .LBB124_1017
; %bb.1018:
	s_or_b32 exec_lo, exec_lo, s5
.LBB124_1019:
	s_delay_alu instid0(SALU_CYCLE_1) | instskip(SKIP_4) | instid1(VALU_DEP_1)
	s_or_b32 exec_lo, exec_lo, s4
	v_mov_b32_e32 v129, 0
	ds_load_b64 v[130:131], v129 offset:336
	s_wait_dscnt 0x0
	v_pk_mul_f32 v[132:133], v[126:127], v[130:131] op_sel:[1,1] op_sel_hi:[0,1]
	v_pk_fma_f32 v[134:135], v[126:127], v[130:131], v[132:133] op_sel_hi:[1,0,1]
	v_pk_fma_f32 v[126:127], v[126:127], v[130:131], v[132:133] neg_lo:[0,0,1] neg_hi:[0,0,1]
	s_delay_alu instid0(VALU_DEP_2)
	v_mov_b32_e32 v127, v135
	scratch_store_b64 off, v[126:127], off offset:336
.LBB124_1020:
	s_wait_xcnt 0x0
	s_or_b32 exec_lo, exec_lo, s0
	scratch_load_b64 v[126:127], off, off offset:344
	s_mov_b32 s0, exec_lo
	s_wait_loadcnt 0x0
	ds_store_b64 v1, v[126:127]
	s_wait_storecnt_dscnt 0x0
	s_barrier_signal -1
	s_barrier_wait -1
	s_wait_xcnt 0x0
	v_cmpx_gt_u32_e32 43, v0
	s_cbranch_execz .LBB124_1030
; %bb.1021:
	v_cmp_ne_u32_e32 vcc_lo, 1, v128
	s_cbranch_vccnz .LBB124_1023
; %bb.1022:
	scratch_load_b64 v[126:127], v59, off
	ds_load_b64 v[130:131], v1
	s_wait_loadcnt_dscnt 0x0
	v_pk_mul_f32 v[132:133], v[130:131], v[126:127] op_sel:[1,1] op_sel_hi:[0,1]
	s_delay_alu instid0(VALU_DEP_1) | instskip(SKIP_1) | instid1(VALU_DEP_2)
	v_pk_fma_f32 v[134:135], v[130:131], v[126:127], v[132:133] op_sel_hi:[1,0,1]
	v_pk_fma_f32 v[126:127], v[130:131], v[126:127], v[132:133] neg_lo:[0,0,1] neg_hi:[0,0,1]
	v_mov_b32_e32 v127, v135
	s_cbranch_execz .LBB124_1024
	s_branch .LBB124_1025
.LBB124_1023:
                                        ; implicit-def: $vgpr126_vgpr127
.LBB124_1024:
	ds_load_b64 v[126:127], v1
.LBB124_1025:
	s_mov_b32 s4, exec_lo
	v_cmpx_ne_u32_e32 42, v0
	s_cbranch_execz .LBB124_1029
; %bb.1026:
	v_add_nc_u32_e32 v129, 0x1f8, v58
	v_add3_u32 v130, 0, v58, 8
	v_mov_b32_e32 v131, v0
	s_mov_b32 s5, 0
.LBB124_1027:                           ; =>This Inner Loop Header: Depth=1
	scratch_load_b64 v[132:133], v130, off
	ds_load_b64 v[134:135], v129
	s_wait_xcnt 0x0
	v_dual_add_nc_u32 v129, 8, v129 :: v_dual_add_nc_u32 v130, 8, v130
	s_wait_loadcnt_dscnt 0x0
	v_pk_mul_f32 v[136:137], v[134:135], v[132:133] op_sel:[1,1] op_sel_hi:[0,1]
	s_delay_alu instid0(VALU_DEP_1) | instskip(SKIP_2) | instid1(VALU_DEP_3)
	v_pk_fma_f32 v[138:139], v[134:135], v[132:133], v[136:137] op_sel_hi:[1,0,1]
	v_add_nc_u32_e32 v131, 1, v131
	v_pk_fma_f32 v[132:133], v[134:135], v[132:133], v[136:137] neg_lo:[0,0,1] neg_hi:[0,0,1]
	v_mov_b32_e32 v133, v139
	s_delay_alu instid0(VALU_DEP_3) | instskip(NEXT) | instid1(VALU_DEP_2)
	v_cmp_lt_u32_e32 vcc_lo, 41, v131
	v_pk_add_f32 v[126:127], v[126:127], v[132:133]
	s_or_b32 s5, vcc_lo, s5
	s_delay_alu instid0(SALU_CYCLE_1)
	s_and_not1_b32 exec_lo, exec_lo, s5
	s_cbranch_execnz .LBB124_1027
; %bb.1028:
	s_or_b32 exec_lo, exec_lo, s5
.LBB124_1029:
	s_delay_alu instid0(SALU_CYCLE_1) | instskip(SKIP_4) | instid1(VALU_DEP_1)
	s_or_b32 exec_lo, exec_lo, s4
	v_mov_b32_e32 v129, 0
	ds_load_b64 v[130:131], v129 offset:344
	s_wait_dscnt 0x0
	v_pk_mul_f32 v[132:133], v[126:127], v[130:131] op_sel:[1,1] op_sel_hi:[0,1]
	v_pk_fma_f32 v[134:135], v[126:127], v[130:131], v[132:133] op_sel_hi:[1,0,1]
	v_pk_fma_f32 v[126:127], v[126:127], v[130:131], v[132:133] neg_lo:[0,0,1] neg_hi:[0,0,1]
	s_delay_alu instid0(VALU_DEP_2)
	v_mov_b32_e32 v127, v135
	scratch_store_b64 off, v[126:127], off offset:344
.LBB124_1030:
	s_wait_xcnt 0x0
	s_or_b32 exec_lo, exec_lo, s0
	scratch_load_b64 v[126:127], off, off offset:352
	s_mov_b32 s0, exec_lo
	s_wait_loadcnt 0x0
	ds_store_b64 v1, v[126:127]
	s_wait_storecnt_dscnt 0x0
	s_barrier_signal -1
	s_barrier_wait -1
	s_wait_xcnt 0x0
	v_cmpx_gt_u32_e32 44, v0
	s_cbranch_execz .LBB124_1040
; %bb.1031:
	v_cmp_ne_u32_e32 vcc_lo, 1, v128
	s_cbranch_vccnz .LBB124_1033
; %bb.1032:
	scratch_load_b64 v[126:127], v59, off
	ds_load_b64 v[130:131], v1
	s_wait_loadcnt_dscnt 0x0
	v_pk_mul_f32 v[132:133], v[130:131], v[126:127] op_sel:[1,1] op_sel_hi:[0,1]
	s_delay_alu instid0(VALU_DEP_1) | instskip(SKIP_1) | instid1(VALU_DEP_2)
	v_pk_fma_f32 v[134:135], v[130:131], v[126:127], v[132:133] op_sel_hi:[1,0,1]
	v_pk_fma_f32 v[126:127], v[130:131], v[126:127], v[132:133] neg_lo:[0,0,1] neg_hi:[0,0,1]
	v_mov_b32_e32 v127, v135
	s_cbranch_execz .LBB124_1034
	s_branch .LBB124_1035
.LBB124_1033:
                                        ; implicit-def: $vgpr126_vgpr127
.LBB124_1034:
	ds_load_b64 v[126:127], v1
.LBB124_1035:
	s_mov_b32 s4, exec_lo
	v_cmpx_ne_u32_e32 43, v0
	s_cbranch_execz .LBB124_1039
; %bb.1036:
	v_add_nc_u32_e32 v129, 0x1f8, v58
	v_add3_u32 v130, 0, v58, 8
	v_mov_b32_e32 v131, v0
	s_mov_b32 s5, 0
.LBB124_1037:                           ; =>This Inner Loop Header: Depth=1
	scratch_load_b64 v[132:133], v130, off
	ds_load_b64 v[134:135], v129
	s_wait_xcnt 0x0
	v_dual_add_nc_u32 v129, 8, v129 :: v_dual_add_nc_u32 v130, 8, v130
	s_wait_loadcnt_dscnt 0x0
	v_pk_mul_f32 v[136:137], v[134:135], v[132:133] op_sel:[1,1] op_sel_hi:[0,1]
	s_delay_alu instid0(VALU_DEP_1) | instskip(SKIP_2) | instid1(VALU_DEP_3)
	v_pk_fma_f32 v[138:139], v[134:135], v[132:133], v[136:137] op_sel_hi:[1,0,1]
	v_add_nc_u32_e32 v131, 1, v131
	v_pk_fma_f32 v[132:133], v[134:135], v[132:133], v[136:137] neg_lo:[0,0,1] neg_hi:[0,0,1]
	v_mov_b32_e32 v133, v139
	s_delay_alu instid0(VALU_DEP_3) | instskip(NEXT) | instid1(VALU_DEP_2)
	v_cmp_lt_u32_e32 vcc_lo, 42, v131
	v_pk_add_f32 v[126:127], v[126:127], v[132:133]
	s_or_b32 s5, vcc_lo, s5
	s_delay_alu instid0(SALU_CYCLE_1)
	s_and_not1_b32 exec_lo, exec_lo, s5
	s_cbranch_execnz .LBB124_1037
; %bb.1038:
	s_or_b32 exec_lo, exec_lo, s5
.LBB124_1039:
	s_delay_alu instid0(SALU_CYCLE_1) | instskip(SKIP_4) | instid1(VALU_DEP_1)
	s_or_b32 exec_lo, exec_lo, s4
	v_mov_b32_e32 v129, 0
	ds_load_b64 v[130:131], v129 offset:352
	s_wait_dscnt 0x0
	v_pk_mul_f32 v[132:133], v[126:127], v[130:131] op_sel:[1,1] op_sel_hi:[0,1]
	v_pk_fma_f32 v[134:135], v[126:127], v[130:131], v[132:133] op_sel_hi:[1,0,1]
	v_pk_fma_f32 v[126:127], v[126:127], v[130:131], v[132:133] neg_lo:[0,0,1] neg_hi:[0,0,1]
	s_delay_alu instid0(VALU_DEP_2)
	v_mov_b32_e32 v127, v135
	scratch_store_b64 off, v[126:127], off offset:352
.LBB124_1040:
	s_wait_xcnt 0x0
	s_or_b32 exec_lo, exec_lo, s0
	scratch_load_b64 v[126:127], off, off offset:360
	s_mov_b32 s0, exec_lo
	s_wait_loadcnt 0x0
	ds_store_b64 v1, v[126:127]
	s_wait_storecnt_dscnt 0x0
	s_barrier_signal -1
	s_barrier_wait -1
	s_wait_xcnt 0x0
	v_cmpx_gt_u32_e32 45, v0
	s_cbranch_execz .LBB124_1050
; %bb.1041:
	v_cmp_ne_u32_e32 vcc_lo, 1, v128
	s_cbranch_vccnz .LBB124_1043
; %bb.1042:
	scratch_load_b64 v[126:127], v59, off
	ds_load_b64 v[130:131], v1
	s_wait_loadcnt_dscnt 0x0
	v_pk_mul_f32 v[132:133], v[130:131], v[126:127] op_sel:[1,1] op_sel_hi:[0,1]
	s_delay_alu instid0(VALU_DEP_1) | instskip(SKIP_1) | instid1(VALU_DEP_2)
	v_pk_fma_f32 v[134:135], v[130:131], v[126:127], v[132:133] op_sel_hi:[1,0,1]
	v_pk_fma_f32 v[126:127], v[130:131], v[126:127], v[132:133] neg_lo:[0,0,1] neg_hi:[0,0,1]
	v_mov_b32_e32 v127, v135
	s_cbranch_execz .LBB124_1044
	s_branch .LBB124_1045
.LBB124_1043:
                                        ; implicit-def: $vgpr126_vgpr127
.LBB124_1044:
	ds_load_b64 v[126:127], v1
.LBB124_1045:
	s_mov_b32 s4, exec_lo
	v_cmpx_ne_u32_e32 44, v0
	s_cbranch_execz .LBB124_1049
; %bb.1046:
	v_add_nc_u32_e32 v129, 0x1f8, v58
	v_add3_u32 v130, 0, v58, 8
	v_mov_b32_e32 v131, v0
	s_mov_b32 s5, 0
.LBB124_1047:                           ; =>This Inner Loop Header: Depth=1
	scratch_load_b64 v[132:133], v130, off
	ds_load_b64 v[134:135], v129
	s_wait_xcnt 0x0
	v_dual_add_nc_u32 v129, 8, v129 :: v_dual_add_nc_u32 v130, 8, v130
	s_wait_loadcnt_dscnt 0x0
	v_pk_mul_f32 v[136:137], v[134:135], v[132:133] op_sel:[1,1] op_sel_hi:[0,1]
	s_delay_alu instid0(VALU_DEP_1) | instskip(SKIP_2) | instid1(VALU_DEP_3)
	v_pk_fma_f32 v[138:139], v[134:135], v[132:133], v[136:137] op_sel_hi:[1,0,1]
	v_add_nc_u32_e32 v131, 1, v131
	v_pk_fma_f32 v[132:133], v[134:135], v[132:133], v[136:137] neg_lo:[0,0,1] neg_hi:[0,0,1]
	v_mov_b32_e32 v133, v139
	s_delay_alu instid0(VALU_DEP_3) | instskip(NEXT) | instid1(VALU_DEP_2)
	v_cmp_lt_u32_e32 vcc_lo, 43, v131
	v_pk_add_f32 v[126:127], v[126:127], v[132:133]
	s_or_b32 s5, vcc_lo, s5
	s_delay_alu instid0(SALU_CYCLE_1)
	s_and_not1_b32 exec_lo, exec_lo, s5
	s_cbranch_execnz .LBB124_1047
; %bb.1048:
	s_or_b32 exec_lo, exec_lo, s5
.LBB124_1049:
	s_delay_alu instid0(SALU_CYCLE_1) | instskip(SKIP_4) | instid1(VALU_DEP_1)
	s_or_b32 exec_lo, exec_lo, s4
	v_mov_b32_e32 v129, 0
	ds_load_b64 v[130:131], v129 offset:360
	s_wait_dscnt 0x0
	v_pk_mul_f32 v[132:133], v[126:127], v[130:131] op_sel:[1,1] op_sel_hi:[0,1]
	v_pk_fma_f32 v[134:135], v[126:127], v[130:131], v[132:133] op_sel_hi:[1,0,1]
	v_pk_fma_f32 v[126:127], v[126:127], v[130:131], v[132:133] neg_lo:[0,0,1] neg_hi:[0,0,1]
	s_delay_alu instid0(VALU_DEP_2)
	v_mov_b32_e32 v127, v135
	scratch_store_b64 off, v[126:127], off offset:360
.LBB124_1050:
	s_wait_xcnt 0x0
	s_or_b32 exec_lo, exec_lo, s0
	scratch_load_b64 v[126:127], off, off offset:368
	s_mov_b32 s0, exec_lo
	s_wait_loadcnt 0x0
	ds_store_b64 v1, v[126:127]
	s_wait_storecnt_dscnt 0x0
	s_barrier_signal -1
	s_barrier_wait -1
	s_wait_xcnt 0x0
	v_cmpx_gt_u32_e32 46, v0
	s_cbranch_execz .LBB124_1060
; %bb.1051:
	v_cmp_ne_u32_e32 vcc_lo, 1, v128
	s_cbranch_vccnz .LBB124_1053
; %bb.1052:
	scratch_load_b64 v[126:127], v59, off
	ds_load_b64 v[130:131], v1
	s_wait_loadcnt_dscnt 0x0
	v_pk_mul_f32 v[132:133], v[130:131], v[126:127] op_sel:[1,1] op_sel_hi:[0,1]
	s_delay_alu instid0(VALU_DEP_1) | instskip(SKIP_1) | instid1(VALU_DEP_2)
	v_pk_fma_f32 v[134:135], v[130:131], v[126:127], v[132:133] op_sel_hi:[1,0,1]
	v_pk_fma_f32 v[126:127], v[130:131], v[126:127], v[132:133] neg_lo:[0,0,1] neg_hi:[0,0,1]
	v_mov_b32_e32 v127, v135
	s_cbranch_execz .LBB124_1054
	s_branch .LBB124_1055
.LBB124_1053:
                                        ; implicit-def: $vgpr126_vgpr127
.LBB124_1054:
	ds_load_b64 v[126:127], v1
.LBB124_1055:
	s_mov_b32 s4, exec_lo
	v_cmpx_ne_u32_e32 45, v0
	s_cbranch_execz .LBB124_1059
; %bb.1056:
	v_add_nc_u32_e32 v129, 0x1f8, v58
	v_add3_u32 v130, 0, v58, 8
	v_mov_b32_e32 v131, v0
	s_mov_b32 s5, 0
.LBB124_1057:                           ; =>This Inner Loop Header: Depth=1
	scratch_load_b64 v[132:133], v130, off
	ds_load_b64 v[134:135], v129
	s_wait_xcnt 0x0
	v_dual_add_nc_u32 v129, 8, v129 :: v_dual_add_nc_u32 v130, 8, v130
	s_wait_loadcnt_dscnt 0x0
	v_pk_mul_f32 v[136:137], v[134:135], v[132:133] op_sel:[1,1] op_sel_hi:[0,1]
	s_delay_alu instid0(VALU_DEP_1) | instskip(SKIP_2) | instid1(VALU_DEP_3)
	v_pk_fma_f32 v[138:139], v[134:135], v[132:133], v[136:137] op_sel_hi:[1,0,1]
	v_add_nc_u32_e32 v131, 1, v131
	v_pk_fma_f32 v[132:133], v[134:135], v[132:133], v[136:137] neg_lo:[0,0,1] neg_hi:[0,0,1]
	v_mov_b32_e32 v133, v139
	s_delay_alu instid0(VALU_DEP_3) | instskip(NEXT) | instid1(VALU_DEP_2)
	v_cmp_lt_u32_e32 vcc_lo, 44, v131
	v_pk_add_f32 v[126:127], v[126:127], v[132:133]
	s_or_b32 s5, vcc_lo, s5
	s_delay_alu instid0(SALU_CYCLE_1)
	s_and_not1_b32 exec_lo, exec_lo, s5
	s_cbranch_execnz .LBB124_1057
; %bb.1058:
	s_or_b32 exec_lo, exec_lo, s5
.LBB124_1059:
	s_delay_alu instid0(SALU_CYCLE_1) | instskip(SKIP_4) | instid1(VALU_DEP_1)
	s_or_b32 exec_lo, exec_lo, s4
	v_mov_b32_e32 v129, 0
	ds_load_b64 v[130:131], v129 offset:368
	s_wait_dscnt 0x0
	v_pk_mul_f32 v[132:133], v[126:127], v[130:131] op_sel:[1,1] op_sel_hi:[0,1]
	v_pk_fma_f32 v[134:135], v[126:127], v[130:131], v[132:133] op_sel_hi:[1,0,1]
	v_pk_fma_f32 v[126:127], v[126:127], v[130:131], v[132:133] neg_lo:[0,0,1] neg_hi:[0,0,1]
	s_delay_alu instid0(VALU_DEP_2)
	v_mov_b32_e32 v127, v135
	scratch_store_b64 off, v[126:127], off offset:368
.LBB124_1060:
	s_wait_xcnt 0x0
	s_or_b32 exec_lo, exec_lo, s0
	scratch_load_b64 v[126:127], off, off offset:376
	s_mov_b32 s0, exec_lo
	s_wait_loadcnt 0x0
	ds_store_b64 v1, v[126:127]
	s_wait_storecnt_dscnt 0x0
	s_barrier_signal -1
	s_barrier_wait -1
	s_wait_xcnt 0x0
	v_cmpx_gt_u32_e32 47, v0
	s_cbranch_execz .LBB124_1070
; %bb.1061:
	v_cmp_ne_u32_e32 vcc_lo, 1, v128
	s_cbranch_vccnz .LBB124_1063
; %bb.1062:
	scratch_load_b64 v[126:127], v59, off
	ds_load_b64 v[130:131], v1
	s_wait_loadcnt_dscnt 0x0
	v_pk_mul_f32 v[132:133], v[130:131], v[126:127] op_sel:[1,1] op_sel_hi:[0,1]
	s_delay_alu instid0(VALU_DEP_1) | instskip(SKIP_1) | instid1(VALU_DEP_2)
	v_pk_fma_f32 v[134:135], v[130:131], v[126:127], v[132:133] op_sel_hi:[1,0,1]
	v_pk_fma_f32 v[126:127], v[130:131], v[126:127], v[132:133] neg_lo:[0,0,1] neg_hi:[0,0,1]
	v_mov_b32_e32 v127, v135
	s_cbranch_execz .LBB124_1064
	s_branch .LBB124_1065
.LBB124_1063:
                                        ; implicit-def: $vgpr126_vgpr127
.LBB124_1064:
	ds_load_b64 v[126:127], v1
.LBB124_1065:
	s_mov_b32 s4, exec_lo
	v_cmpx_ne_u32_e32 46, v0
	s_cbranch_execz .LBB124_1069
; %bb.1066:
	v_add_nc_u32_e32 v129, 0x1f8, v58
	v_add3_u32 v130, 0, v58, 8
	v_mov_b32_e32 v131, v0
	s_mov_b32 s5, 0
.LBB124_1067:                           ; =>This Inner Loop Header: Depth=1
	scratch_load_b64 v[132:133], v130, off
	ds_load_b64 v[134:135], v129
	s_wait_xcnt 0x0
	v_dual_add_nc_u32 v129, 8, v129 :: v_dual_add_nc_u32 v130, 8, v130
	s_wait_loadcnt_dscnt 0x0
	v_pk_mul_f32 v[136:137], v[134:135], v[132:133] op_sel:[1,1] op_sel_hi:[0,1]
	s_delay_alu instid0(VALU_DEP_1) | instskip(SKIP_2) | instid1(VALU_DEP_3)
	v_pk_fma_f32 v[138:139], v[134:135], v[132:133], v[136:137] op_sel_hi:[1,0,1]
	v_add_nc_u32_e32 v131, 1, v131
	v_pk_fma_f32 v[132:133], v[134:135], v[132:133], v[136:137] neg_lo:[0,0,1] neg_hi:[0,0,1]
	v_mov_b32_e32 v133, v139
	s_delay_alu instid0(VALU_DEP_3) | instskip(NEXT) | instid1(VALU_DEP_2)
	v_cmp_lt_u32_e32 vcc_lo, 45, v131
	v_pk_add_f32 v[126:127], v[126:127], v[132:133]
	s_or_b32 s5, vcc_lo, s5
	s_delay_alu instid0(SALU_CYCLE_1)
	s_and_not1_b32 exec_lo, exec_lo, s5
	s_cbranch_execnz .LBB124_1067
; %bb.1068:
	s_or_b32 exec_lo, exec_lo, s5
.LBB124_1069:
	s_delay_alu instid0(SALU_CYCLE_1) | instskip(SKIP_4) | instid1(VALU_DEP_1)
	s_or_b32 exec_lo, exec_lo, s4
	v_mov_b32_e32 v129, 0
	ds_load_b64 v[130:131], v129 offset:376
	s_wait_dscnt 0x0
	v_pk_mul_f32 v[132:133], v[126:127], v[130:131] op_sel:[1,1] op_sel_hi:[0,1]
	v_pk_fma_f32 v[134:135], v[126:127], v[130:131], v[132:133] op_sel_hi:[1,0,1]
	v_pk_fma_f32 v[126:127], v[126:127], v[130:131], v[132:133] neg_lo:[0,0,1] neg_hi:[0,0,1]
	s_delay_alu instid0(VALU_DEP_2)
	v_mov_b32_e32 v127, v135
	scratch_store_b64 off, v[126:127], off offset:376
.LBB124_1070:
	s_wait_xcnt 0x0
	s_or_b32 exec_lo, exec_lo, s0
	scratch_load_b64 v[126:127], off, off offset:384
	s_mov_b32 s0, exec_lo
	s_wait_loadcnt 0x0
	ds_store_b64 v1, v[126:127]
	s_wait_storecnt_dscnt 0x0
	s_barrier_signal -1
	s_barrier_wait -1
	s_wait_xcnt 0x0
	v_cmpx_gt_u32_e32 48, v0
	s_cbranch_execz .LBB124_1080
; %bb.1071:
	v_cmp_ne_u32_e32 vcc_lo, 1, v128
	s_cbranch_vccnz .LBB124_1073
; %bb.1072:
	scratch_load_b64 v[126:127], v59, off
	ds_load_b64 v[130:131], v1
	s_wait_loadcnt_dscnt 0x0
	v_pk_mul_f32 v[132:133], v[130:131], v[126:127] op_sel:[1,1] op_sel_hi:[0,1]
	s_delay_alu instid0(VALU_DEP_1) | instskip(SKIP_1) | instid1(VALU_DEP_2)
	v_pk_fma_f32 v[134:135], v[130:131], v[126:127], v[132:133] op_sel_hi:[1,0,1]
	v_pk_fma_f32 v[126:127], v[130:131], v[126:127], v[132:133] neg_lo:[0,0,1] neg_hi:[0,0,1]
	v_mov_b32_e32 v127, v135
	s_cbranch_execz .LBB124_1074
	s_branch .LBB124_1075
.LBB124_1073:
                                        ; implicit-def: $vgpr126_vgpr127
.LBB124_1074:
	ds_load_b64 v[126:127], v1
.LBB124_1075:
	s_mov_b32 s4, exec_lo
	v_cmpx_ne_u32_e32 47, v0
	s_cbranch_execz .LBB124_1079
; %bb.1076:
	v_add_nc_u32_e32 v129, 0x1f8, v58
	v_add3_u32 v130, 0, v58, 8
	v_mov_b32_e32 v131, v0
	s_mov_b32 s5, 0
.LBB124_1077:                           ; =>This Inner Loop Header: Depth=1
	scratch_load_b64 v[132:133], v130, off
	ds_load_b64 v[134:135], v129
	s_wait_xcnt 0x0
	v_dual_add_nc_u32 v129, 8, v129 :: v_dual_add_nc_u32 v130, 8, v130
	s_wait_loadcnt_dscnt 0x0
	v_pk_mul_f32 v[136:137], v[134:135], v[132:133] op_sel:[1,1] op_sel_hi:[0,1]
	s_delay_alu instid0(VALU_DEP_1) | instskip(SKIP_2) | instid1(VALU_DEP_3)
	v_pk_fma_f32 v[138:139], v[134:135], v[132:133], v[136:137] op_sel_hi:[1,0,1]
	v_add_nc_u32_e32 v131, 1, v131
	v_pk_fma_f32 v[132:133], v[134:135], v[132:133], v[136:137] neg_lo:[0,0,1] neg_hi:[0,0,1]
	v_mov_b32_e32 v133, v139
	s_delay_alu instid0(VALU_DEP_3) | instskip(NEXT) | instid1(VALU_DEP_2)
	v_cmp_lt_u32_e32 vcc_lo, 46, v131
	v_pk_add_f32 v[126:127], v[126:127], v[132:133]
	s_or_b32 s5, vcc_lo, s5
	s_delay_alu instid0(SALU_CYCLE_1)
	s_and_not1_b32 exec_lo, exec_lo, s5
	s_cbranch_execnz .LBB124_1077
; %bb.1078:
	s_or_b32 exec_lo, exec_lo, s5
.LBB124_1079:
	s_delay_alu instid0(SALU_CYCLE_1) | instskip(SKIP_4) | instid1(VALU_DEP_1)
	s_or_b32 exec_lo, exec_lo, s4
	v_mov_b32_e32 v129, 0
	ds_load_b64 v[130:131], v129 offset:384
	s_wait_dscnt 0x0
	v_pk_mul_f32 v[132:133], v[126:127], v[130:131] op_sel:[1,1] op_sel_hi:[0,1]
	v_pk_fma_f32 v[134:135], v[126:127], v[130:131], v[132:133] op_sel_hi:[1,0,1]
	v_pk_fma_f32 v[126:127], v[126:127], v[130:131], v[132:133] neg_lo:[0,0,1] neg_hi:[0,0,1]
	s_delay_alu instid0(VALU_DEP_2)
	v_mov_b32_e32 v127, v135
	scratch_store_b64 off, v[126:127], off offset:384
.LBB124_1080:
	s_wait_xcnt 0x0
	s_or_b32 exec_lo, exec_lo, s0
	scratch_load_b64 v[126:127], off, off offset:392
	s_mov_b32 s0, exec_lo
	s_wait_loadcnt 0x0
	ds_store_b64 v1, v[126:127]
	s_wait_storecnt_dscnt 0x0
	s_barrier_signal -1
	s_barrier_wait -1
	s_wait_xcnt 0x0
	v_cmpx_gt_u32_e32 49, v0
	s_cbranch_execz .LBB124_1090
; %bb.1081:
	v_cmp_ne_u32_e32 vcc_lo, 1, v128
	s_cbranch_vccnz .LBB124_1083
; %bb.1082:
	scratch_load_b64 v[126:127], v59, off
	ds_load_b64 v[130:131], v1
	s_wait_loadcnt_dscnt 0x0
	v_pk_mul_f32 v[132:133], v[130:131], v[126:127] op_sel:[1,1] op_sel_hi:[0,1]
	s_delay_alu instid0(VALU_DEP_1) | instskip(SKIP_1) | instid1(VALU_DEP_2)
	v_pk_fma_f32 v[134:135], v[130:131], v[126:127], v[132:133] op_sel_hi:[1,0,1]
	v_pk_fma_f32 v[126:127], v[130:131], v[126:127], v[132:133] neg_lo:[0,0,1] neg_hi:[0,0,1]
	v_mov_b32_e32 v127, v135
	s_cbranch_execz .LBB124_1084
	s_branch .LBB124_1085
.LBB124_1083:
                                        ; implicit-def: $vgpr126_vgpr127
.LBB124_1084:
	ds_load_b64 v[126:127], v1
.LBB124_1085:
	s_mov_b32 s4, exec_lo
	v_cmpx_ne_u32_e32 48, v0
	s_cbranch_execz .LBB124_1089
; %bb.1086:
	v_add_nc_u32_e32 v129, 0x1f8, v58
	v_add3_u32 v130, 0, v58, 8
	v_mov_b32_e32 v131, v0
	s_mov_b32 s5, 0
.LBB124_1087:                           ; =>This Inner Loop Header: Depth=1
	scratch_load_b64 v[132:133], v130, off
	ds_load_b64 v[134:135], v129
	s_wait_xcnt 0x0
	v_dual_add_nc_u32 v129, 8, v129 :: v_dual_add_nc_u32 v130, 8, v130
	s_wait_loadcnt_dscnt 0x0
	v_pk_mul_f32 v[136:137], v[134:135], v[132:133] op_sel:[1,1] op_sel_hi:[0,1]
	s_delay_alu instid0(VALU_DEP_1) | instskip(SKIP_2) | instid1(VALU_DEP_3)
	v_pk_fma_f32 v[138:139], v[134:135], v[132:133], v[136:137] op_sel_hi:[1,0,1]
	v_add_nc_u32_e32 v131, 1, v131
	v_pk_fma_f32 v[132:133], v[134:135], v[132:133], v[136:137] neg_lo:[0,0,1] neg_hi:[0,0,1]
	v_mov_b32_e32 v133, v139
	s_delay_alu instid0(VALU_DEP_3) | instskip(NEXT) | instid1(VALU_DEP_2)
	v_cmp_lt_u32_e32 vcc_lo, 47, v131
	v_pk_add_f32 v[126:127], v[126:127], v[132:133]
	s_or_b32 s5, vcc_lo, s5
	s_delay_alu instid0(SALU_CYCLE_1)
	s_and_not1_b32 exec_lo, exec_lo, s5
	s_cbranch_execnz .LBB124_1087
; %bb.1088:
	s_or_b32 exec_lo, exec_lo, s5
.LBB124_1089:
	s_delay_alu instid0(SALU_CYCLE_1) | instskip(SKIP_4) | instid1(VALU_DEP_1)
	s_or_b32 exec_lo, exec_lo, s4
	v_mov_b32_e32 v129, 0
	ds_load_b64 v[130:131], v129 offset:392
	s_wait_dscnt 0x0
	v_pk_mul_f32 v[132:133], v[126:127], v[130:131] op_sel:[1,1] op_sel_hi:[0,1]
	v_pk_fma_f32 v[134:135], v[126:127], v[130:131], v[132:133] op_sel_hi:[1,0,1]
	v_pk_fma_f32 v[126:127], v[126:127], v[130:131], v[132:133] neg_lo:[0,0,1] neg_hi:[0,0,1]
	s_delay_alu instid0(VALU_DEP_2)
	v_mov_b32_e32 v127, v135
	scratch_store_b64 off, v[126:127], off offset:392
.LBB124_1090:
	s_wait_xcnt 0x0
	s_or_b32 exec_lo, exec_lo, s0
	scratch_load_b64 v[126:127], off, off offset:400
	s_mov_b32 s0, exec_lo
	s_wait_loadcnt 0x0
	ds_store_b64 v1, v[126:127]
	s_wait_storecnt_dscnt 0x0
	s_barrier_signal -1
	s_barrier_wait -1
	s_wait_xcnt 0x0
	v_cmpx_gt_u32_e32 50, v0
	s_cbranch_execz .LBB124_1100
; %bb.1091:
	v_cmp_ne_u32_e32 vcc_lo, 1, v128
	s_cbranch_vccnz .LBB124_1093
; %bb.1092:
	scratch_load_b64 v[126:127], v59, off
	ds_load_b64 v[130:131], v1
	s_wait_loadcnt_dscnt 0x0
	v_pk_mul_f32 v[132:133], v[130:131], v[126:127] op_sel:[1,1] op_sel_hi:[0,1]
	s_delay_alu instid0(VALU_DEP_1) | instskip(SKIP_1) | instid1(VALU_DEP_2)
	v_pk_fma_f32 v[134:135], v[130:131], v[126:127], v[132:133] op_sel_hi:[1,0,1]
	v_pk_fma_f32 v[126:127], v[130:131], v[126:127], v[132:133] neg_lo:[0,0,1] neg_hi:[0,0,1]
	v_mov_b32_e32 v127, v135
	s_cbranch_execz .LBB124_1094
	s_branch .LBB124_1095
.LBB124_1093:
                                        ; implicit-def: $vgpr126_vgpr127
.LBB124_1094:
	ds_load_b64 v[126:127], v1
.LBB124_1095:
	s_mov_b32 s4, exec_lo
	v_cmpx_ne_u32_e32 49, v0
	s_cbranch_execz .LBB124_1099
; %bb.1096:
	v_add_nc_u32_e32 v129, 0x1f8, v58
	v_add3_u32 v130, 0, v58, 8
	v_mov_b32_e32 v131, v0
	s_mov_b32 s5, 0
.LBB124_1097:                           ; =>This Inner Loop Header: Depth=1
	scratch_load_b64 v[132:133], v130, off
	ds_load_b64 v[134:135], v129
	s_wait_xcnt 0x0
	v_dual_add_nc_u32 v129, 8, v129 :: v_dual_add_nc_u32 v130, 8, v130
	s_wait_loadcnt_dscnt 0x0
	v_pk_mul_f32 v[136:137], v[134:135], v[132:133] op_sel:[1,1] op_sel_hi:[0,1]
	s_delay_alu instid0(VALU_DEP_1) | instskip(SKIP_2) | instid1(VALU_DEP_3)
	v_pk_fma_f32 v[138:139], v[134:135], v[132:133], v[136:137] op_sel_hi:[1,0,1]
	v_add_nc_u32_e32 v131, 1, v131
	v_pk_fma_f32 v[132:133], v[134:135], v[132:133], v[136:137] neg_lo:[0,0,1] neg_hi:[0,0,1]
	v_mov_b32_e32 v133, v139
	s_delay_alu instid0(VALU_DEP_3) | instskip(NEXT) | instid1(VALU_DEP_2)
	v_cmp_lt_u32_e32 vcc_lo, 48, v131
	v_pk_add_f32 v[126:127], v[126:127], v[132:133]
	s_or_b32 s5, vcc_lo, s5
	s_delay_alu instid0(SALU_CYCLE_1)
	s_and_not1_b32 exec_lo, exec_lo, s5
	s_cbranch_execnz .LBB124_1097
; %bb.1098:
	s_or_b32 exec_lo, exec_lo, s5
.LBB124_1099:
	s_delay_alu instid0(SALU_CYCLE_1) | instskip(SKIP_4) | instid1(VALU_DEP_1)
	s_or_b32 exec_lo, exec_lo, s4
	v_mov_b32_e32 v129, 0
	ds_load_b64 v[130:131], v129 offset:400
	s_wait_dscnt 0x0
	v_pk_mul_f32 v[132:133], v[126:127], v[130:131] op_sel:[1,1] op_sel_hi:[0,1]
	v_pk_fma_f32 v[134:135], v[126:127], v[130:131], v[132:133] op_sel_hi:[1,0,1]
	v_pk_fma_f32 v[126:127], v[126:127], v[130:131], v[132:133] neg_lo:[0,0,1] neg_hi:[0,0,1]
	s_delay_alu instid0(VALU_DEP_2)
	v_mov_b32_e32 v127, v135
	scratch_store_b64 off, v[126:127], off offset:400
.LBB124_1100:
	s_wait_xcnt 0x0
	s_or_b32 exec_lo, exec_lo, s0
	scratch_load_b64 v[126:127], off, off offset:408
	s_mov_b32 s0, exec_lo
	s_wait_loadcnt 0x0
	ds_store_b64 v1, v[126:127]
	s_wait_storecnt_dscnt 0x0
	s_barrier_signal -1
	s_barrier_wait -1
	s_wait_xcnt 0x0
	v_cmpx_gt_u32_e32 51, v0
	s_cbranch_execz .LBB124_1110
; %bb.1101:
	v_cmp_ne_u32_e32 vcc_lo, 1, v128
	s_cbranch_vccnz .LBB124_1103
; %bb.1102:
	scratch_load_b64 v[126:127], v59, off
	ds_load_b64 v[130:131], v1
	s_wait_loadcnt_dscnt 0x0
	v_pk_mul_f32 v[132:133], v[130:131], v[126:127] op_sel:[1,1] op_sel_hi:[0,1]
	s_delay_alu instid0(VALU_DEP_1) | instskip(SKIP_1) | instid1(VALU_DEP_2)
	v_pk_fma_f32 v[134:135], v[130:131], v[126:127], v[132:133] op_sel_hi:[1,0,1]
	v_pk_fma_f32 v[126:127], v[130:131], v[126:127], v[132:133] neg_lo:[0,0,1] neg_hi:[0,0,1]
	v_mov_b32_e32 v127, v135
	s_cbranch_execz .LBB124_1104
	s_branch .LBB124_1105
.LBB124_1103:
                                        ; implicit-def: $vgpr126_vgpr127
.LBB124_1104:
	ds_load_b64 v[126:127], v1
.LBB124_1105:
	s_mov_b32 s4, exec_lo
	v_cmpx_ne_u32_e32 50, v0
	s_cbranch_execz .LBB124_1109
; %bb.1106:
	v_add_nc_u32_e32 v129, 0x1f8, v58
	v_add3_u32 v130, 0, v58, 8
	v_mov_b32_e32 v131, v0
	s_mov_b32 s5, 0
.LBB124_1107:                           ; =>This Inner Loop Header: Depth=1
	scratch_load_b64 v[132:133], v130, off
	ds_load_b64 v[134:135], v129
	s_wait_xcnt 0x0
	v_dual_add_nc_u32 v129, 8, v129 :: v_dual_add_nc_u32 v130, 8, v130
	s_wait_loadcnt_dscnt 0x0
	v_pk_mul_f32 v[136:137], v[134:135], v[132:133] op_sel:[1,1] op_sel_hi:[0,1]
	s_delay_alu instid0(VALU_DEP_1) | instskip(SKIP_2) | instid1(VALU_DEP_3)
	v_pk_fma_f32 v[138:139], v[134:135], v[132:133], v[136:137] op_sel_hi:[1,0,1]
	v_add_nc_u32_e32 v131, 1, v131
	v_pk_fma_f32 v[132:133], v[134:135], v[132:133], v[136:137] neg_lo:[0,0,1] neg_hi:[0,0,1]
	v_mov_b32_e32 v133, v139
	s_delay_alu instid0(VALU_DEP_3) | instskip(NEXT) | instid1(VALU_DEP_2)
	v_cmp_lt_u32_e32 vcc_lo, 49, v131
	v_pk_add_f32 v[126:127], v[126:127], v[132:133]
	s_or_b32 s5, vcc_lo, s5
	s_delay_alu instid0(SALU_CYCLE_1)
	s_and_not1_b32 exec_lo, exec_lo, s5
	s_cbranch_execnz .LBB124_1107
; %bb.1108:
	s_or_b32 exec_lo, exec_lo, s5
.LBB124_1109:
	s_delay_alu instid0(SALU_CYCLE_1) | instskip(SKIP_4) | instid1(VALU_DEP_1)
	s_or_b32 exec_lo, exec_lo, s4
	v_mov_b32_e32 v129, 0
	ds_load_b64 v[130:131], v129 offset:408
	s_wait_dscnt 0x0
	v_pk_mul_f32 v[132:133], v[126:127], v[130:131] op_sel:[1,1] op_sel_hi:[0,1]
	v_pk_fma_f32 v[134:135], v[126:127], v[130:131], v[132:133] op_sel_hi:[1,0,1]
	v_pk_fma_f32 v[126:127], v[126:127], v[130:131], v[132:133] neg_lo:[0,0,1] neg_hi:[0,0,1]
	s_delay_alu instid0(VALU_DEP_2)
	v_mov_b32_e32 v127, v135
	scratch_store_b64 off, v[126:127], off offset:408
.LBB124_1110:
	s_wait_xcnt 0x0
	s_or_b32 exec_lo, exec_lo, s0
	scratch_load_b64 v[126:127], off, off offset:416
	s_mov_b32 s0, exec_lo
	s_wait_loadcnt 0x0
	ds_store_b64 v1, v[126:127]
	s_wait_storecnt_dscnt 0x0
	s_barrier_signal -1
	s_barrier_wait -1
	s_wait_xcnt 0x0
	v_cmpx_gt_u32_e32 52, v0
	s_cbranch_execz .LBB124_1120
; %bb.1111:
	v_cmp_ne_u32_e32 vcc_lo, 1, v128
	s_cbranch_vccnz .LBB124_1113
; %bb.1112:
	scratch_load_b64 v[126:127], v59, off
	ds_load_b64 v[130:131], v1
	s_wait_loadcnt_dscnt 0x0
	v_pk_mul_f32 v[132:133], v[130:131], v[126:127] op_sel:[1,1] op_sel_hi:[0,1]
	s_delay_alu instid0(VALU_DEP_1) | instskip(SKIP_1) | instid1(VALU_DEP_2)
	v_pk_fma_f32 v[134:135], v[130:131], v[126:127], v[132:133] op_sel_hi:[1,0,1]
	v_pk_fma_f32 v[126:127], v[130:131], v[126:127], v[132:133] neg_lo:[0,0,1] neg_hi:[0,0,1]
	v_mov_b32_e32 v127, v135
	s_cbranch_execz .LBB124_1114
	s_branch .LBB124_1115
.LBB124_1113:
                                        ; implicit-def: $vgpr126_vgpr127
.LBB124_1114:
	ds_load_b64 v[126:127], v1
.LBB124_1115:
	s_mov_b32 s4, exec_lo
	v_cmpx_ne_u32_e32 51, v0
	s_cbranch_execz .LBB124_1119
; %bb.1116:
	v_add_nc_u32_e32 v129, 0x1f8, v58
	v_add3_u32 v130, 0, v58, 8
	v_mov_b32_e32 v131, v0
	s_mov_b32 s5, 0
.LBB124_1117:                           ; =>This Inner Loop Header: Depth=1
	scratch_load_b64 v[132:133], v130, off
	ds_load_b64 v[134:135], v129
	s_wait_xcnt 0x0
	v_dual_add_nc_u32 v129, 8, v129 :: v_dual_add_nc_u32 v130, 8, v130
	s_wait_loadcnt_dscnt 0x0
	v_pk_mul_f32 v[136:137], v[134:135], v[132:133] op_sel:[1,1] op_sel_hi:[0,1]
	s_delay_alu instid0(VALU_DEP_1) | instskip(SKIP_2) | instid1(VALU_DEP_3)
	v_pk_fma_f32 v[138:139], v[134:135], v[132:133], v[136:137] op_sel_hi:[1,0,1]
	v_add_nc_u32_e32 v131, 1, v131
	v_pk_fma_f32 v[132:133], v[134:135], v[132:133], v[136:137] neg_lo:[0,0,1] neg_hi:[0,0,1]
	v_mov_b32_e32 v133, v139
	s_delay_alu instid0(VALU_DEP_3) | instskip(NEXT) | instid1(VALU_DEP_2)
	v_cmp_lt_u32_e32 vcc_lo, 50, v131
	v_pk_add_f32 v[126:127], v[126:127], v[132:133]
	s_or_b32 s5, vcc_lo, s5
	s_delay_alu instid0(SALU_CYCLE_1)
	s_and_not1_b32 exec_lo, exec_lo, s5
	s_cbranch_execnz .LBB124_1117
; %bb.1118:
	s_or_b32 exec_lo, exec_lo, s5
.LBB124_1119:
	s_delay_alu instid0(SALU_CYCLE_1) | instskip(SKIP_4) | instid1(VALU_DEP_1)
	s_or_b32 exec_lo, exec_lo, s4
	v_mov_b32_e32 v129, 0
	ds_load_b64 v[130:131], v129 offset:416
	s_wait_dscnt 0x0
	v_pk_mul_f32 v[132:133], v[126:127], v[130:131] op_sel:[1,1] op_sel_hi:[0,1]
	v_pk_fma_f32 v[134:135], v[126:127], v[130:131], v[132:133] op_sel_hi:[1,0,1]
	v_pk_fma_f32 v[126:127], v[126:127], v[130:131], v[132:133] neg_lo:[0,0,1] neg_hi:[0,0,1]
	s_delay_alu instid0(VALU_DEP_2)
	v_mov_b32_e32 v127, v135
	scratch_store_b64 off, v[126:127], off offset:416
.LBB124_1120:
	s_wait_xcnt 0x0
	s_or_b32 exec_lo, exec_lo, s0
	scratch_load_b64 v[126:127], off, off offset:424
	s_mov_b32 s0, exec_lo
	s_wait_loadcnt 0x0
	ds_store_b64 v1, v[126:127]
	s_wait_storecnt_dscnt 0x0
	s_barrier_signal -1
	s_barrier_wait -1
	s_wait_xcnt 0x0
	v_cmpx_gt_u32_e32 53, v0
	s_cbranch_execz .LBB124_1130
; %bb.1121:
	v_cmp_ne_u32_e32 vcc_lo, 1, v128
	s_cbranch_vccnz .LBB124_1123
; %bb.1122:
	scratch_load_b64 v[126:127], v59, off
	ds_load_b64 v[130:131], v1
	s_wait_loadcnt_dscnt 0x0
	v_pk_mul_f32 v[132:133], v[130:131], v[126:127] op_sel:[1,1] op_sel_hi:[0,1]
	s_delay_alu instid0(VALU_DEP_1) | instskip(SKIP_1) | instid1(VALU_DEP_2)
	v_pk_fma_f32 v[134:135], v[130:131], v[126:127], v[132:133] op_sel_hi:[1,0,1]
	v_pk_fma_f32 v[126:127], v[130:131], v[126:127], v[132:133] neg_lo:[0,0,1] neg_hi:[0,0,1]
	v_mov_b32_e32 v127, v135
	s_cbranch_execz .LBB124_1124
	s_branch .LBB124_1125
.LBB124_1123:
                                        ; implicit-def: $vgpr126_vgpr127
.LBB124_1124:
	ds_load_b64 v[126:127], v1
.LBB124_1125:
	s_mov_b32 s4, exec_lo
	v_cmpx_ne_u32_e32 52, v0
	s_cbranch_execz .LBB124_1129
; %bb.1126:
	v_add_nc_u32_e32 v129, 0x1f8, v58
	v_add3_u32 v130, 0, v58, 8
	v_mov_b32_e32 v131, v0
	s_mov_b32 s5, 0
.LBB124_1127:                           ; =>This Inner Loop Header: Depth=1
	scratch_load_b64 v[132:133], v130, off
	ds_load_b64 v[134:135], v129
	s_wait_xcnt 0x0
	v_dual_add_nc_u32 v129, 8, v129 :: v_dual_add_nc_u32 v130, 8, v130
	s_wait_loadcnt_dscnt 0x0
	v_pk_mul_f32 v[136:137], v[134:135], v[132:133] op_sel:[1,1] op_sel_hi:[0,1]
	s_delay_alu instid0(VALU_DEP_1) | instskip(SKIP_2) | instid1(VALU_DEP_3)
	v_pk_fma_f32 v[138:139], v[134:135], v[132:133], v[136:137] op_sel_hi:[1,0,1]
	v_add_nc_u32_e32 v131, 1, v131
	v_pk_fma_f32 v[132:133], v[134:135], v[132:133], v[136:137] neg_lo:[0,0,1] neg_hi:[0,0,1]
	v_mov_b32_e32 v133, v139
	s_delay_alu instid0(VALU_DEP_3) | instskip(NEXT) | instid1(VALU_DEP_2)
	v_cmp_lt_u32_e32 vcc_lo, 51, v131
	v_pk_add_f32 v[126:127], v[126:127], v[132:133]
	s_or_b32 s5, vcc_lo, s5
	s_delay_alu instid0(SALU_CYCLE_1)
	s_and_not1_b32 exec_lo, exec_lo, s5
	s_cbranch_execnz .LBB124_1127
; %bb.1128:
	s_or_b32 exec_lo, exec_lo, s5
.LBB124_1129:
	s_delay_alu instid0(SALU_CYCLE_1) | instskip(SKIP_4) | instid1(VALU_DEP_1)
	s_or_b32 exec_lo, exec_lo, s4
	v_mov_b32_e32 v129, 0
	ds_load_b64 v[130:131], v129 offset:424
	s_wait_dscnt 0x0
	v_pk_mul_f32 v[132:133], v[126:127], v[130:131] op_sel:[1,1] op_sel_hi:[0,1]
	v_pk_fma_f32 v[134:135], v[126:127], v[130:131], v[132:133] op_sel_hi:[1,0,1]
	v_pk_fma_f32 v[126:127], v[126:127], v[130:131], v[132:133] neg_lo:[0,0,1] neg_hi:[0,0,1]
	s_delay_alu instid0(VALU_DEP_2)
	v_mov_b32_e32 v127, v135
	scratch_store_b64 off, v[126:127], off offset:424
.LBB124_1130:
	s_wait_xcnt 0x0
	s_or_b32 exec_lo, exec_lo, s0
	scratch_load_b64 v[126:127], off, off offset:432
	s_mov_b32 s0, exec_lo
	s_wait_loadcnt 0x0
	ds_store_b64 v1, v[126:127]
	s_wait_storecnt_dscnt 0x0
	s_barrier_signal -1
	s_barrier_wait -1
	s_wait_xcnt 0x0
	v_cmpx_gt_u32_e32 54, v0
	s_cbranch_execz .LBB124_1140
; %bb.1131:
	v_cmp_ne_u32_e32 vcc_lo, 1, v128
	s_cbranch_vccnz .LBB124_1133
; %bb.1132:
	scratch_load_b64 v[126:127], v59, off
	ds_load_b64 v[130:131], v1
	s_wait_loadcnt_dscnt 0x0
	v_pk_mul_f32 v[132:133], v[130:131], v[126:127] op_sel:[1,1] op_sel_hi:[0,1]
	s_delay_alu instid0(VALU_DEP_1) | instskip(SKIP_1) | instid1(VALU_DEP_2)
	v_pk_fma_f32 v[134:135], v[130:131], v[126:127], v[132:133] op_sel_hi:[1,0,1]
	v_pk_fma_f32 v[126:127], v[130:131], v[126:127], v[132:133] neg_lo:[0,0,1] neg_hi:[0,0,1]
	v_mov_b32_e32 v127, v135
	s_cbranch_execz .LBB124_1134
	s_branch .LBB124_1135
.LBB124_1133:
                                        ; implicit-def: $vgpr126_vgpr127
.LBB124_1134:
	ds_load_b64 v[126:127], v1
.LBB124_1135:
	s_mov_b32 s4, exec_lo
	v_cmpx_ne_u32_e32 53, v0
	s_cbranch_execz .LBB124_1139
; %bb.1136:
	v_add_nc_u32_e32 v129, 0x1f8, v58
	v_add3_u32 v130, 0, v58, 8
	v_mov_b32_e32 v131, v0
	s_mov_b32 s5, 0
.LBB124_1137:                           ; =>This Inner Loop Header: Depth=1
	scratch_load_b64 v[132:133], v130, off
	ds_load_b64 v[134:135], v129
	s_wait_xcnt 0x0
	v_dual_add_nc_u32 v129, 8, v129 :: v_dual_add_nc_u32 v130, 8, v130
	s_wait_loadcnt_dscnt 0x0
	v_pk_mul_f32 v[136:137], v[134:135], v[132:133] op_sel:[1,1] op_sel_hi:[0,1]
	s_delay_alu instid0(VALU_DEP_1) | instskip(SKIP_2) | instid1(VALU_DEP_3)
	v_pk_fma_f32 v[138:139], v[134:135], v[132:133], v[136:137] op_sel_hi:[1,0,1]
	v_add_nc_u32_e32 v131, 1, v131
	v_pk_fma_f32 v[132:133], v[134:135], v[132:133], v[136:137] neg_lo:[0,0,1] neg_hi:[0,0,1]
	v_mov_b32_e32 v133, v139
	s_delay_alu instid0(VALU_DEP_3) | instskip(NEXT) | instid1(VALU_DEP_2)
	v_cmp_lt_u32_e32 vcc_lo, 52, v131
	v_pk_add_f32 v[126:127], v[126:127], v[132:133]
	s_or_b32 s5, vcc_lo, s5
	s_delay_alu instid0(SALU_CYCLE_1)
	s_and_not1_b32 exec_lo, exec_lo, s5
	s_cbranch_execnz .LBB124_1137
; %bb.1138:
	s_or_b32 exec_lo, exec_lo, s5
.LBB124_1139:
	s_delay_alu instid0(SALU_CYCLE_1) | instskip(SKIP_4) | instid1(VALU_DEP_1)
	s_or_b32 exec_lo, exec_lo, s4
	v_mov_b32_e32 v129, 0
	ds_load_b64 v[130:131], v129 offset:432
	s_wait_dscnt 0x0
	v_pk_mul_f32 v[132:133], v[126:127], v[130:131] op_sel:[1,1] op_sel_hi:[0,1]
	v_pk_fma_f32 v[134:135], v[126:127], v[130:131], v[132:133] op_sel_hi:[1,0,1]
	v_pk_fma_f32 v[126:127], v[126:127], v[130:131], v[132:133] neg_lo:[0,0,1] neg_hi:[0,0,1]
	s_delay_alu instid0(VALU_DEP_2)
	v_mov_b32_e32 v127, v135
	scratch_store_b64 off, v[126:127], off offset:432
.LBB124_1140:
	s_wait_xcnt 0x0
	s_or_b32 exec_lo, exec_lo, s0
	scratch_load_b64 v[126:127], off, off offset:440
	s_mov_b32 s0, exec_lo
	s_wait_loadcnt 0x0
	ds_store_b64 v1, v[126:127]
	s_wait_storecnt_dscnt 0x0
	s_barrier_signal -1
	s_barrier_wait -1
	s_wait_xcnt 0x0
	v_cmpx_gt_u32_e32 55, v0
	s_cbranch_execz .LBB124_1150
; %bb.1141:
	v_cmp_ne_u32_e32 vcc_lo, 1, v128
	s_cbranch_vccnz .LBB124_1143
; %bb.1142:
	scratch_load_b64 v[126:127], v59, off
	ds_load_b64 v[130:131], v1
	s_wait_loadcnt_dscnt 0x0
	v_pk_mul_f32 v[132:133], v[130:131], v[126:127] op_sel:[1,1] op_sel_hi:[0,1]
	s_delay_alu instid0(VALU_DEP_1) | instskip(SKIP_1) | instid1(VALU_DEP_2)
	v_pk_fma_f32 v[134:135], v[130:131], v[126:127], v[132:133] op_sel_hi:[1,0,1]
	v_pk_fma_f32 v[126:127], v[130:131], v[126:127], v[132:133] neg_lo:[0,0,1] neg_hi:[0,0,1]
	v_mov_b32_e32 v127, v135
	s_cbranch_execz .LBB124_1144
	s_branch .LBB124_1145
.LBB124_1143:
                                        ; implicit-def: $vgpr126_vgpr127
.LBB124_1144:
	ds_load_b64 v[126:127], v1
.LBB124_1145:
	s_mov_b32 s4, exec_lo
	v_cmpx_ne_u32_e32 54, v0
	s_cbranch_execz .LBB124_1149
; %bb.1146:
	v_add_nc_u32_e32 v129, 0x1f8, v58
	v_add3_u32 v130, 0, v58, 8
	v_mov_b32_e32 v131, v0
	s_mov_b32 s5, 0
.LBB124_1147:                           ; =>This Inner Loop Header: Depth=1
	scratch_load_b64 v[132:133], v130, off
	ds_load_b64 v[134:135], v129
	s_wait_xcnt 0x0
	v_dual_add_nc_u32 v129, 8, v129 :: v_dual_add_nc_u32 v130, 8, v130
	s_wait_loadcnt_dscnt 0x0
	v_pk_mul_f32 v[136:137], v[134:135], v[132:133] op_sel:[1,1] op_sel_hi:[0,1]
	s_delay_alu instid0(VALU_DEP_1) | instskip(SKIP_2) | instid1(VALU_DEP_3)
	v_pk_fma_f32 v[138:139], v[134:135], v[132:133], v[136:137] op_sel_hi:[1,0,1]
	v_add_nc_u32_e32 v131, 1, v131
	v_pk_fma_f32 v[132:133], v[134:135], v[132:133], v[136:137] neg_lo:[0,0,1] neg_hi:[0,0,1]
	v_mov_b32_e32 v133, v139
	s_delay_alu instid0(VALU_DEP_3) | instskip(NEXT) | instid1(VALU_DEP_2)
	v_cmp_lt_u32_e32 vcc_lo, 53, v131
	v_pk_add_f32 v[126:127], v[126:127], v[132:133]
	s_or_b32 s5, vcc_lo, s5
	s_delay_alu instid0(SALU_CYCLE_1)
	s_and_not1_b32 exec_lo, exec_lo, s5
	s_cbranch_execnz .LBB124_1147
; %bb.1148:
	s_or_b32 exec_lo, exec_lo, s5
.LBB124_1149:
	s_delay_alu instid0(SALU_CYCLE_1) | instskip(SKIP_4) | instid1(VALU_DEP_1)
	s_or_b32 exec_lo, exec_lo, s4
	v_mov_b32_e32 v129, 0
	ds_load_b64 v[130:131], v129 offset:440
	s_wait_dscnt 0x0
	v_pk_mul_f32 v[132:133], v[126:127], v[130:131] op_sel:[1,1] op_sel_hi:[0,1]
	v_pk_fma_f32 v[134:135], v[126:127], v[130:131], v[132:133] op_sel_hi:[1,0,1]
	v_pk_fma_f32 v[126:127], v[126:127], v[130:131], v[132:133] neg_lo:[0,0,1] neg_hi:[0,0,1]
	s_delay_alu instid0(VALU_DEP_2)
	v_mov_b32_e32 v127, v135
	scratch_store_b64 off, v[126:127], off offset:440
.LBB124_1150:
	s_wait_xcnt 0x0
	s_or_b32 exec_lo, exec_lo, s0
	scratch_load_b64 v[126:127], off, off offset:448
	s_mov_b32 s0, exec_lo
	s_wait_loadcnt 0x0
	ds_store_b64 v1, v[126:127]
	s_wait_storecnt_dscnt 0x0
	s_barrier_signal -1
	s_barrier_wait -1
	s_wait_xcnt 0x0
	v_cmpx_gt_u32_e32 56, v0
	s_cbranch_execz .LBB124_1160
; %bb.1151:
	v_cmp_ne_u32_e32 vcc_lo, 1, v128
	s_cbranch_vccnz .LBB124_1153
; %bb.1152:
	scratch_load_b64 v[126:127], v59, off
	ds_load_b64 v[130:131], v1
	s_wait_loadcnt_dscnt 0x0
	v_pk_mul_f32 v[132:133], v[130:131], v[126:127] op_sel:[1,1] op_sel_hi:[0,1]
	s_delay_alu instid0(VALU_DEP_1) | instskip(SKIP_1) | instid1(VALU_DEP_2)
	v_pk_fma_f32 v[134:135], v[130:131], v[126:127], v[132:133] op_sel_hi:[1,0,1]
	v_pk_fma_f32 v[126:127], v[130:131], v[126:127], v[132:133] neg_lo:[0,0,1] neg_hi:[0,0,1]
	v_mov_b32_e32 v127, v135
	s_cbranch_execz .LBB124_1154
	s_branch .LBB124_1155
.LBB124_1153:
                                        ; implicit-def: $vgpr126_vgpr127
.LBB124_1154:
	ds_load_b64 v[126:127], v1
.LBB124_1155:
	s_mov_b32 s4, exec_lo
	v_cmpx_ne_u32_e32 55, v0
	s_cbranch_execz .LBB124_1159
; %bb.1156:
	v_add_nc_u32_e32 v129, 0x1f8, v58
	v_add3_u32 v130, 0, v58, 8
	v_mov_b32_e32 v131, v0
	s_mov_b32 s5, 0
.LBB124_1157:                           ; =>This Inner Loop Header: Depth=1
	scratch_load_b64 v[132:133], v130, off
	ds_load_b64 v[134:135], v129
	s_wait_xcnt 0x0
	v_dual_add_nc_u32 v129, 8, v129 :: v_dual_add_nc_u32 v130, 8, v130
	s_wait_loadcnt_dscnt 0x0
	v_pk_mul_f32 v[136:137], v[134:135], v[132:133] op_sel:[1,1] op_sel_hi:[0,1]
	s_delay_alu instid0(VALU_DEP_1) | instskip(SKIP_2) | instid1(VALU_DEP_3)
	v_pk_fma_f32 v[138:139], v[134:135], v[132:133], v[136:137] op_sel_hi:[1,0,1]
	v_add_nc_u32_e32 v131, 1, v131
	v_pk_fma_f32 v[132:133], v[134:135], v[132:133], v[136:137] neg_lo:[0,0,1] neg_hi:[0,0,1]
	v_mov_b32_e32 v133, v139
	s_delay_alu instid0(VALU_DEP_3) | instskip(NEXT) | instid1(VALU_DEP_2)
	v_cmp_lt_u32_e32 vcc_lo, 54, v131
	v_pk_add_f32 v[126:127], v[126:127], v[132:133]
	s_or_b32 s5, vcc_lo, s5
	s_delay_alu instid0(SALU_CYCLE_1)
	s_and_not1_b32 exec_lo, exec_lo, s5
	s_cbranch_execnz .LBB124_1157
; %bb.1158:
	s_or_b32 exec_lo, exec_lo, s5
.LBB124_1159:
	s_delay_alu instid0(SALU_CYCLE_1) | instskip(SKIP_4) | instid1(VALU_DEP_1)
	s_or_b32 exec_lo, exec_lo, s4
	v_mov_b32_e32 v129, 0
	ds_load_b64 v[130:131], v129 offset:448
	s_wait_dscnt 0x0
	v_pk_mul_f32 v[132:133], v[126:127], v[130:131] op_sel:[1,1] op_sel_hi:[0,1]
	v_pk_fma_f32 v[134:135], v[126:127], v[130:131], v[132:133] op_sel_hi:[1,0,1]
	v_pk_fma_f32 v[126:127], v[126:127], v[130:131], v[132:133] neg_lo:[0,0,1] neg_hi:[0,0,1]
	s_delay_alu instid0(VALU_DEP_2)
	v_mov_b32_e32 v127, v135
	scratch_store_b64 off, v[126:127], off offset:448
.LBB124_1160:
	s_wait_xcnt 0x0
	s_or_b32 exec_lo, exec_lo, s0
	scratch_load_b64 v[126:127], off, off offset:456
	s_mov_b32 s0, exec_lo
	s_wait_loadcnt 0x0
	ds_store_b64 v1, v[126:127]
	s_wait_storecnt_dscnt 0x0
	s_barrier_signal -1
	s_barrier_wait -1
	s_wait_xcnt 0x0
	v_cmpx_gt_u32_e32 57, v0
	s_cbranch_execz .LBB124_1170
; %bb.1161:
	v_cmp_ne_u32_e32 vcc_lo, 1, v128
	s_cbranch_vccnz .LBB124_1163
; %bb.1162:
	scratch_load_b64 v[126:127], v59, off
	ds_load_b64 v[130:131], v1
	s_wait_loadcnt_dscnt 0x0
	v_pk_mul_f32 v[132:133], v[130:131], v[126:127] op_sel:[1,1] op_sel_hi:[0,1]
	s_delay_alu instid0(VALU_DEP_1) | instskip(SKIP_1) | instid1(VALU_DEP_2)
	v_pk_fma_f32 v[134:135], v[130:131], v[126:127], v[132:133] op_sel_hi:[1,0,1]
	v_pk_fma_f32 v[126:127], v[130:131], v[126:127], v[132:133] neg_lo:[0,0,1] neg_hi:[0,0,1]
	v_mov_b32_e32 v127, v135
	s_cbranch_execz .LBB124_1164
	s_branch .LBB124_1165
.LBB124_1163:
                                        ; implicit-def: $vgpr126_vgpr127
.LBB124_1164:
	ds_load_b64 v[126:127], v1
.LBB124_1165:
	s_mov_b32 s4, exec_lo
	v_cmpx_ne_u32_e32 56, v0
	s_cbranch_execz .LBB124_1169
; %bb.1166:
	v_add_nc_u32_e32 v129, 0x1f8, v58
	v_add3_u32 v130, 0, v58, 8
	v_mov_b32_e32 v131, v0
	s_mov_b32 s5, 0
.LBB124_1167:                           ; =>This Inner Loop Header: Depth=1
	scratch_load_b64 v[132:133], v130, off
	ds_load_b64 v[134:135], v129
	s_wait_xcnt 0x0
	v_dual_add_nc_u32 v129, 8, v129 :: v_dual_add_nc_u32 v130, 8, v130
	s_wait_loadcnt_dscnt 0x0
	v_pk_mul_f32 v[136:137], v[134:135], v[132:133] op_sel:[1,1] op_sel_hi:[0,1]
	s_delay_alu instid0(VALU_DEP_1) | instskip(SKIP_2) | instid1(VALU_DEP_3)
	v_pk_fma_f32 v[138:139], v[134:135], v[132:133], v[136:137] op_sel_hi:[1,0,1]
	v_add_nc_u32_e32 v131, 1, v131
	v_pk_fma_f32 v[132:133], v[134:135], v[132:133], v[136:137] neg_lo:[0,0,1] neg_hi:[0,0,1]
	v_mov_b32_e32 v133, v139
	s_delay_alu instid0(VALU_DEP_3) | instskip(NEXT) | instid1(VALU_DEP_2)
	v_cmp_lt_u32_e32 vcc_lo, 55, v131
	v_pk_add_f32 v[126:127], v[126:127], v[132:133]
	s_or_b32 s5, vcc_lo, s5
	s_delay_alu instid0(SALU_CYCLE_1)
	s_and_not1_b32 exec_lo, exec_lo, s5
	s_cbranch_execnz .LBB124_1167
; %bb.1168:
	s_or_b32 exec_lo, exec_lo, s5
.LBB124_1169:
	s_delay_alu instid0(SALU_CYCLE_1) | instskip(SKIP_4) | instid1(VALU_DEP_1)
	s_or_b32 exec_lo, exec_lo, s4
	v_mov_b32_e32 v129, 0
	ds_load_b64 v[130:131], v129 offset:456
	s_wait_dscnt 0x0
	v_pk_mul_f32 v[132:133], v[126:127], v[130:131] op_sel:[1,1] op_sel_hi:[0,1]
	v_pk_fma_f32 v[134:135], v[126:127], v[130:131], v[132:133] op_sel_hi:[1,0,1]
	v_pk_fma_f32 v[126:127], v[126:127], v[130:131], v[132:133] neg_lo:[0,0,1] neg_hi:[0,0,1]
	s_delay_alu instid0(VALU_DEP_2)
	v_mov_b32_e32 v127, v135
	scratch_store_b64 off, v[126:127], off offset:456
.LBB124_1170:
	s_wait_xcnt 0x0
	s_or_b32 exec_lo, exec_lo, s0
	scratch_load_b64 v[126:127], off, off offset:464
	s_mov_b32 s0, exec_lo
	s_wait_loadcnt 0x0
	ds_store_b64 v1, v[126:127]
	s_wait_storecnt_dscnt 0x0
	s_barrier_signal -1
	s_barrier_wait -1
	s_wait_xcnt 0x0
	v_cmpx_gt_u32_e32 58, v0
	s_cbranch_execz .LBB124_1180
; %bb.1171:
	v_cmp_ne_u32_e32 vcc_lo, 1, v128
	s_cbranch_vccnz .LBB124_1173
; %bb.1172:
	scratch_load_b64 v[126:127], v59, off
	ds_load_b64 v[130:131], v1
	s_wait_loadcnt_dscnt 0x0
	v_pk_mul_f32 v[132:133], v[130:131], v[126:127] op_sel:[1,1] op_sel_hi:[0,1]
	s_delay_alu instid0(VALU_DEP_1) | instskip(SKIP_1) | instid1(VALU_DEP_2)
	v_pk_fma_f32 v[134:135], v[130:131], v[126:127], v[132:133] op_sel_hi:[1,0,1]
	v_pk_fma_f32 v[126:127], v[130:131], v[126:127], v[132:133] neg_lo:[0,0,1] neg_hi:[0,0,1]
	v_mov_b32_e32 v127, v135
	s_cbranch_execz .LBB124_1174
	s_branch .LBB124_1175
.LBB124_1173:
                                        ; implicit-def: $vgpr126_vgpr127
.LBB124_1174:
	ds_load_b64 v[126:127], v1
.LBB124_1175:
	s_mov_b32 s4, exec_lo
	v_cmpx_ne_u32_e32 57, v0
	s_cbranch_execz .LBB124_1179
; %bb.1176:
	v_add_nc_u32_e32 v129, 0x1f8, v58
	v_add3_u32 v130, 0, v58, 8
	v_mov_b32_e32 v131, v0
	s_mov_b32 s5, 0
.LBB124_1177:                           ; =>This Inner Loop Header: Depth=1
	scratch_load_b64 v[132:133], v130, off
	ds_load_b64 v[134:135], v129
	s_wait_xcnt 0x0
	v_dual_add_nc_u32 v129, 8, v129 :: v_dual_add_nc_u32 v130, 8, v130
	s_wait_loadcnt_dscnt 0x0
	v_pk_mul_f32 v[136:137], v[134:135], v[132:133] op_sel:[1,1] op_sel_hi:[0,1]
	s_delay_alu instid0(VALU_DEP_1) | instskip(SKIP_2) | instid1(VALU_DEP_3)
	v_pk_fma_f32 v[138:139], v[134:135], v[132:133], v[136:137] op_sel_hi:[1,0,1]
	v_add_nc_u32_e32 v131, 1, v131
	v_pk_fma_f32 v[132:133], v[134:135], v[132:133], v[136:137] neg_lo:[0,0,1] neg_hi:[0,0,1]
	v_mov_b32_e32 v133, v139
	s_delay_alu instid0(VALU_DEP_3) | instskip(NEXT) | instid1(VALU_DEP_2)
	v_cmp_lt_u32_e32 vcc_lo, 56, v131
	v_pk_add_f32 v[126:127], v[126:127], v[132:133]
	s_or_b32 s5, vcc_lo, s5
	s_delay_alu instid0(SALU_CYCLE_1)
	s_and_not1_b32 exec_lo, exec_lo, s5
	s_cbranch_execnz .LBB124_1177
; %bb.1178:
	s_or_b32 exec_lo, exec_lo, s5
.LBB124_1179:
	s_delay_alu instid0(SALU_CYCLE_1) | instskip(SKIP_4) | instid1(VALU_DEP_1)
	s_or_b32 exec_lo, exec_lo, s4
	v_mov_b32_e32 v129, 0
	ds_load_b64 v[130:131], v129 offset:464
	s_wait_dscnt 0x0
	v_pk_mul_f32 v[132:133], v[126:127], v[130:131] op_sel:[1,1] op_sel_hi:[0,1]
	v_pk_fma_f32 v[134:135], v[126:127], v[130:131], v[132:133] op_sel_hi:[1,0,1]
	v_pk_fma_f32 v[126:127], v[126:127], v[130:131], v[132:133] neg_lo:[0,0,1] neg_hi:[0,0,1]
	s_delay_alu instid0(VALU_DEP_2)
	v_mov_b32_e32 v127, v135
	scratch_store_b64 off, v[126:127], off offset:464
.LBB124_1180:
	s_wait_xcnt 0x0
	s_or_b32 exec_lo, exec_lo, s0
	scratch_load_b64 v[126:127], off, off offset:472
	v_cmp_gt_u32_e64 s0, 59, v0
	s_wait_loadcnt 0x0
	ds_store_b64 v1, v[126:127]
	s_wait_storecnt_dscnt 0x0
	s_barrier_signal -1
	s_barrier_wait -1
	s_wait_xcnt 0x0
	s_and_saveexec_b32 s4, s0
	s_cbranch_execz .LBB124_1190
; %bb.1181:
	v_cmp_ne_u32_e32 vcc_lo, 1, v128
	s_cbranch_vccnz .LBB124_1183
; %bb.1182:
	scratch_load_b64 v[126:127], v59, off
	ds_load_b64 v[130:131], v1
	s_wait_loadcnt_dscnt 0x0
	v_pk_mul_f32 v[132:133], v[130:131], v[126:127] op_sel:[1,1] op_sel_hi:[0,1]
	s_delay_alu instid0(VALU_DEP_1) | instskip(SKIP_1) | instid1(VALU_DEP_2)
	v_pk_fma_f32 v[134:135], v[130:131], v[126:127], v[132:133] op_sel_hi:[1,0,1]
	v_pk_fma_f32 v[126:127], v[130:131], v[126:127], v[132:133] neg_lo:[0,0,1] neg_hi:[0,0,1]
	v_mov_b32_e32 v127, v135
	s_cbranch_execz .LBB124_1184
	s_branch .LBB124_1185
.LBB124_1183:
                                        ; implicit-def: $vgpr126_vgpr127
.LBB124_1184:
	ds_load_b64 v[126:127], v1
.LBB124_1185:
	s_mov_b32 s5, exec_lo
	v_cmpx_ne_u32_e32 58, v0
	s_cbranch_execz .LBB124_1189
; %bb.1186:
	v_add_nc_u32_e32 v129, 0x1f8, v58
	v_add3_u32 v130, 0, v58, 8
	v_mov_b32_e32 v131, v0
	s_mov_b32 s6, 0
.LBB124_1187:                           ; =>This Inner Loop Header: Depth=1
	scratch_load_b64 v[132:133], v130, off
	ds_load_b64 v[134:135], v129
	s_wait_xcnt 0x0
	v_dual_add_nc_u32 v129, 8, v129 :: v_dual_add_nc_u32 v130, 8, v130
	s_wait_loadcnt_dscnt 0x0
	v_pk_mul_f32 v[136:137], v[134:135], v[132:133] op_sel:[1,1] op_sel_hi:[0,1]
	s_delay_alu instid0(VALU_DEP_1) | instskip(SKIP_2) | instid1(VALU_DEP_3)
	v_pk_fma_f32 v[138:139], v[134:135], v[132:133], v[136:137] op_sel_hi:[1,0,1]
	v_add_nc_u32_e32 v131, 1, v131
	v_pk_fma_f32 v[132:133], v[134:135], v[132:133], v[136:137] neg_lo:[0,0,1] neg_hi:[0,0,1]
	v_mov_b32_e32 v133, v139
	s_delay_alu instid0(VALU_DEP_3) | instskip(NEXT) | instid1(VALU_DEP_2)
	v_cmp_lt_u32_e32 vcc_lo, 57, v131
	v_pk_add_f32 v[126:127], v[126:127], v[132:133]
	s_or_b32 s6, vcc_lo, s6
	s_delay_alu instid0(SALU_CYCLE_1)
	s_and_not1_b32 exec_lo, exec_lo, s6
	s_cbranch_execnz .LBB124_1187
; %bb.1188:
	s_or_b32 exec_lo, exec_lo, s6
.LBB124_1189:
	s_delay_alu instid0(SALU_CYCLE_1) | instskip(SKIP_4) | instid1(VALU_DEP_1)
	s_or_b32 exec_lo, exec_lo, s5
	v_mov_b32_e32 v129, 0
	ds_load_b64 v[130:131], v129 offset:472
	s_wait_dscnt 0x0
	v_pk_mul_f32 v[132:133], v[126:127], v[130:131] op_sel:[1,1] op_sel_hi:[0,1]
	v_pk_fma_f32 v[134:135], v[126:127], v[130:131], v[132:133] op_sel_hi:[1,0,1]
	v_pk_fma_f32 v[126:127], v[126:127], v[130:131], v[132:133] neg_lo:[0,0,1] neg_hi:[0,0,1]
	s_delay_alu instid0(VALU_DEP_2)
	v_mov_b32_e32 v127, v135
	scratch_store_b64 off, v[126:127], off offset:472
.LBB124_1190:
	s_wait_xcnt 0x0
	s_or_b32 exec_lo, exec_lo, s4
	scratch_load_b64 v[126:127], off, off offset:480
	s_mov_b32 s4, exec_lo
                                        ; implicit-def: $vgpr182
                                        ; implicit-def: $sgpr7
	s_wait_loadcnt 0x0
	ds_store_b64 v1, v[126:127]
	s_wait_storecnt_dscnt 0x0
	s_barrier_signal -1
	s_barrier_wait -1
	s_wait_xcnt 0x0
	v_cmpx_ne_u32_e32 60, v0
	s_cbranch_execz .LBB124_1200
; %bb.1191:
	v_cmp_ne_u32_e32 vcc_lo, 1, v128
	s_cbranch_vccnz .LBB124_1193
; %bb.1192:
	scratch_load_b64 v[128:129], v59, off
	ds_load_b64 v[130:131], v1
	s_wait_loadcnt_dscnt 0x0
	v_dual_mul_f32 v59, v131, v129 :: v_dual_mul_f32 v127, v130, v129
	s_delay_alu instid0(VALU_DEP_1) | instskip(NEXT) | instid1(VALU_DEP_2)
	v_fma_f32 v126, v130, v128, -v59
	v_fmac_f32_e32 v127, v131, v128
	s_cbranch_execz .LBB124_1194
	s_branch .LBB124_1195
.LBB124_1193:
                                        ; implicit-def: $vgpr127
.LBB124_1194:
	ds_load_b64 v[126:127], v1
.LBB124_1195:
	s_and_saveexec_b32 s5, s0
	s_cbranch_execz .LBB124_1199
; %bb.1196:
	v_add_nc_u32_e32 v1, 0x1f8, v58
	v_add3_u32 v58, 0, v58, 8
	s_mov_b32 s0, 0
.LBB124_1197:                           ; =>This Inner Loop Header: Depth=1
	scratch_load_b64 v[128:129], v58, off
	ds_load_b64 v[130:131], v1
	v_dual_add_nc_u32 v0, 1, v0 :: v_dual_add_nc_u32 v1, 8, v1
	s_delay_alu instid0(VALU_DEP_1) | instskip(SKIP_3) | instid1(VALU_DEP_1)
	v_cmp_lt_u32_e32 vcc_lo, 58, v0
	s_or_b32 s0, vcc_lo, s0
	s_wait_loadcnt_dscnt 0x0
	v_dual_mul_f32 v59, v131, v129 :: v_dual_mul_f32 v129, v130, v129
	v_dual_fma_f32 v59, v130, v128, -v59 :: v_dual_fmac_f32 v129, v131, v128
	s_delay_alu instid0(VALU_DEP_1) | instskip(NEXT) | instid1(VALU_DEP_2)
	v_dual_add_nc_u32 v58, 8, v58 :: v_dual_add_f32 v126, v126, v59
	v_add_f32_e32 v127, v127, v129
	s_and_not1_b32 exec_lo, exec_lo, s0
	s_cbranch_execnz .LBB124_1197
; %bb.1198:
	s_or_b32 exec_lo, exec_lo, s0
.LBB124_1199:
	s_delay_alu instid0(SALU_CYCLE_1)
	s_or_b32 exec_lo, exec_lo, s5
	v_mov_b32_e32 v0, 0
	s_movk_i32 s7, 0x1e4
	s_or_b32 s1, s1, exec_lo
	ds_load_b64 v[0:1], v0 offset:480
	s_wait_dscnt 0x0
	v_dual_mul_f32 v58, v127, v1 :: v_dual_mul_f32 v182, v126, v1
	s_delay_alu instid0(VALU_DEP_1) | instskip(NEXT) | instid1(VALU_DEP_2)
	v_fma_f32 v1, v126, v0, -v58
	v_fmac_f32_e32 v182, v127, v0
	scratch_store_b32 off, v1, off offset:480
.LBB124_1200:
	s_wait_xcnt 0x0
	s_or_b32 exec_lo, exec_lo, s4
.LBB124_1201:
	v_lshl_add_u64 v[180:181], v[6:7], 3, s[2:3]
	v_lshl_add_u64 v[178:179], v[8:9], 3, s[2:3]
	;; [unrolled: 1-line block ×59, first 2 shown]
	s_and_saveexec_b32 s0, s1
	s_cbranch_execz .LBB124_1203
; %bb.1202:
	scratch_store_b32 off, v182, s7
.LBB124_1203:
	s_wait_xcnt 0x0
	s_or_b32 exec_lo, exec_lo, s0
	scratch_load_b64 v[66:67], off, off
	s_wait_loadcnt 0x0
	flat_store_b64 v[2:3], v[66:67]
	scratch_load_b64 v[2:3], off, off offset:8
	s_wait_loadcnt 0x0
	flat_store_b64 v[4:5], v[2:3]
	scratch_load_b64 v[2:3], off, off offset:16
	;; [unrolled: 3-line block ×60, first 2 shown]
	s_wait_loadcnt 0x0
	flat_store_b64 v[0:1], v[2:3]
.LBB124_1204:
	s_sendmsg sendmsg(MSG_DEALLOC_VGPRS)
	s_endpgm
	.section	.rodata,"a",@progbits
	.p2align	6, 0x0
	.amdhsa_kernel _ZN9rocsolver6v33100L18trti2_kernel_smallILi61E19rocblas_complex_numIfEPKPS3_EEv13rocblas_fill_17rocblas_diagonal_T1_iil
		.amdhsa_group_segment_fixed_size 984
		.amdhsa_private_segment_fixed_size 496
		.amdhsa_kernarg_size 32
		.amdhsa_user_sgpr_count 2
		.amdhsa_user_sgpr_dispatch_ptr 0
		.amdhsa_user_sgpr_queue_ptr 0
		.amdhsa_user_sgpr_kernarg_segment_ptr 1
		.amdhsa_user_sgpr_dispatch_id 0
		.amdhsa_user_sgpr_kernarg_preload_length 0
		.amdhsa_user_sgpr_kernarg_preload_offset 0
		.amdhsa_user_sgpr_private_segment_size 0
		.amdhsa_wavefront_size32 1
		.amdhsa_uses_dynamic_stack 0
		.amdhsa_enable_private_segment 1
		.amdhsa_system_sgpr_workgroup_id_x 1
		.amdhsa_system_sgpr_workgroup_id_y 0
		.amdhsa_system_sgpr_workgroup_id_z 0
		.amdhsa_system_sgpr_workgroup_info 0
		.amdhsa_system_vgpr_workitem_id 0
		.amdhsa_next_free_vgpr 183
		.amdhsa_next_free_sgpr 67
		.amdhsa_named_barrier_count 0
		.amdhsa_reserve_vcc 1
		.amdhsa_float_round_mode_32 0
		.amdhsa_float_round_mode_16_64 0
		.amdhsa_float_denorm_mode_32 3
		.amdhsa_float_denorm_mode_16_64 3
		.amdhsa_fp16_overflow 0
		.amdhsa_memory_ordered 1
		.amdhsa_forward_progress 1
		.amdhsa_inst_pref_size 255
		.amdhsa_round_robin_scheduling 0
		.amdhsa_exception_fp_ieee_invalid_op 0
		.amdhsa_exception_fp_denorm_src 0
		.amdhsa_exception_fp_ieee_div_zero 0
		.amdhsa_exception_fp_ieee_overflow 0
		.amdhsa_exception_fp_ieee_underflow 0
		.amdhsa_exception_fp_ieee_inexact 0
		.amdhsa_exception_int_div_zero 0
	.end_amdhsa_kernel
	.section	.text._ZN9rocsolver6v33100L18trti2_kernel_smallILi61E19rocblas_complex_numIfEPKPS3_EEv13rocblas_fill_17rocblas_diagonal_T1_iil,"axG",@progbits,_ZN9rocsolver6v33100L18trti2_kernel_smallILi61E19rocblas_complex_numIfEPKPS3_EEv13rocblas_fill_17rocblas_diagonal_T1_iil,comdat
.Lfunc_end124:
	.size	_ZN9rocsolver6v33100L18trti2_kernel_smallILi61E19rocblas_complex_numIfEPKPS3_EEv13rocblas_fill_17rocblas_diagonal_T1_iil, .Lfunc_end124-_ZN9rocsolver6v33100L18trti2_kernel_smallILi61E19rocblas_complex_numIfEPKPS3_EEv13rocblas_fill_17rocblas_diagonal_T1_iil
                                        ; -- End function
	.set _ZN9rocsolver6v33100L18trti2_kernel_smallILi61E19rocblas_complex_numIfEPKPS3_EEv13rocblas_fill_17rocblas_diagonal_T1_iil.num_vgpr, 183
	.set _ZN9rocsolver6v33100L18trti2_kernel_smallILi61E19rocblas_complex_numIfEPKPS3_EEv13rocblas_fill_17rocblas_diagonal_T1_iil.num_agpr, 0
	.set _ZN9rocsolver6v33100L18trti2_kernel_smallILi61E19rocblas_complex_numIfEPKPS3_EEv13rocblas_fill_17rocblas_diagonal_T1_iil.numbered_sgpr, 67
	.set _ZN9rocsolver6v33100L18trti2_kernel_smallILi61E19rocblas_complex_numIfEPKPS3_EEv13rocblas_fill_17rocblas_diagonal_T1_iil.num_named_barrier, 0
	.set _ZN9rocsolver6v33100L18trti2_kernel_smallILi61E19rocblas_complex_numIfEPKPS3_EEv13rocblas_fill_17rocblas_diagonal_T1_iil.private_seg_size, 496
	.set _ZN9rocsolver6v33100L18trti2_kernel_smallILi61E19rocblas_complex_numIfEPKPS3_EEv13rocblas_fill_17rocblas_diagonal_T1_iil.uses_vcc, 1
	.set _ZN9rocsolver6v33100L18trti2_kernel_smallILi61E19rocblas_complex_numIfEPKPS3_EEv13rocblas_fill_17rocblas_diagonal_T1_iil.uses_flat_scratch, 0
	.set _ZN9rocsolver6v33100L18trti2_kernel_smallILi61E19rocblas_complex_numIfEPKPS3_EEv13rocblas_fill_17rocblas_diagonal_T1_iil.has_dyn_sized_stack, 0
	.set _ZN9rocsolver6v33100L18trti2_kernel_smallILi61E19rocblas_complex_numIfEPKPS3_EEv13rocblas_fill_17rocblas_diagonal_T1_iil.has_recursion, 0
	.set _ZN9rocsolver6v33100L18trti2_kernel_smallILi61E19rocblas_complex_numIfEPKPS3_EEv13rocblas_fill_17rocblas_diagonal_T1_iil.has_indirect_call, 0
	.section	.AMDGPU.csdata,"",@progbits
; Kernel info:
; codeLenInByte = 47172
; TotalNumSgprs: 69
; NumVgprs: 183
; ScratchSize: 496
; MemoryBound: 0
; FloatMode: 240
; IeeeMode: 1
; LDSByteSize: 984 bytes/workgroup (compile time only)
; SGPRBlocks: 0
; VGPRBlocks: 11
; NumSGPRsForWavesPerEU: 69
; NumVGPRsForWavesPerEU: 183
; NamedBarCnt: 0
; Occupancy: 5
; WaveLimiterHint : 1
; COMPUTE_PGM_RSRC2:SCRATCH_EN: 1
; COMPUTE_PGM_RSRC2:USER_SGPR: 2
; COMPUTE_PGM_RSRC2:TRAP_HANDLER: 0
; COMPUTE_PGM_RSRC2:TGID_X_EN: 1
; COMPUTE_PGM_RSRC2:TGID_Y_EN: 0
; COMPUTE_PGM_RSRC2:TGID_Z_EN: 0
; COMPUTE_PGM_RSRC2:TIDIG_COMP_CNT: 0
	.section	.text._ZN9rocsolver6v33100L18trti2_kernel_smallILi62E19rocblas_complex_numIfEPKPS3_EEv13rocblas_fill_17rocblas_diagonal_T1_iil,"axG",@progbits,_ZN9rocsolver6v33100L18trti2_kernel_smallILi62E19rocblas_complex_numIfEPKPS3_EEv13rocblas_fill_17rocblas_diagonal_T1_iil,comdat
	.globl	_ZN9rocsolver6v33100L18trti2_kernel_smallILi62E19rocblas_complex_numIfEPKPS3_EEv13rocblas_fill_17rocblas_diagonal_T1_iil ; -- Begin function _ZN9rocsolver6v33100L18trti2_kernel_smallILi62E19rocblas_complex_numIfEPKPS3_EEv13rocblas_fill_17rocblas_diagonal_T1_iil
	.p2align	8
	.type	_ZN9rocsolver6v33100L18trti2_kernel_smallILi62E19rocblas_complex_numIfEPKPS3_EEv13rocblas_fill_17rocblas_diagonal_T1_iil,@function
_ZN9rocsolver6v33100L18trti2_kernel_smallILi62E19rocblas_complex_numIfEPKPS3_EEv13rocblas_fill_17rocblas_diagonal_T1_iil: ; @_ZN9rocsolver6v33100L18trti2_kernel_smallILi62E19rocblas_complex_numIfEPKPS3_EEv13rocblas_fill_17rocblas_diagonal_T1_iil
; %bb.0:
	s_mov_b32 s2, exec_lo
	v_cmpx_gt_u32_e32 62, v0
	s_cbranch_execz .LBB125_1224
; %bb.1:
	s_clause 0x1
	s_load_b64 s[2:3], s[0:1], 0x10
	s_load_b128 s[4:7], s[0:1], 0x0
	s_wait_xcnt 0x0
	s_bfe_u32 s0, ttmp6, 0x4000c
	s_and_b32 s1, ttmp6, 15
	s_add_co_i32 s0, s0, 1
	s_getreg_b32 s8, hwreg(HW_REG_IB_STS2, 6, 4)
	s_mul_i32 s0, ttmp9, s0
	v_dual_mov_b32 v59, 0 :: v_dual_lshlrev_b32 v58, 3, v0
	s_add_co_i32 s0, s1, s0
	s_wait_kmcnt 0x0
	s_ashr_i32 s1, s2, 31
	s_cmp_eq_u32 s8, 0
	s_cselect_b32 s8, ttmp9, s0
	s_mov_b32 s0, s2
	s_ashr_i32 s9, s8, 31
	s_lshl_b64 s[0:1], s[0:1], 3
	s_lshl_b64 s[8:9], s[8:9], 3
	s_delay_alu instid0(SALU_CYCLE_1)
	s_add_nc_u64 s[6:7], s[6:7], s[8:9]
	s_load_b64 s[6:7], s[6:7], 0x0
	s_wait_kmcnt 0x0
	s_add_nc_u64 s[6:7], s[6:7], s[0:1]
	s_mov_b32 s0, s3
	flat_load_b64 v[6:7], v0, s[6:7] scale_offset
	v_add_nc_u64_e32 v[2:3], s[6:7], v[58:59]
	s_ashr_i32 s1, s3, 31
	s_cmp_lg_u32 s5, 0x84
	s_delay_alu instid0(VALU_DEP_1)
	v_lshl_add_u64 v[4:5], s[0:1], 3, v[2:3]
	s_mov_b32 s0, -1
	s_wait_loadcnt_dscnt 0x0
	scratch_store_b64 off, v[6:7], off
	flat_load_b64 v[8:9], v[4:5]
	s_wait_xcnt 0x1
	v_add3_u32 v6, s3, s3, v0
	s_wait_loadcnt_dscnt 0x0
	scratch_store_b64 off, v[8:9], off offset:8
	flat_load_b64 v[10:11], v6, s[6:7] scale_offset
	s_wait_xcnt 0x1
	v_add_nc_u32_e32 v8, s3, v6
	s_wait_loadcnt_dscnt 0x0
	scratch_store_b64 off, v[10:11], off offset:16
	flat_load_b64 v[12:13], v8, s[6:7] scale_offset
	s_wait_xcnt 0x1
	v_add_nc_u32_e32 v10, s3, v8
	;; [unrolled: 5-line block ×59, first 2 shown]
	s_cselect_b32 s3, -1, 0
	s_delay_alu instid0(SALU_CYCLE_1)
	s_and_b32 vcc_lo, exec_lo, s3
	s_wait_loadcnt_dscnt 0x0
	scratch_store_b64 off, v[128:129], off offset:480
	flat_load_b64 v[128:129], v126, s[6:7] scale_offset
	s_wait_loadcnt_dscnt 0x0
	scratch_store_b64 off, v[128:129], off offset:488
	s_cbranch_vccz .LBB125_7
; %bb.2:
	scratch_load_b64 v[128:129], v0, off scale_offset
                                        ; implicit-def: $vgpr133
                                        ; implicit-def: $vgpr130
	s_wait_loadcnt 0x0
	v_cmp_ngt_f32_e64 s0, |v128|, |v129|
	s_wait_xcnt 0x0
	s_and_saveexec_b32 s1, s0
	s_delay_alu instid0(SALU_CYCLE_1)
	s_xor_b32 s0, exec_lo, s1
	s_cbranch_execz .LBB125_4
; %bb.3:
	v_div_scale_f32 v1, null, v129, v129, v128
	v_div_scale_f32 v11, vcc_lo, v128, v129, v128
	s_delay_alu instid0(VALU_DEP_2) | instskip(SKIP_1) | instid1(TRANS32_DEP_1)
	v_rcp_f32_e32 v7, v1
	v_nop
	v_fma_f32 v9, -v1, v7, 1.0
	s_delay_alu instid0(VALU_DEP_1) | instskip(NEXT) | instid1(VALU_DEP_1)
	v_fmac_f32_e32 v7, v9, v7
	v_mul_f32_e32 v9, v11, v7
	s_delay_alu instid0(VALU_DEP_1) | instskip(NEXT) | instid1(VALU_DEP_1)
	v_fma_f32 v13, -v1, v9, v11
	v_fmac_f32_e32 v9, v13, v7
	s_delay_alu instid0(VALU_DEP_1) | instskip(NEXT) | instid1(VALU_DEP_1)
	v_fma_f32 v1, -v1, v9, v11
	v_div_fmas_f32 v1, v1, v7, v9
	s_delay_alu instid0(VALU_DEP_1) | instskip(NEXT) | instid1(VALU_DEP_1)
	v_div_fixup_f32 v1, v1, v129, v128
	v_fmac_f32_e32 v129, v128, v1
	s_delay_alu instid0(VALU_DEP_1) | instskip(NEXT) | instid1(VALU_DEP_1)
	v_div_scale_f32 v7, null, v129, v129, -1.0
	v_rcp_f32_e32 v9, v7
	v_nop
	s_delay_alu instid0(TRANS32_DEP_1) | instskip(NEXT) | instid1(VALU_DEP_1)
	v_fma_f32 v11, -v7, v9, 1.0
	v_fmac_f32_e32 v9, v11, v9
	v_div_scale_f32 v11, vcc_lo, -1.0, v129, -1.0
	s_delay_alu instid0(VALU_DEP_1) | instskip(NEXT) | instid1(VALU_DEP_1)
	v_mul_f32_e32 v13, v11, v9
	v_fma_f32 v15, -v7, v13, v11
	s_delay_alu instid0(VALU_DEP_1) | instskip(NEXT) | instid1(VALU_DEP_1)
	v_fmac_f32_e32 v13, v15, v9
	v_fma_f32 v7, -v7, v13, v11
	s_delay_alu instid0(VALU_DEP_1) | instskip(NEXT) | instid1(VALU_DEP_1)
	v_div_fmas_f32 v7, v7, v9, v13
	v_div_fixup_f32 v133, v7, v129, -1.0
                                        ; implicit-def: $vgpr128_vgpr129
	s_delay_alu instid0(VALU_DEP_1) | instskip(NEXT) | instid1(VALU_DEP_1)
	v_mul_f32_e32 v130, v1, v133
	v_xor_b32_e32 v132, 0x80000000, v130
.LBB125_4:
	s_or_saveexec_b32 s0, s0
	v_lshl_add_u32 v1, v0, 3, 0
	s_xor_b32 exec_lo, exec_lo, s0
	s_cbranch_execz .LBB125_6
; %bb.5:
	v_div_scale_f32 v7, null, v128, v128, v129
	v_div_scale_f32 v13, vcc_lo, v129, v128, v129
	s_delay_alu instid0(VALU_DEP_2) | instskip(SKIP_1) | instid1(TRANS32_DEP_1)
	v_rcp_f32_e32 v9, v7
	v_nop
	v_fma_f32 v11, -v7, v9, 1.0
	s_delay_alu instid0(VALU_DEP_1) | instskip(NEXT) | instid1(VALU_DEP_1)
	v_fmac_f32_e32 v9, v11, v9
	v_mul_f32_e32 v11, v13, v9
	s_delay_alu instid0(VALU_DEP_1) | instskip(NEXT) | instid1(VALU_DEP_1)
	v_fma_f32 v15, -v7, v11, v13
	v_fmac_f32_e32 v11, v15, v9
	s_delay_alu instid0(VALU_DEP_1) | instskip(NEXT) | instid1(VALU_DEP_1)
	v_fma_f32 v7, -v7, v11, v13
	v_div_fmas_f32 v7, v7, v9, v11
	s_delay_alu instid0(VALU_DEP_1) | instskip(NEXT) | instid1(VALU_DEP_1)
	v_div_fixup_f32 v7, v7, v128, v129
	v_fmac_f32_e32 v128, v129, v7
	s_delay_alu instid0(VALU_DEP_1) | instskip(SKIP_1) | instid1(VALU_DEP_2)
	v_div_scale_f32 v9, null, v128, v128, 1.0
	v_div_scale_f32 v15, vcc_lo, 1.0, v128, 1.0
	v_rcp_f32_e32 v11, v9
	v_nop
	s_delay_alu instid0(TRANS32_DEP_1) | instskip(NEXT) | instid1(VALU_DEP_1)
	v_fma_f32 v13, -v9, v11, 1.0
	v_fmac_f32_e32 v11, v13, v11
	s_delay_alu instid0(VALU_DEP_1) | instskip(NEXT) | instid1(VALU_DEP_1)
	v_mul_f32_e32 v13, v15, v11
	v_fma_f32 v17, -v9, v13, v15
	s_delay_alu instid0(VALU_DEP_1) | instskip(NEXT) | instid1(VALU_DEP_1)
	v_fmac_f32_e32 v13, v17, v11
	v_fma_f32 v9, -v9, v13, v15
	s_delay_alu instid0(VALU_DEP_1) | instskip(NEXT) | instid1(VALU_DEP_1)
	v_div_fmas_f32 v9, v9, v11, v13
	v_div_fixup_f32 v132, v9, v128, 1.0
	s_delay_alu instid0(VALU_DEP_1)
	v_xor_b32_e32 v130, 0x80000000, v132
	v_mul_f32_e64 v133, v7, -v132
.LBB125_6:
	s_or_b32 exec_lo, exec_lo, s0
	s_delay_alu instid0(VALU_DEP_1)
	v_xor_b32_e32 v131, 0x80000000, v133
	s_mov_b32 s0, 0
	scratch_store_b64 v1, v[132:133], off
	ds_store_b64 v58, v[130:131]
.LBB125_7:
	s_and_b32 vcc_lo, exec_lo, s0
	s_cbranch_vccz .LBB125_9
; %bb.8:
	s_mov_b64 s[0:1], 0xbf800000
	s_wait_xcnt 0x0
	v_mov_b64_e32 v[128:129], s[0:1]
	ds_store_b64 v58, v[128:129]
.LBB125_9:
	v_dual_ashrrev_i32 v7, 31, v6 :: v_dual_ashrrev_i32 v9, 31, v8
	v_dual_ashrrev_i32 v11, 31, v10 :: v_dual_ashrrev_i32 v13, 31, v12
	v_dual_ashrrev_i32 v15, 31, v14 :: v_dual_ashrrev_i32 v17, 31, v16
	v_dual_ashrrev_i32 v19, 31, v18 :: v_dual_ashrrev_i32 v21, 31, v20
	v_dual_ashrrev_i32 v23, 31, v22 :: v_dual_ashrrev_i32 v25, 31, v24
	v_dual_ashrrev_i32 v27, 31, v26 :: v_dual_ashrrev_i32 v29, 31, v28
	v_dual_ashrrev_i32 v31, 31, v30 :: v_dual_ashrrev_i32 v33, 31, v32
	v_dual_ashrrev_i32 v35, 31, v34 :: v_dual_ashrrev_i32 v37, 31, v36
	v_dual_ashrrev_i32 v39, 31, v38 :: v_dual_ashrrev_i32 v41, 31, v40
	v_dual_ashrrev_i32 v43, 31, v42 :: v_dual_ashrrev_i32 v45, 31, v44
	v_dual_ashrrev_i32 v47, 31, v46 :: v_dual_ashrrev_i32 v49, 31, v48
	v_dual_ashrrev_i32 v51, 31, v50 :: v_dual_ashrrev_i32 v53, 31, v52
	v_dual_ashrrev_i32 v55, 31, v54 :: v_dual_ashrrev_i32 v57, 31, v56
	v_dual_ashrrev_i32 v61, 31, v60 :: v_dual_ashrrev_i32 v63, 31, v62
	v_dual_ashrrev_i32 v65, 31, v64 :: v_dual_ashrrev_i32 v67, 31, v66
	v_dual_ashrrev_i32 v69, 31, v68 :: v_dual_ashrrev_i32 v71, 31, v70
	v_dual_ashrrev_i32 v73, 31, v72 :: v_dual_ashrrev_i32 v75, 31, v74
	v_dual_ashrrev_i32 v77, 31, v76 :: v_dual_ashrrev_i32 v79, 31, v78
	v_dual_ashrrev_i32 v81, 31, v80 :: v_dual_ashrrev_i32 v83, 31, v82
	v_dual_ashrrev_i32 v85, 31, v84 :: v_dual_ashrrev_i32 v87, 31, v86
	v_dual_ashrrev_i32 v89, 31, v88 :: v_dual_ashrrev_i32 v91, 31, v90
	v_dual_ashrrev_i32 v93, 31, v92 :: v_dual_ashrrev_i32 v95, 31, v94
	v_dual_ashrrev_i32 v97, 31, v96 :: v_dual_ashrrev_i32 v99, 31, v98
	v_dual_ashrrev_i32 v101, 31, v100 :: v_dual_ashrrev_i32 v103, 31, v102
	v_dual_ashrrev_i32 v105, 31, v104 :: v_dual_ashrrev_i32 v107, 31, v106
	v_dual_ashrrev_i32 v109, 31, v108 :: v_dual_ashrrev_i32 v111, 31, v110
	v_dual_ashrrev_i32 v113, 31, v112 :: v_dual_ashrrev_i32 v115, 31, v114
	v_dual_ashrrev_i32 v117, 31, v116 :: v_dual_ashrrev_i32 v119, 31, v118
	v_dual_ashrrev_i32 v121, 31, v120 :: v_dual_ashrrev_i32 v123, 31, v122
	v_dual_ashrrev_i32 v125, 31, v124 :: v_dual_ashrrev_i32 v127, 31, v126
	s_wait_xcnt 0x0
	v_add_nc_u32_e32 v1, 0x1f0, v58
	v_mov_b32_e32 v59, v58
	s_cmp_eq_u32 s4, 0x79
	s_cbranch_scc1 .LBB125_13
; %bb.10:
	scratch_load_b64 v[128:129], off, off offset:480
	v_cmp_eq_u32_e64 s0, 61, v0
	s_movk_i32 s1, 0x48
	s_movk_i32 s14, 0x50
	;; [unrolled: 1-line block ×51, first 2 shown]
	s_wait_loadcnt 0x0
	ds_store_b64 v1, v[128:129]
	s_wait_storecnt_dscnt 0x0
	s_barrier_signal -1
	s_barrier_wait -1
	s_wait_xcnt 0x0
	s_and_saveexec_b32 s2, s0
	s_cbranch_execz .LBB125_17
; %bb.11:
	s_and_b32 vcc_lo, exec_lo, s3
	s_cbranch_vccz .LBB125_14
; %bb.12:
	scratch_load_b64 v[128:129], v59, off
	ds_load_b64 v[130:131], v1
	s_wait_loadcnt_dscnt 0x0
	v_pk_mul_f32 v[132:133], v[130:131], v[128:129] op_sel:[1,1] op_sel_hi:[0,1]
	v_pk_mul_f32 v[134:135], v[130:131], v[128:129] op_sel_hi:[1,0]
	s_delay_alu instid0(VALU_DEP_2) | instskip(NEXT) | instid1(VALU_DEP_2)
	v_pk_fma_f32 v[128:129], v[130:131], v[128:129], v[132:133] op_sel_hi:[1,0,1]
	v_sub_f32_e32 v128, v134, v132
	s_cbranch_execz .LBB125_15
	s_branch .LBB125_16
.LBB125_13:
	s_mov_b32 s1, 0
                                        ; implicit-def: $vgpr186
                                        ; implicit-def: $sgpr5
	s_cbranch_execnz .LBB125_616
	s_branch .LBB125_1221
.LBB125_14:
                                        ; implicit-def: $vgpr129
.LBB125_15:
	ds_load_b64 v[128:129], v1
.LBB125_16:
	s_wait_dscnt 0x0
	v_dual_mov_b32 v130, 0 :: v_dual_mov_b32 v132, v129
	v_mov_b32_e32 v133, v128
	ds_load_b64 v[130:131], v130 offset:480
	s_wait_dscnt 0x0
	v_pk_mul_f32 v[132:133], v[132:133], v[130:131] op_sel:[0,1]
	s_delay_alu instid0(VALU_DEP_1) | instskip(SKIP_1) | instid1(VALU_DEP_2)
	v_pk_fma_f32 v[134:135], v[128:129], v[130:131], v[132:133] op_sel_hi:[1,0,1]
	v_pk_fma_f32 v[128:129], v[128:129], v[130:131], v[132:133] neg_lo:[0,0,1] neg_hi:[0,0,1]
	v_mov_b32_e32 v129, v135
	scratch_store_b64 off, v[128:129], off offset:480
.LBB125_17:
	s_wait_xcnt 0x0
	s_or_b32 exec_lo, exec_lo, s2
	scratch_load_b64 v[128:129], off, off offset:472
	s_mov_b32 s13, s1
	v_cmp_lt_u32_e64 s1, 59, v0
	s_or_b32 s4, 0, 8
	s_mov_b32 s5, 16
	s_mov_b32 s8, 24
	;; [unrolled: 1-line block ×7, first 2 shown]
	s_wait_loadcnt 0x0
	ds_store_b64 v1, v[128:129]
	s_wait_storecnt_dscnt 0x0
	s_barrier_signal -1
	s_barrier_wait -1
	s_wait_xcnt 0x0
	s_and_saveexec_b32 s65, s1
	s_cbranch_execz .LBB125_25
; %bb.18:
	s_and_not1_b32 vcc_lo, exec_lo, s3
	s_cbranch_vccnz .LBB125_20
; %bb.19:
	scratch_load_b64 v[128:129], v59, off
	ds_load_b64 v[130:131], v1
	s_wait_loadcnt_dscnt 0x0
	v_pk_mul_f32 v[132:133], v[130:131], v[128:129] op_sel:[1,1] op_sel_hi:[0,1]
	s_delay_alu instid0(VALU_DEP_1) | instskip(SKIP_1) | instid1(VALU_DEP_2)
	v_pk_fma_f32 v[134:135], v[130:131], v[128:129], v[132:133] op_sel_hi:[1,0,1]
	v_pk_fma_f32 v[128:129], v[130:131], v[128:129], v[132:133] neg_lo:[0,0,1] neg_hi:[0,0,1]
	v_mov_b32_e32 v129, v135
	s_cbranch_execz .LBB125_21
	s_branch .LBB125_22
.LBB125_20:
                                        ; implicit-def: $vgpr128_vgpr129
.LBB125_21:
	ds_load_b64 v[128:129], v1
.LBB125_22:
	s_and_saveexec_b32 s66, s0
	s_cbranch_execz .LBB125_24
; %bb.23:
	scratch_load_b64 v[130:131], off, off offset:480
	v_mov_b32_e32 v132, 0
	ds_load_b64 v[132:133], v132 offset:976
	s_wait_loadcnt_dscnt 0x0
	v_pk_mul_f32 v[134:135], v[132:133], v[130:131] op_sel:[1,1] op_sel_hi:[0,1]
	s_delay_alu instid0(VALU_DEP_1) | instskip(SKIP_1) | instid1(VALU_DEP_2)
	v_pk_fma_f32 v[136:137], v[132:133], v[130:131], v[134:135] op_sel_hi:[1,0,1]
	v_pk_fma_f32 v[130:131], v[132:133], v[130:131], v[134:135] neg_lo:[0,0,1] neg_hi:[0,0,1]
	v_mov_b32_e32 v131, v137
	s_delay_alu instid0(VALU_DEP_1)
	v_pk_add_f32 v[128:129], v[128:129], v[130:131]
.LBB125_24:
	s_or_b32 exec_lo, exec_lo, s66
	v_mov_b32_e32 v130, 0
	ds_load_b64 v[130:131], v130 offset:472
	s_wait_dscnt 0x0
	v_pk_mul_f32 v[132:133], v[128:129], v[130:131] op_sel:[1,1] op_sel_hi:[0,1]
	s_delay_alu instid0(VALU_DEP_1) | instskip(SKIP_1) | instid1(VALU_DEP_2)
	v_pk_fma_f32 v[134:135], v[128:129], v[130:131], v[132:133] op_sel_hi:[1,0,1]
	v_pk_fma_f32 v[128:129], v[128:129], v[130:131], v[132:133] neg_lo:[0,0,1] neg_hi:[0,0,1]
	v_mov_b32_e32 v129, v135
	scratch_store_b64 off, v[128:129], off offset:472
.LBB125_25:
	s_wait_xcnt 0x0
	s_or_b32 exec_lo, exec_lo, s65
	scratch_load_b64 v[128:129], off, off offset:464
	v_cmp_lt_u32_e64 s0, 58, v0
	s_wait_loadcnt 0x0
	ds_store_b64 v1, v[128:129]
	s_wait_storecnt_dscnt 0x0
	s_barrier_signal -1
	s_barrier_wait -1
	s_wait_xcnt 0x0
	s_and_saveexec_b32 s65, s0
	s_cbranch_execz .LBB125_35
; %bb.26:
	s_and_not1_b32 vcc_lo, exec_lo, s3
	s_cbranch_vccnz .LBB125_28
; %bb.27:
	scratch_load_b64 v[128:129], v59, off
	ds_load_b64 v[130:131], v1
	s_wait_loadcnt_dscnt 0x0
	v_pk_mul_f32 v[132:133], v[130:131], v[128:129] op_sel:[1,1] op_sel_hi:[0,1]
	s_delay_alu instid0(VALU_DEP_1) | instskip(SKIP_1) | instid1(VALU_DEP_2)
	v_pk_fma_f32 v[134:135], v[130:131], v[128:129], v[132:133] op_sel_hi:[1,0,1]
	v_pk_fma_f32 v[128:129], v[130:131], v[128:129], v[132:133] neg_lo:[0,0,1] neg_hi:[0,0,1]
	v_mov_b32_e32 v129, v135
	s_cbranch_execz .LBB125_29
	s_branch .LBB125_30
.LBB125_28:
                                        ; implicit-def: $vgpr128_vgpr129
.LBB125_29:
	ds_load_b64 v[128:129], v1
.LBB125_30:
	s_and_saveexec_b32 s66, s1
	s_cbranch_execz .LBB125_34
; %bb.31:
	v_subrev_nc_u32_e32 v130, 59, v0
	s_movk_i32 s67, 0x3c8
	s_mov_b32 s1, 0
.LBB125_32:                             ; =>This Inner Loop Header: Depth=1
	scratch_load_b64 v[132:133], off, s64
	v_dual_mov_b32 v131, s67 :: v_dual_add_nc_u32 v130, -1, v130
	s_add_co_i32 s67, s67, 8
	s_wait_xcnt 0x0
	s_add_co_i32 s64, s64, 8
	ds_load_b64 v[134:135], v131
	v_cmp_eq_u32_e32 vcc_lo, 0, v130
	s_or_b32 s1, vcc_lo, s1
	s_wait_loadcnt_dscnt 0x0
	v_pk_mul_f32 v[136:137], v[134:135], v[132:133] op_sel:[1,1] op_sel_hi:[0,1]
	s_delay_alu instid0(VALU_DEP_1) | instskip(SKIP_1) | instid1(VALU_DEP_2)
	v_pk_fma_f32 v[138:139], v[134:135], v[132:133], v[136:137] op_sel_hi:[1,0,1]
	v_pk_fma_f32 v[132:133], v[134:135], v[132:133], v[136:137] neg_lo:[0,0,1] neg_hi:[0,0,1]
	v_mov_b32_e32 v133, v139
	s_delay_alu instid0(VALU_DEP_1)
	v_pk_add_f32 v[128:129], v[128:129], v[132:133]
	s_and_not1_b32 exec_lo, exec_lo, s1
	s_cbranch_execnz .LBB125_32
; %bb.33:
	s_or_b32 exec_lo, exec_lo, s1
.LBB125_34:
	s_delay_alu instid0(SALU_CYCLE_1) | instskip(SKIP_4) | instid1(VALU_DEP_1)
	s_or_b32 exec_lo, exec_lo, s66
	v_mov_b32_e32 v130, 0
	ds_load_b64 v[130:131], v130 offset:464
	s_wait_dscnt 0x0
	v_pk_mul_f32 v[132:133], v[128:129], v[130:131] op_sel:[1,1] op_sel_hi:[0,1]
	v_pk_fma_f32 v[134:135], v[128:129], v[130:131], v[132:133] op_sel_hi:[1,0,1]
	v_pk_fma_f32 v[128:129], v[128:129], v[130:131], v[132:133] neg_lo:[0,0,1] neg_hi:[0,0,1]
	s_delay_alu instid0(VALU_DEP_2)
	v_mov_b32_e32 v129, v135
	scratch_store_b64 off, v[128:129], off offset:464
.LBB125_35:
	s_wait_xcnt 0x0
	s_or_b32 exec_lo, exec_lo, s65
	scratch_load_b64 v[128:129], off, off offset:456
	v_cmp_lt_u32_e64 s1, 57, v0
	s_wait_loadcnt 0x0
	ds_store_b64 v1, v[128:129]
	s_wait_storecnt_dscnt 0x0
	s_barrier_signal -1
	s_barrier_wait -1
	s_wait_xcnt 0x0
	s_and_saveexec_b32 s64, s1
	s_cbranch_execz .LBB125_45
; %bb.36:
	s_and_not1_b32 vcc_lo, exec_lo, s3
	s_cbranch_vccnz .LBB125_38
; %bb.37:
	scratch_load_b64 v[128:129], v59, off
	ds_load_b64 v[130:131], v1
	s_wait_loadcnt_dscnt 0x0
	v_pk_mul_f32 v[132:133], v[130:131], v[128:129] op_sel:[1,1] op_sel_hi:[0,1]
	s_delay_alu instid0(VALU_DEP_1) | instskip(SKIP_1) | instid1(VALU_DEP_2)
	v_pk_fma_f32 v[134:135], v[130:131], v[128:129], v[132:133] op_sel_hi:[1,0,1]
	v_pk_fma_f32 v[128:129], v[130:131], v[128:129], v[132:133] neg_lo:[0,0,1] neg_hi:[0,0,1]
	v_mov_b32_e32 v129, v135
	s_cbranch_execz .LBB125_39
	s_branch .LBB125_40
.LBB125_38:
                                        ; implicit-def: $vgpr128_vgpr129
.LBB125_39:
	ds_load_b64 v[128:129], v1
.LBB125_40:
	s_and_saveexec_b32 s65, s0
	s_cbranch_execz .LBB125_44
; %bb.41:
	v_subrev_nc_u32_e32 v130, 58, v0
	s_movk_i32 s66, 0x3c0
	s_mov_b32 s0, 0
.LBB125_42:                             ; =>This Inner Loop Header: Depth=1
	scratch_load_b64 v[132:133], off, s63
	v_dual_mov_b32 v131, s66 :: v_dual_add_nc_u32 v130, -1, v130
	s_add_co_i32 s66, s66, 8
	s_wait_xcnt 0x0
	s_add_co_i32 s63, s63, 8
	ds_load_b64 v[134:135], v131
	v_cmp_eq_u32_e32 vcc_lo, 0, v130
	s_or_b32 s0, vcc_lo, s0
	s_wait_loadcnt_dscnt 0x0
	v_pk_mul_f32 v[136:137], v[134:135], v[132:133] op_sel:[1,1] op_sel_hi:[0,1]
	s_delay_alu instid0(VALU_DEP_1) | instskip(SKIP_1) | instid1(VALU_DEP_2)
	v_pk_fma_f32 v[138:139], v[134:135], v[132:133], v[136:137] op_sel_hi:[1,0,1]
	v_pk_fma_f32 v[132:133], v[134:135], v[132:133], v[136:137] neg_lo:[0,0,1] neg_hi:[0,0,1]
	v_mov_b32_e32 v133, v139
	s_delay_alu instid0(VALU_DEP_1)
	v_pk_add_f32 v[128:129], v[128:129], v[132:133]
	s_and_not1_b32 exec_lo, exec_lo, s0
	s_cbranch_execnz .LBB125_42
; %bb.43:
	s_or_b32 exec_lo, exec_lo, s0
.LBB125_44:
	s_delay_alu instid0(SALU_CYCLE_1) | instskip(SKIP_4) | instid1(VALU_DEP_1)
	s_or_b32 exec_lo, exec_lo, s65
	v_mov_b32_e32 v130, 0
	ds_load_b64 v[130:131], v130 offset:456
	s_wait_dscnt 0x0
	v_pk_mul_f32 v[132:133], v[128:129], v[130:131] op_sel:[1,1] op_sel_hi:[0,1]
	v_pk_fma_f32 v[134:135], v[128:129], v[130:131], v[132:133] op_sel_hi:[1,0,1]
	v_pk_fma_f32 v[128:129], v[128:129], v[130:131], v[132:133] neg_lo:[0,0,1] neg_hi:[0,0,1]
	s_delay_alu instid0(VALU_DEP_2)
	v_mov_b32_e32 v129, v135
	scratch_store_b64 off, v[128:129], off offset:456
.LBB125_45:
	s_wait_xcnt 0x0
	s_or_b32 exec_lo, exec_lo, s64
	scratch_load_b64 v[128:129], off, off offset:448
	v_cmp_lt_u32_e64 s0, 56, v0
	s_wait_loadcnt 0x0
	ds_store_b64 v1, v[128:129]
	s_wait_storecnt_dscnt 0x0
	s_barrier_signal -1
	s_barrier_wait -1
	s_wait_xcnt 0x0
	s_and_saveexec_b32 s63, s0
	s_cbranch_execz .LBB125_55
; %bb.46:
	s_and_not1_b32 vcc_lo, exec_lo, s3
	s_cbranch_vccnz .LBB125_48
; %bb.47:
	scratch_load_b64 v[128:129], v59, off
	ds_load_b64 v[130:131], v1
	s_wait_loadcnt_dscnt 0x0
	v_pk_mul_f32 v[132:133], v[130:131], v[128:129] op_sel:[1,1] op_sel_hi:[0,1]
	s_delay_alu instid0(VALU_DEP_1) | instskip(SKIP_1) | instid1(VALU_DEP_2)
	v_pk_fma_f32 v[134:135], v[130:131], v[128:129], v[132:133] op_sel_hi:[1,0,1]
	v_pk_fma_f32 v[128:129], v[130:131], v[128:129], v[132:133] neg_lo:[0,0,1] neg_hi:[0,0,1]
	v_mov_b32_e32 v129, v135
	s_cbranch_execz .LBB125_49
	s_branch .LBB125_50
.LBB125_48:
                                        ; implicit-def: $vgpr128_vgpr129
.LBB125_49:
	ds_load_b64 v[128:129], v1
.LBB125_50:
	s_and_saveexec_b32 s64, s1
	s_cbranch_execz .LBB125_54
; %bb.51:
	v_subrev_nc_u32_e32 v130, 57, v0
	s_movk_i32 s65, 0x3b8
	s_mov_b32 s1, 0
.LBB125_52:                             ; =>This Inner Loop Header: Depth=1
	scratch_load_b64 v[132:133], off, s62
	v_dual_mov_b32 v131, s65 :: v_dual_add_nc_u32 v130, -1, v130
	s_add_co_i32 s65, s65, 8
	s_wait_xcnt 0x0
	s_add_co_i32 s62, s62, 8
	ds_load_b64 v[134:135], v131
	v_cmp_eq_u32_e32 vcc_lo, 0, v130
	s_or_b32 s1, vcc_lo, s1
	s_wait_loadcnt_dscnt 0x0
	v_pk_mul_f32 v[136:137], v[134:135], v[132:133] op_sel:[1,1] op_sel_hi:[0,1]
	s_delay_alu instid0(VALU_DEP_1) | instskip(SKIP_1) | instid1(VALU_DEP_2)
	v_pk_fma_f32 v[138:139], v[134:135], v[132:133], v[136:137] op_sel_hi:[1,0,1]
	v_pk_fma_f32 v[132:133], v[134:135], v[132:133], v[136:137] neg_lo:[0,0,1] neg_hi:[0,0,1]
	v_mov_b32_e32 v133, v139
	s_delay_alu instid0(VALU_DEP_1)
	v_pk_add_f32 v[128:129], v[128:129], v[132:133]
	s_and_not1_b32 exec_lo, exec_lo, s1
	s_cbranch_execnz .LBB125_52
; %bb.53:
	s_or_b32 exec_lo, exec_lo, s1
.LBB125_54:
	s_delay_alu instid0(SALU_CYCLE_1) | instskip(SKIP_4) | instid1(VALU_DEP_1)
	s_or_b32 exec_lo, exec_lo, s64
	v_mov_b32_e32 v130, 0
	ds_load_b64 v[130:131], v130 offset:448
	s_wait_dscnt 0x0
	v_pk_mul_f32 v[132:133], v[128:129], v[130:131] op_sel:[1,1] op_sel_hi:[0,1]
	v_pk_fma_f32 v[134:135], v[128:129], v[130:131], v[132:133] op_sel_hi:[1,0,1]
	v_pk_fma_f32 v[128:129], v[128:129], v[130:131], v[132:133] neg_lo:[0,0,1] neg_hi:[0,0,1]
	s_delay_alu instid0(VALU_DEP_2)
	v_mov_b32_e32 v129, v135
	scratch_store_b64 off, v[128:129], off offset:448
.LBB125_55:
	s_wait_xcnt 0x0
	s_or_b32 exec_lo, exec_lo, s63
	scratch_load_b64 v[128:129], off, off offset:440
	v_cmp_lt_u32_e64 s1, 55, v0
	s_wait_loadcnt 0x0
	ds_store_b64 v1, v[128:129]
	s_wait_storecnt_dscnt 0x0
	s_barrier_signal -1
	s_barrier_wait -1
	s_wait_xcnt 0x0
	s_and_saveexec_b32 s62, s1
	s_cbranch_execz .LBB125_65
; %bb.56:
	s_and_not1_b32 vcc_lo, exec_lo, s3
	s_cbranch_vccnz .LBB125_58
; %bb.57:
	scratch_load_b64 v[128:129], v59, off
	ds_load_b64 v[130:131], v1
	s_wait_loadcnt_dscnt 0x0
	v_pk_mul_f32 v[132:133], v[130:131], v[128:129] op_sel:[1,1] op_sel_hi:[0,1]
	s_delay_alu instid0(VALU_DEP_1) | instskip(SKIP_1) | instid1(VALU_DEP_2)
	v_pk_fma_f32 v[134:135], v[130:131], v[128:129], v[132:133] op_sel_hi:[1,0,1]
	v_pk_fma_f32 v[128:129], v[130:131], v[128:129], v[132:133] neg_lo:[0,0,1] neg_hi:[0,0,1]
	v_mov_b32_e32 v129, v135
	s_cbranch_execz .LBB125_59
	s_branch .LBB125_60
.LBB125_58:
                                        ; implicit-def: $vgpr128_vgpr129
.LBB125_59:
	ds_load_b64 v[128:129], v1
.LBB125_60:
	s_and_saveexec_b32 s63, s0
	s_cbranch_execz .LBB125_64
; %bb.61:
	v_subrev_nc_u32_e32 v130, 56, v0
	s_movk_i32 s64, 0x3b0
	s_mov_b32 s0, 0
.LBB125_62:                             ; =>This Inner Loop Header: Depth=1
	scratch_load_b64 v[132:133], off, s61
	v_dual_mov_b32 v131, s64 :: v_dual_add_nc_u32 v130, -1, v130
	s_add_co_i32 s64, s64, 8
	s_wait_xcnt 0x0
	s_add_co_i32 s61, s61, 8
	ds_load_b64 v[134:135], v131
	v_cmp_eq_u32_e32 vcc_lo, 0, v130
	s_or_b32 s0, vcc_lo, s0
	s_wait_loadcnt_dscnt 0x0
	v_pk_mul_f32 v[136:137], v[134:135], v[132:133] op_sel:[1,1] op_sel_hi:[0,1]
	s_delay_alu instid0(VALU_DEP_1) | instskip(SKIP_1) | instid1(VALU_DEP_2)
	v_pk_fma_f32 v[138:139], v[134:135], v[132:133], v[136:137] op_sel_hi:[1,0,1]
	v_pk_fma_f32 v[132:133], v[134:135], v[132:133], v[136:137] neg_lo:[0,0,1] neg_hi:[0,0,1]
	v_mov_b32_e32 v133, v139
	s_delay_alu instid0(VALU_DEP_1)
	v_pk_add_f32 v[128:129], v[128:129], v[132:133]
	s_and_not1_b32 exec_lo, exec_lo, s0
	s_cbranch_execnz .LBB125_62
; %bb.63:
	s_or_b32 exec_lo, exec_lo, s0
.LBB125_64:
	s_delay_alu instid0(SALU_CYCLE_1) | instskip(SKIP_4) | instid1(VALU_DEP_1)
	s_or_b32 exec_lo, exec_lo, s63
	v_mov_b32_e32 v130, 0
	ds_load_b64 v[130:131], v130 offset:440
	s_wait_dscnt 0x0
	v_pk_mul_f32 v[132:133], v[128:129], v[130:131] op_sel:[1,1] op_sel_hi:[0,1]
	v_pk_fma_f32 v[134:135], v[128:129], v[130:131], v[132:133] op_sel_hi:[1,0,1]
	v_pk_fma_f32 v[128:129], v[128:129], v[130:131], v[132:133] neg_lo:[0,0,1] neg_hi:[0,0,1]
	s_delay_alu instid0(VALU_DEP_2)
	v_mov_b32_e32 v129, v135
	scratch_store_b64 off, v[128:129], off offset:440
.LBB125_65:
	s_wait_xcnt 0x0
	s_or_b32 exec_lo, exec_lo, s62
	scratch_load_b64 v[128:129], off, off offset:432
	v_cmp_lt_u32_e64 s0, 54, v0
	s_wait_loadcnt 0x0
	ds_store_b64 v1, v[128:129]
	s_wait_storecnt_dscnt 0x0
	s_barrier_signal -1
	s_barrier_wait -1
	s_wait_xcnt 0x0
	s_and_saveexec_b32 s61, s0
	s_cbranch_execz .LBB125_75
; %bb.66:
	s_and_not1_b32 vcc_lo, exec_lo, s3
	s_cbranch_vccnz .LBB125_68
; %bb.67:
	scratch_load_b64 v[128:129], v59, off
	ds_load_b64 v[130:131], v1
	s_wait_loadcnt_dscnt 0x0
	v_pk_mul_f32 v[132:133], v[130:131], v[128:129] op_sel:[1,1] op_sel_hi:[0,1]
	s_delay_alu instid0(VALU_DEP_1) | instskip(SKIP_1) | instid1(VALU_DEP_2)
	v_pk_fma_f32 v[134:135], v[130:131], v[128:129], v[132:133] op_sel_hi:[1,0,1]
	v_pk_fma_f32 v[128:129], v[130:131], v[128:129], v[132:133] neg_lo:[0,0,1] neg_hi:[0,0,1]
	v_mov_b32_e32 v129, v135
	s_cbranch_execz .LBB125_69
	s_branch .LBB125_70
.LBB125_68:
                                        ; implicit-def: $vgpr128_vgpr129
.LBB125_69:
	ds_load_b64 v[128:129], v1
.LBB125_70:
	s_and_saveexec_b32 s62, s1
	s_cbranch_execz .LBB125_74
; %bb.71:
	v_subrev_nc_u32_e32 v130, 55, v0
	s_movk_i32 s63, 0x3a8
	s_mov_b32 s1, 0
.LBB125_72:                             ; =>This Inner Loop Header: Depth=1
	scratch_load_b64 v[132:133], off, s60
	v_dual_mov_b32 v131, s63 :: v_dual_add_nc_u32 v130, -1, v130
	s_add_co_i32 s63, s63, 8
	s_wait_xcnt 0x0
	s_add_co_i32 s60, s60, 8
	ds_load_b64 v[134:135], v131
	v_cmp_eq_u32_e32 vcc_lo, 0, v130
	s_or_b32 s1, vcc_lo, s1
	s_wait_loadcnt_dscnt 0x0
	v_pk_mul_f32 v[136:137], v[134:135], v[132:133] op_sel:[1,1] op_sel_hi:[0,1]
	s_delay_alu instid0(VALU_DEP_1) | instskip(SKIP_1) | instid1(VALU_DEP_2)
	v_pk_fma_f32 v[138:139], v[134:135], v[132:133], v[136:137] op_sel_hi:[1,0,1]
	v_pk_fma_f32 v[132:133], v[134:135], v[132:133], v[136:137] neg_lo:[0,0,1] neg_hi:[0,0,1]
	v_mov_b32_e32 v133, v139
	s_delay_alu instid0(VALU_DEP_1)
	v_pk_add_f32 v[128:129], v[128:129], v[132:133]
	s_and_not1_b32 exec_lo, exec_lo, s1
	s_cbranch_execnz .LBB125_72
; %bb.73:
	s_or_b32 exec_lo, exec_lo, s1
.LBB125_74:
	s_delay_alu instid0(SALU_CYCLE_1) | instskip(SKIP_4) | instid1(VALU_DEP_1)
	s_or_b32 exec_lo, exec_lo, s62
	v_mov_b32_e32 v130, 0
	ds_load_b64 v[130:131], v130 offset:432
	s_wait_dscnt 0x0
	v_pk_mul_f32 v[132:133], v[128:129], v[130:131] op_sel:[1,1] op_sel_hi:[0,1]
	v_pk_fma_f32 v[134:135], v[128:129], v[130:131], v[132:133] op_sel_hi:[1,0,1]
	v_pk_fma_f32 v[128:129], v[128:129], v[130:131], v[132:133] neg_lo:[0,0,1] neg_hi:[0,0,1]
	s_delay_alu instid0(VALU_DEP_2)
	v_mov_b32_e32 v129, v135
	scratch_store_b64 off, v[128:129], off offset:432
.LBB125_75:
	s_wait_xcnt 0x0
	s_or_b32 exec_lo, exec_lo, s61
	scratch_load_b64 v[128:129], off, off offset:424
	v_cmp_lt_u32_e64 s1, 53, v0
	s_wait_loadcnt 0x0
	ds_store_b64 v1, v[128:129]
	s_wait_storecnt_dscnt 0x0
	s_barrier_signal -1
	s_barrier_wait -1
	s_wait_xcnt 0x0
	s_and_saveexec_b32 s60, s1
	s_cbranch_execz .LBB125_85
; %bb.76:
	s_and_not1_b32 vcc_lo, exec_lo, s3
	s_cbranch_vccnz .LBB125_78
; %bb.77:
	scratch_load_b64 v[128:129], v59, off
	ds_load_b64 v[130:131], v1
	s_wait_loadcnt_dscnt 0x0
	v_pk_mul_f32 v[132:133], v[130:131], v[128:129] op_sel:[1,1] op_sel_hi:[0,1]
	s_delay_alu instid0(VALU_DEP_1) | instskip(SKIP_1) | instid1(VALU_DEP_2)
	v_pk_fma_f32 v[134:135], v[130:131], v[128:129], v[132:133] op_sel_hi:[1,0,1]
	v_pk_fma_f32 v[128:129], v[130:131], v[128:129], v[132:133] neg_lo:[0,0,1] neg_hi:[0,0,1]
	v_mov_b32_e32 v129, v135
	s_cbranch_execz .LBB125_79
	s_branch .LBB125_80
.LBB125_78:
                                        ; implicit-def: $vgpr128_vgpr129
.LBB125_79:
	ds_load_b64 v[128:129], v1
.LBB125_80:
	s_and_saveexec_b32 s61, s0
	s_cbranch_execz .LBB125_84
; %bb.81:
	v_subrev_nc_u32_e32 v130, 54, v0
	s_movk_i32 s62, 0x3a0
	s_mov_b32 s0, 0
.LBB125_82:                             ; =>This Inner Loop Header: Depth=1
	scratch_load_b64 v[132:133], off, s59
	v_dual_mov_b32 v131, s62 :: v_dual_add_nc_u32 v130, -1, v130
	s_add_co_i32 s62, s62, 8
	s_wait_xcnt 0x0
	s_add_co_i32 s59, s59, 8
	ds_load_b64 v[134:135], v131
	v_cmp_eq_u32_e32 vcc_lo, 0, v130
	s_or_b32 s0, vcc_lo, s0
	s_wait_loadcnt_dscnt 0x0
	v_pk_mul_f32 v[136:137], v[134:135], v[132:133] op_sel:[1,1] op_sel_hi:[0,1]
	s_delay_alu instid0(VALU_DEP_1) | instskip(SKIP_1) | instid1(VALU_DEP_2)
	v_pk_fma_f32 v[138:139], v[134:135], v[132:133], v[136:137] op_sel_hi:[1,0,1]
	v_pk_fma_f32 v[132:133], v[134:135], v[132:133], v[136:137] neg_lo:[0,0,1] neg_hi:[0,0,1]
	v_mov_b32_e32 v133, v139
	s_delay_alu instid0(VALU_DEP_1)
	v_pk_add_f32 v[128:129], v[128:129], v[132:133]
	s_and_not1_b32 exec_lo, exec_lo, s0
	s_cbranch_execnz .LBB125_82
; %bb.83:
	s_or_b32 exec_lo, exec_lo, s0
.LBB125_84:
	s_delay_alu instid0(SALU_CYCLE_1) | instskip(SKIP_4) | instid1(VALU_DEP_1)
	s_or_b32 exec_lo, exec_lo, s61
	v_mov_b32_e32 v130, 0
	ds_load_b64 v[130:131], v130 offset:424
	s_wait_dscnt 0x0
	v_pk_mul_f32 v[132:133], v[128:129], v[130:131] op_sel:[1,1] op_sel_hi:[0,1]
	v_pk_fma_f32 v[134:135], v[128:129], v[130:131], v[132:133] op_sel_hi:[1,0,1]
	v_pk_fma_f32 v[128:129], v[128:129], v[130:131], v[132:133] neg_lo:[0,0,1] neg_hi:[0,0,1]
	s_delay_alu instid0(VALU_DEP_2)
	v_mov_b32_e32 v129, v135
	scratch_store_b64 off, v[128:129], off offset:424
.LBB125_85:
	s_wait_xcnt 0x0
	s_or_b32 exec_lo, exec_lo, s60
	scratch_load_b64 v[128:129], off, off offset:416
	v_cmp_lt_u32_e64 s0, 52, v0
	s_wait_loadcnt 0x0
	ds_store_b64 v1, v[128:129]
	s_wait_storecnt_dscnt 0x0
	s_barrier_signal -1
	s_barrier_wait -1
	s_wait_xcnt 0x0
	s_and_saveexec_b32 s59, s0
	s_cbranch_execz .LBB125_95
; %bb.86:
	s_and_not1_b32 vcc_lo, exec_lo, s3
	s_cbranch_vccnz .LBB125_88
; %bb.87:
	scratch_load_b64 v[128:129], v59, off
	ds_load_b64 v[130:131], v1
	s_wait_loadcnt_dscnt 0x0
	v_pk_mul_f32 v[132:133], v[130:131], v[128:129] op_sel:[1,1] op_sel_hi:[0,1]
	s_delay_alu instid0(VALU_DEP_1) | instskip(SKIP_1) | instid1(VALU_DEP_2)
	v_pk_fma_f32 v[134:135], v[130:131], v[128:129], v[132:133] op_sel_hi:[1,0,1]
	v_pk_fma_f32 v[128:129], v[130:131], v[128:129], v[132:133] neg_lo:[0,0,1] neg_hi:[0,0,1]
	v_mov_b32_e32 v129, v135
	s_cbranch_execz .LBB125_89
	s_branch .LBB125_90
.LBB125_88:
                                        ; implicit-def: $vgpr128_vgpr129
.LBB125_89:
	ds_load_b64 v[128:129], v1
.LBB125_90:
	s_and_saveexec_b32 s60, s1
	s_cbranch_execz .LBB125_94
; %bb.91:
	v_subrev_nc_u32_e32 v130, 53, v0
	s_movk_i32 s61, 0x398
	s_mov_b32 s1, 0
.LBB125_92:                             ; =>This Inner Loop Header: Depth=1
	scratch_load_b64 v[132:133], off, s58
	v_dual_mov_b32 v131, s61 :: v_dual_add_nc_u32 v130, -1, v130
	s_add_co_i32 s61, s61, 8
	s_wait_xcnt 0x0
	s_add_co_i32 s58, s58, 8
	ds_load_b64 v[134:135], v131
	v_cmp_eq_u32_e32 vcc_lo, 0, v130
	s_or_b32 s1, vcc_lo, s1
	s_wait_loadcnt_dscnt 0x0
	v_pk_mul_f32 v[136:137], v[134:135], v[132:133] op_sel:[1,1] op_sel_hi:[0,1]
	s_delay_alu instid0(VALU_DEP_1) | instskip(SKIP_1) | instid1(VALU_DEP_2)
	v_pk_fma_f32 v[138:139], v[134:135], v[132:133], v[136:137] op_sel_hi:[1,0,1]
	v_pk_fma_f32 v[132:133], v[134:135], v[132:133], v[136:137] neg_lo:[0,0,1] neg_hi:[0,0,1]
	v_mov_b32_e32 v133, v139
	s_delay_alu instid0(VALU_DEP_1)
	v_pk_add_f32 v[128:129], v[128:129], v[132:133]
	s_and_not1_b32 exec_lo, exec_lo, s1
	s_cbranch_execnz .LBB125_92
; %bb.93:
	s_or_b32 exec_lo, exec_lo, s1
.LBB125_94:
	s_delay_alu instid0(SALU_CYCLE_1) | instskip(SKIP_4) | instid1(VALU_DEP_1)
	s_or_b32 exec_lo, exec_lo, s60
	v_mov_b32_e32 v130, 0
	ds_load_b64 v[130:131], v130 offset:416
	s_wait_dscnt 0x0
	v_pk_mul_f32 v[132:133], v[128:129], v[130:131] op_sel:[1,1] op_sel_hi:[0,1]
	v_pk_fma_f32 v[134:135], v[128:129], v[130:131], v[132:133] op_sel_hi:[1,0,1]
	v_pk_fma_f32 v[128:129], v[128:129], v[130:131], v[132:133] neg_lo:[0,0,1] neg_hi:[0,0,1]
	s_delay_alu instid0(VALU_DEP_2)
	v_mov_b32_e32 v129, v135
	scratch_store_b64 off, v[128:129], off offset:416
.LBB125_95:
	s_wait_xcnt 0x0
	s_or_b32 exec_lo, exec_lo, s59
	scratch_load_b64 v[128:129], off, off offset:408
	v_cmp_lt_u32_e64 s1, 51, v0
	s_wait_loadcnt 0x0
	ds_store_b64 v1, v[128:129]
	s_wait_storecnt_dscnt 0x0
	s_barrier_signal -1
	s_barrier_wait -1
	s_wait_xcnt 0x0
	s_and_saveexec_b32 s58, s1
	s_cbranch_execz .LBB125_105
; %bb.96:
	s_and_not1_b32 vcc_lo, exec_lo, s3
	s_cbranch_vccnz .LBB125_98
; %bb.97:
	scratch_load_b64 v[128:129], v59, off
	ds_load_b64 v[130:131], v1
	s_wait_loadcnt_dscnt 0x0
	v_pk_mul_f32 v[132:133], v[130:131], v[128:129] op_sel:[1,1] op_sel_hi:[0,1]
	s_delay_alu instid0(VALU_DEP_1) | instskip(SKIP_1) | instid1(VALU_DEP_2)
	v_pk_fma_f32 v[134:135], v[130:131], v[128:129], v[132:133] op_sel_hi:[1,0,1]
	v_pk_fma_f32 v[128:129], v[130:131], v[128:129], v[132:133] neg_lo:[0,0,1] neg_hi:[0,0,1]
	v_mov_b32_e32 v129, v135
	s_cbranch_execz .LBB125_99
	s_branch .LBB125_100
.LBB125_98:
                                        ; implicit-def: $vgpr128_vgpr129
.LBB125_99:
	ds_load_b64 v[128:129], v1
.LBB125_100:
	s_and_saveexec_b32 s59, s0
	s_cbranch_execz .LBB125_104
; %bb.101:
	v_subrev_nc_u32_e32 v130, 52, v0
	s_movk_i32 s60, 0x390
	s_mov_b32 s0, 0
.LBB125_102:                            ; =>This Inner Loop Header: Depth=1
	scratch_load_b64 v[132:133], off, s57
	v_dual_mov_b32 v131, s60 :: v_dual_add_nc_u32 v130, -1, v130
	s_add_co_i32 s60, s60, 8
	s_wait_xcnt 0x0
	s_add_co_i32 s57, s57, 8
	ds_load_b64 v[134:135], v131
	v_cmp_eq_u32_e32 vcc_lo, 0, v130
	s_or_b32 s0, vcc_lo, s0
	s_wait_loadcnt_dscnt 0x0
	v_pk_mul_f32 v[136:137], v[134:135], v[132:133] op_sel:[1,1] op_sel_hi:[0,1]
	s_delay_alu instid0(VALU_DEP_1) | instskip(SKIP_1) | instid1(VALU_DEP_2)
	v_pk_fma_f32 v[138:139], v[134:135], v[132:133], v[136:137] op_sel_hi:[1,0,1]
	v_pk_fma_f32 v[132:133], v[134:135], v[132:133], v[136:137] neg_lo:[0,0,1] neg_hi:[0,0,1]
	v_mov_b32_e32 v133, v139
	s_delay_alu instid0(VALU_DEP_1)
	v_pk_add_f32 v[128:129], v[128:129], v[132:133]
	s_and_not1_b32 exec_lo, exec_lo, s0
	s_cbranch_execnz .LBB125_102
; %bb.103:
	s_or_b32 exec_lo, exec_lo, s0
.LBB125_104:
	s_delay_alu instid0(SALU_CYCLE_1) | instskip(SKIP_4) | instid1(VALU_DEP_1)
	s_or_b32 exec_lo, exec_lo, s59
	v_mov_b32_e32 v130, 0
	ds_load_b64 v[130:131], v130 offset:408
	s_wait_dscnt 0x0
	v_pk_mul_f32 v[132:133], v[128:129], v[130:131] op_sel:[1,1] op_sel_hi:[0,1]
	v_pk_fma_f32 v[134:135], v[128:129], v[130:131], v[132:133] op_sel_hi:[1,0,1]
	v_pk_fma_f32 v[128:129], v[128:129], v[130:131], v[132:133] neg_lo:[0,0,1] neg_hi:[0,0,1]
	s_delay_alu instid0(VALU_DEP_2)
	v_mov_b32_e32 v129, v135
	scratch_store_b64 off, v[128:129], off offset:408
.LBB125_105:
	s_wait_xcnt 0x0
	s_or_b32 exec_lo, exec_lo, s58
	scratch_load_b64 v[128:129], off, off offset:400
	v_cmp_lt_u32_e64 s0, 50, v0
	s_wait_loadcnt 0x0
	ds_store_b64 v1, v[128:129]
	s_wait_storecnt_dscnt 0x0
	s_barrier_signal -1
	s_barrier_wait -1
	s_wait_xcnt 0x0
	s_and_saveexec_b32 s57, s0
	s_cbranch_execz .LBB125_115
; %bb.106:
	s_and_not1_b32 vcc_lo, exec_lo, s3
	s_cbranch_vccnz .LBB125_108
; %bb.107:
	scratch_load_b64 v[128:129], v59, off
	ds_load_b64 v[130:131], v1
	s_wait_loadcnt_dscnt 0x0
	v_pk_mul_f32 v[132:133], v[130:131], v[128:129] op_sel:[1,1] op_sel_hi:[0,1]
	s_delay_alu instid0(VALU_DEP_1) | instskip(SKIP_1) | instid1(VALU_DEP_2)
	v_pk_fma_f32 v[134:135], v[130:131], v[128:129], v[132:133] op_sel_hi:[1,0,1]
	v_pk_fma_f32 v[128:129], v[130:131], v[128:129], v[132:133] neg_lo:[0,0,1] neg_hi:[0,0,1]
	v_mov_b32_e32 v129, v135
	s_cbranch_execz .LBB125_109
	s_branch .LBB125_110
.LBB125_108:
                                        ; implicit-def: $vgpr128_vgpr129
.LBB125_109:
	ds_load_b64 v[128:129], v1
.LBB125_110:
	s_and_saveexec_b32 s58, s1
	s_cbranch_execz .LBB125_114
; %bb.111:
	v_subrev_nc_u32_e32 v130, 51, v0
	s_movk_i32 s59, 0x388
	s_mov_b32 s1, 0
.LBB125_112:                            ; =>This Inner Loop Header: Depth=1
	scratch_load_b64 v[132:133], off, s56
	v_dual_mov_b32 v131, s59 :: v_dual_add_nc_u32 v130, -1, v130
	s_add_co_i32 s59, s59, 8
	s_wait_xcnt 0x0
	s_add_co_i32 s56, s56, 8
	ds_load_b64 v[134:135], v131
	v_cmp_eq_u32_e32 vcc_lo, 0, v130
	s_or_b32 s1, vcc_lo, s1
	s_wait_loadcnt_dscnt 0x0
	v_pk_mul_f32 v[136:137], v[134:135], v[132:133] op_sel:[1,1] op_sel_hi:[0,1]
	s_delay_alu instid0(VALU_DEP_1) | instskip(SKIP_1) | instid1(VALU_DEP_2)
	v_pk_fma_f32 v[138:139], v[134:135], v[132:133], v[136:137] op_sel_hi:[1,0,1]
	v_pk_fma_f32 v[132:133], v[134:135], v[132:133], v[136:137] neg_lo:[0,0,1] neg_hi:[0,0,1]
	v_mov_b32_e32 v133, v139
	s_delay_alu instid0(VALU_DEP_1)
	v_pk_add_f32 v[128:129], v[128:129], v[132:133]
	s_and_not1_b32 exec_lo, exec_lo, s1
	s_cbranch_execnz .LBB125_112
; %bb.113:
	s_or_b32 exec_lo, exec_lo, s1
.LBB125_114:
	s_delay_alu instid0(SALU_CYCLE_1) | instskip(SKIP_4) | instid1(VALU_DEP_1)
	s_or_b32 exec_lo, exec_lo, s58
	v_mov_b32_e32 v130, 0
	ds_load_b64 v[130:131], v130 offset:400
	s_wait_dscnt 0x0
	v_pk_mul_f32 v[132:133], v[128:129], v[130:131] op_sel:[1,1] op_sel_hi:[0,1]
	v_pk_fma_f32 v[134:135], v[128:129], v[130:131], v[132:133] op_sel_hi:[1,0,1]
	v_pk_fma_f32 v[128:129], v[128:129], v[130:131], v[132:133] neg_lo:[0,0,1] neg_hi:[0,0,1]
	s_delay_alu instid0(VALU_DEP_2)
	v_mov_b32_e32 v129, v135
	scratch_store_b64 off, v[128:129], off offset:400
.LBB125_115:
	s_wait_xcnt 0x0
	s_or_b32 exec_lo, exec_lo, s57
	scratch_load_b64 v[128:129], off, off offset:392
	v_cmp_lt_u32_e64 s1, 49, v0
	s_wait_loadcnt 0x0
	ds_store_b64 v1, v[128:129]
	s_wait_storecnt_dscnt 0x0
	s_barrier_signal -1
	s_barrier_wait -1
	s_wait_xcnt 0x0
	s_and_saveexec_b32 s56, s1
	s_cbranch_execz .LBB125_125
; %bb.116:
	s_and_not1_b32 vcc_lo, exec_lo, s3
	s_cbranch_vccnz .LBB125_118
; %bb.117:
	scratch_load_b64 v[128:129], v59, off
	ds_load_b64 v[130:131], v1
	s_wait_loadcnt_dscnt 0x0
	v_pk_mul_f32 v[132:133], v[130:131], v[128:129] op_sel:[1,1] op_sel_hi:[0,1]
	s_delay_alu instid0(VALU_DEP_1) | instskip(SKIP_1) | instid1(VALU_DEP_2)
	v_pk_fma_f32 v[134:135], v[130:131], v[128:129], v[132:133] op_sel_hi:[1,0,1]
	v_pk_fma_f32 v[128:129], v[130:131], v[128:129], v[132:133] neg_lo:[0,0,1] neg_hi:[0,0,1]
	v_mov_b32_e32 v129, v135
	s_cbranch_execz .LBB125_119
	s_branch .LBB125_120
.LBB125_118:
                                        ; implicit-def: $vgpr128_vgpr129
.LBB125_119:
	ds_load_b64 v[128:129], v1
.LBB125_120:
	s_and_saveexec_b32 s57, s0
	s_cbranch_execz .LBB125_124
; %bb.121:
	v_subrev_nc_u32_e32 v130, 50, v0
	s_movk_i32 s58, 0x380
	s_mov_b32 s0, 0
.LBB125_122:                            ; =>This Inner Loop Header: Depth=1
	scratch_load_b64 v[132:133], off, s55
	v_dual_mov_b32 v131, s58 :: v_dual_add_nc_u32 v130, -1, v130
	s_add_co_i32 s58, s58, 8
	s_wait_xcnt 0x0
	s_add_co_i32 s55, s55, 8
	ds_load_b64 v[134:135], v131
	v_cmp_eq_u32_e32 vcc_lo, 0, v130
	s_or_b32 s0, vcc_lo, s0
	s_wait_loadcnt_dscnt 0x0
	v_pk_mul_f32 v[136:137], v[134:135], v[132:133] op_sel:[1,1] op_sel_hi:[0,1]
	s_delay_alu instid0(VALU_DEP_1) | instskip(SKIP_1) | instid1(VALU_DEP_2)
	v_pk_fma_f32 v[138:139], v[134:135], v[132:133], v[136:137] op_sel_hi:[1,0,1]
	v_pk_fma_f32 v[132:133], v[134:135], v[132:133], v[136:137] neg_lo:[0,0,1] neg_hi:[0,0,1]
	v_mov_b32_e32 v133, v139
	s_delay_alu instid0(VALU_DEP_1)
	v_pk_add_f32 v[128:129], v[128:129], v[132:133]
	s_and_not1_b32 exec_lo, exec_lo, s0
	s_cbranch_execnz .LBB125_122
; %bb.123:
	s_or_b32 exec_lo, exec_lo, s0
.LBB125_124:
	s_delay_alu instid0(SALU_CYCLE_1) | instskip(SKIP_4) | instid1(VALU_DEP_1)
	s_or_b32 exec_lo, exec_lo, s57
	v_mov_b32_e32 v130, 0
	ds_load_b64 v[130:131], v130 offset:392
	s_wait_dscnt 0x0
	v_pk_mul_f32 v[132:133], v[128:129], v[130:131] op_sel:[1,1] op_sel_hi:[0,1]
	v_pk_fma_f32 v[134:135], v[128:129], v[130:131], v[132:133] op_sel_hi:[1,0,1]
	v_pk_fma_f32 v[128:129], v[128:129], v[130:131], v[132:133] neg_lo:[0,0,1] neg_hi:[0,0,1]
	s_delay_alu instid0(VALU_DEP_2)
	v_mov_b32_e32 v129, v135
	scratch_store_b64 off, v[128:129], off offset:392
.LBB125_125:
	s_wait_xcnt 0x0
	s_or_b32 exec_lo, exec_lo, s56
	scratch_load_b64 v[128:129], off, off offset:384
	v_cmp_lt_u32_e64 s0, 48, v0
	s_wait_loadcnt 0x0
	ds_store_b64 v1, v[128:129]
	s_wait_storecnt_dscnt 0x0
	s_barrier_signal -1
	s_barrier_wait -1
	s_wait_xcnt 0x0
	s_and_saveexec_b32 s55, s0
	s_cbranch_execz .LBB125_135
; %bb.126:
	s_and_not1_b32 vcc_lo, exec_lo, s3
	s_cbranch_vccnz .LBB125_128
; %bb.127:
	scratch_load_b64 v[128:129], v59, off
	ds_load_b64 v[130:131], v1
	s_wait_loadcnt_dscnt 0x0
	v_pk_mul_f32 v[132:133], v[130:131], v[128:129] op_sel:[1,1] op_sel_hi:[0,1]
	s_delay_alu instid0(VALU_DEP_1) | instskip(SKIP_1) | instid1(VALU_DEP_2)
	v_pk_fma_f32 v[134:135], v[130:131], v[128:129], v[132:133] op_sel_hi:[1,0,1]
	v_pk_fma_f32 v[128:129], v[130:131], v[128:129], v[132:133] neg_lo:[0,0,1] neg_hi:[0,0,1]
	v_mov_b32_e32 v129, v135
	s_cbranch_execz .LBB125_129
	s_branch .LBB125_130
.LBB125_128:
                                        ; implicit-def: $vgpr128_vgpr129
.LBB125_129:
	ds_load_b64 v[128:129], v1
.LBB125_130:
	s_and_saveexec_b32 s56, s1
	s_cbranch_execz .LBB125_134
; %bb.131:
	v_subrev_nc_u32_e32 v130, 49, v0
	s_movk_i32 s57, 0x378
	s_mov_b32 s1, 0
.LBB125_132:                            ; =>This Inner Loop Header: Depth=1
	scratch_load_b64 v[132:133], off, s54
	v_dual_mov_b32 v131, s57 :: v_dual_add_nc_u32 v130, -1, v130
	s_add_co_i32 s57, s57, 8
	s_wait_xcnt 0x0
	s_add_co_i32 s54, s54, 8
	ds_load_b64 v[134:135], v131
	v_cmp_eq_u32_e32 vcc_lo, 0, v130
	s_or_b32 s1, vcc_lo, s1
	s_wait_loadcnt_dscnt 0x0
	v_pk_mul_f32 v[136:137], v[134:135], v[132:133] op_sel:[1,1] op_sel_hi:[0,1]
	s_delay_alu instid0(VALU_DEP_1) | instskip(SKIP_1) | instid1(VALU_DEP_2)
	v_pk_fma_f32 v[138:139], v[134:135], v[132:133], v[136:137] op_sel_hi:[1,0,1]
	v_pk_fma_f32 v[132:133], v[134:135], v[132:133], v[136:137] neg_lo:[0,0,1] neg_hi:[0,0,1]
	v_mov_b32_e32 v133, v139
	s_delay_alu instid0(VALU_DEP_1)
	v_pk_add_f32 v[128:129], v[128:129], v[132:133]
	s_and_not1_b32 exec_lo, exec_lo, s1
	s_cbranch_execnz .LBB125_132
; %bb.133:
	s_or_b32 exec_lo, exec_lo, s1
.LBB125_134:
	s_delay_alu instid0(SALU_CYCLE_1) | instskip(SKIP_4) | instid1(VALU_DEP_1)
	s_or_b32 exec_lo, exec_lo, s56
	v_mov_b32_e32 v130, 0
	ds_load_b64 v[130:131], v130 offset:384
	s_wait_dscnt 0x0
	v_pk_mul_f32 v[132:133], v[128:129], v[130:131] op_sel:[1,1] op_sel_hi:[0,1]
	v_pk_fma_f32 v[134:135], v[128:129], v[130:131], v[132:133] op_sel_hi:[1,0,1]
	v_pk_fma_f32 v[128:129], v[128:129], v[130:131], v[132:133] neg_lo:[0,0,1] neg_hi:[0,0,1]
	s_delay_alu instid0(VALU_DEP_2)
	v_mov_b32_e32 v129, v135
	scratch_store_b64 off, v[128:129], off offset:384
.LBB125_135:
	s_wait_xcnt 0x0
	s_or_b32 exec_lo, exec_lo, s55
	scratch_load_b64 v[128:129], off, off offset:376
	v_cmp_lt_u32_e64 s1, 47, v0
	s_wait_loadcnt 0x0
	ds_store_b64 v1, v[128:129]
	s_wait_storecnt_dscnt 0x0
	s_barrier_signal -1
	s_barrier_wait -1
	s_wait_xcnt 0x0
	s_and_saveexec_b32 s54, s1
	s_cbranch_execz .LBB125_145
; %bb.136:
	s_and_not1_b32 vcc_lo, exec_lo, s3
	s_cbranch_vccnz .LBB125_138
; %bb.137:
	scratch_load_b64 v[128:129], v59, off
	ds_load_b64 v[130:131], v1
	s_wait_loadcnt_dscnt 0x0
	v_pk_mul_f32 v[132:133], v[130:131], v[128:129] op_sel:[1,1] op_sel_hi:[0,1]
	s_delay_alu instid0(VALU_DEP_1) | instskip(SKIP_1) | instid1(VALU_DEP_2)
	v_pk_fma_f32 v[134:135], v[130:131], v[128:129], v[132:133] op_sel_hi:[1,0,1]
	v_pk_fma_f32 v[128:129], v[130:131], v[128:129], v[132:133] neg_lo:[0,0,1] neg_hi:[0,0,1]
	v_mov_b32_e32 v129, v135
	s_cbranch_execz .LBB125_139
	s_branch .LBB125_140
.LBB125_138:
                                        ; implicit-def: $vgpr128_vgpr129
.LBB125_139:
	ds_load_b64 v[128:129], v1
.LBB125_140:
	s_and_saveexec_b32 s55, s0
	s_cbranch_execz .LBB125_144
; %bb.141:
	v_subrev_nc_u32_e32 v130, 48, v0
	s_movk_i32 s56, 0x370
	s_mov_b32 s0, 0
.LBB125_142:                            ; =>This Inner Loop Header: Depth=1
	scratch_load_b64 v[132:133], off, s53
	v_dual_mov_b32 v131, s56 :: v_dual_add_nc_u32 v130, -1, v130
	s_add_co_i32 s56, s56, 8
	s_wait_xcnt 0x0
	s_add_co_i32 s53, s53, 8
	ds_load_b64 v[134:135], v131
	v_cmp_eq_u32_e32 vcc_lo, 0, v130
	s_or_b32 s0, vcc_lo, s0
	s_wait_loadcnt_dscnt 0x0
	v_pk_mul_f32 v[136:137], v[134:135], v[132:133] op_sel:[1,1] op_sel_hi:[0,1]
	s_delay_alu instid0(VALU_DEP_1) | instskip(SKIP_1) | instid1(VALU_DEP_2)
	v_pk_fma_f32 v[138:139], v[134:135], v[132:133], v[136:137] op_sel_hi:[1,0,1]
	v_pk_fma_f32 v[132:133], v[134:135], v[132:133], v[136:137] neg_lo:[0,0,1] neg_hi:[0,0,1]
	v_mov_b32_e32 v133, v139
	s_delay_alu instid0(VALU_DEP_1)
	v_pk_add_f32 v[128:129], v[128:129], v[132:133]
	s_and_not1_b32 exec_lo, exec_lo, s0
	s_cbranch_execnz .LBB125_142
; %bb.143:
	s_or_b32 exec_lo, exec_lo, s0
.LBB125_144:
	s_delay_alu instid0(SALU_CYCLE_1) | instskip(SKIP_4) | instid1(VALU_DEP_1)
	s_or_b32 exec_lo, exec_lo, s55
	v_mov_b32_e32 v130, 0
	ds_load_b64 v[130:131], v130 offset:376
	s_wait_dscnt 0x0
	v_pk_mul_f32 v[132:133], v[128:129], v[130:131] op_sel:[1,1] op_sel_hi:[0,1]
	v_pk_fma_f32 v[134:135], v[128:129], v[130:131], v[132:133] op_sel_hi:[1,0,1]
	v_pk_fma_f32 v[128:129], v[128:129], v[130:131], v[132:133] neg_lo:[0,0,1] neg_hi:[0,0,1]
	s_delay_alu instid0(VALU_DEP_2)
	v_mov_b32_e32 v129, v135
	scratch_store_b64 off, v[128:129], off offset:376
.LBB125_145:
	s_wait_xcnt 0x0
	s_or_b32 exec_lo, exec_lo, s54
	scratch_load_b64 v[128:129], off, off offset:368
	v_cmp_lt_u32_e64 s0, 46, v0
	s_wait_loadcnt 0x0
	ds_store_b64 v1, v[128:129]
	s_wait_storecnt_dscnt 0x0
	s_barrier_signal -1
	s_barrier_wait -1
	s_wait_xcnt 0x0
	s_and_saveexec_b32 s53, s0
	s_cbranch_execz .LBB125_155
; %bb.146:
	s_and_not1_b32 vcc_lo, exec_lo, s3
	s_cbranch_vccnz .LBB125_148
; %bb.147:
	scratch_load_b64 v[128:129], v59, off
	ds_load_b64 v[130:131], v1
	s_wait_loadcnt_dscnt 0x0
	v_pk_mul_f32 v[132:133], v[130:131], v[128:129] op_sel:[1,1] op_sel_hi:[0,1]
	s_delay_alu instid0(VALU_DEP_1) | instskip(SKIP_1) | instid1(VALU_DEP_2)
	v_pk_fma_f32 v[134:135], v[130:131], v[128:129], v[132:133] op_sel_hi:[1,0,1]
	v_pk_fma_f32 v[128:129], v[130:131], v[128:129], v[132:133] neg_lo:[0,0,1] neg_hi:[0,0,1]
	v_mov_b32_e32 v129, v135
	s_cbranch_execz .LBB125_149
	s_branch .LBB125_150
.LBB125_148:
                                        ; implicit-def: $vgpr128_vgpr129
.LBB125_149:
	ds_load_b64 v[128:129], v1
.LBB125_150:
	s_and_saveexec_b32 s54, s1
	s_cbranch_execz .LBB125_154
; %bb.151:
	v_subrev_nc_u32_e32 v130, 47, v0
	s_movk_i32 s55, 0x368
	s_mov_b32 s1, 0
.LBB125_152:                            ; =>This Inner Loop Header: Depth=1
	scratch_load_b64 v[132:133], off, s52
	v_dual_mov_b32 v131, s55 :: v_dual_add_nc_u32 v130, -1, v130
	s_add_co_i32 s55, s55, 8
	s_wait_xcnt 0x0
	s_add_co_i32 s52, s52, 8
	ds_load_b64 v[134:135], v131
	v_cmp_eq_u32_e32 vcc_lo, 0, v130
	s_or_b32 s1, vcc_lo, s1
	s_wait_loadcnt_dscnt 0x0
	v_pk_mul_f32 v[136:137], v[134:135], v[132:133] op_sel:[1,1] op_sel_hi:[0,1]
	s_delay_alu instid0(VALU_DEP_1) | instskip(SKIP_1) | instid1(VALU_DEP_2)
	v_pk_fma_f32 v[138:139], v[134:135], v[132:133], v[136:137] op_sel_hi:[1,0,1]
	v_pk_fma_f32 v[132:133], v[134:135], v[132:133], v[136:137] neg_lo:[0,0,1] neg_hi:[0,0,1]
	v_mov_b32_e32 v133, v139
	s_delay_alu instid0(VALU_DEP_1)
	v_pk_add_f32 v[128:129], v[128:129], v[132:133]
	s_and_not1_b32 exec_lo, exec_lo, s1
	s_cbranch_execnz .LBB125_152
; %bb.153:
	s_or_b32 exec_lo, exec_lo, s1
.LBB125_154:
	s_delay_alu instid0(SALU_CYCLE_1) | instskip(SKIP_4) | instid1(VALU_DEP_1)
	s_or_b32 exec_lo, exec_lo, s54
	v_mov_b32_e32 v130, 0
	ds_load_b64 v[130:131], v130 offset:368
	s_wait_dscnt 0x0
	v_pk_mul_f32 v[132:133], v[128:129], v[130:131] op_sel:[1,1] op_sel_hi:[0,1]
	v_pk_fma_f32 v[134:135], v[128:129], v[130:131], v[132:133] op_sel_hi:[1,0,1]
	v_pk_fma_f32 v[128:129], v[128:129], v[130:131], v[132:133] neg_lo:[0,0,1] neg_hi:[0,0,1]
	s_delay_alu instid0(VALU_DEP_2)
	v_mov_b32_e32 v129, v135
	scratch_store_b64 off, v[128:129], off offset:368
.LBB125_155:
	s_wait_xcnt 0x0
	s_or_b32 exec_lo, exec_lo, s53
	scratch_load_b64 v[128:129], off, off offset:360
	v_cmp_lt_u32_e64 s1, 45, v0
	s_wait_loadcnt 0x0
	ds_store_b64 v1, v[128:129]
	s_wait_storecnt_dscnt 0x0
	s_barrier_signal -1
	s_barrier_wait -1
	s_wait_xcnt 0x0
	s_and_saveexec_b32 s52, s1
	s_cbranch_execz .LBB125_165
; %bb.156:
	s_and_not1_b32 vcc_lo, exec_lo, s3
	s_cbranch_vccnz .LBB125_158
; %bb.157:
	scratch_load_b64 v[128:129], v59, off
	ds_load_b64 v[130:131], v1
	s_wait_loadcnt_dscnt 0x0
	v_pk_mul_f32 v[132:133], v[130:131], v[128:129] op_sel:[1,1] op_sel_hi:[0,1]
	s_delay_alu instid0(VALU_DEP_1) | instskip(SKIP_1) | instid1(VALU_DEP_2)
	v_pk_fma_f32 v[134:135], v[130:131], v[128:129], v[132:133] op_sel_hi:[1,0,1]
	v_pk_fma_f32 v[128:129], v[130:131], v[128:129], v[132:133] neg_lo:[0,0,1] neg_hi:[0,0,1]
	v_mov_b32_e32 v129, v135
	s_cbranch_execz .LBB125_159
	s_branch .LBB125_160
.LBB125_158:
                                        ; implicit-def: $vgpr128_vgpr129
.LBB125_159:
	ds_load_b64 v[128:129], v1
.LBB125_160:
	s_and_saveexec_b32 s53, s0
	s_cbranch_execz .LBB125_164
; %bb.161:
	v_subrev_nc_u32_e32 v130, 46, v0
	s_movk_i32 s54, 0x360
	s_mov_b32 s0, 0
.LBB125_162:                            ; =>This Inner Loop Header: Depth=1
	scratch_load_b64 v[132:133], off, s51
	v_dual_mov_b32 v131, s54 :: v_dual_add_nc_u32 v130, -1, v130
	s_add_co_i32 s54, s54, 8
	s_wait_xcnt 0x0
	s_add_co_i32 s51, s51, 8
	ds_load_b64 v[134:135], v131
	v_cmp_eq_u32_e32 vcc_lo, 0, v130
	s_or_b32 s0, vcc_lo, s0
	s_wait_loadcnt_dscnt 0x0
	v_pk_mul_f32 v[136:137], v[134:135], v[132:133] op_sel:[1,1] op_sel_hi:[0,1]
	s_delay_alu instid0(VALU_DEP_1) | instskip(SKIP_1) | instid1(VALU_DEP_2)
	v_pk_fma_f32 v[138:139], v[134:135], v[132:133], v[136:137] op_sel_hi:[1,0,1]
	v_pk_fma_f32 v[132:133], v[134:135], v[132:133], v[136:137] neg_lo:[0,0,1] neg_hi:[0,0,1]
	v_mov_b32_e32 v133, v139
	s_delay_alu instid0(VALU_DEP_1)
	v_pk_add_f32 v[128:129], v[128:129], v[132:133]
	s_and_not1_b32 exec_lo, exec_lo, s0
	s_cbranch_execnz .LBB125_162
; %bb.163:
	s_or_b32 exec_lo, exec_lo, s0
.LBB125_164:
	s_delay_alu instid0(SALU_CYCLE_1) | instskip(SKIP_4) | instid1(VALU_DEP_1)
	s_or_b32 exec_lo, exec_lo, s53
	v_mov_b32_e32 v130, 0
	ds_load_b64 v[130:131], v130 offset:360
	s_wait_dscnt 0x0
	v_pk_mul_f32 v[132:133], v[128:129], v[130:131] op_sel:[1,1] op_sel_hi:[0,1]
	v_pk_fma_f32 v[134:135], v[128:129], v[130:131], v[132:133] op_sel_hi:[1,0,1]
	v_pk_fma_f32 v[128:129], v[128:129], v[130:131], v[132:133] neg_lo:[0,0,1] neg_hi:[0,0,1]
	s_delay_alu instid0(VALU_DEP_2)
	v_mov_b32_e32 v129, v135
	scratch_store_b64 off, v[128:129], off offset:360
.LBB125_165:
	s_wait_xcnt 0x0
	s_or_b32 exec_lo, exec_lo, s52
	scratch_load_b64 v[128:129], off, off offset:352
	v_cmp_lt_u32_e64 s0, 44, v0
	s_wait_loadcnt 0x0
	ds_store_b64 v1, v[128:129]
	s_wait_storecnt_dscnt 0x0
	s_barrier_signal -1
	s_barrier_wait -1
	s_wait_xcnt 0x0
	s_and_saveexec_b32 s51, s0
	s_cbranch_execz .LBB125_175
; %bb.166:
	s_and_not1_b32 vcc_lo, exec_lo, s3
	s_cbranch_vccnz .LBB125_168
; %bb.167:
	scratch_load_b64 v[128:129], v59, off
	ds_load_b64 v[130:131], v1
	s_wait_loadcnt_dscnt 0x0
	v_pk_mul_f32 v[132:133], v[130:131], v[128:129] op_sel:[1,1] op_sel_hi:[0,1]
	s_delay_alu instid0(VALU_DEP_1) | instskip(SKIP_1) | instid1(VALU_DEP_2)
	v_pk_fma_f32 v[134:135], v[130:131], v[128:129], v[132:133] op_sel_hi:[1,0,1]
	v_pk_fma_f32 v[128:129], v[130:131], v[128:129], v[132:133] neg_lo:[0,0,1] neg_hi:[0,0,1]
	v_mov_b32_e32 v129, v135
	s_cbranch_execz .LBB125_169
	s_branch .LBB125_170
.LBB125_168:
                                        ; implicit-def: $vgpr128_vgpr129
.LBB125_169:
	ds_load_b64 v[128:129], v1
.LBB125_170:
	s_and_saveexec_b32 s52, s1
	s_cbranch_execz .LBB125_174
; %bb.171:
	v_subrev_nc_u32_e32 v130, 45, v0
	s_movk_i32 s53, 0x358
	s_mov_b32 s1, 0
.LBB125_172:                            ; =>This Inner Loop Header: Depth=1
	scratch_load_b64 v[132:133], off, s50
	v_dual_mov_b32 v131, s53 :: v_dual_add_nc_u32 v130, -1, v130
	s_add_co_i32 s53, s53, 8
	s_wait_xcnt 0x0
	s_add_co_i32 s50, s50, 8
	ds_load_b64 v[134:135], v131
	v_cmp_eq_u32_e32 vcc_lo, 0, v130
	s_or_b32 s1, vcc_lo, s1
	s_wait_loadcnt_dscnt 0x0
	v_pk_mul_f32 v[136:137], v[134:135], v[132:133] op_sel:[1,1] op_sel_hi:[0,1]
	s_delay_alu instid0(VALU_DEP_1) | instskip(SKIP_1) | instid1(VALU_DEP_2)
	v_pk_fma_f32 v[138:139], v[134:135], v[132:133], v[136:137] op_sel_hi:[1,0,1]
	v_pk_fma_f32 v[132:133], v[134:135], v[132:133], v[136:137] neg_lo:[0,0,1] neg_hi:[0,0,1]
	v_mov_b32_e32 v133, v139
	s_delay_alu instid0(VALU_DEP_1)
	v_pk_add_f32 v[128:129], v[128:129], v[132:133]
	s_and_not1_b32 exec_lo, exec_lo, s1
	s_cbranch_execnz .LBB125_172
; %bb.173:
	s_or_b32 exec_lo, exec_lo, s1
.LBB125_174:
	s_delay_alu instid0(SALU_CYCLE_1) | instskip(SKIP_4) | instid1(VALU_DEP_1)
	s_or_b32 exec_lo, exec_lo, s52
	v_mov_b32_e32 v130, 0
	ds_load_b64 v[130:131], v130 offset:352
	s_wait_dscnt 0x0
	v_pk_mul_f32 v[132:133], v[128:129], v[130:131] op_sel:[1,1] op_sel_hi:[0,1]
	v_pk_fma_f32 v[134:135], v[128:129], v[130:131], v[132:133] op_sel_hi:[1,0,1]
	v_pk_fma_f32 v[128:129], v[128:129], v[130:131], v[132:133] neg_lo:[0,0,1] neg_hi:[0,0,1]
	s_delay_alu instid0(VALU_DEP_2)
	v_mov_b32_e32 v129, v135
	scratch_store_b64 off, v[128:129], off offset:352
.LBB125_175:
	s_wait_xcnt 0x0
	s_or_b32 exec_lo, exec_lo, s51
	scratch_load_b64 v[128:129], off, off offset:344
	v_cmp_lt_u32_e64 s1, 43, v0
	s_wait_loadcnt 0x0
	ds_store_b64 v1, v[128:129]
	s_wait_storecnt_dscnt 0x0
	s_barrier_signal -1
	s_barrier_wait -1
	s_wait_xcnt 0x0
	s_and_saveexec_b32 s50, s1
	s_cbranch_execz .LBB125_185
; %bb.176:
	s_and_not1_b32 vcc_lo, exec_lo, s3
	s_cbranch_vccnz .LBB125_178
; %bb.177:
	scratch_load_b64 v[128:129], v59, off
	ds_load_b64 v[130:131], v1
	s_wait_loadcnt_dscnt 0x0
	v_pk_mul_f32 v[132:133], v[130:131], v[128:129] op_sel:[1,1] op_sel_hi:[0,1]
	s_delay_alu instid0(VALU_DEP_1) | instskip(SKIP_1) | instid1(VALU_DEP_2)
	v_pk_fma_f32 v[134:135], v[130:131], v[128:129], v[132:133] op_sel_hi:[1,0,1]
	v_pk_fma_f32 v[128:129], v[130:131], v[128:129], v[132:133] neg_lo:[0,0,1] neg_hi:[0,0,1]
	v_mov_b32_e32 v129, v135
	s_cbranch_execz .LBB125_179
	s_branch .LBB125_180
.LBB125_178:
                                        ; implicit-def: $vgpr128_vgpr129
.LBB125_179:
	ds_load_b64 v[128:129], v1
.LBB125_180:
	s_and_saveexec_b32 s51, s0
	s_cbranch_execz .LBB125_184
; %bb.181:
	v_subrev_nc_u32_e32 v130, 44, v0
	s_movk_i32 s52, 0x350
	s_mov_b32 s0, 0
.LBB125_182:                            ; =>This Inner Loop Header: Depth=1
	scratch_load_b64 v[132:133], off, s49
	v_dual_mov_b32 v131, s52 :: v_dual_add_nc_u32 v130, -1, v130
	s_add_co_i32 s52, s52, 8
	s_wait_xcnt 0x0
	s_add_co_i32 s49, s49, 8
	ds_load_b64 v[134:135], v131
	v_cmp_eq_u32_e32 vcc_lo, 0, v130
	s_or_b32 s0, vcc_lo, s0
	s_wait_loadcnt_dscnt 0x0
	v_pk_mul_f32 v[136:137], v[134:135], v[132:133] op_sel:[1,1] op_sel_hi:[0,1]
	s_delay_alu instid0(VALU_DEP_1) | instskip(SKIP_1) | instid1(VALU_DEP_2)
	v_pk_fma_f32 v[138:139], v[134:135], v[132:133], v[136:137] op_sel_hi:[1,0,1]
	v_pk_fma_f32 v[132:133], v[134:135], v[132:133], v[136:137] neg_lo:[0,0,1] neg_hi:[0,0,1]
	v_mov_b32_e32 v133, v139
	s_delay_alu instid0(VALU_DEP_1)
	v_pk_add_f32 v[128:129], v[128:129], v[132:133]
	s_and_not1_b32 exec_lo, exec_lo, s0
	s_cbranch_execnz .LBB125_182
; %bb.183:
	s_or_b32 exec_lo, exec_lo, s0
.LBB125_184:
	s_delay_alu instid0(SALU_CYCLE_1) | instskip(SKIP_4) | instid1(VALU_DEP_1)
	s_or_b32 exec_lo, exec_lo, s51
	v_mov_b32_e32 v130, 0
	ds_load_b64 v[130:131], v130 offset:344
	s_wait_dscnt 0x0
	v_pk_mul_f32 v[132:133], v[128:129], v[130:131] op_sel:[1,1] op_sel_hi:[0,1]
	v_pk_fma_f32 v[134:135], v[128:129], v[130:131], v[132:133] op_sel_hi:[1,0,1]
	v_pk_fma_f32 v[128:129], v[128:129], v[130:131], v[132:133] neg_lo:[0,0,1] neg_hi:[0,0,1]
	s_delay_alu instid0(VALU_DEP_2)
	v_mov_b32_e32 v129, v135
	scratch_store_b64 off, v[128:129], off offset:344
.LBB125_185:
	s_wait_xcnt 0x0
	s_or_b32 exec_lo, exec_lo, s50
	scratch_load_b64 v[128:129], off, off offset:336
	v_cmp_lt_u32_e64 s0, 42, v0
	s_wait_loadcnt 0x0
	ds_store_b64 v1, v[128:129]
	s_wait_storecnt_dscnt 0x0
	s_barrier_signal -1
	s_barrier_wait -1
	s_wait_xcnt 0x0
	s_and_saveexec_b32 s49, s0
	s_cbranch_execz .LBB125_195
; %bb.186:
	s_and_not1_b32 vcc_lo, exec_lo, s3
	s_cbranch_vccnz .LBB125_188
; %bb.187:
	scratch_load_b64 v[128:129], v59, off
	ds_load_b64 v[130:131], v1
	s_wait_loadcnt_dscnt 0x0
	v_pk_mul_f32 v[132:133], v[130:131], v[128:129] op_sel:[1,1] op_sel_hi:[0,1]
	s_delay_alu instid0(VALU_DEP_1) | instskip(SKIP_1) | instid1(VALU_DEP_2)
	v_pk_fma_f32 v[134:135], v[130:131], v[128:129], v[132:133] op_sel_hi:[1,0,1]
	v_pk_fma_f32 v[128:129], v[130:131], v[128:129], v[132:133] neg_lo:[0,0,1] neg_hi:[0,0,1]
	v_mov_b32_e32 v129, v135
	s_cbranch_execz .LBB125_189
	s_branch .LBB125_190
.LBB125_188:
                                        ; implicit-def: $vgpr128_vgpr129
.LBB125_189:
	ds_load_b64 v[128:129], v1
.LBB125_190:
	s_and_saveexec_b32 s50, s1
	s_cbranch_execz .LBB125_194
; %bb.191:
	v_subrev_nc_u32_e32 v130, 43, v0
	s_movk_i32 s51, 0x348
	s_mov_b32 s1, 0
.LBB125_192:                            ; =>This Inner Loop Header: Depth=1
	scratch_load_b64 v[132:133], off, s48
	v_dual_mov_b32 v131, s51 :: v_dual_add_nc_u32 v130, -1, v130
	s_add_co_i32 s51, s51, 8
	s_wait_xcnt 0x0
	s_add_co_i32 s48, s48, 8
	ds_load_b64 v[134:135], v131
	v_cmp_eq_u32_e32 vcc_lo, 0, v130
	s_or_b32 s1, vcc_lo, s1
	s_wait_loadcnt_dscnt 0x0
	v_pk_mul_f32 v[136:137], v[134:135], v[132:133] op_sel:[1,1] op_sel_hi:[0,1]
	s_delay_alu instid0(VALU_DEP_1) | instskip(SKIP_1) | instid1(VALU_DEP_2)
	v_pk_fma_f32 v[138:139], v[134:135], v[132:133], v[136:137] op_sel_hi:[1,0,1]
	v_pk_fma_f32 v[132:133], v[134:135], v[132:133], v[136:137] neg_lo:[0,0,1] neg_hi:[0,0,1]
	v_mov_b32_e32 v133, v139
	s_delay_alu instid0(VALU_DEP_1)
	v_pk_add_f32 v[128:129], v[128:129], v[132:133]
	s_and_not1_b32 exec_lo, exec_lo, s1
	s_cbranch_execnz .LBB125_192
; %bb.193:
	s_or_b32 exec_lo, exec_lo, s1
.LBB125_194:
	s_delay_alu instid0(SALU_CYCLE_1) | instskip(SKIP_4) | instid1(VALU_DEP_1)
	s_or_b32 exec_lo, exec_lo, s50
	v_mov_b32_e32 v130, 0
	ds_load_b64 v[130:131], v130 offset:336
	s_wait_dscnt 0x0
	v_pk_mul_f32 v[132:133], v[128:129], v[130:131] op_sel:[1,1] op_sel_hi:[0,1]
	v_pk_fma_f32 v[134:135], v[128:129], v[130:131], v[132:133] op_sel_hi:[1,0,1]
	v_pk_fma_f32 v[128:129], v[128:129], v[130:131], v[132:133] neg_lo:[0,0,1] neg_hi:[0,0,1]
	s_delay_alu instid0(VALU_DEP_2)
	v_mov_b32_e32 v129, v135
	scratch_store_b64 off, v[128:129], off offset:336
.LBB125_195:
	s_wait_xcnt 0x0
	s_or_b32 exec_lo, exec_lo, s49
	scratch_load_b64 v[128:129], off, off offset:328
	v_cmp_lt_u32_e64 s1, 41, v0
	s_wait_loadcnt 0x0
	ds_store_b64 v1, v[128:129]
	s_wait_storecnt_dscnt 0x0
	s_barrier_signal -1
	s_barrier_wait -1
	s_wait_xcnt 0x0
	s_and_saveexec_b32 s48, s1
	s_cbranch_execz .LBB125_205
; %bb.196:
	s_and_not1_b32 vcc_lo, exec_lo, s3
	s_cbranch_vccnz .LBB125_198
; %bb.197:
	scratch_load_b64 v[128:129], v59, off
	ds_load_b64 v[130:131], v1
	s_wait_loadcnt_dscnt 0x0
	v_pk_mul_f32 v[132:133], v[130:131], v[128:129] op_sel:[1,1] op_sel_hi:[0,1]
	s_delay_alu instid0(VALU_DEP_1) | instskip(SKIP_1) | instid1(VALU_DEP_2)
	v_pk_fma_f32 v[134:135], v[130:131], v[128:129], v[132:133] op_sel_hi:[1,0,1]
	v_pk_fma_f32 v[128:129], v[130:131], v[128:129], v[132:133] neg_lo:[0,0,1] neg_hi:[0,0,1]
	v_mov_b32_e32 v129, v135
	s_cbranch_execz .LBB125_199
	s_branch .LBB125_200
.LBB125_198:
                                        ; implicit-def: $vgpr128_vgpr129
.LBB125_199:
	ds_load_b64 v[128:129], v1
.LBB125_200:
	s_and_saveexec_b32 s49, s0
	s_cbranch_execz .LBB125_204
; %bb.201:
	v_subrev_nc_u32_e32 v130, 42, v0
	s_movk_i32 s50, 0x340
	s_mov_b32 s0, 0
.LBB125_202:                            ; =>This Inner Loop Header: Depth=1
	scratch_load_b64 v[132:133], off, s47
	v_dual_mov_b32 v131, s50 :: v_dual_add_nc_u32 v130, -1, v130
	s_add_co_i32 s50, s50, 8
	s_wait_xcnt 0x0
	s_add_co_i32 s47, s47, 8
	ds_load_b64 v[134:135], v131
	v_cmp_eq_u32_e32 vcc_lo, 0, v130
	s_or_b32 s0, vcc_lo, s0
	s_wait_loadcnt_dscnt 0x0
	v_pk_mul_f32 v[136:137], v[134:135], v[132:133] op_sel:[1,1] op_sel_hi:[0,1]
	s_delay_alu instid0(VALU_DEP_1) | instskip(SKIP_1) | instid1(VALU_DEP_2)
	v_pk_fma_f32 v[138:139], v[134:135], v[132:133], v[136:137] op_sel_hi:[1,0,1]
	v_pk_fma_f32 v[132:133], v[134:135], v[132:133], v[136:137] neg_lo:[0,0,1] neg_hi:[0,0,1]
	v_mov_b32_e32 v133, v139
	s_delay_alu instid0(VALU_DEP_1)
	v_pk_add_f32 v[128:129], v[128:129], v[132:133]
	s_and_not1_b32 exec_lo, exec_lo, s0
	s_cbranch_execnz .LBB125_202
; %bb.203:
	s_or_b32 exec_lo, exec_lo, s0
.LBB125_204:
	s_delay_alu instid0(SALU_CYCLE_1) | instskip(SKIP_4) | instid1(VALU_DEP_1)
	s_or_b32 exec_lo, exec_lo, s49
	v_mov_b32_e32 v130, 0
	ds_load_b64 v[130:131], v130 offset:328
	s_wait_dscnt 0x0
	v_pk_mul_f32 v[132:133], v[128:129], v[130:131] op_sel:[1,1] op_sel_hi:[0,1]
	v_pk_fma_f32 v[134:135], v[128:129], v[130:131], v[132:133] op_sel_hi:[1,0,1]
	v_pk_fma_f32 v[128:129], v[128:129], v[130:131], v[132:133] neg_lo:[0,0,1] neg_hi:[0,0,1]
	s_delay_alu instid0(VALU_DEP_2)
	v_mov_b32_e32 v129, v135
	scratch_store_b64 off, v[128:129], off offset:328
.LBB125_205:
	s_wait_xcnt 0x0
	s_or_b32 exec_lo, exec_lo, s48
	scratch_load_b64 v[128:129], off, off offset:320
	v_cmp_lt_u32_e64 s0, 40, v0
	s_wait_loadcnt 0x0
	ds_store_b64 v1, v[128:129]
	s_wait_storecnt_dscnt 0x0
	s_barrier_signal -1
	s_barrier_wait -1
	s_wait_xcnt 0x0
	s_and_saveexec_b32 s47, s0
	s_cbranch_execz .LBB125_215
; %bb.206:
	s_and_not1_b32 vcc_lo, exec_lo, s3
	s_cbranch_vccnz .LBB125_208
; %bb.207:
	scratch_load_b64 v[128:129], v59, off
	ds_load_b64 v[130:131], v1
	s_wait_loadcnt_dscnt 0x0
	v_pk_mul_f32 v[132:133], v[130:131], v[128:129] op_sel:[1,1] op_sel_hi:[0,1]
	s_delay_alu instid0(VALU_DEP_1) | instskip(SKIP_1) | instid1(VALU_DEP_2)
	v_pk_fma_f32 v[134:135], v[130:131], v[128:129], v[132:133] op_sel_hi:[1,0,1]
	v_pk_fma_f32 v[128:129], v[130:131], v[128:129], v[132:133] neg_lo:[0,0,1] neg_hi:[0,0,1]
	v_mov_b32_e32 v129, v135
	s_cbranch_execz .LBB125_209
	s_branch .LBB125_210
.LBB125_208:
                                        ; implicit-def: $vgpr128_vgpr129
.LBB125_209:
	ds_load_b64 v[128:129], v1
.LBB125_210:
	s_and_saveexec_b32 s48, s1
	s_cbranch_execz .LBB125_214
; %bb.211:
	v_subrev_nc_u32_e32 v130, 41, v0
	s_movk_i32 s49, 0x338
	s_mov_b32 s1, 0
.LBB125_212:                            ; =>This Inner Loop Header: Depth=1
	scratch_load_b64 v[132:133], off, s46
	v_dual_mov_b32 v131, s49 :: v_dual_add_nc_u32 v130, -1, v130
	s_add_co_i32 s49, s49, 8
	s_wait_xcnt 0x0
	s_add_co_i32 s46, s46, 8
	ds_load_b64 v[134:135], v131
	v_cmp_eq_u32_e32 vcc_lo, 0, v130
	s_or_b32 s1, vcc_lo, s1
	s_wait_loadcnt_dscnt 0x0
	v_pk_mul_f32 v[136:137], v[134:135], v[132:133] op_sel:[1,1] op_sel_hi:[0,1]
	s_delay_alu instid0(VALU_DEP_1) | instskip(SKIP_1) | instid1(VALU_DEP_2)
	v_pk_fma_f32 v[138:139], v[134:135], v[132:133], v[136:137] op_sel_hi:[1,0,1]
	v_pk_fma_f32 v[132:133], v[134:135], v[132:133], v[136:137] neg_lo:[0,0,1] neg_hi:[0,0,1]
	v_mov_b32_e32 v133, v139
	s_delay_alu instid0(VALU_DEP_1)
	v_pk_add_f32 v[128:129], v[128:129], v[132:133]
	s_and_not1_b32 exec_lo, exec_lo, s1
	s_cbranch_execnz .LBB125_212
; %bb.213:
	s_or_b32 exec_lo, exec_lo, s1
.LBB125_214:
	s_delay_alu instid0(SALU_CYCLE_1) | instskip(SKIP_4) | instid1(VALU_DEP_1)
	s_or_b32 exec_lo, exec_lo, s48
	v_mov_b32_e32 v130, 0
	ds_load_b64 v[130:131], v130 offset:320
	s_wait_dscnt 0x0
	v_pk_mul_f32 v[132:133], v[128:129], v[130:131] op_sel:[1,1] op_sel_hi:[0,1]
	v_pk_fma_f32 v[134:135], v[128:129], v[130:131], v[132:133] op_sel_hi:[1,0,1]
	v_pk_fma_f32 v[128:129], v[128:129], v[130:131], v[132:133] neg_lo:[0,0,1] neg_hi:[0,0,1]
	s_delay_alu instid0(VALU_DEP_2)
	v_mov_b32_e32 v129, v135
	scratch_store_b64 off, v[128:129], off offset:320
.LBB125_215:
	s_wait_xcnt 0x0
	s_or_b32 exec_lo, exec_lo, s47
	scratch_load_b64 v[128:129], off, off offset:312
	v_cmp_lt_u32_e64 s1, 39, v0
	s_wait_loadcnt 0x0
	ds_store_b64 v1, v[128:129]
	s_wait_storecnt_dscnt 0x0
	s_barrier_signal -1
	s_barrier_wait -1
	s_wait_xcnt 0x0
	s_and_saveexec_b32 s46, s1
	s_cbranch_execz .LBB125_225
; %bb.216:
	s_and_not1_b32 vcc_lo, exec_lo, s3
	s_cbranch_vccnz .LBB125_218
; %bb.217:
	scratch_load_b64 v[128:129], v59, off
	ds_load_b64 v[130:131], v1
	s_wait_loadcnt_dscnt 0x0
	v_pk_mul_f32 v[132:133], v[130:131], v[128:129] op_sel:[1,1] op_sel_hi:[0,1]
	s_delay_alu instid0(VALU_DEP_1) | instskip(SKIP_1) | instid1(VALU_DEP_2)
	v_pk_fma_f32 v[134:135], v[130:131], v[128:129], v[132:133] op_sel_hi:[1,0,1]
	v_pk_fma_f32 v[128:129], v[130:131], v[128:129], v[132:133] neg_lo:[0,0,1] neg_hi:[0,0,1]
	v_mov_b32_e32 v129, v135
	s_cbranch_execz .LBB125_219
	s_branch .LBB125_220
.LBB125_218:
                                        ; implicit-def: $vgpr128_vgpr129
.LBB125_219:
	ds_load_b64 v[128:129], v1
.LBB125_220:
	s_and_saveexec_b32 s47, s0
	s_cbranch_execz .LBB125_224
; %bb.221:
	v_subrev_nc_u32_e32 v130, 40, v0
	s_movk_i32 s48, 0x330
	s_mov_b32 s0, 0
.LBB125_222:                            ; =>This Inner Loop Header: Depth=1
	scratch_load_b64 v[132:133], off, s45
	v_dual_mov_b32 v131, s48 :: v_dual_add_nc_u32 v130, -1, v130
	s_add_co_i32 s48, s48, 8
	s_wait_xcnt 0x0
	s_add_co_i32 s45, s45, 8
	ds_load_b64 v[134:135], v131
	v_cmp_eq_u32_e32 vcc_lo, 0, v130
	s_or_b32 s0, vcc_lo, s0
	s_wait_loadcnt_dscnt 0x0
	v_pk_mul_f32 v[136:137], v[134:135], v[132:133] op_sel:[1,1] op_sel_hi:[0,1]
	s_delay_alu instid0(VALU_DEP_1) | instskip(SKIP_1) | instid1(VALU_DEP_2)
	v_pk_fma_f32 v[138:139], v[134:135], v[132:133], v[136:137] op_sel_hi:[1,0,1]
	v_pk_fma_f32 v[132:133], v[134:135], v[132:133], v[136:137] neg_lo:[0,0,1] neg_hi:[0,0,1]
	v_mov_b32_e32 v133, v139
	s_delay_alu instid0(VALU_DEP_1)
	v_pk_add_f32 v[128:129], v[128:129], v[132:133]
	s_and_not1_b32 exec_lo, exec_lo, s0
	s_cbranch_execnz .LBB125_222
; %bb.223:
	s_or_b32 exec_lo, exec_lo, s0
.LBB125_224:
	s_delay_alu instid0(SALU_CYCLE_1) | instskip(SKIP_4) | instid1(VALU_DEP_1)
	s_or_b32 exec_lo, exec_lo, s47
	v_mov_b32_e32 v130, 0
	ds_load_b64 v[130:131], v130 offset:312
	s_wait_dscnt 0x0
	v_pk_mul_f32 v[132:133], v[128:129], v[130:131] op_sel:[1,1] op_sel_hi:[0,1]
	v_pk_fma_f32 v[134:135], v[128:129], v[130:131], v[132:133] op_sel_hi:[1,0,1]
	v_pk_fma_f32 v[128:129], v[128:129], v[130:131], v[132:133] neg_lo:[0,0,1] neg_hi:[0,0,1]
	s_delay_alu instid0(VALU_DEP_2)
	v_mov_b32_e32 v129, v135
	scratch_store_b64 off, v[128:129], off offset:312
.LBB125_225:
	s_wait_xcnt 0x0
	s_or_b32 exec_lo, exec_lo, s46
	scratch_load_b64 v[128:129], off, off offset:304
	v_cmp_lt_u32_e64 s0, 38, v0
	s_wait_loadcnt 0x0
	ds_store_b64 v1, v[128:129]
	s_wait_storecnt_dscnt 0x0
	s_barrier_signal -1
	s_barrier_wait -1
	s_wait_xcnt 0x0
	s_and_saveexec_b32 s45, s0
	s_cbranch_execz .LBB125_235
; %bb.226:
	s_and_not1_b32 vcc_lo, exec_lo, s3
	s_cbranch_vccnz .LBB125_228
; %bb.227:
	scratch_load_b64 v[128:129], v59, off
	ds_load_b64 v[130:131], v1
	s_wait_loadcnt_dscnt 0x0
	v_pk_mul_f32 v[132:133], v[130:131], v[128:129] op_sel:[1,1] op_sel_hi:[0,1]
	s_delay_alu instid0(VALU_DEP_1) | instskip(SKIP_1) | instid1(VALU_DEP_2)
	v_pk_fma_f32 v[134:135], v[130:131], v[128:129], v[132:133] op_sel_hi:[1,0,1]
	v_pk_fma_f32 v[128:129], v[130:131], v[128:129], v[132:133] neg_lo:[0,0,1] neg_hi:[0,0,1]
	v_mov_b32_e32 v129, v135
	s_cbranch_execz .LBB125_229
	s_branch .LBB125_230
.LBB125_228:
                                        ; implicit-def: $vgpr128_vgpr129
.LBB125_229:
	ds_load_b64 v[128:129], v1
.LBB125_230:
	s_and_saveexec_b32 s46, s1
	s_cbranch_execz .LBB125_234
; %bb.231:
	v_subrev_nc_u32_e32 v130, 39, v0
	s_movk_i32 s47, 0x328
	s_mov_b32 s1, 0
.LBB125_232:                            ; =>This Inner Loop Header: Depth=1
	scratch_load_b64 v[132:133], off, s44
	v_dual_mov_b32 v131, s47 :: v_dual_add_nc_u32 v130, -1, v130
	s_add_co_i32 s47, s47, 8
	s_wait_xcnt 0x0
	s_add_co_i32 s44, s44, 8
	ds_load_b64 v[134:135], v131
	v_cmp_eq_u32_e32 vcc_lo, 0, v130
	s_or_b32 s1, vcc_lo, s1
	s_wait_loadcnt_dscnt 0x0
	v_pk_mul_f32 v[136:137], v[134:135], v[132:133] op_sel:[1,1] op_sel_hi:[0,1]
	s_delay_alu instid0(VALU_DEP_1) | instskip(SKIP_1) | instid1(VALU_DEP_2)
	v_pk_fma_f32 v[138:139], v[134:135], v[132:133], v[136:137] op_sel_hi:[1,0,1]
	v_pk_fma_f32 v[132:133], v[134:135], v[132:133], v[136:137] neg_lo:[0,0,1] neg_hi:[0,0,1]
	v_mov_b32_e32 v133, v139
	s_delay_alu instid0(VALU_DEP_1)
	v_pk_add_f32 v[128:129], v[128:129], v[132:133]
	s_and_not1_b32 exec_lo, exec_lo, s1
	s_cbranch_execnz .LBB125_232
; %bb.233:
	s_or_b32 exec_lo, exec_lo, s1
.LBB125_234:
	s_delay_alu instid0(SALU_CYCLE_1) | instskip(SKIP_4) | instid1(VALU_DEP_1)
	s_or_b32 exec_lo, exec_lo, s46
	v_mov_b32_e32 v130, 0
	ds_load_b64 v[130:131], v130 offset:304
	s_wait_dscnt 0x0
	v_pk_mul_f32 v[132:133], v[128:129], v[130:131] op_sel:[1,1] op_sel_hi:[0,1]
	v_pk_fma_f32 v[134:135], v[128:129], v[130:131], v[132:133] op_sel_hi:[1,0,1]
	v_pk_fma_f32 v[128:129], v[128:129], v[130:131], v[132:133] neg_lo:[0,0,1] neg_hi:[0,0,1]
	s_delay_alu instid0(VALU_DEP_2)
	v_mov_b32_e32 v129, v135
	scratch_store_b64 off, v[128:129], off offset:304
.LBB125_235:
	s_wait_xcnt 0x0
	s_or_b32 exec_lo, exec_lo, s45
	scratch_load_b64 v[128:129], off, off offset:296
	v_cmp_lt_u32_e64 s1, 37, v0
	s_wait_loadcnt 0x0
	ds_store_b64 v1, v[128:129]
	s_wait_storecnt_dscnt 0x0
	s_barrier_signal -1
	s_barrier_wait -1
	s_wait_xcnt 0x0
	s_and_saveexec_b32 s44, s1
	s_cbranch_execz .LBB125_245
; %bb.236:
	s_and_not1_b32 vcc_lo, exec_lo, s3
	s_cbranch_vccnz .LBB125_238
; %bb.237:
	scratch_load_b64 v[128:129], v59, off
	ds_load_b64 v[130:131], v1
	s_wait_loadcnt_dscnt 0x0
	v_pk_mul_f32 v[132:133], v[130:131], v[128:129] op_sel:[1,1] op_sel_hi:[0,1]
	s_delay_alu instid0(VALU_DEP_1) | instskip(SKIP_1) | instid1(VALU_DEP_2)
	v_pk_fma_f32 v[134:135], v[130:131], v[128:129], v[132:133] op_sel_hi:[1,0,1]
	v_pk_fma_f32 v[128:129], v[130:131], v[128:129], v[132:133] neg_lo:[0,0,1] neg_hi:[0,0,1]
	v_mov_b32_e32 v129, v135
	s_cbranch_execz .LBB125_239
	s_branch .LBB125_240
.LBB125_238:
                                        ; implicit-def: $vgpr128_vgpr129
.LBB125_239:
	ds_load_b64 v[128:129], v1
.LBB125_240:
	s_and_saveexec_b32 s45, s0
	s_cbranch_execz .LBB125_244
; %bb.241:
	v_subrev_nc_u32_e32 v130, 38, v0
	s_movk_i32 s46, 0x320
	s_mov_b32 s0, 0
.LBB125_242:                            ; =>This Inner Loop Header: Depth=1
	scratch_load_b64 v[132:133], off, s43
	v_dual_mov_b32 v131, s46 :: v_dual_add_nc_u32 v130, -1, v130
	s_add_co_i32 s46, s46, 8
	s_wait_xcnt 0x0
	s_add_co_i32 s43, s43, 8
	ds_load_b64 v[134:135], v131
	v_cmp_eq_u32_e32 vcc_lo, 0, v130
	s_or_b32 s0, vcc_lo, s0
	s_wait_loadcnt_dscnt 0x0
	v_pk_mul_f32 v[136:137], v[134:135], v[132:133] op_sel:[1,1] op_sel_hi:[0,1]
	s_delay_alu instid0(VALU_DEP_1) | instskip(SKIP_1) | instid1(VALU_DEP_2)
	v_pk_fma_f32 v[138:139], v[134:135], v[132:133], v[136:137] op_sel_hi:[1,0,1]
	v_pk_fma_f32 v[132:133], v[134:135], v[132:133], v[136:137] neg_lo:[0,0,1] neg_hi:[0,0,1]
	v_mov_b32_e32 v133, v139
	s_delay_alu instid0(VALU_DEP_1)
	v_pk_add_f32 v[128:129], v[128:129], v[132:133]
	s_and_not1_b32 exec_lo, exec_lo, s0
	s_cbranch_execnz .LBB125_242
; %bb.243:
	s_or_b32 exec_lo, exec_lo, s0
.LBB125_244:
	s_delay_alu instid0(SALU_CYCLE_1) | instskip(SKIP_4) | instid1(VALU_DEP_1)
	s_or_b32 exec_lo, exec_lo, s45
	v_mov_b32_e32 v130, 0
	ds_load_b64 v[130:131], v130 offset:296
	s_wait_dscnt 0x0
	v_pk_mul_f32 v[132:133], v[128:129], v[130:131] op_sel:[1,1] op_sel_hi:[0,1]
	v_pk_fma_f32 v[134:135], v[128:129], v[130:131], v[132:133] op_sel_hi:[1,0,1]
	v_pk_fma_f32 v[128:129], v[128:129], v[130:131], v[132:133] neg_lo:[0,0,1] neg_hi:[0,0,1]
	s_delay_alu instid0(VALU_DEP_2)
	v_mov_b32_e32 v129, v135
	scratch_store_b64 off, v[128:129], off offset:296
.LBB125_245:
	s_wait_xcnt 0x0
	s_or_b32 exec_lo, exec_lo, s44
	scratch_load_b64 v[128:129], off, off offset:288
	v_cmp_lt_u32_e64 s0, 36, v0
	s_wait_loadcnt 0x0
	ds_store_b64 v1, v[128:129]
	s_wait_storecnt_dscnt 0x0
	s_barrier_signal -1
	s_barrier_wait -1
	s_wait_xcnt 0x0
	s_and_saveexec_b32 s43, s0
	s_cbranch_execz .LBB125_255
; %bb.246:
	s_and_not1_b32 vcc_lo, exec_lo, s3
	s_cbranch_vccnz .LBB125_248
; %bb.247:
	scratch_load_b64 v[128:129], v59, off
	ds_load_b64 v[130:131], v1
	s_wait_loadcnt_dscnt 0x0
	v_pk_mul_f32 v[132:133], v[130:131], v[128:129] op_sel:[1,1] op_sel_hi:[0,1]
	s_delay_alu instid0(VALU_DEP_1) | instskip(SKIP_1) | instid1(VALU_DEP_2)
	v_pk_fma_f32 v[134:135], v[130:131], v[128:129], v[132:133] op_sel_hi:[1,0,1]
	v_pk_fma_f32 v[128:129], v[130:131], v[128:129], v[132:133] neg_lo:[0,0,1] neg_hi:[0,0,1]
	v_mov_b32_e32 v129, v135
	s_cbranch_execz .LBB125_249
	s_branch .LBB125_250
.LBB125_248:
                                        ; implicit-def: $vgpr128_vgpr129
.LBB125_249:
	ds_load_b64 v[128:129], v1
.LBB125_250:
	s_and_saveexec_b32 s44, s1
	s_cbranch_execz .LBB125_254
; %bb.251:
	v_subrev_nc_u32_e32 v130, 37, v0
	s_movk_i32 s45, 0x318
	s_mov_b32 s1, 0
.LBB125_252:                            ; =>This Inner Loop Header: Depth=1
	scratch_load_b64 v[132:133], off, s42
	v_dual_mov_b32 v131, s45 :: v_dual_add_nc_u32 v130, -1, v130
	s_add_co_i32 s45, s45, 8
	s_wait_xcnt 0x0
	s_add_co_i32 s42, s42, 8
	ds_load_b64 v[134:135], v131
	v_cmp_eq_u32_e32 vcc_lo, 0, v130
	s_or_b32 s1, vcc_lo, s1
	s_wait_loadcnt_dscnt 0x0
	v_pk_mul_f32 v[136:137], v[134:135], v[132:133] op_sel:[1,1] op_sel_hi:[0,1]
	s_delay_alu instid0(VALU_DEP_1) | instskip(SKIP_1) | instid1(VALU_DEP_2)
	v_pk_fma_f32 v[138:139], v[134:135], v[132:133], v[136:137] op_sel_hi:[1,0,1]
	v_pk_fma_f32 v[132:133], v[134:135], v[132:133], v[136:137] neg_lo:[0,0,1] neg_hi:[0,0,1]
	v_mov_b32_e32 v133, v139
	s_delay_alu instid0(VALU_DEP_1)
	v_pk_add_f32 v[128:129], v[128:129], v[132:133]
	s_and_not1_b32 exec_lo, exec_lo, s1
	s_cbranch_execnz .LBB125_252
; %bb.253:
	s_or_b32 exec_lo, exec_lo, s1
.LBB125_254:
	s_delay_alu instid0(SALU_CYCLE_1) | instskip(SKIP_4) | instid1(VALU_DEP_1)
	s_or_b32 exec_lo, exec_lo, s44
	v_mov_b32_e32 v130, 0
	ds_load_b64 v[130:131], v130 offset:288
	s_wait_dscnt 0x0
	v_pk_mul_f32 v[132:133], v[128:129], v[130:131] op_sel:[1,1] op_sel_hi:[0,1]
	v_pk_fma_f32 v[134:135], v[128:129], v[130:131], v[132:133] op_sel_hi:[1,0,1]
	v_pk_fma_f32 v[128:129], v[128:129], v[130:131], v[132:133] neg_lo:[0,0,1] neg_hi:[0,0,1]
	s_delay_alu instid0(VALU_DEP_2)
	v_mov_b32_e32 v129, v135
	scratch_store_b64 off, v[128:129], off offset:288
.LBB125_255:
	s_wait_xcnt 0x0
	s_or_b32 exec_lo, exec_lo, s43
	scratch_load_b64 v[128:129], off, off offset:280
	v_cmp_lt_u32_e64 s1, 35, v0
	s_wait_loadcnt 0x0
	ds_store_b64 v1, v[128:129]
	s_wait_storecnt_dscnt 0x0
	s_barrier_signal -1
	s_barrier_wait -1
	s_wait_xcnt 0x0
	s_and_saveexec_b32 s42, s1
	s_cbranch_execz .LBB125_265
; %bb.256:
	s_and_not1_b32 vcc_lo, exec_lo, s3
	s_cbranch_vccnz .LBB125_258
; %bb.257:
	scratch_load_b64 v[128:129], v59, off
	ds_load_b64 v[130:131], v1
	s_wait_loadcnt_dscnt 0x0
	v_pk_mul_f32 v[132:133], v[130:131], v[128:129] op_sel:[1,1] op_sel_hi:[0,1]
	s_delay_alu instid0(VALU_DEP_1) | instskip(SKIP_1) | instid1(VALU_DEP_2)
	v_pk_fma_f32 v[134:135], v[130:131], v[128:129], v[132:133] op_sel_hi:[1,0,1]
	v_pk_fma_f32 v[128:129], v[130:131], v[128:129], v[132:133] neg_lo:[0,0,1] neg_hi:[0,0,1]
	v_mov_b32_e32 v129, v135
	s_cbranch_execz .LBB125_259
	s_branch .LBB125_260
.LBB125_258:
                                        ; implicit-def: $vgpr128_vgpr129
.LBB125_259:
	ds_load_b64 v[128:129], v1
.LBB125_260:
	s_and_saveexec_b32 s43, s0
	s_cbranch_execz .LBB125_264
; %bb.261:
	v_subrev_nc_u32_e32 v130, 36, v0
	s_movk_i32 s44, 0x310
	s_mov_b32 s0, 0
.LBB125_262:                            ; =>This Inner Loop Header: Depth=1
	scratch_load_b64 v[132:133], off, s41
	v_dual_mov_b32 v131, s44 :: v_dual_add_nc_u32 v130, -1, v130
	s_add_co_i32 s44, s44, 8
	s_wait_xcnt 0x0
	s_add_co_i32 s41, s41, 8
	ds_load_b64 v[134:135], v131
	v_cmp_eq_u32_e32 vcc_lo, 0, v130
	s_or_b32 s0, vcc_lo, s0
	s_wait_loadcnt_dscnt 0x0
	v_pk_mul_f32 v[136:137], v[134:135], v[132:133] op_sel:[1,1] op_sel_hi:[0,1]
	s_delay_alu instid0(VALU_DEP_1) | instskip(SKIP_1) | instid1(VALU_DEP_2)
	v_pk_fma_f32 v[138:139], v[134:135], v[132:133], v[136:137] op_sel_hi:[1,0,1]
	v_pk_fma_f32 v[132:133], v[134:135], v[132:133], v[136:137] neg_lo:[0,0,1] neg_hi:[0,0,1]
	v_mov_b32_e32 v133, v139
	s_delay_alu instid0(VALU_DEP_1)
	v_pk_add_f32 v[128:129], v[128:129], v[132:133]
	s_and_not1_b32 exec_lo, exec_lo, s0
	s_cbranch_execnz .LBB125_262
; %bb.263:
	s_or_b32 exec_lo, exec_lo, s0
.LBB125_264:
	s_delay_alu instid0(SALU_CYCLE_1) | instskip(SKIP_4) | instid1(VALU_DEP_1)
	s_or_b32 exec_lo, exec_lo, s43
	v_mov_b32_e32 v130, 0
	ds_load_b64 v[130:131], v130 offset:280
	s_wait_dscnt 0x0
	v_pk_mul_f32 v[132:133], v[128:129], v[130:131] op_sel:[1,1] op_sel_hi:[0,1]
	v_pk_fma_f32 v[134:135], v[128:129], v[130:131], v[132:133] op_sel_hi:[1,0,1]
	v_pk_fma_f32 v[128:129], v[128:129], v[130:131], v[132:133] neg_lo:[0,0,1] neg_hi:[0,0,1]
	s_delay_alu instid0(VALU_DEP_2)
	v_mov_b32_e32 v129, v135
	scratch_store_b64 off, v[128:129], off offset:280
.LBB125_265:
	s_wait_xcnt 0x0
	s_or_b32 exec_lo, exec_lo, s42
	scratch_load_b64 v[128:129], off, off offset:272
	v_cmp_lt_u32_e64 s0, 34, v0
	s_wait_loadcnt 0x0
	ds_store_b64 v1, v[128:129]
	s_wait_storecnt_dscnt 0x0
	s_barrier_signal -1
	s_barrier_wait -1
	s_wait_xcnt 0x0
	s_and_saveexec_b32 s41, s0
	s_cbranch_execz .LBB125_275
; %bb.266:
	s_and_not1_b32 vcc_lo, exec_lo, s3
	s_cbranch_vccnz .LBB125_268
; %bb.267:
	scratch_load_b64 v[128:129], v59, off
	ds_load_b64 v[130:131], v1
	s_wait_loadcnt_dscnt 0x0
	v_pk_mul_f32 v[132:133], v[130:131], v[128:129] op_sel:[1,1] op_sel_hi:[0,1]
	s_delay_alu instid0(VALU_DEP_1) | instskip(SKIP_1) | instid1(VALU_DEP_2)
	v_pk_fma_f32 v[134:135], v[130:131], v[128:129], v[132:133] op_sel_hi:[1,0,1]
	v_pk_fma_f32 v[128:129], v[130:131], v[128:129], v[132:133] neg_lo:[0,0,1] neg_hi:[0,0,1]
	v_mov_b32_e32 v129, v135
	s_cbranch_execz .LBB125_269
	s_branch .LBB125_270
.LBB125_268:
                                        ; implicit-def: $vgpr128_vgpr129
.LBB125_269:
	ds_load_b64 v[128:129], v1
.LBB125_270:
	s_and_saveexec_b32 s42, s1
	s_cbranch_execz .LBB125_274
; %bb.271:
	v_subrev_nc_u32_e32 v130, 35, v0
	s_movk_i32 s43, 0x308
	s_mov_b32 s1, 0
.LBB125_272:                            ; =>This Inner Loop Header: Depth=1
	scratch_load_b64 v[132:133], off, s40
	v_dual_mov_b32 v131, s43 :: v_dual_add_nc_u32 v130, -1, v130
	s_add_co_i32 s43, s43, 8
	s_wait_xcnt 0x0
	s_add_co_i32 s40, s40, 8
	ds_load_b64 v[134:135], v131
	v_cmp_eq_u32_e32 vcc_lo, 0, v130
	s_or_b32 s1, vcc_lo, s1
	s_wait_loadcnt_dscnt 0x0
	v_pk_mul_f32 v[136:137], v[134:135], v[132:133] op_sel:[1,1] op_sel_hi:[0,1]
	s_delay_alu instid0(VALU_DEP_1) | instskip(SKIP_1) | instid1(VALU_DEP_2)
	v_pk_fma_f32 v[138:139], v[134:135], v[132:133], v[136:137] op_sel_hi:[1,0,1]
	v_pk_fma_f32 v[132:133], v[134:135], v[132:133], v[136:137] neg_lo:[0,0,1] neg_hi:[0,0,1]
	v_mov_b32_e32 v133, v139
	s_delay_alu instid0(VALU_DEP_1)
	v_pk_add_f32 v[128:129], v[128:129], v[132:133]
	s_and_not1_b32 exec_lo, exec_lo, s1
	s_cbranch_execnz .LBB125_272
; %bb.273:
	s_or_b32 exec_lo, exec_lo, s1
.LBB125_274:
	s_delay_alu instid0(SALU_CYCLE_1) | instskip(SKIP_4) | instid1(VALU_DEP_1)
	s_or_b32 exec_lo, exec_lo, s42
	v_mov_b32_e32 v130, 0
	ds_load_b64 v[130:131], v130 offset:272
	s_wait_dscnt 0x0
	v_pk_mul_f32 v[132:133], v[128:129], v[130:131] op_sel:[1,1] op_sel_hi:[0,1]
	v_pk_fma_f32 v[134:135], v[128:129], v[130:131], v[132:133] op_sel_hi:[1,0,1]
	v_pk_fma_f32 v[128:129], v[128:129], v[130:131], v[132:133] neg_lo:[0,0,1] neg_hi:[0,0,1]
	s_delay_alu instid0(VALU_DEP_2)
	v_mov_b32_e32 v129, v135
	scratch_store_b64 off, v[128:129], off offset:272
.LBB125_275:
	s_wait_xcnt 0x0
	s_or_b32 exec_lo, exec_lo, s41
	scratch_load_b64 v[128:129], off, off offset:264
	v_cmp_lt_u32_e64 s1, 33, v0
	s_wait_loadcnt 0x0
	ds_store_b64 v1, v[128:129]
	s_wait_storecnt_dscnt 0x0
	s_barrier_signal -1
	s_barrier_wait -1
	s_wait_xcnt 0x0
	s_and_saveexec_b32 s40, s1
	s_cbranch_execz .LBB125_285
; %bb.276:
	s_and_not1_b32 vcc_lo, exec_lo, s3
	s_cbranch_vccnz .LBB125_278
; %bb.277:
	scratch_load_b64 v[128:129], v59, off
	ds_load_b64 v[130:131], v1
	s_wait_loadcnt_dscnt 0x0
	v_pk_mul_f32 v[132:133], v[130:131], v[128:129] op_sel:[1,1] op_sel_hi:[0,1]
	s_delay_alu instid0(VALU_DEP_1) | instskip(SKIP_1) | instid1(VALU_DEP_2)
	v_pk_fma_f32 v[134:135], v[130:131], v[128:129], v[132:133] op_sel_hi:[1,0,1]
	v_pk_fma_f32 v[128:129], v[130:131], v[128:129], v[132:133] neg_lo:[0,0,1] neg_hi:[0,0,1]
	v_mov_b32_e32 v129, v135
	s_cbranch_execz .LBB125_279
	s_branch .LBB125_280
.LBB125_278:
                                        ; implicit-def: $vgpr128_vgpr129
.LBB125_279:
	ds_load_b64 v[128:129], v1
.LBB125_280:
	s_and_saveexec_b32 s41, s0
	s_cbranch_execz .LBB125_284
; %bb.281:
	v_subrev_nc_u32_e32 v130, 34, v0
	s_movk_i32 s42, 0x300
	s_mov_b32 s0, 0
.LBB125_282:                            ; =>This Inner Loop Header: Depth=1
	scratch_load_b64 v[132:133], off, s39
	v_dual_mov_b32 v131, s42 :: v_dual_add_nc_u32 v130, -1, v130
	s_add_co_i32 s42, s42, 8
	s_wait_xcnt 0x0
	s_add_co_i32 s39, s39, 8
	ds_load_b64 v[134:135], v131
	v_cmp_eq_u32_e32 vcc_lo, 0, v130
	s_or_b32 s0, vcc_lo, s0
	s_wait_loadcnt_dscnt 0x0
	v_pk_mul_f32 v[136:137], v[134:135], v[132:133] op_sel:[1,1] op_sel_hi:[0,1]
	s_delay_alu instid0(VALU_DEP_1) | instskip(SKIP_1) | instid1(VALU_DEP_2)
	v_pk_fma_f32 v[138:139], v[134:135], v[132:133], v[136:137] op_sel_hi:[1,0,1]
	v_pk_fma_f32 v[132:133], v[134:135], v[132:133], v[136:137] neg_lo:[0,0,1] neg_hi:[0,0,1]
	v_mov_b32_e32 v133, v139
	s_delay_alu instid0(VALU_DEP_1)
	v_pk_add_f32 v[128:129], v[128:129], v[132:133]
	s_and_not1_b32 exec_lo, exec_lo, s0
	s_cbranch_execnz .LBB125_282
; %bb.283:
	s_or_b32 exec_lo, exec_lo, s0
.LBB125_284:
	s_delay_alu instid0(SALU_CYCLE_1) | instskip(SKIP_4) | instid1(VALU_DEP_1)
	s_or_b32 exec_lo, exec_lo, s41
	v_mov_b32_e32 v130, 0
	ds_load_b64 v[130:131], v130 offset:264
	s_wait_dscnt 0x0
	v_pk_mul_f32 v[132:133], v[128:129], v[130:131] op_sel:[1,1] op_sel_hi:[0,1]
	v_pk_fma_f32 v[134:135], v[128:129], v[130:131], v[132:133] op_sel_hi:[1,0,1]
	v_pk_fma_f32 v[128:129], v[128:129], v[130:131], v[132:133] neg_lo:[0,0,1] neg_hi:[0,0,1]
	s_delay_alu instid0(VALU_DEP_2)
	v_mov_b32_e32 v129, v135
	scratch_store_b64 off, v[128:129], off offset:264
.LBB125_285:
	s_wait_xcnt 0x0
	s_or_b32 exec_lo, exec_lo, s40
	scratch_load_b64 v[128:129], off, off offset:256
	v_cmp_lt_u32_e64 s0, 32, v0
	s_wait_loadcnt 0x0
	ds_store_b64 v1, v[128:129]
	s_wait_storecnt_dscnt 0x0
	s_barrier_signal -1
	s_barrier_wait -1
	s_wait_xcnt 0x0
	s_and_saveexec_b32 s39, s0
	s_cbranch_execz .LBB125_295
; %bb.286:
	s_and_not1_b32 vcc_lo, exec_lo, s3
	s_cbranch_vccnz .LBB125_288
; %bb.287:
	scratch_load_b64 v[128:129], v59, off
	ds_load_b64 v[130:131], v1
	s_wait_loadcnt_dscnt 0x0
	v_pk_mul_f32 v[132:133], v[130:131], v[128:129] op_sel:[1,1] op_sel_hi:[0,1]
	s_delay_alu instid0(VALU_DEP_1) | instskip(SKIP_1) | instid1(VALU_DEP_2)
	v_pk_fma_f32 v[134:135], v[130:131], v[128:129], v[132:133] op_sel_hi:[1,0,1]
	v_pk_fma_f32 v[128:129], v[130:131], v[128:129], v[132:133] neg_lo:[0,0,1] neg_hi:[0,0,1]
	v_mov_b32_e32 v129, v135
	s_cbranch_execz .LBB125_289
	s_branch .LBB125_290
.LBB125_288:
                                        ; implicit-def: $vgpr128_vgpr129
.LBB125_289:
	ds_load_b64 v[128:129], v1
.LBB125_290:
	s_and_saveexec_b32 s40, s1
	s_cbranch_execz .LBB125_294
; %bb.291:
	v_subrev_nc_u32_e32 v130, 33, v0
	s_movk_i32 s41, 0x2f8
	s_mov_b32 s1, 0
.LBB125_292:                            ; =>This Inner Loop Header: Depth=1
	scratch_load_b64 v[132:133], off, s38
	v_dual_mov_b32 v131, s41 :: v_dual_add_nc_u32 v130, -1, v130
	s_add_co_i32 s41, s41, 8
	s_wait_xcnt 0x0
	s_add_co_i32 s38, s38, 8
	ds_load_b64 v[134:135], v131
	v_cmp_eq_u32_e32 vcc_lo, 0, v130
	s_or_b32 s1, vcc_lo, s1
	s_wait_loadcnt_dscnt 0x0
	v_pk_mul_f32 v[136:137], v[134:135], v[132:133] op_sel:[1,1] op_sel_hi:[0,1]
	s_delay_alu instid0(VALU_DEP_1) | instskip(SKIP_1) | instid1(VALU_DEP_2)
	v_pk_fma_f32 v[138:139], v[134:135], v[132:133], v[136:137] op_sel_hi:[1,0,1]
	v_pk_fma_f32 v[132:133], v[134:135], v[132:133], v[136:137] neg_lo:[0,0,1] neg_hi:[0,0,1]
	v_mov_b32_e32 v133, v139
	s_delay_alu instid0(VALU_DEP_1)
	v_pk_add_f32 v[128:129], v[128:129], v[132:133]
	s_and_not1_b32 exec_lo, exec_lo, s1
	s_cbranch_execnz .LBB125_292
; %bb.293:
	s_or_b32 exec_lo, exec_lo, s1
.LBB125_294:
	s_delay_alu instid0(SALU_CYCLE_1) | instskip(SKIP_4) | instid1(VALU_DEP_1)
	s_or_b32 exec_lo, exec_lo, s40
	v_mov_b32_e32 v130, 0
	ds_load_b64 v[130:131], v130 offset:256
	s_wait_dscnt 0x0
	v_pk_mul_f32 v[132:133], v[128:129], v[130:131] op_sel:[1,1] op_sel_hi:[0,1]
	v_pk_fma_f32 v[134:135], v[128:129], v[130:131], v[132:133] op_sel_hi:[1,0,1]
	v_pk_fma_f32 v[128:129], v[128:129], v[130:131], v[132:133] neg_lo:[0,0,1] neg_hi:[0,0,1]
	s_delay_alu instid0(VALU_DEP_2)
	v_mov_b32_e32 v129, v135
	scratch_store_b64 off, v[128:129], off offset:256
.LBB125_295:
	s_wait_xcnt 0x0
	s_or_b32 exec_lo, exec_lo, s39
	scratch_load_b64 v[128:129], off, off offset:248
	v_cmp_lt_u32_e64 s1, 31, v0
	s_wait_loadcnt 0x0
	ds_store_b64 v1, v[128:129]
	s_wait_storecnt_dscnt 0x0
	s_barrier_signal -1
	s_barrier_wait -1
	s_wait_xcnt 0x0
	s_and_saveexec_b32 s38, s1
	s_cbranch_execz .LBB125_305
; %bb.296:
	s_and_not1_b32 vcc_lo, exec_lo, s3
	s_cbranch_vccnz .LBB125_298
; %bb.297:
	scratch_load_b64 v[128:129], v59, off
	ds_load_b64 v[130:131], v1
	s_wait_loadcnt_dscnt 0x0
	v_pk_mul_f32 v[132:133], v[130:131], v[128:129] op_sel:[1,1] op_sel_hi:[0,1]
	s_delay_alu instid0(VALU_DEP_1) | instskip(SKIP_1) | instid1(VALU_DEP_2)
	v_pk_fma_f32 v[134:135], v[130:131], v[128:129], v[132:133] op_sel_hi:[1,0,1]
	v_pk_fma_f32 v[128:129], v[130:131], v[128:129], v[132:133] neg_lo:[0,0,1] neg_hi:[0,0,1]
	v_mov_b32_e32 v129, v135
	s_cbranch_execz .LBB125_299
	s_branch .LBB125_300
.LBB125_298:
                                        ; implicit-def: $vgpr128_vgpr129
.LBB125_299:
	ds_load_b64 v[128:129], v1
.LBB125_300:
	s_and_saveexec_b32 s39, s0
	s_cbranch_execz .LBB125_304
; %bb.301:
	v_subrev_nc_u32_e32 v130, 32, v0
	s_movk_i32 s40, 0x2f0
	s_mov_b32 s0, 0
.LBB125_302:                            ; =>This Inner Loop Header: Depth=1
	scratch_load_b64 v[132:133], off, s37
	v_dual_mov_b32 v131, s40 :: v_dual_add_nc_u32 v130, -1, v130
	s_add_co_i32 s40, s40, 8
	s_wait_xcnt 0x0
	s_add_co_i32 s37, s37, 8
	ds_load_b64 v[134:135], v131
	v_cmp_eq_u32_e32 vcc_lo, 0, v130
	s_or_b32 s0, vcc_lo, s0
	s_wait_loadcnt_dscnt 0x0
	v_pk_mul_f32 v[136:137], v[134:135], v[132:133] op_sel:[1,1] op_sel_hi:[0,1]
	s_delay_alu instid0(VALU_DEP_1) | instskip(SKIP_1) | instid1(VALU_DEP_2)
	v_pk_fma_f32 v[138:139], v[134:135], v[132:133], v[136:137] op_sel_hi:[1,0,1]
	v_pk_fma_f32 v[132:133], v[134:135], v[132:133], v[136:137] neg_lo:[0,0,1] neg_hi:[0,0,1]
	v_mov_b32_e32 v133, v139
	s_delay_alu instid0(VALU_DEP_1)
	v_pk_add_f32 v[128:129], v[128:129], v[132:133]
	s_and_not1_b32 exec_lo, exec_lo, s0
	s_cbranch_execnz .LBB125_302
; %bb.303:
	s_or_b32 exec_lo, exec_lo, s0
.LBB125_304:
	s_delay_alu instid0(SALU_CYCLE_1) | instskip(SKIP_4) | instid1(VALU_DEP_1)
	s_or_b32 exec_lo, exec_lo, s39
	v_mov_b32_e32 v130, 0
	ds_load_b64 v[130:131], v130 offset:248
	s_wait_dscnt 0x0
	v_pk_mul_f32 v[132:133], v[128:129], v[130:131] op_sel:[1,1] op_sel_hi:[0,1]
	v_pk_fma_f32 v[134:135], v[128:129], v[130:131], v[132:133] op_sel_hi:[1,0,1]
	v_pk_fma_f32 v[128:129], v[128:129], v[130:131], v[132:133] neg_lo:[0,0,1] neg_hi:[0,0,1]
	s_delay_alu instid0(VALU_DEP_2)
	v_mov_b32_e32 v129, v135
	scratch_store_b64 off, v[128:129], off offset:248
.LBB125_305:
	s_wait_xcnt 0x0
	s_or_b32 exec_lo, exec_lo, s38
	scratch_load_b64 v[128:129], off, off offset:240
	v_cmp_lt_u32_e64 s0, 30, v0
	s_wait_loadcnt 0x0
	ds_store_b64 v1, v[128:129]
	s_wait_storecnt_dscnt 0x0
	s_barrier_signal -1
	s_barrier_wait -1
	s_wait_xcnt 0x0
	s_and_saveexec_b32 s37, s0
	s_cbranch_execz .LBB125_315
; %bb.306:
	s_and_not1_b32 vcc_lo, exec_lo, s3
	s_cbranch_vccnz .LBB125_308
; %bb.307:
	scratch_load_b64 v[128:129], v59, off
	ds_load_b64 v[130:131], v1
	s_wait_loadcnt_dscnt 0x0
	v_pk_mul_f32 v[132:133], v[130:131], v[128:129] op_sel:[1,1] op_sel_hi:[0,1]
	s_delay_alu instid0(VALU_DEP_1) | instskip(SKIP_1) | instid1(VALU_DEP_2)
	v_pk_fma_f32 v[134:135], v[130:131], v[128:129], v[132:133] op_sel_hi:[1,0,1]
	v_pk_fma_f32 v[128:129], v[130:131], v[128:129], v[132:133] neg_lo:[0,0,1] neg_hi:[0,0,1]
	v_mov_b32_e32 v129, v135
	s_cbranch_execz .LBB125_309
	s_branch .LBB125_310
.LBB125_308:
                                        ; implicit-def: $vgpr128_vgpr129
.LBB125_309:
	ds_load_b64 v[128:129], v1
.LBB125_310:
	s_and_saveexec_b32 s38, s1
	s_cbranch_execz .LBB125_314
; %bb.311:
	v_subrev_nc_u32_e32 v130, 31, v0
	s_movk_i32 s39, 0x2e8
	s_mov_b32 s1, 0
.LBB125_312:                            ; =>This Inner Loop Header: Depth=1
	scratch_load_b64 v[132:133], off, s36
	v_dual_mov_b32 v131, s39 :: v_dual_add_nc_u32 v130, -1, v130
	s_add_co_i32 s39, s39, 8
	s_wait_xcnt 0x0
	s_add_co_i32 s36, s36, 8
	ds_load_b64 v[134:135], v131
	v_cmp_eq_u32_e32 vcc_lo, 0, v130
	s_or_b32 s1, vcc_lo, s1
	s_wait_loadcnt_dscnt 0x0
	v_pk_mul_f32 v[136:137], v[134:135], v[132:133] op_sel:[1,1] op_sel_hi:[0,1]
	s_delay_alu instid0(VALU_DEP_1) | instskip(SKIP_1) | instid1(VALU_DEP_2)
	v_pk_fma_f32 v[138:139], v[134:135], v[132:133], v[136:137] op_sel_hi:[1,0,1]
	v_pk_fma_f32 v[132:133], v[134:135], v[132:133], v[136:137] neg_lo:[0,0,1] neg_hi:[0,0,1]
	v_mov_b32_e32 v133, v139
	s_delay_alu instid0(VALU_DEP_1)
	v_pk_add_f32 v[128:129], v[128:129], v[132:133]
	s_and_not1_b32 exec_lo, exec_lo, s1
	s_cbranch_execnz .LBB125_312
; %bb.313:
	s_or_b32 exec_lo, exec_lo, s1
.LBB125_314:
	s_delay_alu instid0(SALU_CYCLE_1) | instskip(SKIP_4) | instid1(VALU_DEP_1)
	s_or_b32 exec_lo, exec_lo, s38
	v_mov_b32_e32 v130, 0
	ds_load_b64 v[130:131], v130 offset:240
	s_wait_dscnt 0x0
	v_pk_mul_f32 v[132:133], v[128:129], v[130:131] op_sel:[1,1] op_sel_hi:[0,1]
	v_pk_fma_f32 v[134:135], v[128:129], v[130:131], v[132:133] op_sel_hi:[1,0,1]
	v_pk_fma_f32 v[128:129], v[128:129], v[130:131], v[132:133] neg_lo:[0,0,1] neg_hi:[0,0,1]
	s_delay_alu instid0(VALU_DEP_2)
	v_mov_b32_e32 v129, v135
	scratch_store_b64 off, v[128:129], off offset:240
.LBB125_315:
	s_wait_xcnt 0x0
	s_or_b32 exec_lo, exec_lo, s37
	scratch_load_b64 v[128:129], off, off offset:232
	v_cmp_lt_u32_e64 s1, 29, v0
	s_wait_loadcnt 0x0
	ds_store_b64 v1, v[128:129]
	s_wait_storecnt_dscnt 0x0
	s_barrier_signal -1
	s_barrier_wait -1
	s_wait_xcnt 0x0
	s_and_saveexec_b32 s36, s1
	s_cbranch_execz .LBB125_325
; %bb.316:
	s_and_not1_b32 vcc_lo, exec_lo, s3
	s_cbranch_vccnz .LBB125_318
; %bb.317:
	scratch_load_b64 v[128:129], v59, off
	ds_load_b64 v[130:131], v1
	s_wait_loadcnt_dscnt 0x0
	v_pk_mul_f32 v[132:133], v[130:131], v[128:129] op_sel:[1,1] op_sel_hi:[0,1]
	s_delay_alu instid0(VALU_DEP_1) | instskip(SKIP_1) | instid1(VALU_DEP_2)
	v_pk_fma_f32 v[134:135], v[130:131], v[128:129], v[132:133] op_sel_hi:[1,0,1]
	v_pk_fma_f32 v[128:129], v[130:131], v[128:129], v[132:133] neg_lo:[0,0,1] neg_hi:[0,0,1]
	v_mov_b32_e32 v129, v135
	s_cbranch_execz .LBB125_319
	s_branch .LBB125_320
.LBB125_318:
                                        ; implicit-def: $vgpr128_vgpr129
.LBB125_319:
	ds_load_b64 v[128:129], v1
.LBB125_320:
	s_and_saveexec_b32 s37, s0
	s_cbranch_execz .LBB125_324
; %bb.321:
	v_subrev_nc_u32_e32 v130, 30, v0
	s_movk_i32 s38, 0x2e0
	s_mov_b32 s0, 0
.LBB125_322:                            ; =>This Inner Loop Header: Depth=1
	scratch_load_b64 v[132:133], off, s35
	v_dual_mov_b32 v131, s38 :: v_dual_add_nc_u32 v130, -1, v130
	s_add_co_i32 s38, s38, 8
	s_wait_xcnt 0x0
	s_add_co_i32 s35, s35, 8
	ds_load_b64 v[134:135], v131
	v_cmp_eq_u32_e32 vcc_lo, 0, v130
	s_or_b32 s0, vcc_lo, s0
	s_wait_loadcnt_dscnt 0x0
	v_pk_mul_f32 v[136:137], v[134:135], v[132:133] op_sel:[1,1] op_sel_hi:[0,1]
	s_delay_alu instid0(VALU_DEP_1) | instskip(SKIP_1) | instid1(VALU_DEP_2)
	v_pk_fma_f32 v[138:139], v[134:135], v[132:133], v[136:137] op_sel_hi:[1,0,1]
	v_pk_fma_f32 v[132:133], v[134:135], v[132:133], v[136:137] neg_lo:[0,0,1] neg_hi:[0,0,1]
	v_mov_b32_e32 v133, v139
	s_delay_alu instid0(VALU_DEP_1)
	v_pk_add_f32 v[128:129], v[128:129], v[132:133]
	s_and_not1_b32 exec_lo, exec_lo, s0
	s_cbranch_execnz .LBB125_322
; %bb.323:
	s_or_b32 exec_lo, exec_lo, s0
.LBB125_324:
	s_delay_alu instid0(SALU_CYCLE_1) | instskip(SKIP_4) | instid1(VALU_DEP_1)
	s_or_b32 exec_lo, exec_lo, s37
	v_mov_b32_e32 v130, 0
	ds_load_b64 v[130:131], v130 offset:232
	s_wait_dscnt 0x0
	v_pk_mul_f32 v[132:133], v[128:129], v[130:131] op_sel:[1,1] op_sel_hi:[0,1]
	v_pk_fma_f32 v[134:135], v[128:129], v[130:131], v[132:133] op_sel_hi:[1,0,1]
	v_pk_fma_f32 v[128:129], v[128:129], v[130:131], v[132:133] neg_lo:[0,0,1] neg_hi:[0,0,1]
	s_delay_alu instid0(VALU_DEP_2)
	v_mov_b32_e32 v129, v135
	scratch_store_b64 off, v[128:129], off offset:232
.LBB125_325:
	s_wait_xcnt 0x0
	s_or_b32 exec_lo, exec_lo, s36
	scratch_load_b64 v[128:129], off, off offset:224
	v_cmp_lt_u32_e64 s0, 28, v0
	s_wait_loadcnt 0x0
	ds_store_b64 v1, v[128:129]
	s_wait_storecnt_dscnt 0x0
	s_barrier_signal -1
	s_barrier_wait -1
	s_wait_xcnt 0x0
	s_and_saveexec_b32 s35, s0
	s_cbranch_execz .LBB125_335
; %bb.326:
	s_and_not1_b32 vcc_lo, exec_lo, s3
	s_cbranch_vccnz .LBB125_328
; %bb.327:
	scratch_load_b64 v[128:129], v59, off
	ds_load_b64 v[130:131], v1
	s_wait_loadcnt_dscnt 0x0
	v_pk_mul_f32 v[132:133], v[130:131], v[128:129] op_sel:[1,1] op_sel_hi:[0,1]
	s_delay_alu instid0(VALU_DEP_1) | instskip(SKIP_1) | instid1(VALU_DEP_2)
	v_pk_fma_f32 v[134:135], v[130:131], v[128:129], v[132:133] op_sel_hi:[1,0,1]
	v_pk_fma_f32 v[128:129], v[130:131], v[128:129], v[132:133] neg_lo:[0,0,1] neg_hi:[0,0,1]
	v_mov_b32_e32 v129, v135
	s_cbranch_execz .LBB125_329
	s_branch .LBB125_330
.LBB125_328:
                                        ; implicit-def: $vgpr128_vgpr129
.LBB125_329:
	ds_load_b64 v[128:129], v1
.LBB125_330:
	s_and_saveexec_b32 s36, s1
	s_cbranch_execz .LBB125_334
; %bb.331:
	v_subrev_nc_u32_e32 v130, 29, v0
	s_movk_i32 s37, 0x2d8
	s_mov_b32 s1, 0
.LBB125_332:                            ; =>This Inner Loop Header: Depth=1
	scratch_load_b64 v[132:133], off, s34
	v_dual_mov_b32 v131, s37 :: v_dual_add_nc_u32 v130, -1, v130
	s_add_co_i32 s37, s37, 8
	s_wait_xcnt 0x0
	s_add_co_i32 s34, s34, 8
	ds_load_b64 v[134:135], v131
	v_cmp_eq_u32_e32 vcc_lo, 0, v130
	s_or_b32 s1, vcc_lo, s1
	s_wait_loadcnt_dscnt 0x0
	v_pk_mul_f32 v[136:137], v[134:135], v[132:133] op_sel:[1,1] op_sel_hi:[0,1]
	s_delay_alu instid0(VALU_DEP_1) | instskip(SKIP_1) | instid1(VALU_DEP_2)
	v_pk_fma_f32 v[138:139], v[134:135], v[132:133], v[136:137] op_sel_hi:[1,0,1]
	v_pk_fma_f32 v[132:133], v[134:135], v[132:133], v[136:137] neg_lo:[0,0,1] neg_hi:[0,0,1]
	v_mov_b32_e32 v133, v139
	s_delay_alu instid0(VALU_DEP_1)
	v_pk_add_f32 v[128:129], v[128:129], v[132:133]
	s_and_not1_b32 exec_lo, exec_lo, s1
	s_cbranch_execnz .LBB125_332
; %bb.333:
	s_or_b32 exec_lo, exec_lo, s1
.LBB125_334:
	s_delay_alu instid0(SALU_CYCLE_1) | instskip(SKIP_4) | instid1(VALU_DEP_1)
	s_or_b32 exec_lo, exec_lo, s36
	v_mov_b32_e32 v130, 0
	ds_load_b64 v[130:131], v130 offset:224
	s_wait_dscnt 0x0
	v_pk_mul_f32 v[132:133], v[128:129], v[130:131] op_sel:[1,1] op_sel_hi:[0,1]
	v_pk_fma_f32 v[134:135], v[128:129], v[130:131], v[132:133] op_sel_hi:[1,0,1]
	v_pk_fma_f32 v[128:129], v[128:129], v[130:131], v[132:133] neg_lo:[0,0,1] neg_hi:[0,0,1]
	s_delay_alu instid0(VALU_DEP_2)
	v_mov_b32_e32 v129, v135
	scratch_store_b64 off, v[128:129], off offset:224
.LBB125_335:
	s_wait_xcnt 0x0
	s_or_b32 exec_lo, exec_lo, s35
	scratch_load_b64 v[128:129], off, off offset:216
	v_cmp_lt_u32_e64 s1, 27, v0
	s_wait_loadcnt 0x0
	ds_store_b64 v1, v[128:129]
	s_wait_storecnt_dscnt 0x0
	s_barrier_signal -1
	s_barrier_wait -1
	s_wait_xcnt 0x0
	s_and_saveexec_b32 s34, s1
	s_cbranch_execz .LBB125_345
; %bb.336:
	s_and_not1_b32 vcc_lo, exec_lo, s3
	s_cbranch_vccnz .LBB125_338
; %bb.337:
	scratch_load_b64 v[128:129], v59, off
	ds_load_b64 v[130:131], v1
	s_wait_loadcnt_dscnt 0x0
	v_pk_mul_f32 v[132:133], v[130:131], v[128:129] op_sel:[1,1] op_sel_hi:[0,1]
	s_delay_alu instid0(VALU_DEP_1) | instskip(SKIP_1) | instid1(VALU_DEP_2)
	v_pk_fma_f32 v[134:135], v[130:131], v[128:129], v[132:133] op_sel_hi:[1,0,1]
	v_pk_fma_f32 v[128:129], v[130:131], v[128:129], v[132:133] neg_lo:[0,0,1] neg_hi:[0,0,1]
	v_mov_b32_e32 v129, v135
	s_cbranch_execz .LBB125_339
	s_branch .LBB125_340
.LBB125_338:
                                        ; implicit-def: $vgpr128_vgpr129
.LBB125_339:
	ds_load_b64 v[128:129], v1
.LBB125_340:
	s_and_saveexec_b32 s35, s0
	s_cbranch_execz .LBB125_344
; %bb.341:
	v_subrev_nc_u32_e32 v130, 28, v0
	s_movk_i32 s36, 0x2d0
	s_mov_b32 s0, 0
.LBB125_342:                            ; =>This Inner Loop Header: Depth=1
	scratch_load_b64 v[132:133], off, s33
	v_dual_mov_b32 v131, s36 :: v_dual_add_nc_u32 v130, -1, v130
	s_add_co_i32 s36, s36, 8
	s_wait_xcnt 0x0
	s_add_co_i32 s33, s33, 8
	ds_load_b64 v[134:135], v131
	v_cmp_eq_u32_e32 vcc_lo, 0, v130
	s_or_b32 s0, vcc_lo, s0
	s_wait_loadcnt_dscnt 0x0
	v_pk_mul_f32 v[136:137], v[134:135], v[132:133] op_sel:[1,1] op_sel_hi:[0,1]
	s_delay_alu instid0(VALU_DEP_1) | instskip(SKIP_1) | instid1(VALU_DEP_2)
	v_pk_fma_f32 v[138:139], v[134:135], v[132:133], v[136:137] op_sel_hi:[1,0,1]
	v_pk_fma_f32 v[132:133], v[134:135], v[132:133], v[136:137] neg_lo:[0,0,1] neg_hi:[0,0,1]
	v_mov_b32_e32 v133, v139
	s_delay_alu instid0(VALU_DEP_1)
	v_pk_add_f32 v[128:129], v[128:129], v[132:133]
	s_and_not1_b32 exec_lo, exec_lo, s0
	s_cbranch_execnz .LBB125_342
; %bb.343:
	s_or_b32 exec_lo, exec_lo, s0
.LBB125_344:
	s_delay_alu instid0(SALU_CYCLE_1) | instskip(SKIP_4) | instid1(VALU_DEP_1)
	s_or_b32 exec_lo, exec_lo, s35
	v_mov_b32_e32 v130, 0
	ds_load_b64 v[130:131], v130 offset:216
	s_wait_dscnt 0x0
	v_pk_mul_f32 v[132:133], v[128:129], v[130:131] op_sel:[1,1] op_sel_hi:[0,1]
	v_pk_fma_f32 v[134:135], v[128:129], v[130:131], v[132:133] op_sel_hi:[1,0,1]
	v_pk_fma_f32 v[128:129], v[128:129], v[130:131], v[132:133] neg_lo:[0,0,1] neg_hi:[0,0,1]
	s_delay_alu instid0(VALU_DEP_2)
	v_mov_b32_e32 v129, v135
	scratch_store_b64 off, v[128:129], off offset:216
.LBB125_345:
	s_wait_xcnt 0x0
	s_or_b32 exec_lo, exec_lo, s34
	scratch_load_b64 v[128:129], off, off offset:208
	v_cmp_lt_u32_e64 s0, 26, v0
	s_wait_loadcnt 0x0
	ds_store_b64 v1, v[128:129]
	s_wait_storecnt_dscnt 0x0
	s_barrier_signal -1
	s_barrier_wait -1
	s_wait_xcnt 0x0
	s_and_saveexec_b32 s33, s0
	s_cbranch_execz .LBB125_355
; %bb.346:
	s_and_not1_b32 vcc_lo, exec_lo, s3
	s_cbranch_vccnz .LBB125_348
; %bb.347:
	scratch_load_b64 v[128:129], v59, off
	ds_load_b64 v[130:131], v1
	s_wait_loadcnt_dscnt 0x0
	v_pk_mul_f32 v[132:133], v[130:131], v[128:129] op_sel:[1,1] op_sel_hi:[0,1]
	s_delay_alu instid0(VALU_DEP_1) | instskip(SKIP_1) | instid1(VALU_DEP_2)
	v_pk_fma_f32 v[134:135], v[130:131], v[128:129], v[132:133] op_sel_hi:[1,0,1]
	v_pk_fma_f32 v[128:129], v[130:131], v[128:129], v[132:133] neg_lo:[0,0,1] neg_hi:[0,0,1]
	v_mov_b32_e32 v129, v135
	s_cbranch_execz .LBB125_349
	s_branch .LBB125_350
.LBB125_348:
                                        ; implicit-def: $vgpr128_vgpr129
.LBB125_349:
	ds_load_b64 v[128:129], v1
.LBB125_350:
	s_and_saveexec_b32 s34, s1
	s_cbranch_execz .LBB125_354
; %bb.351:
	v_subrev_nc_u32_e32 v130, 27, v0
	s_movk_i32 s35, 0x2c8
	s_mov_b32 s1, 0
.LBB125_352:                            ; =>This Inner Loop Header: Depth=1
	scratch_load_b64 v[132:133], off, s31
	v_dual_mov_b32 v131, s35 :: v_dual_add_nc_u32 v130, -1, v130
	s_add_co_i32 s35, s35, 8
	s_wait_xcnt 0x0
	s_add_co_i32 s31, s31, 8
	ds_load_b64 v[134:135], v131
	v_cmp_eq_u32_e32 vcc_lo, 0, v130
	s_or_b32 s1, vcc_lo, s1
	s_wait_loadcnt_dscnt 0x0
	v_pk_mul_f32 v[136:137], v[134:135], v[132:133] op_sel:[1,1] op_sel_hi:[0,1]
	s_delay_alu instid0(VALU_DEP_1) | instskip(SKIP_1) | instid1(VALU_DEP_2)
	v_pk_fma_f32 v[138:139], v[134:135], v[132:133], v[136:137] op_sel_hi:[1,0,1]
	v_pk_fma_f32 v[132:133], v[134:135], v[132:133], v[136:137] neg_lo:[0,0,1] neg_hi:[0,0,1]
	v_mov_b32_e32 v133, v139
	s_delay_alu instid0(VALU_DEP_1)
	v_pk_add_f32 v[128:129], v[128:129], v[132:133]
	s_and_not1_b32 exec_lo, exec_lo, s1
	s_cbranch_execnz .LBB125_352
; %bb.353:
	s_or_b32 exec_lo, exec_lo, s1
.LBB125_354:
	s_delay_alu instid0(SALU_CYCLE_1) | instskip(SKIP_4) | instid1(VALU_DEP_1)
	s_or_b32 exec_lo, exec_lo, s34
	v_mov_b32_e32 v130, 0
	ds_load_b64 v[130:131], v130 offset:208
	s_wait_dscnt 0x0
	v_pk_mul_f32 v[132:133], v[128:129], v[130:131] op_sel:[1,1] op_sel_hi:[0,1]
	v_pk_fma_f32 v[134:135], v[128:129], v[130:131], v[132:133] op_sel_hi:[1,0,1]
	v_pk_fma_f32 v[128:129], v[128:129], v[130:131], v[132:133] neg_lo:[0,0,1] neg_hi:[0,0,1]
	s_delay_alu instid0(VALU_DEP_2)
	v_mov_b32_e32 v129, v135
	scratch_store_b64 off, v[128:129], off offset:208
.LBB125_355:
	s_wait_xcnt 0x0
	s_or_b32 exec_lo, exec_lo, s33
	scratch_load_b64 v[128:129], off, off offset:200
	v_cmp_lt_u32_e64 s1, 25, v0
	s_wait_loadcnt 0x0
	ds_store_b64 v1, v[128:129]
	s_wait_storecnt_dscnt 0x0
	s_barrier_signal -1
	s_barrier_wait -1
	s_wait_xcnt 0x0
	s_and_saveexec_b32 s31, s1
	s_cbranch_execz .LBB125_365
; %bb.356:
	s_and_not1_b32 vcc_lo, exec_lo, s3
	s_cbranch_vccnz .LBB125_358
; %bb.357:
	scratch_load_b64 v[128:129], v59, off
	ds_load_b64 v[130:131], v1
	s_wait_loadcnt_dscnt 0x0
	v_pk_mul_f32 v[132:133], v[130:131], v[128:129] op_sel:[1,1] op_sel_hi:[0,1]
	s_delay_alu instid0(VALU_DEP_1) | instskip(SKIP_1) | instid1(VALU_DEP_2)
	v_pk_fma_f32 v[134:135], v[130:131], v[128:129], v[132:133] op_sel_hi:[1,0,1]
	v_pk_fma_f32 v[128:129], v[130:131], v[128:129], v[132:133] neg_lo:[0,0,1] neg_hi:[0,0,1]
	v_mov_b32_e32 v129, v135
	s_cbranch_execz .LBB125_359
	s_branch .LBB125_360
.LBB125_358:
                                        ; implicit-def: $vgpr128_vgpr129
.LBB125_359:
	ds_load_b64 v[128:129], v1
.LBB125_360:
	s_and_saveexec_b32 s33, s0
	s_cbranch_execz .LBB125_364
; %bb.361:
	v_subrev_nc_u32_e32 v130, 26, v0
	s_movk_i32 s34, 0x2c0
	s_mov_b32 s0, 0
.LBB125_362:                            ; =>This Inner Loop Header: Depth=1
	scratch_load_b64 v[132:133], off, s30
	v_dual_mov_b32 v131, s34 :: v_dual_add_nc_u32 v130, -1, v130
	s_add_co_i32 s34, s34, 8
	s_wait_xcnt 0x0
	s_add_co_i32 s30, s30, 8
	ds_load_b64 v[134:135], v131
	v_cmp_eq_u32_e32 vcc_lo, 0, v130
	s_or_b32 s0, vcc_lo, s0
	s_wait_loadcnt_dscnt 0x0
	v_pk_mul_f32 v[136:137], v[134:135], v[132:133] op_sel:[1,1] op_sel_hi:[0,1]
	s_delay_alu instid0(VALU_DEP_1) | instskip(SKIP_1) | instid1(VALU_DEP_2)
	v_pk_fma_f32 v[138:139], v[134:135], v[132:133], v[136:137] op_sel_hi:[1,0,1]
	v_pk_fma_f32 v[132:133], v[134:135], v[132:133], v[136:137] neg_lo:[0,0,1] neg_hi:[0,0,1]
	v_mov_b32_e32 v133, v139
	s_delay_alu instid0(VALU_DEP_1)
	v_pk_add_f32 v[128:129], v[128:129], v[132:133]
	s_and_not1_b32 exec_lo, exec_lo, s0
	s_cbranch_execnz .LBB125_362
; %bb.363:
	s_or_b32 exec_lo, exec_lo, s0
.LBB125_364:
	s_delay_alu instid0(SALU_CYCLE_1) | instskip(SKIP_4) | instid1(VALU_DEP_1)
	s_or_b32 exec_lo, exec_lo, s33
	v_mov_b32_e32 v130, 0
	ds_load_b64 v[130:131], v130 offset:200
	s_wait_dscnt 0x0
	v_pk_mul_f32 v[132:133], v[128:129], v[130:131] op_sel:[1,1] op_sel_hi:[0,1]
	v_pk_fma_f32 v[134:135], v[128:129], v[130:131], v[132:133] op_sel_hi:[1,0,1]
	v_pk_fma_f32 v[128:129], v[128:129], v[130:131], v[132:133] neg_lo:[0,0,1] neg_hi:[0,0,1]
	s_delay_alu instid0(VALU_DEP_2)
	v_mov_b32_e32 v129, v135
	scratch_store_b64 off, v[128:129], off offset:200
.LBB125_365:
	s_wait_xcnt 0x0
	s_or_b32 exec_lo, exec_lo, s31
	scratch_load_b64 v[128:129], off, off offset:192
	v_cmp_lt_u32_e64 s0, 24, v0
	s_wait_loadcnt 0x0
	ds_store_b64 v1, v[128:129]
	s_wait_storecnt_dscnt 0x0
	s_barrier_signal -1
	s_barrier_wait -1
	s_wait_xcnt 0x0
	s_and_saveexec_b32 s30, s0
	s_cbranch_execz .LBB125_375
; %bb.366:
	s_and_not1_b32 vcc_lo, exec_lo, s3
	s_cbranch_vccnz .LBB125_368
; %bb.367:
	scratch_load_b64 v[128:129], v59, off
	ds_load_b64 v[130:131], v1
	s_wait_loadcnt_dscnt 0x0
	v_pk_mul_f32 v[132:133], v[130:131], v[128:129] op_sel:[1,1] op_sel_hi:[0,1]
	s_delay_alu instid0(VALU_DEP_1) | instskip(SKIP_1) | instid1(VALU_DEP_2)
	v_pk_fma_f32 v[134:135], v[130:131], v[128:129], v[132:133] op_sel_hi:[1,0,1]
	v_pk_fma_f32 v[128:129], v[130:131], v[128:129], v[132:133] neg_lo:[0,0,1] neg_hi:[0,0,1]
	v_mov_b32_e32 v129, v135
	s_cbranch_execz .LBB125_369
	s_branch .LBB125_370
.LBB125_368:
                                        ; implicit-def: $vgpr128_vgpr129
.LBB125_369:
	ds_load_b64 v[128:129], v1
.LBB125_370:
	s_and_saveexec_b32 s31, s1
	s_cbranch_execz .LBB125_374
; %bb.371:
	v_subrev_nc_u32_e32 v130, 25, v0
	s_movk_i32 s33, 0x2b8
	s_mov_b32 s1, 0
.LBB125_372:                            ; =>This Inner Loop Header: Depth=1
	scratch_load_b64 v[132:133], off, s29
	v_dual_mov_b32 v131, s33 :: v_dual_add_nc_u32 v130, -1, v130
	s_add_co_i32 s33, s33, 8
	s_wait_xcnt 0x0
	s_add_co_i32 s29, s29, 8
	ds_load_b64 v[134:135], v131
	v_cmp_eq_u32_e32 vcc_lo, 0, v130
	s_or_b32 s1, vcc_lo, s1
	s_wait_loadcnt_dscnt 0x0
	v_pk_mul_f32 v[136:137], v[134:135], v[132:133] op_sel:[1,1] op_sel_hi:[0,1]
	s_delay_alu instid0(VALU_DEP_1) | instskip(SKIP_1) | instid1(VALU_DEP_2)
	v_pk_fma_f32 v[138:139], v[134:135], v[132:133], v[136:137] op_sel_hi:[1,0,1]
	v_pk_fma_f32 v[132:133], v[134:135], v[132:133], v[136:137] neg_lo:[0,0,1] neg_hi:[0,0,1]
	v_mov_b32_e32 v133, v139
	s_delay_alu instid0(VALU_DEP_1)
	v_pk_add_f32 v[128:129], v[128:129], v[132:133]
	s_and_not1_b32 exec_lo, exec_lo, s1
	s_cbranch_execnz .LBB125_372
; %bb.373:
	s_or_b32 exec_lo, exec_lo, s1
.LBB125_374:
	s_delay_alu instid0(SALU_CYCLE_1) | instskip(SKIP_4) | instid1(VALU_DEP_1)
	s_or_b32 exec_lo, exec_lo, s31
	v_mov_b32_e32 v130, 0
	ds_load_b64 v[130:131], v130 offset:192
	s_wait_dscnt 0x0
	v_pk_mul_f32 v[132:133], v[128:129], v[130:131] op_sel:[1,1] op_sel_hi:[0,1]
	v_pk_fma_f32 v[134:135], v[128:129], v[130:131], v[132:133] op_sel_hi:[1,0,1]
	v_pk_fma_f32 v[128:129], v[128:129], v[130:131], v[132:133] neg_lo:[0,0,1] neg_hi:[0,0,1]
	s_delay_alu instid0(VALU_DEP_2)
	v_mov_b32_e32 v129, v135
	scratch_store_b64 off, v[128:129], off offset:192
.LBB125_375:
	s_wait_xcnt 0x0
	s_or_b32 exec_lo, exec_lo, s30
	scratch_load_b64 v[128:129], off, off offset:184
	v_cmp_lt_u32_e64 s1, 23, v0
	s_wait_loadcnt 0x0
	ds_store_b64 v1, v[128:129]
	s_wait_storecnt_dscnt 0x0
	s_barrier_signal -1
	s_barrier_wait -1
	s_wait_xcnt 0x0
	s_and_saveexec_b32 s29, s1
	s_cbranch_execz .LBB125_385
; %bb.376:
	s_and_not1_b32 vcc_lo, exec_lo, s3
	s_cbranch_vccnz .LBB125_378
; %bb.377:
	scratch_load_b64 v[128:129], v59, off
	ds_load_b64 v[130:131], v1
	s_wait_loadcnt_dscnt 0x0
	v_pk_mul_f32 v[132:133], v[130:131], v[128:129] op_sel:[1,1] op_sel_hi:[0,1]
	s_delay_alu instid0(VALU_DEP_1) | instskip(SKIP_1) | instid1(VALU_DEP_2)
	v_pk_fma_f32 v[134:135], v[130:131], v[128:129], v[132:133] op_sel_hi:[1,0,1]
	v_pk_fma_f32 v[128:129], v[130:131], v[128:129], v[132:133] neg_lo:[0,0,1] neg_hi:[0,0,1]
	v_mov_b32_e32 v129, v135
	s_cbranch_execz .LBB125_379
	s_branch .LBB125_380
.LBB125_378:
                                        ; implicit-def: $vgpr128_vgpr129
.LBB125_379:
	ds_load_b64 v[128:129], v1
.LBB125_380:
	s_and_saveexec_b32 s30, s0
	s_cbranch_execz .LBB125_384
; %bb.381:
	v_subrev_nc_u32_e32 v130, 24, v0
	s_movk_i32 s31, 0x2b0
	s_mov_b32 s0, 0
.LBB125_382:                            ; =>This Inner Loop Header: Depth=1
	scratch_load_b64 v[132:133], off, s28
	v_dual_mov_b32 v131, s31 :: v_dual_add_nc_u32 v130, -1, v130
	s_add_co_i32 s31, s31, 8
	s_wait_xcnt 0x0
	s_add_co_i32 s28, s28, 8
	ds_load_b64 v[134:135], v131
	v_cmp_eq_u32_e32 vcc_lo, 0, v130
	s_or_b32 s0, vcc_lo, s0
	s_wait_loadcnt_dscnt 0x0
	v_pk_mul_f32 v[136:137], v[134:135], v[132:133] op_sel:[1,1] op_sel_hi:[0,1]
	s_delay_alu instid0(VALU_DEP_1) | instskip(SKIP_1) | instid1(VALU_DEP_2)
	v_pk_fma_f32 v[138:139], v[134:135], v[132:133], v[136:137] op_sel_hi:[1,0,1]
	v_pk_fma_f32 v[132:133], v[134:135], v[132:133], v[136:137] neg_lo:[0,0,1] neg_hi:[0,0,1]
	v_mov_b32_e32 v133, v139
	s_delay_alu instid0(VALU_DEP_1)
	v_pk_add_f32 v[128:129], v[128:129], v[132:133]
	s_and_not1_b32 exec_lo, exec_lo, s0
	s_cbranch_execnz .LBB125_382
; %bb.383:
	s_or_b32 exec_lo, exec_lo, s0
.LBB125_384:
	s_delay_alu instid0(SALU_CYCLE_1) | instskip(SKIP_4) | instid1(VALU_DEP_1)
	s_or_b32 exec_lo, exec_lo, s30
	v_mov_b32_e32 v130, 0
	ds_load_b64 v[130:131], v130 offset:184
	s_wait_dscnt 0x0
	v_pk_mul_f32 v[132:133], v[128:129], v[130:131] op_sel:[1,1] op_sel_hi:[0,1]
	v_pk_fma_f32 v[134:135], v[128:129], v[130:131], v[132:133] op_sel_hi:[1,0,1]
	v_pk_fma_f32 v[128:129], v[128:129], v[130:131], v[132:133] neg_lo:[0,0,1] neg_hi:[0,0,1]
	s_delay_alu instid0(VALU_DEP_2)
	v_mov_b32_e32 v129, v135
	scratch_store_b64 off, v[128:129], off offset:184
.LBB125_385:
	s_wait_xcnt 0x0
	s_or_b32 exec_lo, exec_lo, s29
	scratch_load_b64 v[128:129], off, off offset:176
	v_cmp_lt_u32_e64 s0, 22, v0
	s_wait_loadcnt 0x0
	ds_store_b64 v1, v[128:129]
	s_wait_storecnt_dscnt 0x0
	s_barrier_signal -1
	s_barrier_wait -1
	s_wait_xcnt 0x0
	s_and_saveexec_b32 s28, s0
	s_cbranch_execz .LBB125_395
; %bb.386:
	s_and_not1_b32 vcc_lo, exec_lo, s3
	s_cbranch_vccnz .LBB125_388
; %bb.387:
	scratch_load_b64 v[128:129], v59, off
	ds_load_b64 v[130:131], v1
	s_wait_loadcnt_dscnt 0x0
	v_pk_mul_f32 v[132:133], v[130:131], v[128:129] op_sel:[1,1] op_sel_hi:[0,1]
	s_delay_alu instid0(VALU_DEP_1) | instskip(SKIP_1) | instid1(VALU_DEP_2)
	v_pk_fma_f32 v[134:135], v[130:131], v[128:129], v[132:133] op_sel_hi:[1,0,1]
	v_pk_fma_f32 v[128:129], v[130:131], v[128:129], v[132:133] neg_lo:[0,0,1] neg_hi:[0,0,1]
	v_mov_b32_e32 v129, v135
	s_cbranch_execz .LBB125_389
	s_branch .LBB125_390
.LBB125_388:
                                        ; implicit-def: $vgpr128_vgpr129
.LBB125_389:
	ds_load_b64 v[128:129], v1
.LBB125_390:
	s_and_saveexec_b32 s29, s1
	s_cbranch_execz .LBB125_394
; %bb.391:
	v_subrev_nc_u32_e32 v130, 23, v0
	s_movk_i32 s30, 0x2a8
	s_mov_b32 s1, 0
.LBB125_392:                            ; =>This Inner Loop Header: Depth=1
	scratch_load_b64 v[132:133], off, s27
	v_dual_mov_b32 v131, s30 :: v_dual_add_nc_u32 v130, -1, v130
	s_add_co_i32 s30, s30, 8
	s_wait_xcnt 0x0
	s_add_co_i32 s27, s27, 8
	ds_load_b64 v[134:135], v131
	v_cmp_eq_u32_e32 vcc_lo, 0, v130
	s_or_b32 s1, vcc_lo, s1
	s_wait_loadcnt_dscnt 0x0
	v_pk_mul_f32 v[136:137], v[134:135], v[132:133] op_sel:[1,1] op_sel_hi:[0,1]
	s_delay_alu instid0(VALU_DEP_1) | instskip(SKIP_1) | instid1(VALU_DEP_2)
	v_pk_fma_f32 v[138:139], v[134:135], v[132:133], v[136:137] op_sel_hi:[1,0,1]
	v_pk_fma_f32 v[132:133], v[134:135], v[132:133], v[136:137] neg_lo:[0,0,1] neg_hi:[0,0,1]
	v_mov_b32_e32 v133, v139
	s_delay_alu instid0(VALU_DEP_1)
	v_pk_add_f32 v[128:129], v[128:129], v[132:133]
	s_and_not1_b32 exec_lo, exec_lo, s1
	s_cbranch_execnz .LBB125_392
; %bb.393:
	s_or_b32 exec_lo, exec_lo, s1
.LBB125_394:
	s_delay_alu instid0(SALU_CYCLE_1) | instskip(SKIP_4) | instid1(VALU_DEP_1)
	s_or_b32 exec_lo, exec_lo, s29
	v_mov_b32_e32 v130, 0
	ds_load_b64 v[130:131], v130 offset:176
	s_wait_dscnt 0x0
	v_pk_mul_f32 v[132:133], v[128:129], v[130:131] op_sel:[1,1] op_sel_hi:[0,1]
	v_pk_fma_f32 v[134:135], v[128:129], v[130:131], v[132:133] op_sel_hi:[1,0,1]
	v_pk_fma_f32 v[128:129], v[128:129], v[130:131], v[132:133] neg_lo:[0,0,1] neg_hi:[0,0,1]
	s_delay_alu instid0(VALU_DEP_2)
	v_mov_b32_e32 v129, v135
	scratch_store_b64 off, v[128:129], off offset:176
.LBB125_395:
	s_wait_xcnt 0x0
	s_or_b32 exec_lo, exec_lo, s28
	scratch_load_b64 v[128:129], off, off offset:168
	v_cmp_lt_u32_e64 s1, 21, v0
	s_wait_loadcnt 0x0
	ds_store_b64 v1, v[128:129]
	s_wait_storecnt_dscnt 0x0
	s_barrier_signal -1
	s_barrier_wait -1
	s_wait_xcnt 0x0
	s_and_saveexec_b32 s27, s1
	s_cbranch_execz .LBB125_405
; %bb.396:
	s_and_not1_b32 vcc_lo, exec_lo, s3
	s_cbranch_vccnz .LBB125_398
; %bb.397:
	scratch_load_b64 v[128:129], v59, off
	ds_load_b64 v[130:131], v1
	s_wait_loadcnt_dscnt 0x0
	v_pk_mul_f32 v[132:133], v[130:131], v[128:129] op_sel:[1,1] op_sel_hi:[0,1]
	s_delay_alu instid0(VALU_DEP_1) | instskip(SKIP_1) | instid1(VALU_DEP_2)
	v_pk_fma_f32 v[134:135], v[130:131], v[128:129], v[132:133] op_sel_hi:[1,0,1]
	v_pk_fma_f32 v[128:129], v[130:131], v[128:129], v[132:133] neg_lo:[0,0,1] neg_hi:[0,0,1]
	v_mov_b32_e32 v129, v135
	s_cbranch_execz .LBB125_399
	s_branch .LBB125_400
.LBB125_398:
                                        ; implicit-def: $vgpr128_vgpr129
.LBB125_399:
	ds_load_b64 v[128:129], v1
.LBB125_400:
	s_and_saveexec_b32 s28, s0
	s_cbranch_execz .LBB125_404
; %bb.401:
	v_subrev_nc_u32_e32 v130, 22, v0
	s_movk_i32 s29, 0x2a0
	s_mov_b32 s0, 0
.LBB125_402:                            ; =>This Inner Loop Header: Depth=1
	scratch_load_b64 v[132:133], off, s26
	v_dual_mov_b32 v131, s29 :: v_dual_add_nc_u32 v130, -1, v130
	s_add_co_i32 s29, s29, 8
	s_wait_xcnt 0x0
	s_add_co_i32 s26, s26, 8
	ds_load_b64 v[134:135], v131
	v_cmp_eq_u32_e32 vcc_lo, 0, v130
	s_or_b32 s0, vcc_lo, s0
	s_wait_loadcnt_dscnt 0x0
	v_pk_mul_f32 v[136:137], v[134:135], v[132:133] op_sel:[1,1] op_sel_hi:[0,1]
	s_delay_alu instid0(VALU_DEP_1) | instskip(SKIP_1) | instid1(VALU_DEP_2)
	v_pk_fma_f32 v[138:139], v[134:135], v[132:133], v[136:137] op_sel_hi:[1,0,1]
	v_pk_fma_f32 v[132:133], v[134:135], v[132:133], v[136:137] neg_lo:[0,0,1] neg_hi:[0,0,1]
	v_mov_b32_e32 v133, v139
	s_delay_alu instid0(VALU_DEP_1)
	v_pk_add_f32 v[128:129], v[128:129], v[132:133]
	s_and_not1_b32 exec_lo, exec_lo, s0
	s_cbranch_execnz .LBB125_402
; %bb.403:
	s_or_b32 exec_lo, exec_lo, s0
.LBB125_404:
	s_delay_alu instid0(SALU_CYCLE_1) | instskip(SKIP_4) | instid1(VALU_DEP_1)
	s_or_b32 exec_lo, exec_lo, s28
	v_mov_b32_e32 v130, 0
	ds_load_b64 v[130:131], v130 offset:168
	s_wait_dscnt 0x0
	v_pk_mul_f32 v[132:133], v[128:129], v[130:131] op_sel:[1,1] op_sel_hi:[0,1]
	v_pk_fma_f32 v[134:135], v[128:129], v[130:131], v[132:133] op_sel_hi:[1,0,1]
	v_pk_fma_f32 v[128:129], v[128:129], v[130:131], v[132:133] neg_lo:[0,0,1] neg_hi:[0,0,1]
	s_delay_alu instid0(VALU_DEP_2)
	v_mov_b32_e32 v129, v135
	scratch_store_b64 off, v[128:129], off offset:168
.LBB125_405:
	s_wait_xcnt 0x0
	s_or_b32 exec_lo, exec_lo, s27
	scratch_load_b64 v[128:129], off, off offset:160
	v_cmp_lt_u32_e64 s0, 20, v0
	s_wait_loadcnt 0x0
	ds_store_b64 v1, v[128:129]
	s_wait_storecnt_dscnt 0x0
	s_barrier_signal -1
	s_barrier_wait -1
	s_wait_xcnt 0x0
	s_and_saveexec_b32 s26, s0
	s_cbranch_execz .LBB125_415
; %bb.406:
	s_and_not1_b32 vcc_lo, exec_lo, s3
	s_cbranch_vccnz .LBB125_408
; %bb.407:
	scratch_load_b64 v[128:129], v59, off
	ds_load_b64 v[130:131], v1
	s_wait_loadcnt_dscnt 0x0
	v_pk_mul_f32 v[132:133], v[130:131], v[128:129] op_sel:[1,1] op_sel_hi:[0,1]
	s_delay_alu instid0(VALU_DEP_1) | instskip(SKIP_1) | instid1(VALU_DEP_2)
	v_pk_fma_f32 v[134:135], v[130:131], v[128:129], v[132:133] op_sel_hi:[1,0,1]
	v_pk_fma_f32 v[128:129], v[130:131], v[128:129], v[132:133] neg_lo:[0,0,1] neg_hi:[0,0,1]
	v_mov_b32_e32 v129, v135
	s_cbranch_execz .LBB125_409
	s_branch .LBB125_410
.LBB125_408:
                                        ; implicit-def: $vgpr128_vgpr129
.LBB125_409:
	ds_load_b64 v[128:129], v1
.LBB125_410:
	s_and_saveexec_b32 s27, s1
	s_cbranch_execz .LBB125_414
; %bb.411:
	v_subrev_nc_u32_e32 v130, 21, v0
	s_movk_i32 s28, 0x298
	s_mov_b32 s1, 0
.LBB125_412:                            ; =>This Inner Loop Header: Depth=1
	scratch_load_b64 v[132:133], off, s25
	v_dual_mov_b32 v131, s28 :: v_dual_add_nc_u32 v130, -1, v130
	s_add_co_i32 s28, s28, 8
	s_wait_xcnt 0x0
	s_add_co_i32 s25, s25, 8
	ds_load_b64 v[134:135], v131
	v_cmp_eq_u32_e32 vcc_lo, 0, v130
	s_or_b32 s1, vcc_lo, s1
	s_wait_loadcnt_dscnt 0x0
	v_pk_mul_f32 v[136:137], v[134:135], v[132:133] op_sel:[1,1] op_sel_hi:[0,1]
	s_delay_alu instid0(VALU_DEP_1) | instskip(SKIP_1) | instid1(VALU_DEP_2)
	v_pk_fma_f32 v[138:139], v[134:135], v[132:133], v[136:137] op_sel_hi:[1,0,1]
	v_pk_fma_f32 v[132:133], v[134:135], v[132:133], v[136:137] neg_lo:[0,0,1] neg_hi:[0,0,1]
	v_mov_b32_e32 v133, v139
	s_delay_alu instid0(VALU_DEP_1)
	v_pk_add_f32 v[128:129], v[128:129], v[132:133]
	s_and_not1_b32 exec_lo, exec_lo, s1
	s_cbranch_execnz .LBB125_412
; %bb.413:
	s_or_b32 exec_lo, exec_lo, s1
.LBB125_414:
	s_delay_alu instid0(SALU_CYCLE_1) | instskip(SKIP_4) | instid1(VALU_DEP_1)
	s_or_b32 exec_lo, exec_lo, s27
	v_mov_b32_e32 v130, 0
	ds_load_b64 v[130:131], v130 offset:160
	s_wait_dscnt 0x0
	v_pk_mul_f32 v[132:133], v[128:129], v[130:131] op_sel:[1,1] op_sel_hi:[0,1]
	v_pk_fma_f32 v[134:135], v[128:129], v[130:131], v[132:133] op_sel_hi:[1,0,1]
	v_pk_fma_f32 v[128:129], v[128:129], v[130:131], v[132:133] neg_lo:[0,0,1] neg_hi:[0,0,1]
	s_delay_alu instid0(VALU_DEP_2)
	v_mov_b32_e32 v129, v135
	scratch_store_b64 off, v[128:129], off offset:160
.LBB125_415:
	s_wait_xcnt 0x0
	s_or_b32 exec_lo, exec_lo, s26
	scratch_load_b64 v[128:129], off, off offset:152
	v_cmp_lt_u32_e64 s1, 19, v0
	s_wait_loadcnt 0x0
	ds_store_b64 v1, v[128:129]
	s_wait_storecnt_dscnt 0x0
	s_barrier_signal -1
	s_barrier_wait -1
	s_wait_xcnt 0x0
	s_and_saveexec_b32 s25, s1
	s_cbranch_execz .LBB125_425
; %bb.416:
	s_and_not1_b32 vcc_lo, exec_lo, s3
	s_cbranch_vccnz .LBB125_418
; %bb.417:
	scratch_load_b64 v[128:129], v59, off
	ds_load_b64 v[130:131], v1
	s_wait_loadcnt_dscnt 0x0
	v_pk_mul_f32 v[132:133], v[130:131], v[128:129] op_sel:[1,1] op_sel_hi:[0,1]
	s_delay_alu instid0(VALU_DEP_1) | instskip(SKIP_1) | instid1(VALU_DEP_2)
	v_pk_fma_f32 v[134:135], v[130:131], v[128:129], v[132:133] op_sel_hi:[1,0,1]
	v_pk_fma_f32 v[128:129], v[130:131], v[128:129], v[132:133] neg_lo:[0,0,1] neg_hi:[0,0,1]
	v_mov_b32_e32 v129, v135
	s_cbranch_execz .LBB125_419
	s_branch .LBB125_420
.LBB125_418:
                                        ; implicit-def: $vgpr128_vgpr129
.LBB125_419:
	ds_load_b64 v[128:129], v1
.LBB125_420:
	s_and_saveexec_b32 s26, s0
	s_cbranch_execz .LBB125_424
; %bb.421:
	v_subrev_nc_u32_e32 v130, 20, v0
	s_movk_i32 s27, 0x290
	s_mov_b32 s0, 0
.LBB125_422:                            ; =>This Inner Loop Header: Depth=1
	scratch_load_b64 v[132:133], off, s24
	v_dual_mov_b32 v131, s27 :: v_dual_add_nc_u32 v130, -1, v130
	s_add_co_i32 s27, s27, 8
	s_wait_xcnt 0x0
	s_add_co_i32 s24, s24, 8
	ds_load_b64 v[134:135], v131
	v_cmp_eq_u32_e32 vcc_lo, 0, v130
	s_or_b32 s0, vcc_lo, s0
	s_wait_loadcnt_dscnt 0x0
	v_pk_mul_f32 v[136:137], v[134:135], v[132:133] op_sel:[1,1] op_sel_hi:[0,1]
	s_delay_alu instid0(VALU_DEP_1) | instskip(SKIP_1) | instid1(VALU_DEP_2)
	v_pk_fma_f32 v[138:139], v[134:135], v[132:133], v[136:137] op_sel_hi:[1,0,1]
	v_pk_fma_f32 v[132:133], v[134:135], v[132:133], v[136:137] neg_lo:[0,0,1] neg_hi:[0,0,1]
	v_mov_b32_e32 v133, v139
	s_delay_alu instid0(VALU_DEP_1)
	v_pk_add_f32 v[128:129], v[128:129], v[132:133]
	s_and_not1_b32 exec_lo, exec_lo, s0
	s_cbranch_execnz .LBB125_422
; %bb.423:
	s_or_b32 exec_lo, exec_lo, s0
.LBB125_424:
	s_delay_alu instid0(SALU_CYCLE_1) | instskip(SKIP_4) | instid1(VALU_DEP_1)
	s_or_b32 exec_lo, exec_lo, s26
	v_mov_b32_e32 v130, 0
	ds_load_b64 v[130:131], v130 offset:152
	s_wait_dscnt 0x0
	v_pk_mul_f32 v[132:133], v[128:129], v[130:131] op_sel:[1,1] op_sel_hi:[0,1]
	v_pk_fma_f32 v[134:135], v[128:129], v[130:131], v[132:133] op_sel_hi:[1,0,1]
	v_pk_fma_f32 v[128:129], v[128:129], v[130:131], v[132:133] neg_lo:[0,0,1] neg_hi:[0,0,1]
	s_delay_alu instid0(VALU_DEP_2)
	v_mov_b32_e32 v129, v135
	scratch_store_b64 off, v[128:129], off offset:152
.LBB125_425:
	s_wait_xcnt 0x0
	s_or_b32 exec_lo, exec_lo, s25
	scratch_load_b64 v[128:129], off, off offset:144
	v_cmp_lt_u32_e64 s0, 18, v0
	s_wait_loadcnt 0x0
	ds_store_b64 v1, v[128:129]
	s_wait_storecnt_dscnt 0x0
	s_barrier_signal -1
	s_barrier_wait -1
	s_wait_xcnt 0x0
	s_and_saveexec_b32 s24, s0
	s_cbranch_execz .LBB125_435
; %bb.426:
	s_and_not1_b32 vcc_lo, exec_lo, s3
	s_cbranch_vccnz .LBB125_428
; %bb.427:
	scratch_load_b64 v[128:129], v59, off
	ds_load_b64 v[130:131], v1
	s_wait_loadcnt_dscnt 0x0
	v_pk_mul_f32 v[132:133], v[130:131], v[128:129] op_sel:[1,1] op_sel_hi:[0,1]
	s_delay_alu instid0(VALU_DEP_1) | instskip(SKIP_1) | instid1(VALU_DEP_2)
	v_pk_fma_f32 v[134:135], v[130:131], v[128:129], v[132:133] op_sel_hi:[1,0,1]
	v_pk_fma_f32 v[128:129], v[130:131], v[128:129], v[132:133] neg_lo:[0,0,1] neg_hi:[0,0,1]
	v_mov_b32_e32 v129, v135
	s_cbranch_execz .LBB125_429
	s_branch .LBB125_430
.LBB125_428:
                                        ; implicit-def: $vgpr128_vgpr129
.LBB125_429:
	ds_load_b64 v[128:129], v1
.LBB125_430:
	s_and_saveexec_b32 s25, s1
	s_cbranch_execz .LBB125_434
; %bb.431:
	v_subrev_nc_u32_e32 v130, 19, v0
	s_movk_i32 s26, 0x288
	s_mov_b32 s1, 0
.LBB125_432:                            ; =>This Inner Loop Header: Depth=1
	scratch_load_b64 v[132:133], off, s23
	v_dual_mov_b32 v131, s26 :: v_dual_add_nc_u32 v130, -1, v130
	s_add_co_i32 s26, s26, 8
	s_wait_xcnt 0x0
	s_add_co_i32 s23, s23, 8
	ds_load_b64 v[134:135], v131
	v_cmp_eq_u32_e32 vcc_lo, 0, v130
	s_or_b32 s1, vcc_lo, s1
	s_wait_loadcnt_dscnt 0x0
	v_pk_mul_f32 v[136:137], v[134:135], v[132:133] op_sel:[1,1] op_sel_hi:[0,1]
	s_delay_alu instid0(VALU_DEP_1) | instskip(SKIP_1) | instid1(VALU_DEP_2)
	v_pk_fma_f32 v[138:139], v[134:135], v[132:133], v[136:137] op_sel_hi:[1,0,1]
	v_pk_fma_f32 v[132:133], v[134:135], v[132:133], v[136:137] neg_lo:[0,0,1] neg_hi:[0,0,1]
	v_mov_b32_e32 v133, v139
	s_delay_alu instid0(VALU_DEP_1)
	v_pk_add_f32 v[128:129], v[128:129], v[132:133]
	s_and_not1_b32 exec_lo, exec_lo, s1
	s_cbranch_execnz .LBB125_432
; %bb.433:
	s_or_b32 exec_lo, exec_lo, s1
.LBB125_434:
	s_delay_alu instid0(SALU_CYCLE_1) | instskip(SKIP_4) | instid1(VALU_DEP_1)
	s_or_b32 exec_lo, exec_lo, s25
	v_mov_b32_e32 v130, 0
	ds_load_b64 v[130:131], v130 offset:144
	s_wait_dscnt 0x0
	v_pk_mul_f32 v[132:133], v[128:129], v[130:131] op_sel:[1,1] op_sel_hi:[0,1]
	v_pk_fma_f32 v[134:135], v[128:129], v[130:131], v[132:133] op_sel_hi:[1,0,1]
	v_pk_fma_f32 v[128:129], v[128:129], v[130:131], v[132:133] neg_lo:[0,0,1] neg_hi:[0,0,1]
	s_delay_alu instid0(VALU_DEP_2)
	v_mov_b32_e32 v129, v135
	scratch_store_b64 off, v[128:129], off offset:144
.LBB125_435:
	s_wait_xcnt 0x0
	s_or_b32 exec_lo, exec_lo, s24
	scratch_load_b64 v[128:129], off, off offset:136
	v_cmp_lt_u32_e64 s1, 17, v0
	s_wait_loadcnt 0x0
	ds_store_b64 v1, v[128:129]
	s_wait_storecnt_dscnt 0x0
	s_barrier_signal -1
	s_barrier_wait -1
	s_wait_xcnt 0x0
	s_and_saveexec_b32 s23, s1
	s_cbranch_execz .LBB125_445
; %bb.436:
	s_and_not1_b32 vcc_lo, exec_lo, s3
	s_cbranch_vccnz .LBB125_438
; %bb.437:
	scratch_load_b64 v[128:129], v59, off
	ds_load_b64 v[130:131], v1
	s_wait_loadcnt_dscnt 0x0
	v_pk_mul_f32 v[132:133], v[130:131], v[128:129] op_sel:[1,1] op_sel_hi:[0,1]
	s_delay_alu instid0(VALU_DEP_1) | instskip(SKIP_1) | instid1(VALU_DEP_2)
	v_pk_fma_f32 v[134:135], v[130:131], v[128:129], v[132:133] op_sel_hi:[1,0,1]
	v_pk_fma_f32 v[128:129], v[130:131], v[128:129], v[132:133] neg_lo:[0,0,1] neg_hi:[0,0,1]
	v_mov_b32_e32 v129, v135
	s_cbranch_execz .LBB125_439
	s_branch .LBB125_440
.LBB125_438:
                                        ; implicit-def: $vgpr128_vgpr129
.LBB125_439:
	ds_load_b64 v[128:129], v1
.LBB125_440:
	s_and_saveexec_b32 s24, s0
	s_cbranch_execz .LBB125_444
; %bb.441:
	v_subrev_nc_u32_e32 v130, 18, v0
	s_movk_i32 s25, 0x280
	s_mov_b32 s0, 0
.LBB125_442:                            ; =>This Inner Loop Header: Depth=1
	scratch_load_b64 v[132:133], off, s22
	v_dual_mov_b32 v131, s25 :: v_dual_add_nc_u32 v130, -1, v130
	s_add_co_i32 s25, s25, 8
	s_wait_xcnt 0x0
	s_add_co_i32 s22, s22, 8
	ds_load_b64 v[134:135], v131
	v_cmp_eq_u32_e32 vcc_lo, 0, v130
	s_or_b32 s0, vcc_lo, s0
	s_wait_loadcnt_dscnt 0x0
	v_pk_mul_f32 v[136:137], v[134:135], v[132:133] op_sel:[1,1] op_sel_hi:[0,1]
	s_delay_alu instid0(VALU_DEP_1) | instskip(SKIP_1) | instid1(VALU_DEP_2)
	v_pk_fma_f32 v[138:139], v[134:135], v[132:133], v[136:137] op_sel_hi:[1,0,1]
	v_pk_fma_f32 v[132:133], v[134:135], v[132:133], v[136:137] neg_lo:[0,0,1] neg_hi:[0,0,1]
	v_mov_b32_e32 v133, v139
	s_delay_alu instid0(VALU_DEP_1)
	v_pk_add_f32 v[128:129], v[128:129], v[132:133]
	s_and_not1_b32 exec_lo, exec_lo, s0
	s_cbranch_execnz .LBB125_442
; %bb.443:
	s_or_b32 exec_lo, exec_lo, s0
.LBB125_444:
	s_delay_alu instid0(SALU_CYCLE_1) | instskip(SKIP_4) | instid1(VALU_DEP_1)
	s_or_b32 exec_lo, exec_lo, s24
	v_mov_b32_e32 v130, 0
	ds_load_b64 v[130:131], v130 offset:136
	s_wait_dscnt 0x0
	v_pk_mul_f32 v[132:133], v[128:129], v[130:131] op_sel:[1,1] op_sel_hi:[0,1]
	v_pk_fma_f32 v[134:135], v[128:129], v[130:131], v[132:133] op_sel_hi:[1,0,1]
	v_pk_fma_f32 v[128:129], v[128:129], v[130:131], v[132:133] neg_lo:[0,0,1] neg_hi:[0,0,1]
	s_delay_alu instid0(VALU_DEP_2)
	v_mov_b32_e32 v129, v135
	scratch_store_b64 off, v[128:129], off offset:136
.LBB125_445:
	s_wait_xcnt 0x0
	s_or_b32 exec_lo, exec_lo, s23
	scratch_load_b64 v[128:129], off, off offset:128
	v_cmp_lt_u32_e64 s0, 16, v0
	s_wait_loadcnt 0x0
	ds_store_b64 v1, v[128:129]
	s_wait_storecnt_dscnt 0x0
	s_barrier_signal -1
	s_barrier_wait -1
	s_wait_xcnt 0x0
	s_and_saveexec_b32 s22, s0
	s_cbranch_execz .LBB125_455
; %bb.446:
	s_and_not1_b32 vcc_lo, exec_lo, s3
	s_cbranch_vccnz .LBB125_448
; %bb.447:
	scratch_load_b64 v[128:129], v59, off
	ds_load_b64 v[130:131], v1
	s_wait_loadcnt_dscnt 0x0
	v_pk_mul_f32 v[132:133], v[130:131], v[128:129] op_sel:[1,1] op_sel_hi:[0,1]
	s_delay_alu instid0(VALU_DEP_1) | instskip(SKIP_1) | instid1(VALU_DEP_2)
	v_pk_fma_f32 v[134:135], v[130:131], v[128:129], v[132:133] op_sel_hi:[1,0,1]
	v_pk_fma_f32 v[128:129], v[130:131], v[128:129], v[132:133] neg_lo:[0,0,1] neg_hi:[0,0,1]
	v_mov_b32_e32 v129, v135
	s_cbranch_execz .LBB125_449
	s_branch .LBB125_450
.LBB125_448:
                                        ; implicit-def: $vgpr128_vgpr129
.LBB125_449:
	ds_load_b64 v[128:129], v1
.LBB125_450:
	s_and_saveexec_b32 s23, s1
	s_cbranch_execz .LBB125_454
; %bb.451:
	v_subrev_nc_u32_e32 v130, 17, v0
	s_movk_i32 s24, 0x278
	s_mov_b32 s1, 0
.LBB125_452:                            ; =>This Inner Loop Header: Depth=1
	scratch_load_b64 v[132:133], off, s21
	v_dual_mov_b32 v131, s24 :: v_dual_add_nc_u32 v130, -1, v130
	s_add_co_i32 s24, s24, 8
	s_wait_xcnt 0x0
	s_add_co_i32 s21, s21, 8
	ds_load_b64 v[134:135], v131
	v_cmp_eq_u32_e32 vcc_lo, 0, v130
	s_or_b32 s1, vcc_lo, s1
	s_wait_loadcnt_dscnt 0x0
	v_pk_mul_f32 v[136:137], v[134:135], v[132:133] op_sel:[1,1] op_sel_hi:[0,1]
	s_delay_alu instid0(VALU_DEP_1) | instskip(SKIP_1) | instid1(VALU_DEP_2)
	v_pk_fma_f32 v[138:139], v[134:135], v[132:133], v[136:137] op_sel_hi:[1,0,1]
	v_pk_fma_f32 v[132:133], v[134:135], v[132:133], v[136:137] neg_lo:[0,0,1] neg_hi:[0,0,1]
	v_mov_b32_e32 v133, v139
	s_delay_alu instid0(VALU_DEP_1)
	v_pk_add_f32 v[128:129], v[128:129], v[132:133]
	s_and_not1_b32 exec_lo, exec_lo, s1
	s_cbranch_execnz .LBB125_452
; %bb.453:
	s_or_b32 exec_lo, exec_lo, s1
.LBB125_454:
	s_delay_alu instid0(SALU_CYCLE_1) | instskip(SKIP_4) | instid1(VALU_DEP_1)
	s_or_b32 exec_lo, exec_lo, s23
	v_mov_b32_e32 v130, 0
	ds_load_b64 v[130:131], v130 offset:128
	s_wait_dscnt 0x0
	v_pk_mul_f32 v[132:133], v[128:129], v[130:131] op_sel:[1,1] op_sel_hi:[0,1]
	v_pk_fma_f32 v[134:135], v[128:129], v[130:131], v[132:133] op_sel_hi:[1,0,1]
	v_pk_fma_f32 v[128:129], v[128:129], v[130:131], v[132:133] neg_lo:[0,0,1] neg_hi:[0,0,1]
	s_delay_alu instid0(VALU_DEP_2)
	v_mov_b32_e32 v129, v135
	scratch_store_b64 off, v[128:129], off offset:128
.LBB125_455:
	s_wait_xcnt 0x0
	s_or_b32 exec_lo, exec_lo, s22
	scratch_load_b64 v[128:129], off, off offset:120
	v_cmp_lt_u32_e64 s1, 15, v0
	s_wait_loadcnt 0x0
	ds_store_b64 v1, v[128:129]
	s_wait_storecnt_dscnt 0x0
	s_barrier_signal -1
	s_barrier_wait -1
	s_wait_xcnt 0x0
	s_and_saveexec_b32 s21, s1
	s_cbranch_execz .LBB125_465
; %bb.456:
	s_and_not1_b32 vcc_lo, exec_lo, s3
	s_cbranch_vccnz .LBB125_458
; %bb.457:
	scratch_load_b64 v[128:129], v59, off
	ds_load_b64 v[130:131], v1
	s_wait_loadcnt_dscnt 0x0
	v_pk_mul_f32 v[132:133], v[130:131], v[128:129] op_sel:[1,1] op_sel_hi:[0,1]
	s_delay_alu instid0(VALU_DEP_1) | instskip(SKIP_1) | instid1(VALU_DEP_2)
	v_pk_fma_f32 v[134:135], v[130:131], v[128:129], v[132:133] op_sel_hi:[1,0,1]
	v_pk_fma_f32 v[128:129], v[130:131], v[128:129], v[132:133] neg_lo:[0,0,1] neg_hi:[0,0,1]
	v_mov_b32_e32 v129, v135
	s_cbranch_execz .LBB125_459
	s_branch .LBB125_460
.LBB125_458:
                                        ; implicit-def: $vgpr128_vgpr129
.LBB125_459:
	ds_load_b64 v[128:129], v1
.LBB125_460:
	s_and_saveexec_b32 s22, s0
	s_cbranch_execz .LBB125_464
; %bb.461:
	v_add_nc_u32_e32 v130, -16, v0
	s_movk_i32 s23, 0x270
	s_mov_b32 s0, 0
.LBB125_462:                            ; =>This Inner Loop Header: Depth=1
	scratch_load_b64 v[132:133], off, s20
	v_dual_mov_b32 v131, s23 :: v_dual_add_nc_u32 v130, -1, v130
	s_add_co_i32 s23, s23, 8
	s_wait_xcnt 0x0
	s_add_co_i32 s20, s20, 8
	ds_load_b64 v[134:135], v131
	v_cmp_eq_u32_e32 vcc_lo, 0, v130
	s_or_b32 s0, vcc_lo, s0
	s_wait_loadcnt_dscnt 0x0
	v_pk_mul_f32 v[136:137], v[134:135], v[132:133] op_sel:[1,1] op_sel_hi:[0,1]
	s_delay_alu instid0(VALU_DEP_1) | instskip(SKIP_1) | instid1(VALU_DEP_2)
	v_pk_fma_f32 v[138:139], v[134:135], v[132:133], v[136:137] op_sel_hi:[1,0,1]
	v_pk_fma_f32 v[132:133], v[134:135], v[132:133], v[136:137] neg_lo:[0,0,1] neg_hi:[0,0,1]
	v_mov_b32_e32 v133, v139
	s_delay_alu instid0(VALU_DEP_1)
	v_pk_add_f32 v[128:129], v[128:129], v[132:133]
	s_and_not1_b32 exec_lo, exec_lo, s0
	s_cbranch_execnz .LBB125_462
; %bb.463:
	s_or_b32 exec_lo, exec_lo, s0
.LBB125_464:
	s_delay_alu instid0(SALU_CYCLE_1) | instskip(SKIP_4) | instid1(VALU_DEP_1)
	s_or_b32 exec_lo, exec_lo, s22
	v_mov_b32_e32 v130, 0
	ds_load_b64 v[130:131], v130 offset:120
	s_wait_dscnt 0x0
	v_pk_mul_f32 v[132:133], v[128:129], v[130:131] op_sel:[1,1] op_sel_hi:[0,1]
	v_pk_fma_f32 v[134:135], v[128:129], v[130:131], v[132:133] op_sel_hi:[1,0,1]
	v_pk_fma_f32 v[128:129], v[128:129], v[130:131], v[132:133] neg_lo:[0,0,1] neg_hi:[0,0,1]
	s_delay_alu instid0(VALU_DEP_2)
	v_mov_b32_e32 v129, v135
	scratch_store_b64 off, v[128:129], off offset:120
.LBB125_465:
	s_wait_xcnt 0x0
	s_or_b32 exec_lo, exec_lo, s21
	scratch_load_b64 v[128:129], off, off offset:112
	v_cmp_lt_u32_e64 s0, 14, v0
	s_wait_loadcnt 0x0
	ds_store_b64 v1, v[128:129]
	s_wait_storecnt_dscnt 0x0
	s_barrier_signal -1
	s_barrier_wait -1
	s_wait_xcnt 0x0
	s_and_saveexec_b32 s20, s0
	s_cbranch_execz .LBB125_475
; %bb.466:
	s_and_not1_b32 vcc_lo, exec_lo, s3
	s_cbranch_vccnz .LBB125_468
; %bb.467:
	scratch_load_b64 v[128:129], v59, off
	ds_load_b64 v[130:131], v1
	s_wait_loadcnt_dscnt 0x0
	v_pk_mul_f32 v[132:133], v[130:131], v[128:129] op_sel:[1,1] op_sel_hi:[0,1]
	s_delay_alu instid0(VALU_DEP_1) | instskip(SKIP_1) | instid1(VALU_DEP_2)
	v_pk_fma_f32 v[134:135], v[130:131], v[128:129], v[132:133] op_sel_hi:[1,0,1]
	v_pk_fma_f32 v[128:129], v[130:131], v[128:129], v[132:133] neg_lo:[0,0,1] neg_hi:[0,0,1]
	v_mov_b32_e32 v129, v135
	s_cbranch_execz .LBB125_469
	s_branch .LBB125_470
.LBB125_468:
                                        ; implicit-def: $vgpr128_vgpr129
.LBB125_469:
	ds_load_b64 v[128:129], v1
.LBB125_470:
	s_and_saveexec_b32 s21, s1
	s_cbranch_execz .LBB125_474
; %bb.471:
	v_add_nc_u32_e32 v130, -15, v0
	s_movk_i32 s22, 0x268
	s_mov_b32 s1, 0
.LBB125_472:                            ; =>This Inner Loop Header: Depth=1
	scratch_load_b64 v[132:133], off, s19
	v_dual_mov_b32 v131, s22 :: v_dual_add_nc_u32 v130, -1, v130
	s_add_co_i32 s22, s22, 8
	s_wait_xcnt 0x0
	s_add_co_i32 s19, s19, 8
	ds_load_b64 v[134:135], v131
	v_cmp_eq_u32_e32 vcc_lo, 0, v130
	s_or_b32 s1, vcc_lo, s1
	s_wait_loadcnt_dscnt 0x0
	v_pk_mul_f32 v[136:137], v[134:135], v[132:133] op_sel:[1,1] op_sel_hi:[0,1]
	s_delay_alu instid0(VALU_DEP_1) | instskip(SKIP_1) | instid1(VALU_DEP_2)
	v_pk_fma_f32 v[138:139], v[134:135], v[132:133], v[136:137] op_sel_hi:[1,0,1]
	v_pk_fma_f32 v[132:133], v[134:135], v[132:133], v[136:137] neg_lo:[0,0,1] neg_hi:[0,0,1]
	v_mov_b32_e32 v133, v139
	s_delay_alu instid0(VALU_DEP_1)
	v_pk_add_f32 v[128:129], v[128:129], v[132:133]
	s_and_not1_b32 exec_lo, exec_lo, s1
	s_cbranch_execnz .LBB125_472
; %bb.473:
	s_or_b32 exec_lo, exec_lo, s1
.LBB125_474:
	s_delay_alu instid0(SALU_CYCLE_1) | instskip(SKIP_4) | instid1(VALU_DEP_1)
	s_or_b32 exec_lo, exec_lo, s21
	v_mov_b32_e32 v130, 0
	ds_load_b64 v[130:131], v130 offset:112
	s_wait_dscnt 0x0
	v_pk_mul_f32 v[132:133], v[128:129], v[130:131] op_sel:[1,1] op_sel_hi:[0,1]
	v_pk_fma_f32 v[134:135], v[128:129], v[130:131], v[132:133] op_sel_hi:[1,0,1]
	v_pk_fma_f32 v[128:129], v[128:129], v[130:131], v[132:133] neg_lo:[0,0,1] neg_hi:[0,0,1]
	s_delay_alu instid0(VALU_DEP_2)
	v_mov_b32_e32 v129, v135
	scratch_store_b64 off, v[128:129], off offset:112
.LBB125_475:
	s_wait_xcnt 0x0
	s_or_b32 exec_lo, exec_lo, s20
	scratch_load_b64 v[128:129], off, off offset:104
	v_cmp_lt_u32_e64 s1, 13, v0
	s_wait_loadcnt 0x0
	ds_store_b64 v1, v[128:129]
	s_wait_storecnt_dscnt 0x0
	s_barrier_signal -1
	s_barrier_wait -1
	s_wait_xcnt 0x0
	s_and_saveexec_b32 s19, s1
	s_cbranch_execz .LBB125_485
; %bb.476:
	s_and_not1_b32 vcc_lo, exec_lo, s3
	s_cbranch_vccnz .LBB125_478
; %bb.477:
	scratch_load_b64 v[128:129], v59, off
	ds_load_b64 v[130:131], v1
	s_wait_loadcnt_dscnt 0x0
	v_pk_mul_f32 v[132:133], v[130:131], v[128:129] op_sel:[1,1] op_sel_hi:[0,1]
	s_delay_alu instid0(VALU_DEP_1) | instskip(SKIP_1) | instid1(VALU_DEP_2)
	v_pk_fma_f32 v[134:135], v[130:131], v[128:129], v[132:133] op_sel_hi:[1,0,1]
	v_pk_fma_f32 v[128:129], v[130:131], v[128:129], v[132:133] neg_lo:[0,0,1] neg_hi:[0,0,1]
	v_mov_b32_e32 v129, v135
	s_cbranch_execz .LBB125_479
	s_branch .LBB125_480
.LBB125_478:
                                        ; implicit-def: $vgpr128_vgpr129
.LBB125_479:
	ds_load_b64 v[128:129], v1
.LBB125_480:
	s_and_saveexec_b32 s20, s0
	s_cbranch_execz .LBB125_484
; %bb.481:
	v_add_nc_u32_e32 v130, -14, v0
	s_movk_i32 s21, 0x260
	s_mov_b32 s0, 0
.LBB125_482:                            ; =>This Inner Loop Header: Depth=1
	scratch_load_b64 v[132:133], off, s18
	v_dual_mov_b32 v131, s21 :: v_dual_add_nc_u32 v130, -1, v130
	s_add_co_i32 s21, s21, 8
	s_wait_xcnt 0x0
	s_add_co_i32 s18, s18, 8
	ds_load_b64 v[134:135], v131
	v_cmp_eq_u32_e32 vcc_lo, 0, v130
	s_or_b32 s0, vcc_lo, s0
	s_wait_loadcnt_dscnt 0x0
	v_pk_mul_f32 v[136:137], v[134:135], v[132:133] op_sel:[1,1] op_sel_hi:[0,1]
	s_delay_alu instid0(VALU_DEP_1) | instskip(SKIP_1) | instid1(VALU_DEP_2)
	v_pk_fma_f32 v[138:139], v[134:135], v[132:133], v[136:137] op_sel_hi:[1,0,1]
	v_pk_fma_f32 v[132:133], v[134:135], v[132:133], v[136:137] neg_lo:[0,0,1] neg_hi:[0,0,1]
	v_mov_b32_e32 v133, v139
	s_delay_alu instid0(VALU_DEP_1)
	v_pk_add_f32 v[128:129], v[128:129], v[132:133]
	s_and_not1_b32 exec_lo, exec_lo, s0
	s_cbranch_execnz .LBB125_482
; %bb.483:
	s_or_b32 exec_lo, exec_lo, s0
.LBB125_484:
	s_delay_alu instid0(SALU_CYCLE_1) | instskip(SKIP_4) | instid1(VALU_DEP_1)
	s_or_b32 exec_lo, exec_lo, s20
	v_mov_b32_e32 v130, 0
	ds_load_b64 v[130:131], v130 offset:104
	s_wait_dscnt 0x0
	v_pk_mul_f32 v[132:133], v[128:129], v[130:131] op_sel:[1,1] op_sel_hi:[0,1]
	v_pk_fma_f32 v[134:135], v[128:129], v[130:131], v[132:133] op_sel_hi:[1,0,1]
	v_pk_fma_f32 v[128:129], v[128:129], v[130:131], v[132:133] neg_lo:[0,0,1] neg_hi:[0,0,1]
	s_delay_alu instid0(VALU_DEP_2)
	v_mov_b32_e32 v129, v135
	scratch_store_b64 off, v[128:129], off offset:104
.LBB125_485:
	s_wait_xcnt 0x0
	s_or_b32 exec_lo, exec_lo, s19
	scratch_load_b64 v[128:129], off, off offset:96
	v_cmp_lt_u32_e64 s0, 12, v0
	s_wait_loadcnt 0x0
	ds_store_b64 v1, v[128:129]
	s_wait_storecnt_dscnt 0x0
	s_barrier_signal -1
	s_barrier_wait -1
	s_wait_xcnt 0x0
	s_and_saveexec_b32 s18, s0
	s_cbranch_execz .LBB125_495
; %bb.486:
	s_and_not1_b32 vcc_lo, exec_lo, s3
	s_cbranch_vccnz .LBB125_488
; %bb.487:
	scratch_load_b64 v[128:129], v59, off
	ds_load_b64 v[130:131], v1
	s_wait_loadcnt_dscnt 0x0
	v_pk_mul_f32 v[132:133], v[130:131], v[128:129] op_sel:[1,1] op_sel_hi:[0,1]
	s_delay_alu instid0(VALU_DEP_1) | instskip(SKIP_1) | instid1(VALU_DEP_2)
	v_pk_fma_f32 v[134:135], v[130:131], v[128:129], v[132:133] op_sel_hi:[1,0,1]
	v_pk_fma_f32 v[128:129], v[130:131], v[128:129], v[132:133] neg_lo:[0,0,1] neg_hi:[0,0,1]
	v_mov_b32_e32 v129, v135
	s_cbranch_execz .LBB125_489
	s_branch .LBB125_490
.LBB125_488:
                                        ; implicit-def: $vgpr128_vgpr129
.LBB125_489:
	ds_load_b64 v[128:129], v1
.LBB125_490:
	s_and_saveexec_b32 s19, s1
	s_cbranch_execz .LBB125_494
; %bb.491:
	v_add_nc_u32_e32 v130, -13, v0
	s_movk_i32 s20, 0x258
	s_mov_b32 s1, 0
.LBB125_492:                            ; =>This Inner Loop Header: Depth=1
	scratch_load_b64 v[132:133], off, s17
	v_dual_mov_b32 v131, s20 :: v_dual_add_nc_u32 v130, -1, v130
	s_add_co_i32 s20, s20, 8
	s_wait_xcnt 0x0
	s_add_co_i32 s17, s17, 8
	ds_load_b64 v[134:135], v131
	v_cmp_eq_u32_e32 vcc_lo, 0, v130
	s_or_b32 s1, vcc_lo, s1
	s_wait_loadcnt_dscnt 0x0
	v_pk_mul_f32 v[136:137], v[134:135], v[132:133] op_sel:[1,1] op_sel_hi:[0,1]
	s_delay_alu instid0(VALU_DEP_1) | instskip(SKIP_1) | instid1(VALU_DEP_2)
	v_pk_fma_f32 v[138:139], v[134:135], v[132:133], v[136:137] op_sel_hi:[1,0,1]
	v_pk_fma_f32 v[132:133], v[134:135], v[132:133], v[136:137] neg_lo:[0,0,1] neg_hi:[0,0,1]
	v_mov_b32_e32 v133, v139
	s_delay_alu instid0(VALU_DEP_1)
	v_pk_add_f32 v[128:129], v[128:129], v[132:133]
	s_and_not1_b32 exec_lo, exec_lo, s1
	s_cbranch_execnz .LBB125_492
; %bb.493:
	s_or_b32 exec_lo, exec_lo, s1
.LBB125_494:
	s_delay_alu instid0(SALU_CYCLE_1) | instskip(SKIP_4) | instid1(VALU_DEP_1)
	s_or_b32 exec_lo, exec_lo, s19
	v_mov_b32_e32 v130, 0
	ds_load_b64 v[130:131], v130 offset:96
	s_wait_dscnt 0x0
	v_pk_mul_f32 v[132:133], v[128:129], v[130:131] op_sel:[1,1] op_sel_hi:[0,1]
	v_pk_fma_f32 v[134:135], v[128:129], v[130:131], v[132:133] op_sel_hi:[1,0,1]
	v_pk_fma_f32 v[128:129], v[128:129], v[130:131], v[132:133] neg_lo:[0,0,1] neg_hi:[0,0,1]
	s_delay_alu instid0(VALU_DEP_2)
	v_mov_b32_e32 v129, v135
	scratch_store_b64 off, v[128:129], off offset:96
.LBB125_495:
	s_wait_xcnt 0x0
	s_or_b32 exec_lo, exec_lo, s18
	scratch_load_b64 v[128:129], off, off offset:88
	v_cmp_lt_u32_e64 s1, 11, v0
	s_wait_loadcnt 0x0
	ds_store_b64 v1, v[128:129]
	s_wait_storecnt_dscnt 0x0
	s_barrier_signal -1
	s_barrier_wait -1
	s_wait_xcnt 0x0
	s_and_saveexec_b32 s17, s1
	s_cbranch_execz .LBB125_505
; %bb.496:
	s_and_not1_b32 vcc_lo, exec_lo, s3
	s_cbranch_vccnz .LBB125_498
; %bb.497:
	scratch_load_b64 v[128:129], v59, off
	ds_load_b64 v[130:131], v1
	s_wait_loadcnt_dscnt 0x0
	v_pk_mul_f32 v[132:133], v[130:131], v[128:129] op_sel:[1,1] op_sel_hi:[0,1]
	s_delay_alu instid0(VALU_DEP_1) | instskip(SKIP_1) | instid1(VALU_DEP_2)
	v_pk_fma_f32 v[134:135], v[130:131], v[128:129], v[132:133] op_sel_hi:[1,0,1]
	v_pk_fma_f32 v[128:129], v[130:131], v[128:129], v[132:133] neg_lo:[0,0,1] neg_hi:[0,0,1]
	v_mov_b32_e32 v129, v135
	s_cbranch_execz .LBB125_499
	s_branch .LBB125_500
.LBB125_498:
                                        ; implicit-def: $vgpr128_vgpr129
.LBB125_499:
	ds_load_b64 v[128:129], v1
.LBB125_500:
	s_and_saveexec_b32 s18, s0
	s_cbranch_execz .LBB125_504
; %bb.501:
	v_add_nc_u32_e32 v130, -12, v0
	s_movk_i32 s19, 0x250
	s_mov_b32 s0, 0
.LBB125_502:                            ; =>This Inner Loop Header: Depth=1
	scratch_load_b64 v[132:133], off, s16
	v_dual_mov_b32 v131, s19 :: v_dual_add_nc_u32 v130, -1, v130
	s_add_co_i32 s19, s19, 8
	s_wait_xcnt 0x0
	s_add_co_i32 s16, s16, 8
	ds_load_b64 v[134:135], v131
	v_cmp_eq_u32_e32 vcc_lo, 0, v130
	s_or_b32 s0, vcc_lo, s0
	s_wait_loadcnt_dscnt 0x0
	v_pk_mul_f32 v[136:137], v[134:135], v[132:133] op_sel:[1,1] op_sel_hi:[0,1]
	s_delay_alu instid0(VALU_DEP_1) | instskip(SKIP_1) | instid1(VALU_DEP_2)
	v_pk_fma_f32 v[138:139], v[134:135], v[132:133], v[136:137] op_sel_hi:[1,0,1]
	v_pk_fma_f32 v[132:133], v[134:135], v[132:133], v[136:137] neg_lo:[0,0,1] neg_hi:[0,0,1]
	v_mov_b32_e32 v133, v139
	s_delay_alu instid0(VALU_DEP_1)
	v_pk_add_f32 v[128:129], v[128:129], v[132:133]
	s_and_not1_b32 exec_lo, exec_lo, s0
	s_cbranch_execnz .LBB125_502
; %bb.503:
	s_or_b32 exec_lo, exec_lo, s0
.LBB125_504:
	s_delay_alu instid0(SALU_CYCLE_1) | instskip(SKIP_4) | instid1(VALU_DEP_1)
	s_or_b32 exec_lo, exec_lo, s18
	v_mov_b32_e32 v130, 0
	ds_load_b64 v[130:131], v130 offset:88
	s_wait_dscnt 0x0
	v_pk_mul_f32 v[132:133], v[128:129], v[130:131] op_sel:[1,1] op_sel_hi:[0,1]
	v_pk_fma_f32 v[134:135], v[128:129], v[130:131], v[132:133] op_sel_hi:[1,0,1]
	v_pk_fma_f32 v[128:129], v[128:129], v[130:131], v[132:133] neg_lo:[0,0,1] neg_hi:[0,0,1]
	s_delay_alu instid0(VALU_DEP_2)
	v_mov_b32_e32 v129, v135
	scratch_store_b64 off, v[128:129], off offset:88
.LBB125_505:
	s_wait_xcnt 0x0
	s_or_b32 exec_lo, exec_lo, s17
	scratch_load_b64 v[128:129], off, off offset:80
	v_cmp_lt_u32_e64 s0, 10, v0
	s_wait_loadcnt 0x0
	ds_store_b64 v1, v[128:129]
	s_wait_storecnt_dscnt 0x0
	s_barrier_signal -1
	s_barrier_wait -1
	s_wait_xcnt 0x0
	s_and_saveexec_b32 s16, s0
	s_cbranch_execz .LBB125_515
; %bb.506:
	s_and_not1_b32 vcc_lo, exec_lo, s3
	s_cbranch_vccnz .LBB125_508
; %bb.507:
	scratch_load_b64 v[128:129], v59, off
	ds_load_b64 v[130:131], v1
	s_wait_loadcnt_dscnt 0x0
	v_pk_mul_f32 v[132:133], v[130:131], v[128:129] op_sel:[1,1] op_sel_hi:[0,1]
	s_delay_alu instid0(VALU_DEP_1) | instskip(SKIP_1) | instid1(VALU_DEP_2)
	v_pk_fma_f32 v[134:135], v[130:131], v[128:129], v[132:133] op_sel_hi:[1,0,1]
	v_pk_fma_f32 v[128:129], v[130:131], v[128:129], v[132:133] neg_lo:[0,0,1] neg_hi:[0,0,1]
	v_mov_b32_e32 v129, v135
	s_cbranch_execz .LBB125_509
	s_branch .LBB125_510
.LBB125_508:
                                        ; implicit-def: $vgpr128_vgpr129
.LBB125_509:
	ds_load_b64 v[128:129], v1
.LBB125_510:
	s_and_saveexec_b32 s17, s1
	s_cbranch_execz .LBB125_514
; %bb.511:
	v_add_nc_u32_e32 v130, -11, v0
	s_movk_i32 s18, 0x248
	s_mov_b32 s1, 0
.LBB125_512:                            ; =>This Inner Loop Header: Depth=1
	scratch_load_b64 v[132:133], off, s15
	v_dual_mov_b32 v131, s18 :: v_dual_add_nc_u32 v130, -1, v130
	s_add_co_i32 s18, s18, 8
	s_wait_xcnt 0x0
	s_add_co_i32 s15, s15, 8
	ds_load_b64 v[134:135], v131
	v_cmp_eq_u32_e32 vcc_lo, 0, v130
	s_or_b32 s1, vcc_lo, s1
	s_wait_loadcnt_dscnt 0x0
	v_pk_mul_f32 v[136:137], v[134:135], v[132:133] op_sel:[1,1] op_sel_hi:[0,1]
	s_delay_alu instid0(VALU_DEP_1) | instskip(SKIP_1) | instid1(VALU_DEP_2)
	v_pk_fma_f32 v[138:139], v[134:135], v[132:133], v[136:137] op_sel_hi:[1,0,1]
	v_pk_fma_f32 v[132:133], v[134:135], v[132:133], v[136:137] neg_lo:[0,0,1] neg_hi:[0,0,1]
	v_mov_b32_e32 v133, v139
	s_delay_alu instid0(VALU_DEP_1)
	v_pk_add_f32 v[128:129], v[128:129], v[132:133]
	s_and_not1_b32 exec_lo, exec_lo, s1
	s_cbranch_execnz .LBB125_512
; %bb.513:
	s_or_b32 exec_lo, exec_lo, s1
.LBB125_514:
	s_delay_alu instid0(SALU_CYCLE_1) | instskip(SKIP_4) | instid1(VALU_DEP_1)
	s_or_b32 exec_lo, exec_lo, s17
	v_mov_b32_e32 v130, 0
	ds_load_b64 v[130:131], v130 offset:80
	s_wait_dscnt 0x0
	v_pk_mul_f32 v[132:133], v[128:129], v[130:131] op_sel:[1,1] op_sel_hi:[0,1]
	v_pk_fma_f32 v[134:135], v[128:129], v[130:131], v[132:133] op_sel_hi:[1,0,1]
	v_pk_fma_f32 v[128:129], v[128:129], v[130:131], v[132:133] neg_lo:[0,0,1] neg_hi:[0,0,1]
	s_delay_alu instid0(VALU_DEP_2)
	v_mov_b32_e32 v129, v135
	scratch_store_b64 off, v[128:129], off offset:80
.LBB125_515:
	s_wait_xcnt 0x0
	s_or_b32 exec_lo, exec_lo, s16
	scratch_load_b64 v[128:129], off, off offset:72
	v_cmp_lt_u32_e64 s1, 9, v0
	s_wait_loadcnt 0x0
	ds_store_b64 v1, v[128:129]
	s_wait_storecnt_dscnt 0x0
	s_barrier_signal -1
	s_barrier_wait -1
	s_wait_xcnt 0x0
	s_and_saveexec_b32 s15, s1
	s_cbranch_execz .LBB125_525
; %bb.516:
	s_and_not1_b32 vcc_lo, exec_lo, s3
	s_cbranch_vccnz .LBB125_518
; %bb.517:
	scratch_load_b64 v[128:129], v59, off
	ds_load_b64 v[130:131], v1
	s_wait_loadcnt_dscnt 0x0
	v_pk_mul_f32 v[132:133], v[130:131], v[128:129] op_sel:[1,1] op_sel_hi:[0,1]
	s_delay_alu instid0(VALU_DEP_1) | instskip(SKIP_1) | instid1(VALU_DEP_2)
	v_pk_fma_f32 v[134:135], v[130:131], v[128:129], v[132:133] op_sel_hi:[1,0,1]
	v_pk_fma_f32 v[128:129], v[130:131], v[128:129], v[132:133] neg_lo:[0,0,1] neg_hi:[0,0,1]
	v_mov_b32_e32 v129, v135
	s_cbranch_execz .LBB125_519
	s_branch .LBB125_520
.LBB125_518:
                                        ; implicit-def: $vgpr128_vgpr129
.LBB125_519:
	ds_load_b64 v[128:129], v1
.LBB125_520:
	s_and_saveexec_b32 s16, s0
	s_cbranch_execz .LBB125_524
; %bb.521:
	v_add_nc_u32_e32 v130, -10, v0
	s_movk_i32 s17, 0x240
	s_mov_b32 s0, 0
.LBB125_522:                            ; =>This Inner Loop Header: Depth=1
	scratch_load_b64 v[132:133], off, s14
	v_dual_mov_b32 v131, s17 :: v_dual_add_nc_u32 v130, -1, v130
	s_add_co_i32 s17, s17, 8
	s_wait_xcnt 0x0
	s_add_co_i32 s14, s14, 8
	ds_load_b64 v[134:135], v131
	v_cmp_eq_u32_e32 vcc_lo, 0, v130
	s_or_b32 s0, vcc_lo, s0
	s_wait_loadcnt_dscnt 0x0
	v_pk_mul_f32 v[136:137], v[134:135], v[132:133] op_sel:[1,1] op_sel_hi:[0,1]
	s_delay_alu instid0(VALU_DEP_1) | instskip(SKIP_1) | instid1(VALU_DEP_2)
	v_pk_fma_f32 v[138:139], v[134:135], v[132:133], v[136:137] op_sel_hi:[1,0,1]
	v_pk_fma_f32 v[132:133], v[134:135], v[132:133], v[136:137] neg_lo:[0,0,1] neg_hi:[0,0,1]
	v_mov_b32_e32 v133, v139
	s_delay_alu instid0(VALU_DEP_1)
	v_pk_add_f32 v[128:129], v[128:129], v[132:133]
	s_and_not1_b32 exec_lo, exec_lo, s0
	s_cbranch_execnz .LBB125_522
; %bb.523:
	s_or_b32 exec_lo, exec_lo, s0
.LBB125_524:
	s_delay_alu instid0(SALU_CYCLE_1) | instskip(SKIP_4) | instid1(VALU_DEP_1)
	s_or_b32 exec_lo, exec_lo, s16
	v_mov_b32_e32 v130, 0
	ds_load_b64 v[130:131], v130 offset:72
	s_wait_dscnt 0x0
	v_pk_mul_f32 v[132:133], v[128:129], v[130:131] op_sel:[1,1] op_sel_hi:[0,1]
	v_pk_fma_f32 v[134:135], v[128:129], v[130:131], v[132:133] op_sel_hi:[1,0,1]
	v_pk_fma_f32 v[128:129], v[128:129], v[130:131], v[132:133] neg_lo:[0,0,1] neg_hi:[0,0,1]
	s_delay_alu instid0(VALU_DEP_2)
	v_mov_b32_e32 v129, v135
	scratch_store_b64 off, v[128:129], off offset:72
.LBB125_525:
	s_wait_xcnt 0x0
	s_or_b32 exec_lo, exec_lo, s15
	scratch_load_b64 v[128:129], off, off offset:64
	v_cmp_lt_u32_e64 s0, 8, v0
	s_wait_loadcnt 0x0
	ds_store_b64 v1, v[128:129]
	s_wait_storecnt_dscnt 0x0
	s_barrier_signal -1
	s_barrier_wait -1
	s_wait_xcnt 0x0
	s_and_saveexec_b32 s14, s0
	s_cbranch_execz .LBB125_535
; %bb.526:
	s_and_not1_b32 vcc_lo, exec_lo, s3
	s_cbranch_vccnz .LBB125_528
; %bb.527:
	scratch_load_b64 v[128:129], v59, off
	ds_load_b64 v[130:131], v1
	s_wait_loadcnt_dscnt 0x0
	v_pk_mul_f32 v[132:133], v[130:131], v[128:129] op_sel:[1,1] op_sel_hi:[0,1]
	s_delay_alu instid0(VALU_DEP_1) | instskip(SKIP_1) | instid1(VALU_DEP_2)
	v_pk_fma_f32 v[134:135], v[130:131], v[128:129], v[132:133] op_sel_hi:[1,0,1]
	v_pk_fma_f32 v[128:129], v[130:131], v[128:129], v[132:133] neg_lo:[0,0,1] neg_hi:[0,0,1]
	v_mov_b32_e32 v129, v135
	s_cbranch_execz .LBB125_529
	s_branch .LBB125_530
.LBB125_528:
                                        ; implicit-def: $vgpr128_vgpr129
.LBB125_529:
	ds_load_b64 v[128:129], v1
.LBB125_530:
	s_and_saveexec_b32 s15, s1
	s_cbranch_execz .LBB125_534
; %bb.531:
	v_add_nc_u32_e32 v130, -9, v0
	s_movk_i32 s16, 0x238
	s_mov_b32 s1, 0
.LBB125_532:                            ; =>This Inner Loop Header: Depth=1
	scratch_load_b64 v[132:133], off, s13
	v_dual_mov_b32 v131, s16 :: v_dual_add_nc_u32 v130, -1, v130
	s_add_co_i32 s16, s16, 8
	s_wait_xcnt 0x0
	s_add_co_i32 s13, s13, 8
	ds_load_b64 v[134:135], v131
	v_cmp_eq_u32_e32 vcc_lo, 0, v130
	s_or_b32 s1, vcc_lo, s1
	s_wait_loadcnt_dscnt 0x0
	v_pk_mul_f32 v[136:137], v[134:135], v[132:133] op_sel:[1,1] op_sel_hi:[0,1]
	s_delay_alu instid0(VALU_DEP_1) | instskip(SKIP_1) | instid1(VALU_DEP_2)
	v_pk_fma_f32 v[138:139], v[134:135], v[132:133], v[136:137] op_sel_hi:[1,0,1]
	v_pk_fma_f32 v[132:133], v[134:135], v[132:133], v[136:137] neg_lo:[0,0,1] neg_hi:[0,0,1]
	v_mov_b32_e32 v133, v139
	s_delay_alu instid0(VALU_DEP_1)
	v_pk_add_f32 v[128:129], v[128:129], v[132:133]
	s_and_not1_b32 exec_lo, exec_lo, s1
	s_cbranch_execnz .LBB125_532
; %bb.533:
	s_or_b32 exec_lo, exec_lo, s1
.LBB125_534:
	s_delay_alu instid0(SALU_CYCLE_1) | instskip(SKIP_4) | instid1(VALU_DEP_1)
	s_or_b32 exec_lo, exec_lo, s15
	v_mov_b32_e32 v130, 0
	ds_load_b64 v[130:131], v130 offset:64
	s_wait_dscnt 0x0
	v_pk_mul_f32 v[132:133], v[128:129], v[130:131] op_sel:[1,1] op_sel_hi:[0,1]
	v_pk_fma_f32 v[134:135], v[128:129], v[130:131], v[132:133] op_sel_hi:[1,0,1]
	v_pk_fma_f32 v[128:129], v[128:129], v[130:131], v[132:133] neg_lo:[0,0,1] neg_hi:[0,0,1]
	s_delay_alu instid0(VALU_DEP_2)
	v_mov_b32_e32 v129, v135
	scratch_store_b64 off, v[128:129], off offset:64
.LBB125_535:
	s_wait_xcnt 0x0
	s_or_b32 exec_lo, exec_lo, s14
	scratch_load_b64 v[128:129], off, off offset:56
	v_cmp_lt_u32_e64 s1, 7, v0
	s_wait_loadcnt 0x0
	ds_store_b64 v1, v[128:129]
	s_wait_storecnt_dscnt 0x0
	s_barrier_signal -1
	s_barrier_wait -1
	s_wait_xcnt 0x0
	s_and_saveexec_b32 s13, s1
	s_cbranch_execz .LBB125_545
; %bb.536:
	s_and_not1_b32 vcc_lo, exec_lo, s3
	s_cbranch_vccnz .LBB125_538
; %bb.537:
	scratch_load_b64 v[128:129], v59, off
	ds_load_b64 v[130:131], v1
	s_wait_loadcnt_dscnt 0x0
	v_pk_mul_f32 v[132:133], v[130:131], v[128:129] op_sel:[1,1] op_sel_hi:[0,1]
	s_delay_alu instid0(VALU_DEP_1) | instskip(SKIP_1) | instid1(VALU_DEP_2)
	v_pk_fma_f32 v[134:135], v[130:131], v[128:129], v[132:133] op_sel_hi:[1,0,1]
	v_pk_fma_f32 v[128:129], v[130:131], v[128:129], v[132:133] neg_lo:[0,0,1] neg_hi:[0,0,1]
	v_mov_b32_e32 v129, v135
	s_cbranch_execz .LBB125_539
	s_branch .LBB125_540
.LBB125_538:
                                        ; implicit-def: $vgpr128_vgpr129
.LBB125_539:
	ds_load_b64 v[128:129], v1
.LBB125_540:
	s_and_saveexec_b32 s14, s0
	s_cbranch_execz .LBB125_544
; %bb.541:
	v_add_nc_u32_e32 v130, -8, v0
	s_movk_i32 s15, 0x230
	s_mov_b32 s0, 0
.LBB125_542:                            ; =>This Inner Loop Header: Depth=1
	scratch_load_b64 v[132:133], off, s12
	v_dual_mov_b32 v131, s15 :: v_dual_add_nc_u32 v130, -1, v130
	s_add_co_i32 s15, s15, 8
	s_wait_xcnt 0x0
	s_add_co_i32 s12, s12, 8
	ds_load_b64 v[134:135], v131
	v_cmp_eq_u32_e32 vcc_lo, 0, v130
	s_or_b32 s0, vcc_lo, s0
	s_wait_loadcnt_dscnt 0x0
	v_pk_mul_f32 v[136:137], v[134:135], v[132:133] op_sel:[1,1] op_sel_hi:[0,1]
	s_delay_alu instid0(VALU_DEP_1) | instskip(SKIP_1) | instid1(VALU_DEP_2)
	v_pk_fma_f32 v[138:139], v[134:135], v[132:133], v[136:137] op_sel_hi:[1,0,1]
	v_pk_fma_f32 v[132:133], v[134:135], v[132:133], v[136:137] neg_lo:[0,0,1] neg_hi:[0,0,1]
	v_mov_b32_e32 v133, v139
	s_delay_alu instid0(VALU_DEP_1)
	v_pk_add_f32 v[128:129], v[128:129], v[132:133]
	s_and_not1_b32 exec_lo, exec_lo, s0
	s_cbranch_execnz .LBB125_542
; %bb.543:
	s_or_b32 exec_lo, exec_lo, s0
.LBB125_544:
	s_delay_alu instid0(SALU_CYCLE_1) | instskip(SKIP_4) | instid1(VALU_DEP_1)
	s_or_b32 exec_lo, exec_lo, s14
	v_mov_b32_e32 v130, 0
	ds_load_b64 v[130:131], v130 offset:56
	s_wait_dscnt 0x0
	v_pk_mul_f32 v[132:133], v[128:129], v[130:131] op_sel:[1,1] op_sel_hi:[0,1]
	v_pk_fma_f32 v[134:135], v[128:129], v[130:131], v[132:133] op_sel_hi:[1,0,1]
	v_pk_fma_f32 v[128:129], v[128:129], v[130:131], v[132:133] neg_lo:[0,0,1] neg_hi:[0,0,1]
	s_delay_alu instid0(VALU_DEP_2)
	v_mov_b32_e32 v129, v135
	scratch_store_b64 off, v[128:129], off offset:56
.LBB125_545:
	s_wait_xcnt 0x0
	s_or_b32 exec_lo, exec_lo, s13
	scratch_load_b64 v[128:129], off, off offset:48
	v_cmp_lt_u32_e64 s0, 6, v0
	s_wait_loadcnt 0x0
	ds_store_b64 v1, v[128:129]
	s_wait_storecnt_dscnt 0x0
	s_barrier_signal -1
	s_barrier_wait -1
	s_wait_xcnt 0x0
	s_and_saveexec_b32 s12, s0
	s_cbranch_execz .LBB125_555
; %bb.546:
	s_and_not1_b32 vcc_lo, exec_lo, s3
	s_cbranch_vccnz .LBB125_548
; %bb.547:
	scratch_load_b64 v[128:129], v59, off
	ds_load_b64 v[130:131], v1
	s_wait_loadcnt_dscnt 0x0
	v_pk_mul_f32 v[132:133], v[130:131], v[128:129] op_sel:[1,1] op_sel_hi:[0,1]
	s_delay_alu instid0(VALU_DEP_1) | instskip(SKIP_1) | instid1(VALU_DEP_2)
	v_pk_fma_f32 v[134:135], v[130:131], v[128:129], v[132:133] op_sel_hi:[1,0,1]
	v_pk_fma_f32 v[128:129], v[130:131], v[128:129], v[132:133] neg_lo:[0,0,1] neg_hi:[0,0,1]
	v_mov_b32_e32 v129, v135
	s_cbranch_execz .LBB125_549
	s_branch .LBB125_550
.LBB125_548:
                                        ; implicit-def: $vgpr128_vgpr129
.LBB125_549:
	ds_load_b64 v[128:129], v1
.LBB125_550:
	s_and_saveexec_b32 s13, s1
	s_cbranch_execz .LBB125_554
; %bb.551:
	v_add_nc_u32_e32 v130, -7, v0
	s_movk_i32 s14, 0x228
	s_mov_b32 s1, 0
.LBB125_552:                            ; =>This Inner Loop Header: Depth=1
	scratch_load_b64 v[132:133], off, s11
	v_dual_mov_b32 v131, s14 :: v_dual_add_nc_u32 v130, -1, v130
	s_add_co_i32 s14, s14, 8
	s_wait_xcnt 0x0
	s_add_co_i32 s11, s11, 8
	ds_load_b64 v[134:135], v131
	v_cmp_eq_u32_e32 vcc_lo, 0, v130
	s_or_b32 s1, vcc_lo, s1
	s_wait_loadcnt_dscnt 0x0
	v_pk_mul_f32 v[136:137], v[134:135], v[132:133] op_sel:[1,1] op_sel_hi:[0,1]
	s_delay_alu instid0(VALU_DEP_1) | instskip(SKIP_1) | instid1(VALU_DEP_2)
	v_pk_fma_f32 v[138:139], v[134:135], v[132:133], v[136:137] op_sel_hi:[1,0,1]
	v_pk_fma_f32 v[132:133], v[134:135], v[132:133], v[136:137] neg_lo:[0,0,1] neg_hi:[0,0,1]
	v_mov_b32_e32 v133, v139
	s_delay_alu instid0(VALU_DEP_1)
	v_pk_add_f32 v[128:129], v[128:129], v[132:133]
	s_and_not1_b32 exec_lo, exec_lo, s1
	s_cbranch_execnz .LBB125_552
; %bb.553:
	s_or_b32 exec_lo, exec_lo, s1
.LBB125_554:
	s_delay_alu instid0(SALU_CYCLE_1) | instskip(SKIP_4) | instid1(VALU_DEP_1)
	s_or_b32 exec_lo, exec_lo, s13
	v_mov_b32_e32 v130, 0
	ds_load_b64 v[130:131], v130 offset:48
	s_wait_dscnt 0x0
	v_pk_mul_f32 v[132:133], v[128:129], v[130:131] op_sel:[1,1] op_sel_hi:[0,1]
	v_pk_fma_f32 v[134:135], v[128:129], v[130:131], v[132:133] op_sel_hi:[1,0,1]
	v_pk_fma_f32 v[128:129], v[128:129], v[130:131], v[132:133] neg_lo:[0,0,1] neg_hi:[0,0,1]
	s_delay_alu instid0(VALU_DEP_2)
	v_mov_b32_e32 v129, v135
	scratch_store_b64 off, v[128:129], off offset:48
.LBB125_555:
	s_wait_xcnt 0x0
	s_or_b32 exec_lo, exec_lo, s12
	scratch_load_b64 v[128:129], off, off offset:40
	v_cmp_lt_u32_e64 s1, 5, v0
	s_wait_loadcnt 0x0
	ds_store_b64 v1, v[128:129]
	s_wait_storecnt_dscnt 0x0
	s_barrier_signal -1
	s_barrier_wait -1
	s_wait_xcnt 0x0
	s_and_saveexec_b32 s11, s1
	s_cbranch_execz .LBB125_565
; %bb.556:
	s_and_not1_b32 vcc_lo, exec_lo, s3
	s_cbranch_vccnz .LBB125_558
; %bb.557:
	scratch_load_b64 v[128:129], v59, off
	ds_load_b64 v[130:131], v1
	s_wait_loadcnt_dscnt 0x0
	v_pk_mul_f32 v[132:133], v[130:131], v[128:129] op_sel:[1,1] op_sel_hi:[0,1]
	s_delay_alu instid0(VALU_DEP_1) | instskip(SKIP_1) | instid1(VALU_DEP_2)
	v_pk_fma_f32 v[134:135], v[130:131], v[128:129], v[132:133] op_sel_hi:[1,0,1]
	v_pk_fma_f32 v[128:129], v[130:131], v[128:129], v[132:133] neg_lo:[0,0,1] neg_hi:[0,0,1]
	v_mov_b32_e32 v129, v135
	s_cbranch_execz .LBB125_559
	s_branch .LBB125_560
.LBB125_558:
                                        ; implicit-def: $vgpr128_vgpr129
.LBB125_559:
	ds_load_b64 v[128:129], v1
.LBB125_560:
	s_and_saveexec_b32 s12, s0
	s_cbranch_execz .LBB125_564
; %bb.561:
	v_add_nc_u32_e32 v130, -6, v0
	s_movk_i32 s13, 0x220
	s_mov_b32 s0, 0
.LBB125_562:                            ; =>This Inner Loop Header: Depth=1
	scratch_load_b64 v[132:133], off, s10
	v_dual_mov_b32 v131, s13 :: v_dual_add_nc_u32 v130, -1, v130
	s_add_co_i32 s13, s13, 8
	s_wait_xcnt 0x0
	s_add_co_i32 s10, s10, 8
	ds_load_b64 v[134:135], v131
	v_cmp_eq_u32_e32 vcc_lo, 0, v130
	s_or_b32 s0, vcc_lo, s0
	s_wait_loadcnt_dscnt 0x0
	v_pk_mul_f32 v[136:137], v[134:135], v[132:133] op_sel:[1,1] op_sel_hi:[0,1]
	s_delay_alu instid0(VALU_DEP_1) | instskip(SKIP_1) | instid1(VALU_DEP_2)
	v_pk_fma_f32 v[138:139], v[134:135], v[132:133], v[136:137] op_sel_hi:[1,0,1]
	v_pk_fma_f32 v[132:133], v[134:135], v[132:133], v[136:137] neg_lo:[0,0,1] neg_hi:[0,0,1]
	v_mov_b32_e32 v133, v139
	s_delay_alu instid0(VALU_DEP_1)
	v_pk_add_f32 v[128:129], v[128:129], v[132:133]
	s_and_not1_b32 exec_lo, exec_lo, s0
	s_cbranch_execnz .LBB125_562
; %bb.563:
	s_or_b32 exec_lo, exec_lo, s0
.LBB125_564:
	s_delay_alu instid0(SALU_CYCLE_1) | instskip(SKIP_4) | instid1(VALU_DEP_1)
	s_or_b32 exec_lo, exec_lo, s12
	v_mov_b32_e32 v130, 0
	ds_load_b64 v[130:131], v130 offset:40
	s_wait_dscnt 0x0
	v_pk_mul_f32 v[132:133], v[128:129], v[130:131] op_sel:[1,1] op_sel_hi:[0,1]
	v_pk_fma_f32 v[134:135], v[128:129], v[130:131], v[132:133] op_sel_hi:[1,0,1]
	v_pk_fma_f32 v[128:129], v[128:129], v[130:131], v[132:133] neg_lo:[0,0,1] neg_hi:[0,0,1]
	s_delay_alu instid0(VALU_DEP_2)
	v_mov_b32_e32 v129, v135
	scratch_store_b64 off, v[128:129], off offset:40
.LBB125_565:
	s_wait_xcnt 0x0
	s_or_b32 exec_lo, exec_lo, s11
	scratch_load_b64 v[128:129], off, off offset:32
	v_cmp_lt_u32_e64 s0, 4, v0
	s_wait_loadcnt 0x0
	ds_store_b64 v1, v[128:129]
	s_wait_storecnt_dscnt 0x0
	s_barrier_signal -1
	s_barrier_wait -1
	s_wait_xcnt 0x0
	s_and_saveexec_b32 s10, s0
	s_cbranch_execz .LBB125_575
; %bb.566:
	s_and_not1_b32 vcc_lo, exec_lo, s3
	s_cbranch_vccnz .LBB125_568
; %bb.567:
	scratch_load_b64 v[128:129], v59, off
	ds_load_b64 v[130:131], v1
	s_wait_loadcnt_dscnt 0x0
	v_pk_mul_f32 v[132:133], v[130:131], v[128:129] op_sel:[1,1] op_sel_hi:[0,1]
	s_delay_alu instid0(VALU_DEP_1) | instskip(SKIP_1) | instid1(VALU_DEP_2)
	v_pk_fma_f32 v[134:135], v[130:131], v[128:129], v[132:133] op_sel_hi:[1,0,1]
	v_pk_fma_f32 v[128:129], v[130:131], v[128:129], v[132:133] neg_lo:[0,0,1] neg_hi:[0,0,1]
	v_mov_b32_e32 v129, v135
	s_cbranch_execz .LBB125_569
	s_branch .LBB125_570
.LBB125_568:
                                        ; implicit-def: $vgpr128_vgpr129
.LBB125_569:
	ds_load_b64 v[128:129], v1
.LBB125_570:
	s_and_saveexec_b32 s11, s1
	s_cbranch_execz .LBB125_574
; %bb.571:
	v_add_nc_u32_e32 v130, -5, v0
	s_movk_i32 s12, 0x218
	s_mov_b32 s1, 0
.LBB125_572:                            ; =>This Inner Loop Header: Depth=1
	scratch_load_b64 v[132:133], off, s9
	v_dual_mov_b32 v131, s12 :: v_dual_add_nc_u32 v130, -1, v130
	s_add_co_i32 s12, s12, 8
	s_wait_xcnt 0x0
	s_add_co_i32 s9, s9, 8
	ds_load_b64 v[134:135], v131
	v_cmp_eq_u32_e32 vcc_lo, 0, v130
	s_or_b32 s1, vcc_lo, s1
	s_wait_loadcnt_dscnt 0x0
	v_pk_mul_f32 v[136:137], v[134:135], v[132:133] op_sel:[1,1] op_sel_hi:[0,1]
	s_delay_alu instid0(VALU_DEP_1) | instskip(SKIP_1) | instid1(VALU_DEP_2)
	v_pk_fma_f32 v[138:139], v[134:135], v[132:133], v[136:137] op_sel_hi:[1,0,1]
	v_pk_fma_f32 v[132:133], v[134:135], v[132:133], v[136:137] neg_lo:[0,0,1] neg_hi:[0,0,1]
	v_mov_b32_e32 v133, v139
	s_delay_alu instid0(VALU_DEP_1)
	v_pk_add_f32 v[128:129], v[128:129], v[132:133]
	s_and_not1_b32 exec_lo, exec_lo, s1
	s_cbranch_execnz .LBB125_572
; %bb.573:
	s_or_b32 exec_lo, exec_lo, s1
.LBB125_574:
	s_delay_alu instid0(SALU_CYCLE_1) | instskip(SKIP_4) | instid1(VALU_DEP_1)
	s_or_b32 exec_lo, exec_lo, s11
	v_mov_b32_e32 v130, 0
	ds_load_b64 v[130:131], v130 offset:32
	s_wait_dscnt 0x0
	v_pk_mul_f32 v[132:133], v[128:129], v[130:131] op_sel:[1,1] op_sel_hi:[0,1]
	v_pk_fma_f32 v[134:135], v[128:129], v[130:131], v[132:133] op_sel_hi:[1,0,1]
	v_pk_fma_f32 v[128:129], v[128:129], v[130:131], v[132:133] neg_lo:[0,0,1] neg_hi:[0,0,1]
	s_delay_alu instid0(VALU_DEP_2)
	v_mov_b32_e32 v129, v135
	scratch_store_b64 off, v[128:129], off offset:32
.LBB125_575:
	s_wait_xcnt 0x0
	s_or_b32 exec_lo, exec_lo, s10
	scratch_load_b64 v[128:129], off, off offset:24
	v_cmp_lt_u32_e64 s1, 3, v0
	s_wait_loadcnt 0x0
	ds_store_b64 v1, v[128:129]
	s_wait_storecnt_dscnt 0x0
	s_barrier_signal -1
	s_barrier_wait -1
	s_wait_xcnt 0x0
	s_and_saveexec_b32 s9, s1
	s_cbranch_execz .LBB125_585
; %bb.576:
	s_and_not1_b32 vcc_lo, exec_lo, s3
	s_cbranch_vccnz .LBB125_578
; %bb.577:
	scratch_load_b64 v[128:129], v59, off
	ds_load_b64 v[130:131], v1
	s_wait_loadcnt_dscnt 0x0
	v_pk_mul_f32 v[132:133], v[130:131], v[128:129] op_sel:[1,1] op_sel_hi:[0,1]
	s_delay_alu instid0(VALU_DEP_1) | instskip(SKIP_1) | instid1(VALU_DEP_2)
	v_pk_fma_f32 v[134:135], v[130:131], v[128:129], v[132:133] op_sel_hi:[1,0,1]
	v_pk_fma_f32 v[128:129], v[130:131], v[128:129], v[132:133] neg_lo:[0,0,1] neg_hi:[0,0,1]
	v_mov_b32_e32 v129, v135
	s_cbranch_execz .LBB125_579
	s_branch .LBB125_580
.LBB125_578:
                                        ; implicit-def: $vgpr128_vgpr129
.LBB125_579:
	ds_load_b64 v[128:129], v1
.LBB125_580:
	s_and_saveexec_b32 s10, s0
	s_cbranch_execz .LBB125_584
; %bb.581:
	v_add_nc_u32_e32 v130, -4, v0
	s_movk_i32 s11, 0x210
	s_mov_b32 s0, 0
.LBB125_582:                            ; =>This Inner Loop Header: Depth=1
	scratch_load_b64 v[132:133], off, s2
	v_dual_mov_b32 v131, s11 :: v_dual_add_nc_u32 v130, -1, v130
	s_add_co_i32 s11, s11, 8
	s_wait_xcnt 0x0
	s_add_co_i32 s2, s2, 8
	ds_load_b64 v[134:135], v131
	v_cmp_eq_u32_e32 vcc_lo, 0, v130
	s_or_b32 s0, vcc_lo, s0
	s_wait_loadcnt_dscnt 0x0
	v_pk_mul_f32 v[136:137], v[134:135], v[132:133] op_sel:[1,1] op_sel_hi:[0,1]
	s_delay_alu instid0(VALU_DEP_1) | instskip(SKIP_1) | instid1(VALU_DEP_2)
	v_pk_fma_f32 v[138:139], v[134:135], v[132:133], v[136:137] op_sel_hi:[1,0,1]
	v_pk_fma_f32 v[132:133], v[134:135], v[132:133], v[136:137] neg_lo:[0,0,1] neg_hi:[0,0,1]
	v_mov_b32_e32 v133, v139
	s_delay_alu instid0(VALU_DEP_1)
	v_pk_add_f32 v[128:129], v[128:129], v[132:133]
	s_and_not1_b32 exec_lo, exec_lo, s0
	s_cbranch_execnz .LBB125_582
; %bb.583:
	s_or_b32 exec_lo, exec_lo, s0
.LBB125_584:
	s_delay_alu instid0(SALU_CYCLE_1) | instskip(SKIP_4) | instid1(VALU_DEP_1)
	s_or_b32 exec_lo, exec_lo, s10
	v_mov_b32_e32 v130, 0
	ds_load_b64 v[130:131], v130 offset:24
	s_wait_dscnt 0x0
	v_pk_mul_f32 v[132:133], v[128:129], v[130:131] op_sel:[1,1] op_sel_hi:[0,1]
	v_pk_fma_f32 v[134:135], v[128:129], v[130:131], v[132:133] op_sel_hi:[1,0,1]
	v_pk_fma_f32 v[128:129], v[128:129], v[130:131], v[132:133] neg_lo:[0,0,1] neg_hi:[0,0,1]
	s_delay_alu instid0(VALU_DEP_2)
	v_mov_b32_e32 v129, v135
	scratch_store_b64 off, v[128:129], off offset:24
.LBB125_585:
	s_wait_xcnt 0x0
	s_or_b32 exec_lo, exec_lo, s9
	scratch_load_b64 v[128:129], off, off offset:16
	v_cmp_lt_u32_e64 s2, 2, v0
	s_wait_loadcnt 0x0
	ds_store_b64 v1, v[128:129]
	s_wait_storecnt_dscnt 0x0
	s_barrier_signal -1
	s_barrier_wait -1
	s_wait_xcnt 0x0
	s_and_saveexec_b32 s0, s2
	s_cbranch_execz .LBB125_595
; %bb.586:
	s_and_not1_b32 vcc_lo, exec_lo, s3
	s_cbranch_vccnz .LBB125_588
; %bb.587:
	scratch_load_b64 v[128:129], v59, off
	ds_load_b64 v[130:131], v1
	s_wait_loadcnt_dscnt 0x0
	v_pk_mul_f32 v[132:133], v[130:131], v[128:129] op_sel:[1,1] op_sel_hi:[0,1]
	s_delay_alu instid0(VALU_DEP_1) | instskip(SKIP_1) | instid1(VALU_DEP_2)
	v_pk_fma_f32 v[134:135], v[130:131], v[128:129], v[132:133] op_sel_hi:[1,0,1]
	v_pk_fma_f32 v[128:129], v[130:131], v[128:129], v[132:133] neg_lo:[0,0,1] neg_hi:[0,0,1]
	v_mov_b32_e32 v129, v135
	s_cbranch_execz .LBB125_589
	s_branch .LBB125_590
.LBB125_588:
                                        ; implicit-def: $vgpr128_vgpr129
.LBB125_589:
	ds_load_b64 v[128:129], v1
.LBB125_590:
	s_and_saveexec_b32 s9, s1
	s_cbranch_execz .LBB125_594
; %bb.591:
	v_add_nc_u32_e32 v130, -3, v0
	s_movk_i32 s10, 0x208
	s_mov_b32 s1, 0
.LBB125_592:                            ; =>This Inner Loop Header: Depth=1
	scratch_load_b64 v[132:133], off, s8
	v_dual_mov_b32 v131, s10 :: v_dual_add_nc_u32 v130, -1, v130
	s_add_co_i32 s10, s10, 8
	s_wait_xcnt 0x0
	s_add_co_i32 s8, s8, 8
	ds_load_b64 v[134:135], v131
	v_cmp_eq_u32_e32 vcc_lo, 0, v130
	s_or_b32 s1, vcc_lo, s1
	s_wait_loadcnt_dscnt 0x0
	v_pk_mul_f32 v[136:137], v[134:135], v[132:133] op_sel:[1,1] op_sel_hi:[0,1]
	s_delay_alu instid0(VALU_DEP_1) | instskip(SKIP_1) | instid1(VALU_DEP_2)
	v_pk_fma_f32 v[138:139], v[134:135], v[132:133], v[136:137] op_sel_hi:[1,0,1]
	v_pk_fma_f32 v[132:133], v[134:135], v[132:133], v[136:137] neg_lo:[0,0,1] neg_hi:[0,0,1]
	v_mov_b32_e32 v133, v139
	s_delay_alu instid0(VALU_DEP_1)
	v_pk_add_f32 v[128:129], v[128:129], v[132:133]
	s_and_not1_b32 exec_lo, exec_lo, s1
	s_cbranch_execnz .LBB125_592
; %bb.593:
	s_or_b32 exec_lo, exec_lo, s1
.LBB125_594:
	s_delay_alu instid0(SALU_CYCLE_1) | instskip(SKIP_4) | instid1(VALU_DEP_1)
	s_or_b32 exec_lo, exec_lo, s9
	v_mov_b32_e32 v130, 0
	ds_load_b64 v[130:131], v130 offset:16
	s_wait_dscnt 0x0
	v_pk_mul_f32 v[132:133], v[128:129], v[130:131] op_sel:[1,1] op_sel_hi:[0,1]
	v_pk_fma_f32 v[134:135], v[128:129], v[130:131], v[132:133] op_sel_hi:[1,0,1]
	v_pk_fma_f32 v[128:129], v[128:129], v[130:131], v[132:133] neg_lo:[0,0,1] neg_hi:[0,0,1]
	s_delay_alu instid0(VALU_DEP_2)
	v_mov_b32_e32 v129, v135
	scratch_store_b64 off, v[128:129], off offset:16
.LBB125_595:
	s_wait_xcnt 0x0
	s_or_b32 exec_lo, exec_lo, s0
	scratch_load_b64 v[128:129], off, off offset:8
	v_cmp_lt_u32_e64 s0, 1, v0
	s_wait_loadcnt 0x0
	ds_store_b64 v1, v[128:129]
	s_wait_storecnt_dscnt 0x0
	s_barrier_signal -1
	s_barrier_wait -1
	s_wait_xcnt 0x0
	s_and_saveexec_b32 s1, s0
	s_cbranch_execz .LBB125_605
; %bb.596:
	s_and_not1_b32 vcc_lo, exec_lo, s3
	s_cbranch_vccnz .LBB125_598
; %bb.597:
	scratch_load_b64 v[128:129], v59, off
	ds_load_b64 v[130:131], v1
	s_wait_loadcnt_dscnt 0x0
	v_pk_mul_f32 v[132:133], v[130:131], v[128:129] op_sel:[1,1] op_sel_hi:[0,1]
	s_delay_alu instid0(VALU_DEP_1) | instskip(SKIP_1) | instid1(VALU_DEP_2)
	v_pk_fma_f32 v[134:135], v[130:131], v[128:129], v[132:133] op_sel_hi:[1,0,1]
	v_pk_fma_f32 v[128:129], v[130:131], v[128:129], v[132:133] neg_lo:[0,0,1] neg_hi:[0,0,1]
	v_mov_b32_e32 v129, v135
	s_cbranch_execz .LBB125_599
	s_branch .LBB125_600
.LBB125_598:
                                        ; implicit-def: $vgpr128_vgpr129
.LBB125_599:
	ds_load_b64 v[128:129], v1
.LBB125_600:
	s_and_saveexec_b32 s8, s2
	s_cbranch_execz .LBB125_604
; %bb.601:
	v_add_nc_u32_e32 v130, -2, v0
	s_movk_i32 s9, 0x200
	s_mov_b32 s2, 0
.LBB125_602:                            ; =>This Inner Loop Header: Depth=1
	scratch_load_b64 v[132:133], off, s5
	v_dual_mov_b32 v131, s9 :: v_dual_add_nc_u32 v130, -1, v130
	s_add_co_i32 s9, s9, 8
	s_wait_xcnt 0x0
	s_add_co_i32 s5, s5, 8
	ds_load_b64 v[134:135], v131
	v_cmp_eq_u32_e32 vcc_lo, 0, v130
	s_or_b32 s2, vcc_lo, s2
	s_wait_loadcnt_dscnt 0x0
	v_pk_mul_f32 v[136:137], v[134:135], v[132:133] op_sel:[1,1] op_sel_hi:[0,1]
	s_delay_alu instid0(VALU_DEP_1) | instskip(SKIP_1) | instid1(VALU_DEP_2)
	v_pk_fma_f32 v[138:139], v[134:135], v[132:133], v[136:137] op_sel_hi:[1,0,1]
	v_pk_fma_f32 v[132:133], v[134:135], v[132:133], v[136:137] neg_lo:[0,0,1] neg_hi:[0,0,1]
	v_mov_b32_e32 v133, v139
	s_delay_alu instid0(VALU_DEP_1)
	v_pk_add_f32 v[128:129], v[128:129], v[132:133]
	s_and_not1_b32 exec_lo, exec_lo, s2
	s_cbranch_execnz .LBB125_602
; %bb.603:
	s_or_b32 exec_lo, exec_lo, s2
.LBB125_604:
	s_delay_alu instid0(SALU_CYCLE_1) | instskip(SKIP_4) | instid1(VALU_DEP_1)
	s_or_b32 exec_lo, exec_lo, s8
	v_mov_b32_e32 v130, 0
	ds_load_b64 v[130:131], v130 offset:8
	s_wait_dscnt 0x0
	v_pk_mul_f32 v[132:133], v[128:129], v[130:131] op_sel:[1,1] op_sel_hi:[0,1]
	v_pk_fma_f32 v[134:135], v[128:129], v[130:131], v[132:133] op_sel_hi:[1,0,1]
	v_pk_fma_f32 v[128:129], v[128:129], v[130:131], v[132:133] neg_lo:[0,0,1] neg_hi:[0,0,1]
	s_delay_alu instid0(VALU_DEP_2)
	v_mov_b32_e32 v129, v135
	scratch_store_b64 off, v[128:129], off offset:8
.LBB125_605:
	s_wait_xcnt 0x0
	s_or_b32 exec_lo, exec_lo, s1
	scratch_load_b64 v[128:129], off, off
	s_mov_b32 s2, 0
	s_mov_b32 s1, 0
	s_mov_b32 s8, exec_lo
                                        ; implicit-def: $vgpr186
                                        ; implicit-def: $sgpr5
	s_wait_loadcnt 0x0
	ds_store_b64 v1, v[128:129]
	s_wait_storecnt_dscnt 0x0
	s_barrier_signal -1
	s_barrier_wait -1
	s_wait_xcnt 0x0
	v_cmpx_ne_u32_e32 0, v0
	s_cbranch_execz .LBB125_615
; %bb.606:
	s_and_not1_b32 vcc_lo, exec_lo, s3
	s_cbranch_vccnz .LBB125_608
; %bb.607:
	scratch_load_b64 v[130:131], v59, off
	ds_load_b64 v[132:133], v1
	s_wait_loadcnt_dscnt 0x0
	v_dual_mul_f32 v128, v133, v131 :: v_dual_mul_f32 v129, v132, v131
	s_delay_alu instid0(VALU_DEP_1)
	v_dual_fma_f32 v128, v132, v130, -v128 :: v_dual_fmac_f32 v129, v133, v130
	s_and_not1_b32 vcc_lo, exec_lo, s1
	s_cbranch_vccz .LBB125_609
	s_branch .LBB125_610
.LBB125_608:
                                        ; implicit-def: $vgpr128
.LBB125_609:
	ds_load_b64 v[128:129], v1
.LBB125_610:
	s_and_saveexec_b32 s1, s0
	s_cbranch_execz .LBB125_614
; %bb.611:
	v_add_nc_u32_e32 v130, -1, v0
	s_movk_i32 s5, 0x1f8
	s_mov_b32 s0, 0
.LBB125_612:                            ; =>This Inner Loop Header: Depth=1
	scratch_load_b64 v[132:133], off, s4
	v_mov_b32_e32 v131, s5
	s_add_co_i32 s5, s5, 8
	s_wait_xcnt 0x0
	s_add_co_i32 s4, s4, 8
	v_add_nc_u32_e32 v130, -1, v130
	ds_load_b64 v[134:135], v131
	v_cmp_eq_u32_e32 vcc_lo, 0, v130
	s_or_b32 s0, vcc_lo, s0
	s_wait_loadcnt_dscnt 0x0
	v_dual_mul_f32 v131, v135, v133 :: v_dual_mul_f32 v133, v134, v133
	s_delay_alu instid0(VALU_DEP_1) | instskip(NEXT) | instid1(VALU_DEP_1)
	v_dual_fma_f32 v131, v134, v132, -v131 :: v_dual_fmac_f32 v133, v135, v132
	v_dual_add_f32 v128, v128, v131 :: v_dual_add_f32 v129, v129, v133
	s_and_not1_b32 exec_lo, exec_lo, s0
	s_cbranch_execnz .LBB125_612
; %bb.613:
	s_or_b32 exec_lo, exec_lo, s0
.LBB125_614:
	s_delay_alu instid0(SALU_CYCLE_1)
	s_or_b32 exec_lo, exec_lo, s1
	v_mov_b32_e32 v130, 0
	s_mov_b32 s1, exec_lo
	s_or_b32 s5, 0, 4
	ds_load_b64 v[130:131], v130
	s_wait_dscnt 0x0
	v_dual_mul_f32 v132, v129, v131 :: v_dual_mul_f32 v186, v128, v131
	s_delay_alu instid0(VALU_DEP_1)
	v_dual_fma_f32 v128, v128, v130, -v132 :: v_dual_fmac_f32 v186, v129, v130
	scratch_store_b32 off, v128, off
.LBB125_615:
	s_wait_xcnt 0x0
	s_or_b32 exec_lo, exec_lo, s8
	s_delay_alu instid0(SALU_CYCLE_1)
	s_and_b32 vcc_lo, exec_lo, s2
	s_cbranch_vccz .LBB125_1221
.LBB125_616:
	scratch_load_b64 v[128:129], off, off offset:8
	v_cmp_eq_u32_e64 s0, 0, v0
	s_wait_loadcnt 0x0
	ds_store_b64 v1, v[128:129]
	s_wait_storecnt_dscnt 0x0
	s_barrier_signal -1
	s_barrier_wait -1
	s_wait_xcnt 0x0
	s_and_saveexec_b32 s2, s0
	s_cbranch_execz .LBB125_622
; %bb.617:
	s_and_b32 vcc_lo, exec_lo, s3
	s_cbranch_vccz .LBB125_619
; %bb.618:
	scratch_load_b64 v[128:129], v59, off
	ds_load_b64 v[130:131], v1
	s_wait_loadcnt_dscnt 0x0
	v_pk_mul_f32 v[132:133], v[130:131], v[128:129] op_sel:[1,1] op_sel_hi:[0,1]
	v_pk_mul_f32 v[134:135], v[130:131], v[128:129] op_sel_hi:[1,0]
	s_delay_alu instid0(VALU_DEP_2) | instskip(NEXT) | instid1(VALU_DEP_2)
	v_pk_fma_f32 v[128:129], v[130:131], v[128:129], v[132:133] op_sel_hi:[1,0,1]
	v_sub_f32_e32 v128, v134, v132
	s_cbranch_execz .LBB125_620
	s_branch .LBB125_621
.LBB125_619:
                                        ; implicit-def: $vgpr129
.LBB125_620:
	ds_load_b64 v[128:129], v1
.LBB125_621:
	s_wait_dscnt 0x0
	v_dual_mov_b32 v130, 0 :: v_dual_mov_b32 v132, v129
	v_mov_b32_e32 v133, v128
	ds_load_b64 v[130:131], v130 offset:8
	s_wait_dscnt 0x0
	v_pk_mul_f32 v[132:133], v[132:133], v[130:131] op_sel:[0,1]
	s_delay_alu instid0(VALU_DEP_1) | instskip(SKIP_1) | instid1(VALU_DEP_2)
	v_pk_fma_f32 v[134:135], v[128:129], v[130:131], v[132:133] op_sel_hi:[1,0,1]
	v_pk_fma_f32 v[128:129], v[128:129], v[130:131], v[132:133] neg_lo:[0,0,1] neg_hi:[0,0,1]
	v_mov_b32_e32 v129, v135
	scratch_store_b64 off, v[128:129], off offset:8
.LBB125_622:
	s_wait_xcnt 0x0
	s_or_b32 exec_lo, exec_lo, s2
	scratch_load_b64 v[128:129], off, off offset:16
	v_cndmask_b32_e64 v130, 0, 1, s3
	s_mov_b32 s2, exec_lo
	s_wait_loadcnt 0x0
	ds_store_b64 v1, v[128:129]
	s_wait_storecnt_dscnt 0x0
	s_barrier_signal -1
	s_barrier_wait -1
	s_wait_xcnt 0x0
	v_cmpx_gt_u32_e32 2, v0
	s_cbranch_execz .LBB125_630
; %bb.623:
	s_and_not1_b32 vcc_lo, exec_lo, s3
	s_cbranch_vccnz .LBB125_625
; %bb.624:
	scratch_load_b64 v[128:129], v59, off
	ds_load_b64 v[132:133], v1
	s_wait_loadcnt_dscnt 0x0
	v_pk_mul_f32 v[134:135], v[132:133], v[128:129] op_sel:[1,1] op_sel_hi:[0,1]
	s_delay_alu instid0(VALU_DEP_1) | instskip(SKIP_1) | instid1(VALU_DEP_2)
	v_pk_fma_f32 v[136:137], v[132:133], v[128:129], v[134:135] op_sel_hi:[1,0,1]
	v_pk_fma_f32 v[128:129], v[132:133], v[128:129], v[134:135] neg_lo:[0,0,1] neg_hi:[0,0,1]
	v_mov_b32_e32 v129, v137
	s_cbranch_execz .LBB125_626
	s_branch .LBB125_627
.LBB125_625:
                                        ; implicit-def: $vgpr128_vgpr129
.LBB125_626:
	ds_load_b64 v[128:129], v1
.LBB125_627:
	s_and_saveexec_b32 s3, s0
	s_cbranch_execz .LBB125_629
; %bb.628:
	scratch_load_b64 v[132:133], off, off offset:8
	v_mov_b32_e32 v131, 0
	ds_load_b64 v[134:135], v131 offset:504
	s_wait_loadcnt_dscnt 0x0
	v_pk_mul_f32 v[136:137], v[134:135], v[132:133] op_sel:[1,1] op_sel_hi:[0,1]
	s_delay_alu instid0(VALU_DEP_1) | instskip(SKIP_1) | instid1(VALU_DEP_2)
	v_pk_fma_f32 v[138:139], v[134:135], v[132:133], v[136:137] op_sel_hi:[1,0,1]
	v_pk_fma_f32 v[132:133], v[134:135], v[132:133], v[136:137] neg_lo:[0,0,1] neg_hi:[0,0,1]
	v_mov_b32_e32 v133, v139
	s_delay_alu instid0(VALU_DEP_1)
	v_pk_add_f32 v[128:129], v[128:129], v[132:133]
.LBB125_629:
	s_or_b32 exec_lo, exec_lo, s3
	v_mov_b32_e32 v131, 0
	ds_load_b64 v[132:133], v131 offset:16
	s_wait_dscnt 0x0
	v_pk_mul_f32 v[134:135], v[128:129], v[132:133] op_sel:[1,1] op_sel_hi:[0,1]
	s_delay_alu instid0(VALU_DEP_1) | instskip(SKIP_1) | instid1(VALU_DEP_2)
	v_pk_fma_f32 v[136:137], v[128:129], v[132:133], v[134:135] op_sel_hi:[1,0,1]
	v_pk_fma_f32 v[128:129], v[128:129], v[132:133], v[134:135] neg_lo:[0,0,1] neg_hi:[0,0,1]
	v_mov_b32_e32 v129, v137
	scratch_store_b64 off, v[128:129], off offset:16
.LBB125_630:
	s_wait_xcnt 0x0
	s_or_b32 exec_lo, exec_lo, s2
	scratch_load_b64 v[128:129], off, off offset:24
	s_mov_b32 s2, exec_lo
	s_wait_loadcnt 0x0
	ds_store_b64 v1, v[128:129]
	s_wait_storecnt_dscnt 0x0
	s_barrier_signal -1
	s_barrier_wait -1
	s_wait_xcnt 0x0
	v_cmpx_gt_u32_e32 3, v0
	s_cbranch_execz .LBB125_640
; %bb.631:
	v_cmp_ne_u32_e32 vcc_lo, 1, v130
	s_cbranch_vccnz .LBB125_633
; %bb.632:
	scratch_load_b64 v[128:129], v59, off
	ds_load_b64 v[132:133], v1
	s_wait_loadcnt_dscnt 0x0
	v_pk_mul_f32 v[134:135], v[132:133], v[128:129] op_sel:[1,1] op_sel_hi:[0,1]
	s_delay_alu instid0(VALU_DEP_1) | instskip(SKIP_1) | instid1(VALU_DEP_2)
	v_pk_fma_f32 v[136:137], v[132:133], v[128:129], v[134:135] op_sel_hi:[1,0,1]
	v_pk_fma_f32 v[128:129], v[132:133], v[128:129], v[134:135] neg_lo:[0,0,1] neg_hi:[0,0,1]
	v_mov_b32_e32 v129, v137
	s_cbranch_execz .LBB125_634
	s_branch .LBB125_635
.LBB125_633:
                                        ; implicit-def: $vgpr128_vgpr129
.LBB125_634:
	ds_load_b64 v[128:129], v1
.LBB125_635:
	s_mov_b32 s3, exec_lo
	v_cmpx_ne_u32_e32 2, v0
	s_cbranch_execz .LBB125_639
; %bb.636:
	scratch_load_b64 v[132:133], v59, off offset:8
	ds_load_b64 v[134:135], v1 offset:8
	s_wait_loadcnt_dscnt 0x0
	v_pk_mul_f32 v[136:137], v[134:135], v[132:133] op_sel:[1,1] op_sel_hi:[0,1]
	s_delay_alu instid0(VALU_DEP_1) | instskip(SKIP_1) | instid1(VALU_DEP_2)
	v_pk_fma_f32 v[138:139], v[134:135], v[132:133], v[136:137] op_sel_hi:[1,0,1]
	v_pk_fma_f32 v[132:133], v[134:135], v[132:133], v[136:137] neg_lo:[0,0,1] neg_hi:[0,0,1]
	v_mov_b32_e32 v133, v139
	s_delay_alu instid0(VALU_DEP_1)
	v_pk_add_f32 v[128:129], v[128:129], v[132:133]
	s_and_saveexec_b32 s4, s0
	s_cbranch_execz .LBB125_638
; %bb.637:
	scratch_load_b64 v[132:133], off, off offset:16
	v_mov_b32_e32 v131, 0
	ds_load_b64 v[134:135], v131 offset:512
	s_wait_loadcnt_dscnt 0x0
	v_pk_mul_f32 v[136:137], v[134:135], v[132:133] op_sel:[1,1] op_sel_hi:[0,1]
	s_delay_alu instid0(VALU_DEP_1) | instskip(SKIP_1) | instid1(VALU_DEP_2)
	v_pk_fma_f32 v[138:139], v[134:135], v[132:133], v[136:137] op_sel_hi:[1,0,1]
	v_pk_fma_f32 v[132:133], v[134:135], v[132:133], v[136:137] neg_lo:[0,0,1] neg_hi:[0,0,1]
	v_mov_b32_e32 v133, v139
	s_delay_alu instid0(VALU_DEP_1)
	v_pk_add_f32 v[128:129], v[128:129], v[132:133]
.LBB125_638:
	s_or_b32 exec_lo, exec_lo, s4
.LBB125_639:
	s_delay_alu instid0(SALU_CYCLE_1) | instskip(SKIP_4) | instid1(VALU_DEP_1)
	s_or_b32 exec_lo, exec_lo, s3
	v_mov_b32_e32 v131, 0
	ds_load_b64 v[132:133], v131 offset:24
	s_wait_dscnt 0x0
	v_pk_mul_f32 v[134:135], v[128:129], v[132:133] op_sel:[1,1] op_sel_hi:[0,1]
	v_pk_fma_f32 v[136:137], v[128:129], v[132:133], v[134:135] op_sel_hi:[1,0,1]
	v_pk_fma_f32 v[128:129], v[128:129], v[132:133], v[134:135] neg_lo:[0,0,1] neg_hi:[0,0,1]
	s_delay_alu instid0(VALU_DEP_2)
	v_mov_b32_e32 v129, v137
	scratch_store_b64 off, v[128:129], off offset:24
.LBB125_640:
	s_wait_xcnt 0x0
	s_or_b32 exec_lo, exec_lo, s2
	scratch_load_b64 v[128:129], off, off offset:32
	s_mov_b32 s0, exec_lo
	s_wait_loadcnt 0x0
	ds_store_b64 v1, v[128:129]
	s_wait_storecnt_dscnt 0x0
	s_barrier_signal -1
	s_barrier_wait -1
	s_wait_xcnt 0x0
	v_cmpx_gt_u32_e32 4, v0
	s_cbranch_execz .LBB125_650
; %bb.641:
	v_cmp_ne_u32_e32 vcc_lo, 1, v130
	s_cbranch_vccnz .LBB125_643
; %bb.642:
	scratch_load_b64 v[128:129], v59, off
	ds_load_b64 v[132:133], v1
	s_wait_loadcnt_dscnt 0x0
	v_pk_mul_f32 v[134:135], v[132:133], v[128:129] op_sel:[1,1] op_sel_hi:[0,1]
	s_delay_alu instid0(VALU_DEP_1) | instskip(SKIP_1) | instid1(VALU_DEP_2)
	v_pk_fma_f32 v[136:137], v[132:133], v[128:129], v[134:135] op_sel_hi:[1,0,1]
	v_pk_fma_f32 v[128:129], v[132:133], v[128:129], v[134:135] neg_lo:[0,0,1] neg_hi:[0,0,1]
	v_mov_b32_e32 v129, v137
	s_cbranch_execz .LBB125_644
	s_branch .LBB125_645
.LBB125_643:
                                        ; implicit-def: $vgpr128_vgpr129
.LBB125_644:
	ds_load_b64 v[128:129], v1
.LBB125_645:
	s_mov_b32 s2, exec_lo
	v_cmpx_ne_u32_e32 3, v0
	s_cbranch_execz .LBB125_649
; %bb.646:
	v_add_nc_u32_e32 v131, 0x1f8, v58
	v_add3_u32 v132, 0, v58, 8
	v_mov_b32_e32 v133, v0
	s_mov_b32 s3, 0
.LBB125_647:                            ; =>This Inner Loop Header: Depth=1
	scratch_load_b64 v[134:135], v132, off
	ds_load_b64 v[136:137], v131
	s_wait_xcnt 0x0
	v_dual_add_nc_u32 v131, 8, v131 :: v_dual_add_nc_u32 v132, 8, v132
	s_wait_loadcnt_dscnt 0x0
	v_pk_mul_f32 v[138:139], v[136:137], v[134:135] op_sel:[1,1] op_sel_hi:[0,1]
	s_delay_alu instid0(VALU_DEP_1) | instskip(SKIP_2) | instid1(VALU_DEP_3)
	v_pk_fma_f32 v[140:141], v[136:137], v[134:135], v[138:139] op_sel_hi:[1,0,1]
	v_add_nc_u32_e32 v133, 1, v133
	v_pk_fma_f32 v[134:135], v[136:137], v[134:135], v[138:139] neg_lo:[0,0,1] neg_hi:[0,0,1]
	v_mov_b32_e32 v135, v141
	s_delay_alu instid0(VALU_DEP_3) | instskip(NEXT) | instid1(VALU_DEP_2)
	v_cmp_lt_u32_e32 vcc_lo, 2, v133
	v_pk_add_f32 v[128:129], v[128:129], v[134:135]
	s_or_b32 s3, vcc_lo, s3
	s_delay_alu instid0(SALU_CYCLE_1)
	s_and_not1_b32 exec_lo, exec_lo, s3
	s_cbranch_execnz .LBB125_647
; %bb.648:
	s_or_b32 exec_lo, exec_lo, s3
.LBB125_649:
	s_delay_alu instid0(SALU_CYCLE_1) | instskip(SKIP_4) | instid1(VALU_DEP_1)
	s_or_b32 exec_lo, exec_lo, s2
	v_mov_b32_e32 v131, 0
	ds_load_b64 v[132:133], v131 offset:32
	s_wait_dscnt 0x0
	v_pk_mul_f32 v[134:135], v[128:129], v[132:133] op_sel:[1,1] op_sel_hi:[0,1]
	v_pk_fma_f32 v[136:137], v[128:129], v[132:133], v[134:135] op_sel_hi:[1,0,1]
	v_pk_fma_f32 v[128:129], v[128:129], v[132:133], v[134:135] neg_lo:[0,0,1] neg_hi:[0,0,1]
	s_delay_alu instid0(VALU_DEP_2)
	v_mov_b32_e32 v129, v137
	scratch_store_b64 off, v[128:129], off offset:32
.LBB125_650:
	s_wait_xcnt 0x0
	s_or_b32 exec_lo, exec_lo, s0
	scratch_load_b64 v[128:129], off, off offset:40
	s_mov_b32 s0, exec_lo
	s_wait_loadcnt 0x0
	ds_store_b64 v1, v[128:129]
	s_wait_storecnt_dscnt 0x0
	s_barrier_signal -1
	s_barrier_wait -1
	s_wait_xcnt 0x0
	v_cmpx_gt_u32_e32 5, v0
	s_cbranch_execz .LBB125_660
; %bb.651:
	v_cmp_ne_u32_e32 vcc_lo, 1, v130
	s_cbranch_vccnz .LBB125_653
; %bb.652:
	scratch_load_b64 v[128:129], v59, off
	ds_load_b64 v[132:133], v1
	s_wait_loadcnt_dscnt 0x0
	v_pk_mul_f32 v[134:135], v[132:133], v[128:129] op_sel:[1,1] op_sel_hi:[0,1]
	s_delay_alu instid0(VALU_DEP_1) | instskip(SKIP_1) | instid1(VALU_DEP_2)
	v_pk_fma_f32 v[136:137], v[132:133], v[128:129], v[134:135] op_sel_hi:[1,0,1]
	v_pk_fma_f32 v[128:129], v[132:133], v[128:129], v[134:135] neg_lo:[0,0,1] neg_hi:[0,0,1]
	v_mov_b32_e32 v129, v137
	s_cbranch_execz .LBB125_654
	s_branch .LBB125_655
.LBB125_653:
                                        ; implicit-def: $vgpr128_vgpr129
.LBB125_654:
	ds_load_b64 v[128:129], v1
.LBB125_655:
	s_mov_b32 s2, exec_lo
	v_cmpx_ne_u32_e32 4, v0
	s_cbranch_execz .LBB125_659
; %bb.656:
	v_add_nc_u32_e32 v131, 0x1f8, v58
	v_add3_u32 v132, 0, v58, 8
	v_mov_b32_e32 v133, v0
	s_mov_b32 s3, 0
.LBB125_657:                            ; =>This Inner Loop Header: Depth=1
	scratch_load_b64 v[134:135], v132, off
	ds_load_b64 v[136:137], v131
	s_wait_xcnt 0x0
	v_dual_add_nc_u32 v131, 8, v131 :: v_dual_add_nc_u32 v132, 8, v132
	s_wait_loadcnt_dscnt 0x0
	v_pk_mul_f32 v[138:139], v[136:137], v[134:135] op_sel:[1,1] op_sel_hi:[0,1]
	s_delay_alu instid0(VALU_DEP_1) | instskip(SKIP_2) | instid1(VALU_DEP_3)
	v_pk_fma_f32 v[140:141], v[136:137], v[134:135], v[138:139] op_sel_hi:[1,0,1]
	v_add_nc_u32_e32 v133, 1, v133
	v_pk_fma_f32 v[134:135], v[136:137], v[134:135], v[138:139] neg_lo:[0,0,1] neg_hi:[0,0,1]
	v_mov_b32_e32 v135, v141
	s_delay_alu instid0(VALU_DEP_3) | instskip(NEXT) | instid1(VALU_DEP_2)
	v_cmp_lt_u32_e32 vcc_lo, 3, v133
	v_pk_add_f32 v[128:129], v[128:129], v[134:135]
	s_or_b32 s3, vcc_lo, s3
	s_delay_alu instid0(SALU_CYCLE_1)
	s_and_not1_b32 exec_lo, exec_lo, s3
	s_cbranch_execnz .LBB125_657
; %bb.658:
	s_or_b32 exec_lo, exec_lo, s3
.LBB125_659:
	s_delay_alu instid0(SALU_CYCLE_1) | instskip(SKIP_4) | instid1(VALU_DEP_1)
	s_or_b32 exec_lo, exec_lo, s2
	v_mov_b32_e32 v131, 0
	ds_load_b64 v[132:133], v131 offset:40
	s_wait_dscnt 0x0
	v_pk_mul_f32 v[134:135], v[128:129], v[132:133] op_sel:[1,1] op_sel_hi:[0,1]
	v_pk_fma_f32 v[136:137], v[128:129], v[132:133], v[134:135] op_sel_hi:[1,0,1]
	v_pk_fma_f32 v[128:129], v[128:129], v[132:133], v[134:135] neg_lo:[0,0,1] neg_hi:[0,0,1]
	s_delay_alu instid0(VALU_DEP_2)
	v_mov_b32_e32 v129, v137
	scratch_store_b64 off, v[128:129], off offset:40
.LBB125_660:
	s_wait_xcnt 0x0
	s_or_b32 exec_lo, exec_lo, s0
	scratch_load_b64 v[128:129], off, off offset:48
	s_mov_b32 s0, exec_lo
	s_wait_loadcnt 0x0
	ds_store_b64 v1, v[128:129]
	s_wait_storecnt_dscnt 0x0
	s_barrier_signal -1
	s_barrier_wait -1
	s_wait_xcnt 0x0
	v_cmpx_gt_u32_e32 6, v0
	s_cbranch_execz .LBB125_670
; %bb.661:
	v_cmp_ne_u32_e32 vcc_lo, 1, v130
	s_cbranch_vccnz .LBB125_663
; %bb.662:
	scratch_load_b64 v[128:129], v59, off
	ds_load_b64 v[132:133], v1
	s_wait_loadcnt_dscnt 0x0
	v_pk_mul_f32 v[134:135], v[132:133], v[128:129] op_sel:[1,1] op_sel_hi:[0,1]
	s_delay_alu instid0(VALU_DEP_1) | instskip(SKIP_1) | instid1(VALU_DEP_2)
	v_pk_fma_f32 v[136:137], v[132:133], v[128:129], v[134:135] op_sel_hi:[1,0,1]
	v_pk_fma_f32 v[128:129], v[132:133], v[128:129], v[134:135] neg_lo:[0,0,1] neg_hi:[0,0,1]
	v_mov_b32_e32 v129, v137
	s_cbranch_execz .LBB125_664
	s_branch .LBB125_665
.LBB125_663:
                                        ; implicit-def: $vgpr128_vgpr129
.LBB125_664:
	ds_load_b64 v[128:129], v1
.LBB125_665:
	s_mov_b32 s2, exec_lo
	v_cmpx_ne_u32_e32 5, v0
	s_cbranch_execz .LBB125_669
; %bb.666:
	v_add_nc_u32_e32 v131, 0x1f8, v58
	v_add3_u32 v132, 0, v58, 8
	v_mov_b32_e32 v133, v0
	s_mov_b32 s3, 0
.LBB125_667:                            ; =>This Inner Loop Header: Depth=1
	scratch_load_b64 v[134:135], v132, off
	ds_load_b64 v[136:137], v131
	s_wait_xcnt 0x0
	v_dual_add_nc_u32 v131, 8, v131 :: v_dual_add_nc_u32 v132, 8, v132
	s_wait_loadcnt_dscnt 0x0
	v_pk_mul_f32 v[138:139], v[136:137], v[134:135] op_sel:[1,1] op_sel_hi:[0,1]
	s_delay_alu instid0(VALU_DEP_1) | instskip(SKIP_2) | instid1(VALU_DEP_3)
	v_pk_fma_f32 v[140:141], v[136:137], v[134:135], v[138:139] op_sel_hi:[1,0,1]
	v_add_nc_u32_e32 v133, 1, v133
	v_pk_fma_f32 v[134:135], v[136:137], v[134:135], v[138:139] neg_lo:[0,0,1] neg_hi:[0,0,1]
	v_mov_b32_e32 v135, v141
	s_delay_alu instid0(VALU_DEP_3) | instskip(NEXT) | instid1(VALU_DEP_2)
	v_cmp_lt_u32_e32 vcc_lo, 4, v133
	v_pk_add_f32 v[128:129], v[128:129], v[134:135]
	s_or_b32 s3, vcc_lo, s3
	s_delay_alu instid0(SALU_CYCLE_1)
	s_and_not1_b32 exec_lo, exec_lo, s3
	s_cbranch_execnz .LBB125_667
; %bb.668:
	s_or_b32 exec_lo, exec_lo, s3
.LBB125_669:
	s_delay_alu instid0(SALU_CYCLE_1) | instskip(SKIP_4) | instid1(VALU_DEP_1)
	s_or_b32 exec_lo, exec_lo, s2
	v_mov_b32_e32 v131, 0
	ds_load_b64 v[132:133], v131 offset:48
	s_wait_dscnt 0x0
	v_pk_mul_f32 v[134:135], v[128:129], v[132:133] op_sel:[1,1] op_sel_hi:[0,1]
	v_pk_fma_f32 v[136:137], v[128:129], v[132:133], v[134:135] op_sel_hi:[1,0,1]
	v_pk_fma_f32 v[128:129], v[128:129], v[132:133], v[134:135] neg_lo:[0,0,1] neg_hi:[0,0,1]
	s_delay_alu instid0(VALU_DEP_2)
	v_mov_b32_e32 v129, v137
	scratch_store_b64 off, v[128:129], off offset:48
.LBB125_670:
	s_wait_xcnt 0x0
	s_or_b32 exec_lo, exec_lo, s0
	scratch_load_b64 v[128:129], off, off offset:56
	s_mov_b32 s0, exec_lo
	s_wait_loadcnt 0x0
	ds_store_b64 v1, v[128:129]
	s_wait_storecnt_dscnt 0x0
	s_barrier_signal -1
	s_barrier_wait -1
	s_wait_xcnt 0x0
	v_cmpx_gt_u32_e32 7, v0
	s_cbranch_execz .LBB125_680
; %bb.671:
	v_cmp_ne_u32_e32 vcc_lo, 1, v130
	s_cbranch_vccnz .LBB125_673
; %bb.672:
	scratch_load_b64 v[128:129], v59, off
	ds_load_b64 v[132:133], v1
	s_wait_loadcnt_dscnt 0x0
	v_pk_mul_f32 v[134:135], v[132:133], v[128:129] op_sel:[1,1] op_sel_hi:[0,1]
	s_delay_alu instid0(VALU_DEP_1) | instskip(SKIP_1) | instid1(VALU_DEP_2)
	v_pk_fma_f32 v[136:137], v[132:133], v[128:129], v[134:135] op_sel_hi:[1,0,1]
	v_pk_fma_f32 v[128:129], v[132:133], v[128:129], v[134:135] neg_lo:[0,0,1] neg_hi:[0,0,1]
	v_mov_b32_e32 v129, v137
	s_cbranch_execz .LBB125_674
	s_branch .LBB125_675
.LBB125_673:
                                        ; implicit-def: $vgpr128_vgpr129
.LBB125_674:
	ds_load_b64 v[128:129], v1
.LBB125_675:
	s_mov_b32 s2, exec_lo
	v_cmpx_ne_u32_e32 6, v0
	s_cbranch_execz .LBB125_679
; %bb.676:
	v_add_nc_u32_e32 v131, 0x1f8, v58
	v_add3_u32 v132, 0, v58, 8
	v_mov_b32_e32 v133, v0
	s_mov_b32 s3, 0
.LBB125_677:                            ; =>This Inner Loop Header: Depth=1
	scratch_load_b64 v[134:135], v132, off
	ds_load_b64 v[136:137], v131
	s_wait_xcnt 0x0
	v_dual_add_nc_u32 v131, 8, v131 :: v_dual_add_nc_u32 v132, 8, v132
	s_wait_loadcnt_dscnt 0x0
	v_pk_mul_f32 v[138:139], v[136:137], v[134:135] op_sel:[1,1] op_sel_hi:[0,1]
	s_delay_alu instid0(VALU_DEP_1) | instskip(SKIP_2) | instid1(VALU_DEP_3)
	v_pk_fma_f32 v[140:141], v[136:137], v[134:135], v[138:139] op_sel_hi:[1,0,1]
	v_add_nc_u32_e32 v133, 1, v133
	v_pk_fma_f32 v[134:135], v[136:137], v[134:135], v[138:139] neg_lo:[0,0,1] neg_hi:[0,0,1]
	v_mov_b32_e32 v135, v141
	s_delay_alu instid0(VALU_DEP_3) | instskip(NEXT) | instid1(VALU_DEP_2)
	v_cmp_lt_u32_e32 vcc_lo, 5, v133
	v_pk_add_f32 v[128:129], v[128:129], v[134:135]
	s_or_b32 s3, vcc_lo, s3
	s_delay_alu instid0(SALU_CYCLE_1)
	s_and_not1_b32 exec_lo, exec_lo, s3
	s_cbranch_execnz .LBB125_677
; %bb.678:
	s_or_b32 exec_lo, exec_lo, s3
.LBB125_679:
	s_delay_alu instid0(SALU_CYCLE_1) | instskip(SKIP_4) | instid1(VALU_DEP_1)
	s_or_b32 exec_lo, exec_lo, s2
	v_mov_b32_e32 v131, 0
	ds_load_b64 v[132:133], v131 offset:56
	s_wait_dscnt 0x0
	v_pk_mul_f32 v[134:135], v[128:129], v[132:133] op_sel:[1,1] op_sel_hi:[0,1]
	v_pk_fma_f32 v[136:137], v[128:129], v[132:133], v[134:135] op_sel_hi:[1,0,1]
	v_pk_fma_f32 v[128:129], v[128:129], v[132:133], v[134:135] neg_lo:[0,0,1] neg_hi:[0,0,1]
	s_delay_alu instid0(VALU_DEP_2)
	v_mov_b32_e32 v129, v137
	scratch_store_b64 off, v[128:129], off offset:56
.LBB125_680:
	s_wait_xcnt 0x0
	s_or_b32 exec_lo, exec_lo, s0
	scratch_load_b64 v[128:129], off, off offset:64
	s_mov_b32 s0, exec_lo
	s_wait_loadcnt 0x0
	ds_store_b64 v1, v[128:129]
	s_wait_storecnt_dscnt 0x0
	s_barrier_signal -1
	s_barrier_wait -1
	s_wait_xcnt 0x0
	v_cmpx_gt_u32_e32 8, v0
	s_cbranch_execz .LBB125_690
; %bb.681:
	v_cmp_ne_u32_e32 vcc_lo, 1, v130
	s_cbranch_vccnz .LBB125_683
; %bb.682:
	scratch_load_b64 v[128:129], v59, off
	ds_load_b64 v[132:133], v1
	s_wait_loadcnt_dscnt 0x0
	v_pk_mul_f32 v[134:135], v[132:133], v[128:129] op_sel:[1,1] op_sel_hi:[0,1]
	s_delay_alu instid0(VALU_DEP_1) | instskip(SKIP_1) | instid1(VALU_DEP_2)
	v_pk_fma_f32 v[136:137], v[132:133], v[128:129], v[134:135] op_sel_hi:[1,0,1]
	v_pk_fma_f32 v[128:129], v[132:133], v[128:129], v[134:135] neg_lo:[0,0,1] neg_hi:[0,0,1]
	v_mov_b32_e32 v129, v137
	s_cbranch_execz .LBB125_684
	s_branch .LBB125_685
.LBB125_683:
                                        ; implicit-def: $vgpr128_vgpr129
.LBB125_684:
	ds_load_b64 v[128:129], v1
.LBB125_685:
	s_mov_b32 s2, exec_lo
	v_cmpx_ne_u32_e32 7, v0
	s_cbranch_execz .LBB125_689
; %bb.686:
	v_add_nc_u32_e32 v131, 0x1f8, v58
	v_add3_u32 v132, 0, v58, 8
	v_mov_b32_e32 v133, v0
	s_mov_b32 s3, 0
.LBB125_687:                            ; =>This Inner Loop Header: Depth=1
	scratch_load_b64 v[134:135], v132, off
	ds_load_b64 v[136:137], v131
	s_wait_xcnt 0x0
	v_dual_add_nc_u32 v131, 8, v131 :: v_dual_add_nc_u32 v132, 8, v132
	s_wait_loadcnt_dscnt 0x0
	v_pk_mul_f32 v[138:139], v[136:137], v[134:135] op_sel:[1,1] op_sel_hi:[0,1]
	s_delay_alu instid0(VALU_DEP_1) | instskip(SKIP_2) | instid1(VALU_DEP_3)
	v_pk_fma_f32 v[140:141], v[136:137], v[134:135], v[138:139] op_sel_hi:[1,0,1]
	v_add_nc_u32_e32 v133, 1, v133
	v_pk_fma_f32 v[134:135], v[136:137], v[134:135], v[138:139] neg_lo:[0,0,1] neg_hi:[0,0,1]
	v_mov_b32_e32 v135, v141
	s_delay_alu instid0(VALU_DEP_3) | instskip(NEXT) | instid1(VALU_DEP_2)
	v_cmp_lt_u32_e32 vcc_lo, 6, v133
	v_pk_add_f32 v[128:129], v[128:129], v[134:135]
	s_or_b32 s3, vcc_lo, s3
	s_delay_alu instid0(SALU_CYCLE_1)
	s_and_not1_b32 exec_lo, exec_lo, s3
	s_cbranch_execnz .LBB125_687
; %bb.688:
	s_or_b32 exec_lo, exec_lo, s3
.LBB125_689:
	s_delay_alu instid0(SALU_CYCLE_1) | instskip(SKIP_4) | instid1(VALU_DEP_1)
	s_or_b32 exec_lo, exec_lo, s2
	v_mov_b32_e32 v131, 0
	ds_load_b64 v[132:133], v131 offset:64
	s_wait_dscnt 0x0
	v_pk_mul_f32 v[134:135], v[128:129], v[132:133] op_sel:[1,1] op_sel_hi:[0,1]
	v_pk_fma_f32 v[136:137], v[128:129], v[132:133], v[134:135] op_sel_hi:[1,0,1]
	v_pk_fma_f32 v[128:129], v[128:129], v[132:133], v[134:135] neg_lo:[0,0,1] neg_hi:[0,0,1]
	s_delay_alu instid0(VALU_DEP_2)
	v_mov_b32_e32 v129, v137
	scratch_store_b64 off, v[128:129], off offset:64
.LBB125_690:
	s_wait_xcnt 0x0
	s_or_b32 exec_lo, exec_lo, s0
	scratch_load_b64 v[128:129], off, off offset:72
	s_mov_b32 s0, exec_lo
	s_wait_loadcnt 0x0
	ds_store_b64 v1, v[128:129]
	s_wait_storecnt_dscnt 0x0
	s_barrier_signal -1
	s_barrier_wait -1
	s_wait_xcnt 0x0
	v_cmpx_gt_u32_e32 9, v0
	s_cbranch_execz .LBB125_700
; %bb.691:
	v_cmp_ne_u32_e32 vcc_lo, 1, v130
	s_cbranch_vccnz .LBB125_693
; %bb.692:
	scratch_load_b64 v[128:129], v59, off
	ds_load_b64 v[132:133], v1
	s_wait_loadcnt_dscnt 0x0
	v_pk_mul_f32 v[134:135], v[132:133], v[128:129] op_sel:[1,1] op_sel_hi:[0,1]
	s_delay_alu instid0(VALU_DEP_1) | instskip(SKIP_1) | instid1(VALU_DEP_2)
	v_pk_fma_f32 v[136:137], v[132:133], v[128:129], v[134:135] op_sel_hi:[1,0,1]
	v_pk_fma_f32 v[128:129], v[132:133], v[128:129], v[134:135] neg_lo:[0,0,1] neg_hi:[0,0,1]
	v_mov_b32_e32 v129, v137
	s_cbranch_execz .LBB125_694
	s_branch .LBB125_695
.LBB125_693:
                                        ; implicit-def: $vgpr128_vgpr129
.LBB125_694:
	ds_load_b64 v[128:129], v1
.LBB125_695:
	s_mov_b32 s2, exec_lo
	v_cmpx_ne_u32_e32 8, v0
	s_cbranch_execz .LBB125_699
; %bb.696:
	v_add_nc_u32_e32 v131, 0x1f8, v58
	v_add3_u32 v132, 0, v58, 8
	v_mov_b32_e32 v133, v0
	s_mov_b32 s3, 0
.LBB125_697:                            ; =>This Inner Loop Header: Depth=1
	scratch_load_b64 v[134:135], v132, off
	ds_load_b64 v[136:137], v131
	s_wait_xcnt 0x0
	v_dual_add_nc_u32 v131, 8, v131 :: v_dual_add_nc_u32 v132, 8, v132
	s_wait_loadcnt_dscnt 0x0
	v_pk_mul_f32 v[138:139], v[136:137], v[134:135] op_sel:[1,1] op_sel_hi:[0,1]
	s_delay_alu instid0(VALU_DEP_1) | instskip(SKIP_2) | instid1(VALU_DEP_3)
	v_pk_fma_f32 v[140:141], v[136:137], v[134:135], v[138:139] op_sel_hi:[1,0,1]
	v_add_nc_u32_e32 v133, 1, v133
	v_pk_fma_f32 v[134:135], v[136:137], v[134:135], v[138:139] neg_lo:[0,0,1] neg_hi:[0,0,1]
	v_mov_b32_e32 v135, v141
	s_delay_alu instid0(VALU_DEP_3) | instskip(NEXT) | instid1(VALU_DEP_2)
	v_cmp_lt_u32_e32 vcc_lo, 7, v133
	v_pk_add_f32 v[128:129], v[128:129], v[134:135]
	s_or_b32 s3, vcc_lo, s3
	s_delay_alu instid0(SALU_CYCLE_1)
	s_and_not1_b32 exec_lo, exec_lo, s3
	s_cbranch_execnz .LBB125_697
; %bb.698:
	s_or_b32 exec_lo, exec_lo, s3
.LBB125_699:
	s_delay_alu instid0(SALU_CYCLE_1) | instskip(SKIP_4) | instid1(VALU_DEP_1)
	s_or_b32 exec_lo, exec_lo, s2
	v_mov_b32_e32 v131, 0
	ds_load_b64 v[132:133], v131 offset:72
	s_wait_dscnt 0x0
	v_pk_mul_f32 v[134:135], v[128:129], v[132:133] op_sel:[1,1] op_sel_hi:[0,1]
	v_pk_fma_f32 v[136:137], v[128:129], v[132:133], v[134:135] op_sel_hi:[1,0,1]
	v_pk_fma_f32 v[128:129], v[128:129], v[132:133], v[134:135] neg_lo:[0,0,1] neg_hi:[0,0,1]
	s_delay_alu instid0(VALU_DEP_2)
	v_mov_b32_e32 v129, v137
	scratch_store_b64 off, v[128:129], off offset:72
.LBB125_700:
	s_wait_xcnt 0x0
	s_or_b32 exec_lo, exec_lo, s0
	scratch_load_b64 v[128:129], off, off offset:80
	s_mov_b32 s0, exec_lo
	s_wait_loadcnt 0x0
	ds_store_b64 v1, v[128:129]
	s_wait_storecnt_dscnt 0x0
	s_barrier_signal -1
	s_barrier_wait -1
	s_wait_xcnt 0x0
	v_cmpx_gt_u32_e32 10, v0
	s_cbranch_execz .LBB125_710
; %bb.701:
	v_cmp_ne_u32_e32 vcc_lo, 1, v130
	s_cbranch_vccnz .LBB125_703
; %bb.702:
	scratch_load_b64 v[128:129], v59, off
	ds_load_b64 v[132:133], v1
	s_wait_loadcnt_dscnt 0x0
	v_pk_mul_f32 v[134:135], v[132:133], v[128:129] op_sel:[1,1] op_sel_hi:[0,1]
	s_delay_alu instid0(VALU_DEP_1) | instskip(SKIP_1) | instid1(VALU_DEP_2)
	v_pk_fma_f32 v[136:137], v[132:133], v[128:129], v[134:135] op_sel_hi:[1,0,1]
	v_pk_fma_f32 v[128:129], v[132:133], v[128:129], v[134:135] neg_lo:[0,0,1] neg_hi:[0,0,1]
	v_mov_b32_e32 v129, v137
	s_cbranch_execz .LBB125_704
	s_branch .LBB125_705
.LBB125_703:
                                        ; implicit-def: $vgpr128_vgpr129
.LBB125_704:
	ds_load_b64 v[128:129], v1
.LBB125_705:
	s_mov_b32 s2, exec_lo
	v_cmpx_ne_u32_e32 9, v0
	s_cbranch_execz .LBB125_709
; %bb.706:
	v_add_nc_u32_e32 v131, 0x1f8, v58
	v_add3_u32 v132, 0, v58, 8
	v_mov_b32_e32 v133, v0
	s_mov_b32 s3, 0
.LBB125_707:                            ; =>This Inner Loop Header: Depth=1
	scratch_load_b64 v[134:135], v132, off
	ds_load_b64 v[136:137], v131
	s_wait_xcnt 0x0
	v_dual_add_nc_u32 v131, 8, v131 :: v_dual_add_nc_u32 v132, 8, v132
	s_wait_loadcnt_dscnt 0x0
	v_pk_mul_f32 v[138:139], v[136:137], v[134:135] op_sel:[1,1] op_sel_hi:[0,1]
	s_delay_alu instid0(VALU_DEP_1) | instskip(SKIP_2) | instid1(VALU_DEP_3)
	v_pk_fma_f32 v[140:141], v[136:137], v[134:135], v[138:139] op_sel_hi:[1,0,1]
	v_add_nc_u32_e32 v133, 1, v133
	v_pk_fma_f32 v[134:135], v[136:137], v[134:135], v[138:139] neg_lo:[0,0,1] neg_hi:[0,0,1]
	v_mov_b32_e32 v135, v141
	s_delay_alu instid0(VALU_DEP_3) | instskip(NEXT) | instid1(VALU_DEP_2)
	v_cmp_lt_u32_e32 vcc_lo, 8, v133
	v_pk_add_f32 v[128:129], v[128:129], v[134:135]
	s_or_b32 s3, vcc_lo, s3
	s_delay_alu instid0(SALU_CYCLE_1)
	s_and_not1_b32 exec_lo, exec_lo, s3
	s_cbranch_execnz .LBB125_707
; %bb.708:
	s_or_b32 exec_lo, exec_lo, s3
.LBB125_709:
	s_delay_alu instid0(SALU_CYCLE_1) | instskip(SKIP_4) | instid1(VALU_DEP_1)
	s_or_b32 exec_lo, exec_lo, s2
	v_mov_b32_e32 v131, 0
	ds_load_b64 v[132:133], v131 offset:80
	s_wait_dscnt 0x0
	v_pk_mul_f32 v[134:135], v[128:129], v[132:133] op_sel:[1,1] op_sel_hi:[0,1]
	v_pk_fma_f32 v[136:137], v[128:129], v[132:133], v[134:135] op_sel_hi:[1,0,1]
	v_pk_fma_f32 v[128:129], v[128:129], v[132:133], v[134:135] neg_lo:[0,0,1] neg_hi:[0,0,1]
	s_delay_alu instid0(VALU_DEP_2)
	v_mov_b32_e32 v129, v137
	scratch_store_b64 off, v[128:129], off offset:80
.LBB125_710:
	s_wait_xcnt 0x0
	s_or_b32 exec_lo, exec_lo, s0
	scratch_load_b64 v[128:129], off, off offset:88
	s_mov_b32 s0, exec_lo
	s_wait_loadcnt 0x0
	ds_store_b64 v1, v[128:129]
	s_wait_storecnt_dscnt 0x0
	s_barrier_signal -1
	s_barrier_wait -1
	s_wait_xcnt 0x0
	v_cmpx_gt_u32_e32 11, v0
	s_cbranch_execz .LBB125_720
; %bb.711:
	v_cmp_ne_u32_e32 vcc_lo, 1, v130
	s_cbranch_vccnz .LBB125_713
; %bb.712:
	scratch_load_b64 v[128:129], v59, off
	ds_load_b64 v[132:133], v1
	s_wait_loadcnt_dscnt 0x0
	v_pk_mul_f32 v[134:135], v[132:133], v[128:129] op_sel:[1,1] op_sel_hi:[0,1]
	s_delay_alu instid0(VALU_DEP_1) | instskip(SKIP_1) | instid1(VALU_DEP_2)
	v_pk_fma_f32 v[136:137], v[132:133], v[128:129], v[134:135] op_sel_hi:[1,0,1]
	v_pk_fma_f32 v[128:129], v[132:133], v[128:129], v[134:135] neg_lo:[0,0,1] neg_hi:[0,0,1]
	v_mov_b32_e32 v129, v137
	s_cbranch_execz .LBB125_714
	s_branch .LBB125_715
.LBB125_713:
                                        ; implicit-def: $vgpr128_vgpr129
.LBB125_714:
	ds_load_b64 v[128:129], v1
.LBB125_715:
	s_mov_b32 s2, exec_lo
	v_cmpx_ne_u32_e32 10, v0
	s_cbranch_execz .LBB125_719
; %bb.716:
	v_add_nc_u32_e32 v131, 0x1f8, v58
	v_add3_u32 v132, 0, v58, 8
	v_mov_b32_e32 v133, v0
	s_mov_b32 s3, 0
.LBB125_717:                            ; =>This Inner Loop Header: Depth=1
	scratch_load_b64 v[134:135], v132, off
	ds_load_b64 v[136:137], v131
	s_wait_xcnt 0x0
	v_dual_add_nc_u32 v131, 8, v131 :: v_dual_add_nc_u32 v132, 8, v132
	s_wait_loadcnt_dscnt 0x0
	v_pk_mul_f32 v[138:139], v[136:137], v[134:135] op_sel:[1,1] op_sel_hi:[0,1]
	s_delay_alu instid0(VALU_DEP_1) | instskip(SKIP_2) | instid1(VALU_DEP_3)
	v_pk_fma_f32 v[140:141], v[136:137], v[134:135], v[138:139] op_sel_hi:[1,0,1]
	v_add_nc_u32_e32 v133, 1, v133
	v_pk_fma_f32 v[134:135], v[136:137], v[134:135], v[138:139] neg_lo:[0,0,1] neg_hi:[0,0,1]
	v_mov_b32_e32 v135, v141
	s_delay_alu instid0(VALU_DEP_3) | instskip(NEXT) | instid1(VALU_DEP_2)
	v_cmp_lt_u32_e32 vcc_lo, 9, v133
	v_pk_add_f32 v[128:129], v[128:129], v[134:135]
	s_or_b32 s3, vcc_lo, s3
	s_delay_alu instid0(SALU_CYCLE_1)
	s_and_not1_b32 exec_lo, exec_lo, s3
	s_cbranch_execnz .LBB125_717
; %bb.718:
	s_or_b32 exec_lo, exec_lo, s3
.LBB125_719:
	s_delay_alu instid0(SALU_CYCLE_1) | instskip(SKIP_4) | instid1(VALU_DEP_1)
	s_or_b32 exec_lo, exec_lo, s2
	v_mov_b32_e32 v131, 0
	ds_load_b64 v[132:133], v131 offset:88
	s_wait_dscnt 0x0
	v_pk_mul_f32 v[134:135], v[128:129], v[132:133] op_sel:[1,1] op_sel_hi:[0,1]
	v_pk_fma_f32 v[136:137], v[128:129], v[132:133], v[134:135] op_sel_hi:[1,0,1]
	v_pk_fma_f32 v[128:129], v[128:129], v[132:133], v[134:135] neg_lo:[0,0,1] neg_hi:[0,0,1]
	s_delay_alu instid0(VALU_DEP_2)
	v_mov_b32_e32 v129, v137
	scratch_store_b64 off, v[128:129], off offset:88
.LBB125_720:
	s_wait_xcnt 0x0
	s_or_b32 exec_lo, exec_lo, s0
	scratch_load_b64 v[128:129], off, off offset:96
	s_mov_b32 s0, exec_lo
	s_wait_loadcnt 0x0
	ds_store_b64 v1, v[128:129]
	s_wait_storecnt_dscnt 0x0
	s_barrier_signal -1
	s_barrier_wait -1
	s_wait_xcnt 0x0
	v_cmpx_gt_u32_e32 12, v0
	s_cbranch_execz .LBB125_730
; %bb.721:
	v_cmp_ne_u32_e32 vcc_lo, 1, v130
	s_cbranch_vccnz .LBB125_723
; %bb.722:
	scratch_load_b64 v[128:129], v59, off
	ds_load_b64 v[132:133], v1
	s_wait_loadcnt_dscnt 0x0
	v_pk_mul_f32 v[134:135], v[132:133], v[128:129] op_sel:[1,1] op_sel_hi:[0,1]
	s_delay_alu instid0(VALU_DEP_1) | instskip(SKIP_1) | instid1(VALU_DEP_2)
	v_pk_fma_f32 v[136:137], v[132:133], v[128:129], v[134:135] op_sel_hi:[1,0,1]
	v_pk_fma_f32 v[128:129], v[132:133], v[128:129], v[134:135] neg_lo:[0,0,1] neg_hi:[0,0,1]
	v_mov_b32_e32 v129, v137
	s_cbranch_execz .LBB125_724
	s_branch .LBB125_725
.LBB125_723:
                                        ; implicit-def: $vgpr128_vgpr129
.LBB125_724:
	ds_load_b64 v[128:129], v1
.LBB125_725:
	s_mov_b32 s2, exec_lo
	v_cmpx_ne_u32_e32 11, v0
	s_cbranch_execz .LBB125_729
; %bb.726:
	v_add_nc_u32_e32 v131, 0x1f8, v58
	v_add3_u32 v132, 0, v58, 8
	v_mov_b32_e32 v133, v0
	s_mov_b32 s3, 0
.LBB125_727:                            ; =>This Inner Loop Header: Depth=1
	scratch_load_b64 v[134:135], v132, off
	ds_load_b64 v[136:137], v131
	s_wait_xcnt 0x0
	v_dual_add_nc_u32 v131, 8, v131 :: v_dual_add_nc_u32 v132, 8, v132
	s_wait_loadcnt_dscnt 0x0
	v_pk_mul_f32 v[138:139], v[136:137], v[134:135] op_sel:[1,1] op_sel_hi:[0,1]
	s_delay_alu instid0(VALU_DEP_1) | instskip(SKIP_2) | instid1(VALU_DEP_3)
	v_pk_fma_f32 v[140:141], v[136:137], v[134:135], v[138:139] op_sel_hi:[1,0,1]
	v_add_nc_u32_e32 v133, 1, v133
	v_pk_fma_f32 v[134:135], v[136:137], v[134:135], v[138:139] neg_lo:[0,0,1] neg_hi:[0,0,1]
	v_mov_b32_e32 v135, v141
	s_delay_alu instid0(VALU_DEP_3) | instskip(NEXT) | instid1(VALU_DEP_2)
	v_cmp_lt_u32_e32 vcc_lo, 10, v133
	v_pk_add_f32 v[128:129], v[128:129], v[134:135]
	s_or_b32 s3, vcc_lo, s3
	s_delay_alu instid0(SALU_CYCLE_1)
	s_and_not1_b32 exec_lo, exec_lo, s3
	s_cbranch_execnz .LBB125_727
; %bb.728:
	s_or_b32 exec_lo, exec_lo, s3
.LBB125_729:
	s_delay_alu instid0(SALU_CYCLE_1) | instskip(SKIP_4) | instid1(VALU_DEP_1)
	s_or_b32 exec_lo, exec_lo, s2
	v_mov_b32_e32 v131, 0
	ds_load_b64 v[132:133], v131 offset:96
	s_wait_dscnt 0x0
	v_pk_mul_f32 v[134:135], v[128:129], v[132:133] op_sel:[1,1] op_sel_hi:[0,1]
	v_pk_fma_f32 v[136:137], v[128:129], v[132:133], v[134:135] op_sel_hi:[1,0,1]
	v_pk_fma_f32 v[128:129], v[128:129], v[132:133], v[134:135] neg_lo:[0,0,1] neg_hi:[0,0,1]
	s_delay_alu instid0(VALU_DEP_2)
	v_mov_b32_e32 v129, v137
	scratch_store_b64 off, v[128:129], off offset:96
.LBB125_730:
	s_wait_xcnt 0x0
	s_or_b32 exec_lo, exec_lo, s0
	scratch_load_b64 v[128:129], off, off offset:104
	s_mov_b32 s0, exec_lo
	s_wait_loadcnt 0x0
	ds_store_b64 v1, v[128:129]
	s_wait_storecnt_dscnt 0x0
	s_barrier_signal -1
	s_barrier_wait -1
	s_wait_xcnt 0x0
	v_cmpx_gt_u32_e32 13, v0
	s_cbranch_execz .LBB125_740
; %bb.731:
	v_cmp_ne_u32_e32 vcc_lo, 1, v130
	s_cbranch_vccnz .LBB125_733
; %bb.732:
	scratch_load_b64 v[128:129], v59, off
	ds_load_b64 v[132:133], v1
	s_wait_loadcnt_dscnt 0x0
	v_pk_mul_f32 v[134:135], v[132:133], v[128:129] op_sel:[1,1] op_sel_hi:[0,1]
	s_delay_alu instid0(VALU_DEP_1) | instskip(SKIP_1) | instid1(VALU_DEP_2)
	v_pk_fma_f32 v[136:137], v[132:133], v[128:129], v[134:135] op_sel_hi:[1,0,1]
	v_pk_fma_f32 v[128:129], v[132:133], v[128:129], v[134:135] neg_lo:[0,0,1] neg_hi:[0,0,1]
	v_mov_b32_e32 v129, v137
	s_cbranch_execz .LBB125_734
	s_branch .LBB125_735
.LBB125_733:
                                        ; implicit-def: $vgpr128_vgpr129
.LBB125_734:
	ds_load_b64 v[128:129], v1
.LBB125_735:
	s_mov_b32 s2, exec_lo
	v_cmpx_ne_u32_e32 12, v0
	s_cbranch_execz .LBB125_739
; %bb.736:
	v_add_nc_u32_e32 v131, 0x1f8, v58
	v_add3_u32 v132, 0, v58, 8
	v_mov_b32_e32 v133, v0
	s_mov_b32 s3, 0
.LBB125_737:                            ; =>This Inner Loop Header: Depth=1
	scratch_load_b64 v[134:135], v132, off
	ds_load_b64 v[136:137], v131
	s_wait_xcnt 0x0
	v_dual_add_nc_u32 v131, 8, v131 :: v_dual_add_nc_u32 v132, 8, v132
	s_wait_loadcnt_dscnt 0x0
	v_pk_mul_f32 v[138:139], v[136:137], v[134:135] op_sel:[1,1] op_sel_hi:[0,1]
	s_delay_alu instid0(VALU_DEP_1) | instskip(SKIP_2) | instid1(VALU_DEP_3)
	v_pk_fma_f32 v[140:141], v[136:137], v[134:135], v[138:139] op_sel_hi:[1,0,1]
	v_add_nc_u32_e32 v133, 1, v133
	v_pk_fma_f32 v[134:135], v[136:137], v[134:135], v[138:139] neg_lo:[0,0,1] neg_hi:[0,0,1]
	v_mov_b32_e32 v135, v141
	s_delay_alu instid0(VALU_DEP_3) | instskip(NEXT) | instid1(VALU_DEP_2)
	v_cmp_lt_u32_e32 vcc_lo, 11, v133
	v_pk_add_f32 v[128:129], v[128:129], v[134:135]
	s_or_b32 s3, vcc_lo, s3
	s_delay_alu instid0(SALU_CYCLE_1)
	s_and_not1_b32 exec_lo, exec_lo, s3
	s_cbranch_execnz .LBB125_737
; %bb.738:
	s_or_b32 exec_lo, exec_lo, s3
.LBB125_739:
	s_delay_alu instid0(SALU_CYCLE_1) | instskip(SKIP_4) | instid1(VALU_DEP_1)
	s_or_b32 exec_lo, exec_lo, s2
	v_mov_b32_e32 v131, 0
	ds_load_b64 v[132:133], v131 offset:104
	s_wait_dscnt 0x0
	v_pk_mul_f32 v[134:135], v[128:129], v[132:133] op_sel:[1,1] op_sel_hi:[0,1]
	v_pk_fma_f32 v[136:137], v[128:129], v[132:133], v[134:135] op_sel_hi:[1,0,1]
	v_pk_fma_f32 v[128:129], v[128:129], v[132:133], v[134:135] neg_lo:[0,0,1] neg_hi:[0,0,1]
	s_delay_alu instid0(VALU_DEP_2)
	v_mov_b32_e32 v129, v137
	scratch_store_b64 off, v[128:129], off offset:104
.LBB125_740:
	s_wait_xcnt 0x0
	s_or_b32 exec_lo, exec_lo, s0
	scratch_load_b64 v[128:129], off, off offset:112
	s_mov_b32 s0, exec_lo
	s_wait_loadcnt 0x0
	ds_store_b64 v1, v[128:129]
	s_wait_storecnt_dscnt 0x0
	s_barrier_signal -1
	s_barrier_wait -1
	s_wait_xcnt 0x0
	v_cmpx_gt_u32_e32 14, v0
	s_cbranch_execz .LBB125_750
; %bb.741:
	v_cmp_ne_u32_e32 vcc_lo, 1, v130
	s_cbranch_vccnz .LBB125_743
; %bb.742:
	scratch_load_b64 v[128:129], v59, off
	ds_load_b64 v[132:133], v1
	s_wait_loadcnt_dscnt 0x0
	v_pk_mul_f32 v[134:135], v[132:133], v[128:129] op_sel:[1,1] op_sel_hi:[0,1]
	s_delay_alu instid0(VALU_DEP_1) | instskip(SKIP_1) | instid1(VALU_DEP_2)
	v_pk_fma_f32 v[136:137], v[132:133], v[128:129], v[134:135] op_sel_hi:[1,0,1]
	v_pk_fma_f32 v[128:129], v[132:133], v[128:129], v[134:135] neg_lo:[0,0,1] neg_hi:[0,0,1]
	v_mov_b32_e32 v129, v137
	s_cbranch_execz .LBB125_744
	s_branch .LBB125_745
.LBB125_743:
                                        ; implicit-def: $vgpr128_vgpr129
.LBB125_744:
	ds_load_b64 v[128:129], v1
.LBB125_745:
	s_mov_b32 s2, exec_lo
	v_cmpx_ne_u32_e32 13, v0
	s_cbranch_execz .LBB125_749
; %bb.746:
	v_add_nc_u32_e32 v131, 0x1f8, v58
	v_add3_u32 v132, 0, v58, 8
	v_mov_b32_e32 v133, v0
	s_mov_b32 s3, 0
.LBB125_747:                            ; =>This Inner Loop Header: Depth=1
	scratch_load_b64 v[134:135], v132, off
	ds_load_b64 v[136:137], v131
	s_wait_xcnt 0x0
	v_dual_add_nc_u32 v131, 8, v131 :: v_dual_add_nc_u32 v132, 8, v132
	s_wait_loadcnt_dscnt 0x0
	v_pk_mul_f32 v[138:139], v[136:137], v[134:135] op_sel:[1,1] op_sel_hi:[0,1]
	s_delay_alu instid0(VALU_DEP_1) | instskip(SKIP_2) | instid1(VALU_DEP_3)
	v_pk_fma_f32 v[140:141], v[136:137], v[134:135], v[138:139] op_sel_hi:[1,0,1]
	v_add_nc_u32_e32 v133, 1, v133
	v_pk_fma_f32 v[134:135], v[136:137], v[134:135], v[138:139] neg_lo:[0,0,1] neg_hi:[0,0,1]
	v_mov_b32_e32 v135, v141
	s_delay_alu instid0(VALU_DEP_3) | instskip(NEXT) | instid1(VALU_DEP_2)
	v_cmp_lt_u32_e32 vcc_lo, 12, v133
	v_pk_add_f32 v[128:129], v[128:129], v[134:135]
	s_or_b32 s3, vcc_lo, s3
	s_delay_alu instid0(SALU_CYCLE_1)
	s_and_not1_b32 exec_lo, exec_lo, s3
	s_cbranch_execnz .LBB125_747
; %bb.748:
	s_or_b32 exec_lo, exec_lo, s3
.LBB125_749:
	s_delay_alu instid0(SALU_CYCLE_1) | instskip(SKIP_4) | instid1(VALU_DEP_1)
	s_or_b32 exec_lo, exec_lo, s2
	v_mov_b32_e32 v131, 0
	ds_load_b64 v[132:133], v131 offset:112
	s_wait_dscnt 0x0
	v_pk_mul_f32 v[134:135], v[128:129], v[132:133] op_sel:[1,1] op_sel_hi:[0,1]
	v_pk_fma_f32 v[136:137], v[128:129], v[132:133], v[134:135] op_sel_hi:[1,0,1]
	v_pk_fma_f32 v[128:129], v[128:129], v[132:133], v[134:135] neg_lo:[0,0,1] neg_hi:[0,0,1]
	s_delay_alu instid0(VALU_DEP_2)
	v_mov_b32_e32 v129, v137
	scratch_store_b64 off, v[128:129], off offset:112
.LBB125_750:
	s_wait_xcnt 0x0
	s_or_b32 exec_lo, exec_lo, s0
	scratch_load_b64 v[128:129], off, off offset:120
	s_mov_b32 s0, exec_lo
	s_wait_loadcnt 0x0
	ds_store_b64 v1, v[128:129]
	s_wait_storecnt_dscnt 0x0
	s_barrier_signal -1
	s_barrier_wait -1
	s_wait_xcnt 0x0
	v_cmpx_gt_u32_e32 15, v0
	s_cbranch_execz .LBB125_760
; %bb.751:
	v_cmp_ne_u32_e32 vcc_lo, 1, v130
	s_cbranch_vccnz .LBB125_753
; %bb.752:
	scratch_load_b64 v[128:129], v59, off
	ds_load_b64 v[132:133], v1
	s_wait_loadcnt_dscnt 0x0
	v_pk_mul_f32 v[134:135], v[132:133], v[128:129] op_sel:[1,1] op_sel_hi:[0,1]
	s_delay_alu instid0(VALU_DEP_1) | instskip(SKIP_1) | instid1(VALU_DEP_2)
	v_pk_fma_f32 v[136:137], v[132:133], v[128:129], v[134:135] op_sel_hi:[1,0,1]
	v_pk_fma_f32 v[128:129], v[132:133], v[128:129], v[134:135] neg_lo:[0,0,1] neg_hi:[0,0,1]
	v_mov_b32_e32 v129, v137
	s_cbranch_execz .LBB125_754
	s_branch .LBB125_755
.LBB125_753:
                                        ; implicit-def: $vgpr128_vgpr129
.LBB125_754:
	ds_load_b64 v[128:129], v1
.LBB125_755:
	s_mov_b32 s2, exec_lo
	v_cmpx_ne_u32_e32 14, v0
	s_cbranch_execz .LBB125_759
; %bb.756:
	v_add_nc_u32_e32 v131, 0x1f8, v58
	v_add3_u32 v132, 0, v58, 8
	v_mov_b32_e32 v133, v0
	s_mov_b32 s3, 0
.LBB125_757:                            ; =>This Inner Loop Header: Depth=1
	scratch_load_b64 v[134:135], v132, off
	ds_load_b64 v[136:137], v131
	s_wait_xcnt 0x0
	v_dual_add_nc_u32 v131, 8, v131 :: v_dual_add_nc_u32 v132, 8, v132
	s_wait_loadcnt_dscnt 0x0
	v_pk_mul_f32 v[138:139], v[136:137], v[134:135] op_sel:[1,1] op_sel_hi:[0,1]
	s_delay_alu instid0(VALU_DEP_1) | instskip(SKIP_2) | instid1(VALU_DEP_3)
	v_pk_fma_f32 v[140:141], v[136:137], v[134:135], v[138:139] op_sel_hi:[1,0,1]
	v_add_nc_u32_e32 v133, 1, v133
	v_pk_fma_f32 v[134:135], v[136:137], v[134:135], v[138:139] neg_lo:[0,0,1] neg_hi:[0,0,1]
	v_mov_b32_e32 v135, v141
	s_delay_alu instid0(VALU_DEP_3) | instskip(NEXT) | instid1(VALU_DEP_2)
	v_cmp_lt_u32_e32 vcc_lo, 13, v133
	v_pk_add_f32 v[128:129], v[128:129], v[134:135]
	s_or_b32 s3, vcc_lo, s3
	s_delay_alu instid0(SALU_CYCLE_1)
	s_and_not1_b32 exec_lo, exec_lo, s3
	s_cbranch_execnz .LBB125_757
; %bb.758:
	s_or_b32 exec_lo, exec_lo, s3
.LBB125_759:
	s_delay_alu instid0(SALU_CYCLE_1) | instskip(SKIP_4) | instid1(VALU_DEP_1)
	s_or_b32 exec_lo, exec_lo, s2
	v_mov_b32_e32 v131, 0
	ds_load_b64 v[132:133], v131 offset:120
	s_wait_dscnt 0x0
	v_pk_mul_f32 v[134:135], v[128:129], v[132:133] op_sel:[1,1] op_sel_hi:[0,1]
	v_pk_fma_f32 v[136:137], v[128:129], v[132:133], v[134:135] op_sel_hi:[1,0,1]
	v_pk_fma_f32 v[128:129], v[128:129], v[132:133], v[134:135] neg_lo:[0,0,1] neg_hi:[0,0,1]
	s_delay_alu instid0(VALU_DEP_2)
	v_mov_b32_e32 v129, v137
	scratch_store_b64 off, v[128:129], off offset:120
.LBB125_760:
	s_wait_xcnt 0x0
	s_or_b32 exec_lo, exec_lo, s0
	scratch_load_b64 v[128:129], off, off offset:128
	s_mov_b32 s0, exec_lo
	s_wait_loadcnt 0x0
	ds_store_b64 v1, v[128:129]
	s_wait_storecnt_dscnt 0x0
	s_barrier_signal -1
	s_barrier_wait -1
	s_wait_xcnt 0x0
	v_cmpx_gt_u32_e32 16, v0
	s_cbranch_execz .LBB125_770
; %bb.761:
	v_cmp_ne_u32_e32 vcc_lo, 1, v130
	s_cbranch_vccnz .LBB125_763
; %bb.762:
	scratch_load_b64 v[128:129], v59, off
	ds_load_b64 v[132:133], v1
	s_wait_loadcnt_dscnt 0x0
	v_pk_mul_f32 v[134:135], v[132:133], v[128:129] op_sel:[1,1] op_sel_hi:[0,1]
	s_delay_alu instid0(VALU_DEP_1) | instskip(SKIP_1) | instid1(VALU_DEP_2)
	v_pk_fma_f32 v[136:137], v[132:133], v[128:129], v[134:135] op_sel_hi:[1,0,1]
	v_pk_fma_f32 v[128:129], v[132:133], v[128:129], v[134:135] neg_lo:[0,0,1] neg_hi:[0,0,1]
	v_mov_b32_e32 v129, v137
	s_cbranch_execz .LBB125_764
	s_branch .LBB125_765
.LBB125_763:
                                        ; implicit-def: $vgpr128_vgpr129
.LBB125_764:
	ds_load_b64 v[128:129], v1
.LBB125_765:
	s_mov_b32 s2, exec_lo
	v_cmpx_ne_u32_e32 15, v0
	s_cbranch_execz .LBB125_769
; %bb.766:
	v_add_nc_u32_e32 v131, 0x1f8, v58
	v_add3_u32 v132, 0, v58, 8
	v_mov_b32_e32 v133, v0
	s_mov_b32 s3, 0
.LBB125_767:                            ; =>This Inner Loop Header: Depth=1
	scratch_load_b64 v[134:135], v132, off
	ds_load_b64 v[136:137], v131
	s_wait_xcnt 0x0
	v_dual_add_nc_u32 v131, 8, v131 :: v_dual_add_nc_u32 v132, 8, v132
	s_wait_loadcnt_dscnt 0x0
	v_pk_mul_f32 v[138:139], v[136:137], v[134:135] op_sel:[1,1] op_sel_hi:[0,1]
	s_delay_alu instid0(VALU_DEP_1) | instskip(SKIP_2) | instid1(VALU_DEP_3)
	v_pk_fma_f32 v[140:141], v[136:137], v[134:135], v[138:139] op_sel_hi:[1,0,1]
	v_add_nc_u32_e32 v133, 1, v133
	v_pk_fma_f32 v[134:135], v[136:137], v[134:135], v[138:139] neg_lo:[0,0,1] neg_hi:[0,0,1]
	v_mov_b32_e32 v135, v141
	s_delay_alu instid0(VALU_DEP_3) | instskip(NEXT) | instid1(VALU_DEP_2)
	v_cmp_lt_u32_e32 vcc_lo, 14, v133
	v_pk_add_f32 v[128:129], v[128:129], v[134:135]
	s_or_b32 s3, vcc_lo, s3
	s_delay_alu instid0(SALU_CYCLE_1)
	s_and_not1_b32 exec_lo, exec_lo, s3
	s_cbranch_execnz .LBB125_767
; %bb.768:
	s_or_b32 exec_lo, exec_lo, s3
.LBB125_769:
	s_delay_alu instid0(SALU_CYCLE_1) | instskip(SKIP_4) | instid1(VALU_DEP_1)
	s_or_b32 exec_lo, exec_lo, s2
	v_mov_b32_e32 v131, 0
	ds_load_b64 v[132:133], v131 offset:128
	s_wait_dscnt 0x0
	v_pk_mul_f32 v[134:135], v[128:129], v[132:133] op_sel:[1,1] op_sel_hi:[0,1]
	v_pk_fma_f32 v[136:137], v[128:129], v[132:133], v[134:135] op_sel_hi:[1,0,1]
	v_pk_fma_f32 v[128:129], v[128:129], v[132:133], v[134:135] neg_lo:[0,0,1] neg_hi:[0,0,1]
	s_delay_alu instid0(VALU_DEP_2)
	v_mov_b32_e32 v129, v137
	scratch_store_b64 off, v[128:129], off offset:128
.LBB125_770:
	s_wait_xcnt 0x0
	s_or_b32 exec_lo, exec_lo, s0
	scratch_load_b64 v[128:129], off, off offset:136
	s_mov_b32 s0, exec_lo
	s_wait_loadcnt 0x0
	ds_store_b64 v1, v[128:129]
	s_wait_storecnt_dscnt 0x0
	s_barrier_signal -1
	s_barrier_wait -1
	s_wait_xcnt 0x0
	v_cmpx_gt_u32_e32 17, v0
	s_cbranch_execz .LBB125_780
; %bb.771:
	v_cmp_ne_u32_e32 vcc_lo, 1, v130
	s_cbranch_vccnz .LBB125_773
; %bb.772:
	scratch_load_b64 v[128:129], v59, off
	ds_load_b64 v[132:133], v1
	s_wait_loadcnt_dscnt 0x0
	v_pk_mul_f32 v[134:135], v[132:133], v[128:129] op_sel:[1,1] op_sel_hi:[0,1]
	s_delay_alu instid0(VALU_DEP_1) | instskip(SKIP_1) | instid1(VALU_DEP_2)
	v_pk_fma_f32 v[136:137], v[132:133], v[128:129], v[134:135] op_sel_hi:[1,0,1]
	v_pk_fma_f32 v[128:129], v[132:133], v[128:129], v[134:135] neg_lo:[0,0,1] neg_hi:[0,0,1]
	v_mov_b32_e32 v129, v137
	s_cbranch_execz .LBB125_774
	s_branch .LBB125_775
.LBB125_773:
                                        ; implicit-def: $vgpr128_vgpr129
.LBB125_774:
	ds_load_b64 v[128:129], v1
.LBB125_775:
	s_mov_b32 s2, exec_lo
	v_cmpx_ne_u32_e32 16, v0
	s_cbranch_execz .LBB125_779
; %bb.776:
	v_add_nc_u32_e32 v131, 0x1f8, v58
	v_add3_u32 v132, 0, v58, 8
	v_mov_b32_e32 v133, v0
	s_mov_b32 s3, 0
.LBB125_777:                            ; =>This Inner Loop Header: Depth=1
	scratch_load_b64 v[134:135], v132, off
	ds_load_b64 v[136:137], v131
	s_wait_xcnt 0x0
	v_dual_add_nc_u32 v131, 8, v131 :: v_dual_add_nc_u32 v132, 8, v132
	s_wait_loadcnt_dscnt 0x0
	v_pk_mul_f32 v[138:139], v[136:137], v[134:135] op_sel:[1,1] op_sel_hi:[0,1]
	s_delay_alu instid0(VALU_DEP_1) | instskip(SKIP_2) | instid1(VALU_DEP_3)
	v_pk_fma_f32 v[140:141], v[136:137], v[134:135], v[138:139] op_sel_hi:[1,0,1]
	v_add_nc_u32_e32 v133, 1, v133
	v_pk_fma_f32 v[134:135], v[136:137], v[134:135], v[138:139] neg_lo:[0,0,1] neg_hi:[0,0,1]
	v_mov_b32_e32 v135, v141
	s_delay_alu instid0(VALU_DEP_3) | instskip(NEXT) | instid1(VALU_DEP_2)
	v_cmp_lt_u32_e32 vcc_lo, 15, v133
	v_pk_add_f32 v[128:129], v[128:129], v[134:135]
	s_or_b32 s3, vcc_lo, s3
	s_delay_alu instid0(SALU_CYCLE_1)
	s_and_not1_b32 exec_lo, exec_lo, s3
	s_cbranch_execnz .LBB125_777
; %bb.778:
	s_or_b32 exec_lo, exec_lo, s3
.LBB125_779:
	s_delay_alu instid0(SALU_CYCLE_1) | instskip(SKIP_4) | instid1(VALU_DEP_1)
	s_or_b32 exec_lo, exec_lo, s2
	v_mov_b32_e32 v131, 0
	ds_load_b64 v[132:133], v131 offset:136
	s_wait_dscnt 0x0
	v_pk_mul_f32 v[134:135], v[128:129], v[132:133] op_sel:[1,1] op_sel_hi:[0,1]
	v_pk_fma_f32 v[136:137], v[128:129], v[132:133], v[134:135] op_sel_hi:[1,0,1]
	v_pk_fma_f32 v[128:129], v[128:129], v[132:133], v[134:135] neg_lo:[0,0,1] neg_hi:[0,0,1]
	s_delay_alu instid0(VALU_DEP_2)
	v_mov_b32_e32 v129, v137
	scratch_store_b64 off, v[128:129], off offset:136
.LBB125_780:
	s_wait_xcnt 0x0
	s_or_b32 exec_lo, exec_lo, s0
	scratch_load_b64 v[128:129], off, off offset:144
	s_mov_b32 s0, exec_lo
	s_wait_loadcnt 0x0
	ds_store_b64 v1, v[128:129]
	s_wait_storecnt_dscnt 0x0
	s_barrier_signal -1
	s_barrier_wait -1
	s_wait_xcnt 0x0
	v_cmpx_gt_u32_e32 18, v0
	s_cbranch_execz .LBB125_790
; %bb.781:
	v_cmp_ne_u32_e32 vcc_lo, 1, v130
	s_cbranch_vccnz .LBB125_783
; %bb.782:
	scratch_load_b64 v[128:129], v59, off
	ds_load_b64 v[132:133], v1
	s_wait_loadcnt_dscnt 0x0
	v_pk_mul_f32 v[134:135], v[132:133], v[128:129] op_sel:[1,1] op_sel_hi:[0,1]
	s_delay_alu instid0(VALU_DEP_1) | instskip(SKIP_1) | instid1(VALU_DEP_2)
	v_pk_fma_f32 v[136:137], v[132:133], v[128:129], v[134:135] op_sel_hi:[1,0,1]
	v_pk_fma_f32 v[128:129], v[132:133], v[128:129], v[134:135] neg_lo:[0,0,1] neg_hi:[0,0,1]
	v_mov_b32_e32 v129, v137
	s_cbranch_execz .LBB125_784
	s_branch .LBB125_785
.LBB125_783:
                                        ; implicit-def: $vgpr128_vgpr129
.LBB125_784:
	ds_load_b64 v[128:129], v1
.LBB125_785:
	s_mov_b32 s2, exec_lo
	v_cmpx_ne_u32_e32 17, v0
	s_cbranch_execz .LBB125_789
; %bb.786:
	v_add_nc_u32_e32 v131, 0x1f8, v58
	v_add3_u32 v132, 0, v58, 8
	v_mov_b32_e32 v133, v0
	s_mov_b32 s3, 0
.LBB125_787:                            ; =>This Inner Loop Header: Depth=1
	scratch_load_b64 v[134:135], v132, off
	ds_load_b64 v[136:137], v131
	s_wait_xcnt 0x0
	v_dual_add_nc_u32 v131, 8, v131 :: v_dual_add_nc_u32 v132, 8, v132
	s_wait_loadcnt_dscnt 0x0
	v_pk_mul_f32 v[138:139], v[136:137], v[134:135] op_sel:[1,1] op_sel_hi:[0,1]
	s_delay_alu instid0(VALU_DEP_1) | instskip(SKIP_2) | instid1(VALU_DEP_3)
	v_pk_fma_f32 v[140:141], v[136:137], v[134:135], v[138:139] op_sel_hi:[1,0,1]
	v_add_nc_u32_e32 v133, 1, v133
	v_pk_fma_f32 v[134:135], v[136:137], v[134:135], v[138:139] neg_lo:[0,0,1] neg_hi:[0,0,1]
	v_mov_b32_e32 v135, v141
	s_delay_alu instid0(VALU_DEP_3) | instskip(NEXT) | instid1(VALU_DEP_2)
	v_cmp_lt_u32_e32 vcc_lo, 16, v133
	v_pk_add_f32 v[128:129], v[128:129], v[134:135]
	s_or_b32 s3, vcc_lo, s3
	s_delay_alu instid0(SALU_CYCLE_1)
	s_and_not1_b32 exec_lo, exec_lo, s3
	s_cbranch_execnz .LBB125_787
; %bb.788:
	s_or_b32 exec_lo, exec_lo, s3
.LBB125_789:
	s_delay_alu instid0(SALU_CYCLE_1) | instskip(SKIP_4) | instid1(VALU_DEP_1)
	s_or_b32 exec_lo, exec_lo, s2
	v_mov_b32_e32 v131, 0
	ds_load_b64 v[132:133], v131 offset:144
	s_wait_dscnt 0x0
	v_pk_mul_f32 v[134:135], v[128:129], v[132:133] op_sel:[1,1] op_sel_hi:[0,1]
	v_pk_fma_f32 v[136:137], v[128:129], v[132:133], v[134:135] op_sel_hi:[1,0,1]
	v_pk_fma_f32 v[128:129], v[128:129], v[132:133], v[134:135] neg_lo:[0,0,1] neg_hi:[0,0,1]
	s_delay_alu instid0(VALU_DEP_2)
	v_mov_b32_e32 v129, v137
	scratch_store_b64 off, v[128:129], off offset:144
.LBB125_790:
	s_wait_xcnt 0x0
	s_or_b32 exec_lo, exec_lo, s0
	scratch_load_b64 v[128:129], off, off offset:152
	s_mov_b32 s0, exec_lo
	s_wait_loadcnt 0x0
	ds_store_b64 v1, v[128:129]
	s_wait_storecnt_dscnt 0x0
	s_barrier_signal -1
	s_barrier_wait -1
	s_wait_xcnt 0x0
	v_cmpx_gt_u32_e32 19, v0
	s_cbranch_execz .LBB125_800
; %bb.791:
	v_cmp_ne_u32_e32 vcc_lo, 1, v130
	s_cbranch_vccnz .LBB125_793
; %bb.792:
	scratch_load_b64 v[128:129], v59, off
	ds_load_b64 v[132:133], v1
	s_wait_loadcnt_dscnt 0x0
	v_pk_mul_f32 v[134:135], v[132:133], v[128:129] op_sel:[1,1] op_sel_hi:[0,1]
	s_delay_alu instid0(VALU_DEP_1) | instskip(SKIP_1) | instid1(VALU_DEP_2)
	v_pk_fma_f32 v[136:137], v[132:133], v[128:129], v[134:135] op_sel_hi:[1,0,1]
	v_pk_fma_f32 v[128:129], v[132:133], v[128:129], v[134:135] neg_lo:[0,0,1] neg_hi:[0,0,1]
	v_mov_b32_e32 v129, v137
	s_cbranch_execz .LBB125_794
	s_branch .LBB125_795
.LBB125_793:
                                        ; implicit-def: $vgpr128_vgpr129
.LBB125_794:
	ds_load_b64 v[128:129], v1
.LBB125_795:
	s_mov_b32 s2, exec_lo
	v_cmpx_ne_u32_e32 18, v0
	s_cbranch_execz .LBB125_799
; %bb.796:
	v_add_nc_u32_e32 v131, 0x1f8, v58
	v_add3_u32 v132, 0, v58, 8
	v_mov_b32_e32 v133, v0
	s_mov_b32 s3, 0
.LBB125_797:                            ; =>This Inner Loop Header: Depth=1
	scratch_load_b64 v[134:135], v132, off
	ds_load_b64 v[136:137], v131
	s_wait_xcnt 0x0
	v_dual_add_nc_u32 v131, 8, v131 :: v_dual_add_nc_u32 v132, 8, v132
	s_wait_loadcnt_dscnt 0x0
	v_pk_mul_f32 v[138:139], v[136:137], v[134:135] op_sel:[1,1] op_sel_hi:[0,1]
	s_delay_alu instid0(VALU_DEP_1) | instskip(SKIP_2) | instid1(VALU_DEP_3)
	v_pk_fma_f32 v[140:141], v[136:137], v[134:135], v[138:139] op_sel_hi:[1,0,1]
	v_add_nc_u32_e32 v133, 1, v133
	v_pk_fma_f32 v[134:135], v[136:137], v[134:135], v[138:139] neg_lo:[0,0,1] neg_hi:[0,0,1]
	v_mov_b32_e32 v135, v141
	s_delay_alu instid0(VALU_DEP_3) | instskip(NEXT) | instid1(VALU_DEP_2)
	v_cmp_lt_u32_e32 vcc_lo, 17, v133
	v_pk_add_f32 v[128:129], v[128:129], v[134:135]
	s_or_b32 s3, vcc_lo, s3
	s_delay_alu instid0(SALU_CYCLE_1)
	s_and_not1_b32 exec_lo, exec_lo, s3
	s_cbranch_execnz .LBB125_797
; %bb.798:
	s_or_b32 exec_lo, exec_lo, s3
.LBB125_799:
	s_delay_alu instid0(SALU_CYCLE_1) | instskip(SKIP_4) | instid1(VALU_DEP_1)
	s_or_b32 exec_lo, exec_lo, s2
	v_mov_b32_e32 v131, 0
	ds_load_b64 v[132:133], v131 offset:152
	s_wait_dscnt 0x0
	v_pk_mul_f32 v[134:135], v[128:129], v[132:133] op_sel:[1,1] op_sel_hi:[0,1]
	v_pk_fma_f32 v[136:137], v[128:129], v[132:133], v[134:135] op_sel_hi:[1,0,1]
	v_pk_fma_f32 v[128:129], v[128:129], v[132:133], v[134:135] neg_lo:[0,0,1] neg_hi:[0,0,1]
	s_delay_alu instid0(VALU_DEP_2)
	v_mov_b32_e32 v129, v137
	scratch_store_b64 off, v[128:129], off offset:152
.LBB125_800:
	s_wait_xcnt 0x0
	s_or_b32 exec_lo, exec_lo, s0
	scratch_load_b64 v[128:129], off, off offset:160
	s_mov_b32 s0, exec_lo
	s_wait_loadcnt 0x0
	ds_store_b64 v1, v[128:129]
	s_wait_storecnt_dscnt 0x0
	s_barrier_signal -1
	s_barrier_wait -1
	s_wait_xcnt 0x0
	v_cmpx_gt_u32_e32 20, v0
	s_cbranch_execz .LBB125_810
; %bb.801:
	v_cmp_ne_u32_e32 vcc_lo, 1, v130
	s_cbranch_vccnz .LBB125_803
; %bb.802:
	scratch_load_b64 v[128:129], v59, off
	ds_load_b64 v[132:133], v1
	s_wait_loadcnt_dscnt 0x0
	v_pk_mul_f32 v[134:135], v[132:133], v[128:129] op_sel:[1,1] op_sel_hi:[0,1]
	s_delay_alu instid0(VALU_DEP_1) | instskip(SKIP_1) | instid1(VALU_DEP_2)
	v_pk_fma_f32 v[136:137], v[132:133], v[128:129], v[134:135] op_sel_hi:[1,0,1]
	v_pk_fma_f32 v[128:129], v[132:133], v[128:129], v[134:135] neg_lo:[0,0,1] neg_hi:[0,0,1]
	v_mov_b32_e32 v129, v137
	s_cbranch_execz .LBB125_804
	s_branch .LBB125_805
.LBB125_803:
                                        ; implicit-def: $vgpr128_vgpr129
.LBB125_804:
	ds_load_b64 v[128:129], v1
.LBB125_805:
	s_mov_b32 s2, exec_lo
	v_cmpx_ne_u32_e32 19, v0
	s_cbranch_execz .LBB125_809
; %bb.806:
	v_add_nc_u32_e32 v131, 0x1f8, v58
	v_add3_u32 v132, 0, v58, 8
	v_mov_b32_e32 v133, v0
	s_mov_b32 s3, 0
.LBB125_807:                            ; =>This Inner Loop Header: Depth=1
	scratch_load_b64 v[134:135], v132, off
	ds_load_b64 v[136:137], v131
	s_wait_xcnt 0x0
	v_dual_add_nc_u32 v131, 8, v131 :: v_dual_add_nc_u32 v132, 8, v132
	s_wait_loadcnt_dscnt 0x0
	v_pk_mul_f32 v[138:139], v[136:137], v[134:135] op_sel:[1,1] op_sel_hi:[0,1]
	s_delay_alu instid0(VALU_DEP_1) | instskip(SKIP_2) | instid1(VALU_DEP_3)
	v_pk_fma_f32 v[140:141], v[136:137], v[134:135], v[138:139] op_sel_hi:[1,0,1]
	v_add_nc_u32_e32 v133, 1, v133
	v_pk_fma_f32 v[134:135], v[136:137], v[134:135], v[138:139] neg_lo:[0,0,1] neg_hi:[0,0,1]
	v_mov_b32_e32 v135, v141
	s_delay_alu instid0(VALU_DEP_3) | instskip(NEXT) | instid1(VALU_DEP_2)
	v_cmp_lt_u32_e32 vcc_lo, 18, v133
	v_pk_add_f32 v[128:129], v[128:129], v[134:135]
	s_or_b32 s3, vcc_lo, s3
	s_delay_alu instid0(SALU_CYCLE_1)
	s_and_not1_b32 exec_lo, exec_lo, s3
	s_cbranch_execnz .LBB125_807
; %bb.808:
	s_or_b32 exec_lo, exec_lo, s3
.LBB125_809:
	s_delay_alu instid0(SALU_CYCLE_1) | instskip(SKIP_4) | instid1(VALU_DEP_1)
	s_or_b32 exec_lo, exec_lo, s2
	v_mov_b32_e32 v131, 0
	ds_load_b64 v[132:133], v131 offset:160
	s_wait_dscnt 0x0
	v_pk_mul_f32 v[134:135], v[128:129], v[132:133] op_sel:[1,1] op_sel_hi:[0,1]
	v_pk_fma_f32 v[136:137], v[128:129], v[132:133], v[134:135] op_sel_hi:[1,0,1]
	v_pk_fma_f32 v[128:129], v[128:129], v[132:133], v[134:135] neg_lo:[0,0,1] neg_hi:[0,0,1]
	s_delay_alu instid0(VALU_DEP_2)
	v_mov_b32_e32 v129, v137
	scratch_store_b64 off, v[128:129], off offset:160
.LBB125_810:
	s_wait_xcnt 0x0
	s_or_b32 exec_lo, exec_lo, s0
	scratch_load_b64 v[128:129], off, off offset:168
	s_mov_b32 s0, exec_lo
	s_wait_loadcnt 0x0
	ds_store_b64 v1, v[128:129]
	s_wait_storecnt_dscnt 0x0
	s_barrier_signal -1
	s_barrier_wait -1
	s_wait_xcnt 0x0
	v_cmpx_gt_u32_e32 21, v0
	s_cbranch_execz .LBB125_820
; %bb.811:
	v_cmp_ne_u32_e32 vcc_lo, 1, v130
	s_cbranch_vccnz .LBB125_813
; %bb.812:
	scratch_load_b64 v[128:129], v59, off
	ds_load_b64 v[132:133], v1
	s_wait_loadcnt_dscnt 0x0
	v_pk_mul_f32 v[134:135], v[132:133], v[128:129] op_sel:[1,1] op_sel_hi:[0,1]
	s_delay_alu instid0(VALU_DEP_1) | instskip(SKIP_1) | instid1(VALU_DEP_2)
	v_pk_fma_f32 v[136:137], v[132:133], v[128:129], v[134:135] op_sel_hi:[1,0,1]
	v_pk_fma_f32 v[128:129], v[132:133], v[128:129], v[134:135] neg_lo:[0,0,1] neg_hi:[0,0,1]
	v_mov_b32_e32 v129, v137
	s_cbranch_execz .LBB125_814
	s_branch .LBB125_815
.LBB125_813:
                                        ; implicit-def: $vgpr128_vgpr129
.LBB125_814:
	ds_load_b64 v[128:129], v1
.LBB125_815:
	s_mov_b32 s2, exec_lo
	v_cmpx_ne_u32_e32 20, v0
	s_cbranch_execz .LBB125_819
; %bb.816:
	v_add_nc_u32_e32 v131, 0x1f8, v58
	v_add3_u32 v132, 0, v58, 8
	v_mov_b32_e32 v133, v0
	s_mov_b32 s3, 0
.LBB125_817:                            ; =>This Inner Loop Header: Depth=1
	scratch_load_b64 v[134:135], v132, off
	ds_load_b64 v[136:137], v131
	s_wait_xcnt 0x0
	v_dual_add_nc_u32 v131, 8, v131 :: v_dual_add_nc_u32 v132, 8, v132
	s_wait_loadcnt_dscnt 0x0
	v_pk_mul_f32 v[138:139], v[136:137], v[134:135] op_sel:[1,1] op_sel_hi:[0,1]
	s_delay_alu instid0(VALU_DEP_1) | instskip(SKIP_2) | instid1(VALU_DEP_3)
	v_pk_fma_f32 v[140:141], v[136:137], v[134:135], v[138:139] op_sel_hi:[1,0,1]
	v_add_nc_u32_e32 v133, 1, v133
	v_pk_fma_f32 v[134:135], v[136:137], v[134:135], v[138:139] neg_lo:[0,0,1] neg_hi:[0,0,1]
	v_mov_b32_e32 v135, v141
	s_delay_alu instid0(VALU_DEP_3) | instskip(NEXT) | instid1(VALU_DEP_2)
	v_cmp_lt_u32_e32 vcc_lo, 19, v133
	v_pk_add_f32 v[128:129], v[128:129], v[134:135]
	s_or_b32 s3, vcc_lo, s3
	s_delay_alu instid0(SALU_CYCLE_1)
	s_and_not1_b32 exec_lo, exec_lo, s3
	s_cbranch_execnz .LBB125_817
; %bb.818:
	s_or_b32 exec_lo, exec_lo, s3
.LBB125_819:
	s_delay_alu instid0(SALU_CYCLE_1) | instskip(SKIP_4) | instid1(VALU_DEP_1)
	s_or_b32 exec_lo, exec_lo, s2
	v_mov_b32_e32 v131, 0
	ds_load_b64 v[132:133], v131 offset:168
	s_wait_dscnt 0x0
	v_pk_mul_f32 v[134:135], v[128:129], v[132:133] op_sel:[1,1] op_sel_hi:[0,1]
	v_pk_fma_f32 v[136:137], v[128:129], v[132:133], v[134:135] op_sel_hi:[1,0,1]
	v_pk_fma_f32 v[128:129], v[128:129], v[132:133], v[134:135] neg_lo:[0,0,1] neg_hi:[0,0,1]
	s_delay_alu instid0(VALU_DEP_2)
	v_mov_b32_e32 v129, v137
	scratch_store_b64 off, v[128:129], off offset:168
.LBB125_820:
	s_wait_xcnt 0x0
	s_or_b32 exec_lo, exec_lo, s0
	scratch_load_b64 v[128:129], off, off offset:176
	s_mov_b32 s0, exec_lo
	s_wait_loadcnt 0x0
	ds_store_b64 v1, v[128:129]
	s_wait_storecnt_dscnt 0x0
	s_barrier_signal -1
	s_barrier_wait -1
	s_wait_xcnt 0x0
	v_cmpx_gt_u32_e32 22, v0
	s_cbranch_execz .LBB125_830
; %bb.821:
	v_cmp_ne_u32_e32 vcc_lo, 1, v130
	s_cbranch_vccnz .LBB125_823
; %bb.822:
	scratch_load_b64 v[128:129], v59, off
	ds_load_b64 v[132:133], v1
	s_wait_loadcnt_dscnt 0x0
	v_pk_mul_f32 v[134:135], v[132:133], v[128:129] op_sel:[1,1] op_sel_hi:[0,1]
	s_delay_alu instid0(VALU_DEP_1) | instskip(SKIP_1) | instid1(VALU_DEP_2)
	v_pk_fma_f32 v[136:137], v[132:133], v[128:129], v[134:135] op_sel_hi:[1,0,1]
	v_pk_fma_f32 v[128:129], v[132:133], v[128:129], v[134:135] neg_lo:[0,0,1] neg_hi:[0,0,1]
	v_mov_b32_e32 v129, v137
	s_cbranch_execz .LBB125_824
	s_branch .LBB125_825
.LBB125_823:
                                        ; implicit-def: $vgpr128_vgpr129
.LBB125_824:
	ds_load_b64 v[128:129], v1
.LBB125_825:
	s_mov_b32 s2, exec_lo
	v_cmpx_ne_u32_e32 21, v0
	s_cbranch_execz .LBB125_829
; %bb.826:
	v_add_nc_u32_e32 v131, 0x1f8, v58
	v_add3_u32 v132, 0, v58, 8
	v_mov_b32_e32 v133, v0
	s_mov_b32 s3, 0
.LBB125_827:                            ; =>This Inner Loop Header: Depth=1
	scratch_load_b64 v[134:135], v132, off
	ds_load_b64 v[136:137], v131
	s_wait_xcnt 0x0
	v_dual_add_nc_u32 v131, 8, v131 :: v_dual_add_nc_u32 v132, 8, v132
	s_wait_loadcnt_dscnt 0x0
	v_pk_mul_f32 v[138:139], v[136:137], v[134:135] op_sel:[1,1] op_sel_hi:[0,1]
	s_delay_alu instid0(VALU_DEP_1) | instskip(SKIP_2) | instid1(VALU_DEP_3)
	v_pk_fma_f32 v[140:141], v[136:137], v[134:135], v[138:139] op_sel_hi:[1,0,1]
	v_add_nc_u32_e32 v133, 1, v133
	v_pk_fma_f32 v[134:135], v[136:137], v[134:135], v[138:139] neg_lo:[0,0,1] neg_hi:[0,0,1]
	v_mov_b32_e32 v135, v141
	s_delay_alu instid0(VALU_DEP_3) | instskip(NEXT) | instid1(VALU_DEP_2)
	v_cmp_lt_u32_e32 vcc_lo, 20, v133
	v_pk_add_f32 v[128:129], v[128:129], v[134:135]
	s_or_b32 s3, vcc_lo, s3
	s_delay_alu instid0(SALU_CYCLE_1)
	s_and_not1_b32 exec_lo, exec_lo, s3
	s_cbranch_execnz .LBB125_827
; %bb.828:
	s_or_b32 exec_lo, exec_lo, s3
.LBB125_829:
	s_delay_alu instid0(SALU_CYCLE_1) | instskip(SKIP_4) | instid1(VALU_DEP_1)
	s_or_b32 exec_lo, exec_lo, s2
	v_mov_b32_e32 v131, 0
	ds_load_b64 v[132:133], v131 offset:176
	s_wait_dscnt 0x0
	v_pk_mul_f32 v[134:135], v[128:129], v[132:133] op_sel:[1,1] op_sel_hi:[0,1]
	v_pk_fma_f32 v[136:137], v[128:129], v[132:133], v[134:135] op_sel_hi:[1,0,1]
	v_pk_fma_f32 v[128:129], v[128:129], v[132:133], v[134:135] neg_lo:[0,0,1] neg_hi:[0,0,1]
	s_delay_alu instid0(VALU_DEP_2)
	v_mov_b32_e32 v129, v137
	scratch_store_b64 off, v[128:129], off offset:176
.LBB125_830:
	s_wait_xcnt 0x0
	s_or_b32 exec_lo, exec_lo, s0
	scratch_load_b64 v[128:129], off, off offset:184
	s_mov_b32 s0, exec_lo
	s_wait_loadcnt 0x0
	ds_store_b64 v1, v[128:129]
	s_wait_storecnt_dscnt 0x0
	s_barrier_signal -1
	s_barrier_wait -1
	s_wait_xcnt 0x0
	v_cmpx_gt_u32_e32 23, v0
	s_cbranch_execz .LBB125_840
; %bb.831:
	v_cmp_ne_u32_e32 vcc_lo, 1, v130
	s_cbranch_vccnz .LBB125_833
; %bb.832:
	scratch_load_b64 v[128:129], v59, off
	ds_load_b64 v[132:133], v1
	s_wait_loadcnt_dscnt 0x0
	v_pk_mul_f32 v[134:135], v[132:133], v[128:129] op_sel:[1,1] op_sel_hi:[0,1]
	s_delay_alu instid0(VALU_DEP_1) | instskip(SKIP_1) | instid1(VALU_DEP_2)
	v_pk_fma_f32 v[136:137], v[132:133], v[128:129], v[134:135] op_sel_hi:[1,0,1]
	v_pk_fma_f32 v[128:129], v[132:133], v[128:129], v[134:135] neg_lo:[0,0,1] neg_hi:[0,0,1]
	v_mov_b32_e32 v129, v137
	s_cbranch_execz .LBB125_834
	s_branch .LBB125_835
.LBB125_833:
                                        ; implicit-def: $vgpr128_vgpr129
.LBB125_834:
	ds_load_b64 v[128:129], v1
.LBB125_835:
	s_mov_b32 s2, exec_lo
	v_cmpx_ne_u32_e32 22, v0
	s_cbranch_execz .LBB125_839
; %bb.836:
	v_add_nc_u32_e32 v131, 0x1f8, v58
	v_add3_u32 v132, 0, v58, 8
	v_mov_b32_e32 v133, v0
	s_mov_b32 s3, 0
.LBB125_837:                            ; =>This Inner Loop Header: Depth=1
	scratch_load_b64 v[134:135], v132, off
	ds_load_b64 v[136:137], v131
	s_wait_xcnt 0x0
	v_dual_add_nc_u32 v131, 8, v131 :: v_dual_add_nc_u32 v132, 8, v132
	s_wait_loadcnt_dscnt 0x0
	v_pk_mul_f32 v[138:139], v[136:137], v[134:135] op_sel:[1,1] op_sel_hi:[0,1]
	s_delay_alu instid0(VALU_DEP_1) | instskip(SKIP_2) | instid1(VALU_DEP_3)
	v_pk_fma_f32 v[140:141], v[136:137], v[134:135], v[138:139] op_sel_hi:[1,0,1]
	v_add_nc_u32_e32 v133, 1, v133
	v_pk_fma_f32 v[134:135], v[136:137], v[134:135], v[138:139] neg_lo:[0,0,1] neg_hi:[0,0,1]
	v_mov_b32_e32 v135, v141
	s_delay_alu instid0(VALU_DEP_3) | instskip(NEXT) | instid1(VALU_DEP_2)
	v_cmp_lt_u32_e32 vcc_lo, 21, v133
	v_pk_add_f32 v[128:129], v[128:129], v[134:135]
	s_or_b32 s3, vcc_lo, s3
	s_delay_alu instid0(SALU_CYCLE_1)
	s_and_not1_b32 exec_lo, exec_lo, s3
	s_cbranch_execnz .LBB125_837
; %bb.838:
	s_or_b32 exec_lo, exec_lo, s3
.LBB125_839:
	s_delay_alu instid0(SALU_CYCLE_1) | instskip(SKIP_4) | instid1(VALU_DEP_1)
	s_or_b32 exec_lo, exec_lo, s2
	v_mov_b32_e32 v131, 0
	ds_load_b64 v[132:133], v131 offset:184
	s_wait_dscnt 0x0
	v_pk_mul_f32 v[134:135], v[128:129], v[132:133] op_sel:[1,1] op_sel_hi:[0,1]
	v_pk_fma_f32 v[136:137], v[128:129], v[132:133], v[134:135] op_sel_hi:[1,0,1]
	v_pk_fma_f32 v[128:129], v[128:129], v[132:133], v[134:135] neg_lo:[0,0,1] neg_hi:[0,0,1]
	s_delay_alu instid0(VALU_DEP_2)
	v_mov_b32_e32 v129, v137
	scratch_store_b64 off, v[128:129], off offset:184
.LBB125_840:
	s_wait_xcnt 0x0
	s_or_b32 exec_lo, exec_lo, s0
	scratch_load_b64 v[128:129], off, off offset:192
	s_mov_b32 s0, exec_lo
	s_wait_loadcnt 0x0
	ds_store_b64 v1, v[128:129]
	s_wait_storecnt_dscnt 0x0
	s_barrier_signal -1
	s_barrier_wait -1
	s_wait_xcnt 0x0
	v_cmpx_gt_u32_e32 24, v0
	s_cbranch_execz .LBB125_850
; %bb.841:
	v_cmp_ne_u32_e32 vcc_lo, 1, v130
	s_cbranch_vccnz .LBB125_843
; %bb.842:
	scratch_load_b64 v[128:129], v59, off
	ds_load_b64 v[132:133], v1
	s_wait_loadcnt_dscnt 0x0
	v_pk_mul_f32 v[134:135], v[132:133], v[128:129] op_sel:[1,1] op_sel_hi:[0,1]
	s_delay_alu instid0(VALU_DEP_1) | instskip(SKIP_1) | instid1(VALU_DEP_2)
	v_pk_fma_f32 v[136:137], v[132:133], v[128:129], v[134:135] op_sel_hi:[1,0,1]
	v_pk_fma_f32 v[128:129], v[132:133], v[128:129], v[134:135] neg_lo:[0,0,1] neg_hi:[0,0,1]
	v_mov_b32_e32 v129, v137
	s_cbranch_execz .LBB125_844
	s_branch .LBB125_845
.LBB125_843:
                                        ; implicit-def: $vgpr128_vgpr129
.LBB125_844:
	ds_load_b64 v[128:129], v1
.LBB125_845:
	s_mov_b32 s2, exec_lo
	v_cmpx_ne_u32_e32 23, v0
	s_cbranch_execz .LBB125_849
; %bb.846:
	v_add_nc_u32_e32 v131, 0x1f8, v58
	v_add3_u32 v132, 0, v58, 8
	v_mov_b32_e32 v133, v0
	s_mov_b32 s3, 0
.LBB125_847:                            ; =>This Inner Loop Header: Depth=1
	scratch_load_b64 v[134:135], v132, off
	ds_load_b64 v[136:137], v131
	s_wait_xcnt 0x0
	v_dual_add_nc_u32 v131, 8, v131 :: v_dual_add_nc_u32 v132, 8, v132
	s_wait_loadcnt_dscnt 0x0
	v_pk_mul_f32 v[138:139], v[136:137], v[134:135] op_sel:[1,1] op_sel_hi:[0,1]
	s_delay_alu instid0(VALU_DEP_1) | instskip(SKIP_2) | instid1(VALU_DEP_3)
	v_pk_fma_f32 v[140:141], v[136:137], v[134:135], v[138:139] op_sel_hi:[1,0,1]
	v_add_nc_u32_e32 v133, 1, v133
	v_pk_fma_f32 v[134:135], v[136:137], v[134:135], v[138:139] neg_lo:[0,0,1] neg_hi:[0,0,1]
	v_mov_b32_e32 v135, v141
	s_delay_alu instid0(VALU_DEP_3) | instskip(NEXT) | instid1(VALU_DEP_2)
	v_cmp_lt_u32_e32 vcc_lo, 22, v133
	v_pk_add_f32 v[128:129], v[128:129], v[134:135]
	s_or_b32 s3, vcc_lo, s3
	s_delay_alu instid0(SALU_CYCLE_1)
	s_and_not1_b32 exec_lo, exec_lo, s3
	s_cbranch_execnz .LBB125_847
; %bb.848:
	s_or_b32 exec_lo, exec_lo, s3
.LBB125_849:
	s_delay_alu instid0(SALU_CYCLE_1) | instskip(SKIP_4) | instid1(VALU_DEP_1)
	s_or_b32 exec_lo, exec_lo, s2
	v_mov_b32_e32 v131, 0
	ds_load_b64 v[132:133], v131 offset:192
	s_wait_dscnt 0x0
	v_pk_mul_f32 v[134:135], v[128:129], v[132:133] op_sel:[1,1] op_sel_hi:[0,1]
	v_pk_fma_f32 v[136:137], v[128:129], v[132:133], v[134:135] op_sel_hi:[1,0,1]
	v_pk_fma_f32 v[128:129], v[128:129], v[132:133], v[134:135] neg_lo:[0,0,1] neg_hi:[0,0,1]
	s_delay_alu instid0(VALU_DEP_2)
	v_mov_b32_e32 v129, v137
	scratch_store_b64 off, v[128:129], off offset:192
.LBB125_850:
	s_wait_xcnt 0x0
	s_or_b32 exec_lo, exec_lo, s0
	scratch_load_b64 v[128:129], off, off offset:200
	s_mov_b32 s0, exec_lo
	s_wait_loadcnt 0x0
	ds_store_b64 v1, v[128:129]
	s_wait_storecnt_dscnt 0x0
	s_barrier_signal -1
	s_barrier_wait -1
	s_wait_xcnt 0x0
	v_cmpx_gt_u32_e32 25, v0
	s_cbranch_execz .LBB125_860
; %bb.851:
	v_cmp_ne_u32_e32 vcc_lo, 1, v130
	s_cbranch_vccnz .LBB125_853
; %bb.852:
	scratch_load_b64 v[128:129], v59, off
	ds_load_b64 v[132:133], v1
	s_wait_loadcnt_dscnt 0x0
	v_pk_mul_f32 v[134:135], v[132:133], v[128:129] op_sel:[1,1] op_sel_hi:[0,1]
	s_delay_alu instid0(VALU_DEP_1) | instskip(SKIP_1) | instid1(VALU_DEP_2)
	v_pk_fma_f32 v[136:137], v[132:133], v[128:129], v[134:135] op_sel_hi:[1,0,1]
	v_pk_fma_f32 v[128:129], v[132:133], v[128:129], v[134:135] neg_lo:[0,0,1] neg_hi:[0,0,1]
	v_mov_b32_e32 v129, v137
	s_cbranch_execz .LBB125_854
	s_branch .LBB125_855
.LBB125_853:
                                        ; implicit-def: $vgpr128_vgpr129
.LBB125_854:
	ds_load_b64 v[128:129], v1
.LBB125_855:
	s_mov_b32 s2, exec_lo
	v_cmpx_ne_u32_e32 24, v0
	s_cbranch_execz .LBB125_859
; %bb.856:
	v_add_nc_u32_e32 v131, 0x1f8, v58
	v_add3_u32 v132, 0, v58, 8
	v_mov_b32_e32 v133, v0
	s_mov_b32 s3, 0
.LBB125_857:                            ; =>This Inner Loop Header: Depth=1
	scratch_load_b64 v[134:135], v132, off
	ds_load_b64 v[136:137], v131
	s_wait_xcnt 0x0
	v_dual_add_nc_u32 v131, 8, v131 :: v_dual_add_nc_u32 v132, 8, v132
	s_wait_loadcnt_dscnt 0x0
	v_pk_mul_f32 v[138:139], v[136:137], v[134:135] op_sel:[1,1] op_sel_hi:[0,1]
	s_delay_alu instid0(VALU_DEP_1) | instskip(SKIP_2) | instid1(VALU_DEP_3)
	v_pk_fma_f32 v[140:141], v[136:137], v[134:135], v[138:139] op_sel_hi:[1,0,1]
	v_add_nc_u32_e32 v133, 1, v133
	v_pk_fma_f32 v[134:135], v[136:137], v[134:135], v[138:139] neg_lo:[0,0,1] neg_hi:[0,0,1]
	v_mov_b32_e32 v135, v141
	s_delay_alu instid0(VALU_DEP_3) | instskip(NEXT) | instid1(VALU_DEP_2)
	v_cmp_lt_u32_e32 vcc_lo, 23, v133
	v_pk_add_f32 v[128:129], v[128:129], v[134:135]
	s_or_b32 s3, vcc_lo, s3
	s_delay_alu instid0(SALU_CYCLE_1)
	s_and_not1_b32 exec_lo, exec_lo, s3
	s_cbranch_execnz .LBB125_857
; %bb.858:
	s_or_b32 exec_lo, exec_lo, s3
.LBB125_859:
	s_delay_alu instid0(SALU_CYCLE_1) | instskip(SKIP_4) | instid1(VALU_DEP_1)
	s_or_b32 exec_lo, exec_lo, s2
	v_mov_b32_e32 v131, 0
	ds_load_b64 v[132:133], v131 offset:200
	s_wait_dscnt 0x0
	v_pk_mul_f32 v[134:135], v[128:129], v[132:133] op_sel:[1,1] op_sel_hi:[0,1]
	v_pk_fma_f32 v[136:137], v[128:129], v[132:133], v[134:135] op_sel_hi:[1,0,1]
	v_pk_fma_f32 v[128:129], v[128:129], v[132:133], v[134:135] neg_lo:[0,0,1] neg_hi:[0,0,1]
	s_delay_alu instid0(VALU_DEP_2)
	v_mov_b32_e32 v129, v137
	scratch_store_b64 off, v[128:129], off offset:200
.LBB125_860:
	s_wait_xcnt 0x0
	s_or_b32 exec_lo, exec_lo, s0
	scratch_load_b64 v[128:129], off, off offset:208
	s_mov_b32 s0, exec_lo
	s_wait_loadcnt 0x0
	ds_store_b64 v1, v[128:129]
	s_wait_storecnt_dscnt 0x0
	s_barrier_signal -1
	s_barrier_wait -1
	s_wait_xcnt 0x0
	v_cmpx_gt_u32_e32 26, v0
	s_cbranch_execz .LBB125_870
; %bb.861:
	v_cmp_ne_u32_e32 vcc_lo, 1, v130
	s_cbranch_vccnz .LBB125_863
; %bb.862:
	scratch_load_b64 v[128:129], v59, off
	ds_load_b64 v[132:133], v1
	s_wait_loadcnt_dscnt 0x0
	v_pk_mul_f32 v[134:135], v[132:133], v[128:129] op_sel:[1,1] op_sel_hi:[0,1]
	s_delay_alu instid0(VALU_DEP_1) | instskip(SKIP_1) | instid1(VALU_DEP_2)
	v_pk_fma_f32 v[136:137], v[132:133], v[128:129], v[134:135] op_sel_hi:[1,0,1]
	v_pk_fma_f32 v[128:129], v[132:133], v[128:129], v[134:135] neg_lo:[0,0,1] neg_hi:[0,0,1]
	v_mov_b32_e32 v129, v137
	s_cbranch_execz .LBB125_864
	s_branch .LBB125_865
.LBB125_863:
                                        ; implicit-def: $vgpr128_vgpr129
.LBB125_864:
	ds_load_b64 v[128:129], v1
.LBB125_865:
	s_mov_b32 s2, exec_lo
	v_cmpx_ne_u32_e32 25, v0
	s_cbranch_execz .LBB125_869
; %bb.866:
	v_add_nc_u32_e32 v131, 0x1f8, v58
	v_add3_u32 v132, 0, v58, 8
	v_mov_b32_e32 v133, v0
	s_mov_b32 s3, 0
.LBB125_867:                            ; =>This Inner Loop Header: Depth=1
	scratch_load_b64 v[134:135], v132, off
	ds_load_b64 v[136:137], v131
	s_wait_xcnt 0x0
	v_dual_add_nc_u32 v131, 8, v131 :: v_dual_add_nc_u32 v132, 8, v132
	s_wait_loadcnt_dscnt 0x0
	v_pk_mul_f32 v[138:139], v[136:137], v[134:135] op_sel:[1,1] op_sel_hi:[0,1]
	s_delay_alu instid0(VALU_DEP_1) | instskip(SKIP_2) | instid1(VALU_DEP_3)
	v_pk_fma_f32 v[140:141], v[136:137], v[134:135], v[138:139] op_sel_hi:[1,0,1]
	v_add_nc_u32_e32 v133, 1, v133
	v_pk_fma_f32 v[134:135], v[136:137], v[134:135], v[138:139] neg_lo:[0,0,1] neg_hi:[0,0,1]
	v_mov_b32_e32 v135, v141
	s_delay_alu instid0(VALU_DEP_3) | instskip(NEXT) | instid1(VALU_DEP_2)
	v_cmp_lt_u32_e32 vcc_lo, 24, v133
	v_pk_add_f32 v[128:129], v[128:129], v[134:135]
	s_or_b32 s3, vcc_lo, s3
	s_delay_alu instid0(SALU_CYCLE_1)
	s_and_not1_b32 exec_lo, exec_lo, s3
	s_cbranch_execnz .LBB125_867
; %bb.868:
	s_or_b32 exec_lo, exec_lo, s3
.LBB125_869:
	s_delay_alu instid0(SALU_CYCLE_1) | instskip(SKIP_4) | instid1(VALU_DEP_1)
	s_or_b32 exec_lo, exec_lo, s2
	v_mov_b32_e32 v131, 0
	ds_load_b64 v[132:133], v131 offset:208
	s_wait_dscnt 0x0
	v_pk_mul_f32 v[134:135], v[128:129], v[132:133] op_sel:[1,1] op_sel_hi:[0,1]
	v_pk_fma_f32 v[136:137], v[128:129], v[132:133], v[134:135] op_sel_hi:[1,0,1]
	v_pk_fma_f32 v[128:129], v[128:129], v[132:133], v[134:135] neg_lo:[0,0,1] neg_hi:[0,0,1]
	s_delay_alu instid0(VALU_DEP_2)
	v_mov_b32_e32 v129, v137
	scratch_store_b64 off, v[128:129], off offset:208
.LBB125_870:
	s_wait_xcnt 0x0
	s_or_b32 exec_lo, exec_lo, s0
	scratch_load_b64 v[128:129], off, off offset:216
	s_mov_b32 s0, exec_lo
	s_wait_loadcnt 0x0
	ds_store_b64 v1, v[128:129]
	s_wait_storecnt_dscnt 0x0
	s_barrier_signal -1
	s_barrier_wait -1
	s_wait_xcnt 0x0
	v_cmpx_gt_u32_e32 27, v0
	s_cbranch_execz .LBB125_880
; %bb.871:
	v_cmp_ne_u32_e32 vcc_lo, 1, v130
	s_cbranch_vccnz .LBB125_873
; %bb.872:
	scratch_load_b64 v[128:129], v59, off
	ds_load_b64 v[132:133], v1
	s_wait_loadcnt_dscnt 0x0
	v_pk_mul_f32 v[134:135], v[132:133], v[128:129] op_sel:[1,1] op_sel_hi:[0,1]
	s_delay_alu instid0(VALU_DEP_1) | instskip(SKIP_1) | instid1(VALU_DEP_2)
	v_pk_fma_f32 v[136:137], v[132:133], v[128:129], v[134:135] op_sel_hi:[1,0,1]
	v_pk_fma_f32 v[128:129], v[132:133], v[128:129], v[134:135] neg_lo:[0,0,1] neg_hi:[0,0,1]
	v_mov_b32_e32 v129, v137
	s_cbranch_execz .LBB125_874
	s_branch .LBB125_875
.LBB125_873:
                                        ; implicit-def: $vgpr128_vgpr129
.LBB125_874:
	ds_load_b64 v[128:129], v1
.LBB125_875:
	s_mov_b32 s2, exec_lo
	v_cmpx_ne_u32_e32 26, v0
	s_cbranch_execz .LBB125_879
; %bb.876:
	v_add_nc_u32_e32 v131, 0x1f8, v58
	v_add3_u32 v132, 0, v58, 8
	v_mov_b32_e32 v133, v0
	s_mov_b32 s3, 0
.LBB125_877:                            ; =>This Inner Loop Header: Depth=1
	scratch_load_b64 v[134:135], v132, off
	ds_load_b64 v[136:137], v131
	s_wait_xcnt 0x0
	v_dual_add_nc_u32 v131, 8, v131 :: v_dual_add_nc_u32 v132, 8, v132
	s_wait_loadcnt_dscnt 0x0
	v_pk_mul_f32 v[138:139], v[136:137], v[134:135] op_sel:[1,1] op_sel_hi:[0,1]
	s_delay_alu instid0(VALU_DEP_1) | instskip(SKIP_2) | instid1(VALU_DEP_3)
	v_pk_fma_f32 v[140:141], v[136:137], v[134:135], v[138:139] op_sel_hi:[1,0,1]
	v_add_nc_u32_e32 v133, 1, v133
	v_pk_fma_f32 v[134:135], v[136:137], v[134:135], v[138:139] neg_lo:[0,0,1] neg_hi:[0,0,1]
	v_mov_b32_e32 v135, v141
	s_delay_alu instid0(VALU_DEP_3) | instskip(NEXT) | instid1(VALU_DEP_2)
	v_cmp_lt_u32_e32 vcc_lo, 25, v133
	v_pk_add_f32 v[128:129], v[128:129], v[134:135]
	s_or_b32 s3, vcc_lo, s3
	s_delay_alu instid0(SALU_CYCLE_1)
	s_and_not1_b32 exec_lo, exec_lo, s3
	s_cbranch_execnz .LBB125_877
; %bb.878:
	s_or_b32 exec_lo, exec_lo, s3
.LBB125_879:
	s_delay_alu instid0(SALU_CYCLE_1) | instskip(SKIP_4) | instid1(VALU_DEP_1)
	s_or_b32 exec_lo, exec_lo, s2
	v_mov_b32_e32 v131, 0
	ds_load_b64 v[132:133], v131 offset:216
	s_wait_dscnt 0x0
	v_pk_mul_f32 v[134:135], v[128:129], v[132:133] op_sel:[1,1] op_sel_hi:[0,1]
	v_pk_fma_f32 v[136:137], v[128:129], v[132:133], v[134:135] op_sel_hi:[1,0,1]
	v_pk_fma_f32 v[128:129], v[128:129], v[132:133], v[134:135] neg_lo:[0,0,1] neg_hi:[0,0,1]
	s_delay_alu instid0(VALU_DEP_2)
	v_mov_b32_e32 v129, v137
	scratch_store_b64 off, v[128:129], off offset:216
.LBB125_880:
	s_wait_xcnt 0x0
	s_or_b32 exec_lo, exec_lo, s0
	scratch_load_b64 v[128:129], off, off offset:224
	s_mov_b32 s0, exec_lo
	s_wait_loadcnt 0x0
	ds_store_b64 v1, v[128:129]
	s_wait_storecnt_dscnt 0x0
	s_barrier_signal -1
	s_barrier_wait -1
	s_wait_xcnt 0x0
	v_cmpx_gt_u32_e32 28, v0
	s_cbranch_execz .LBB125_890
; %bb.881:
	v_cmp_ne_u32_e32 vcc_lo, 1, v130
	s_cbranch_vccnz .LBB125_883
; %bb.882:
	scratch_load_b64 v[128:129], v59, off
	ds_load_b64 v[132:133], v1
	s_wait_loadcnt_dscnt 0x0
	v_pk_mul_f32 v[134:135], v[132:133], v[128:129] op_sel:[1,1] op_sel_hi:[0,1]
	s_delay_alu instid0(VALU_DEP_1) | instskip(SKIP_1) | instid1(VALU_DEP_2)
	v_pk_fma_f32 v[136:137], v[132:133], v[128:129], v[134:135] op_sel_hi:[1,0,1]
	v_pk_fma_f32 v[128:129], v[132:133], v[128:129], v[134:135] neg_lo:[0,0,1] neg_hi:[0,0,1]
	v_mov_b32_e32 v129, v137
	s_cbranch_execz .LBB125_884
	s_branch .LBB125_885
.LBB125_883:
                                        ; implicit-def: $vgpr128_vgpr129
.LBB125_884:
	ds_load_b64 v[128:129], v1
.LBB125_885:
	s_mov_b32 s2, exec_lo
	v_cmpx_ne_u32_e32 27, v0
	s_cbranch_execz .LBB125_889
; %bb.886:
	v_add_nc_u32_e32 v131, 0x1f8, v58
	v_add3_u32 v132, 0, v58, 8
	v_mov_b32_e32 v133, v0
	s_mov_b32 s3, 0
.LBB125_887:                            ; =>This Inner Loop Header: Depth=1
	scratch_load_b64 v[134:135], v132, off
	ds_load_b64 v[136:137], v131
	s_wait_xcnt 0x0
	v_dual_add_nc_u32 v131, 8, v131 :: v_dual_add_nc_u32 v132, 8, v132
	s_wait_loadcnt_dscnt 0x0
	v_pk_mul_f32 v[138:139], v[136:137], v[134:135] op_sel:[1,1] op_sel_hi:[0,1]
	s_delay_alu instid0(VALU_DEP_1) | instskip(SKIP_2) | instid1(VALU_DEP_3)
	v_pk_fma_f32 v[140:141], v[136:137], v[134:135], v[138:139] op_sel_hi:[1,0,1]
	v_add_nc_u32_e32 v133, 1, v133
	v_pk_fma_f32 v[134:135], v[136:137], v[134:135], v[138:139] neg_lo:[0,0,1] neg_hi:[0,0,1]
	v_mov_b32_e32 v135, v141
	s_delay_alu instid0(VALU_DEP_3) | instskip(NEXT) | instid1(VALU_DEP_2)
	v_cmp_lt_u32_e32 vcc_lo, 26, v133
	v_pk_add_f32 v[128:129], v[128:129], v[134:135]
	s_or_b32 s3, vcc_lo, s3
	s_delay_alu instid0(SALU_CYCLE_1)
	s_and_not1_b32 exec_lo, exec_lo, s3
	s_cbranch_execnz .LBB125_887
; %bb.888:
	s_or_b32 exec_lo, exec_lo, s3
.LBB125_889:
	s_delay_alu instid0(SALU_CYCLE_1) | instskip(SKIP_4) | instid1(VALU_DEP_1)
	s_or_b32 exec_lo, exec_lo, s2
	v_mov_b32_e32 v131, 0
	ds_load_b64 v[132:133], v131 offset:224
	s_wait_dscnt 0x0
	v_pk_mul_f32 v[134:135], v[128:129], v[132:133] op_sel:[1,1] op_sel_hi:[0,1]
	v_pk_fma_f32 v[136:137], v[128:129], v[132:133], v[134:135] op_sel_hi:[1,0,1]
	v_pk_fma_f32 v[128:129], v[128:129], v[132:133], v[134:135] neg_lo:[0,0,1] neg_hi:[0,0,1]
	s_delay_alu instid0(VALU_DEP_2)
	v_mov_b32_e32 v129, v137
	scratch_store_b64 off, v[128:129], off offset:224
.LBB125_890:
	s_wait_xcnt 0x0
	s_or_b32 exec_lo, exec_lo, s0
	scratch_load_b64 v[128:129], off, off offset:232
	s_mov_b32 s0, exec_lo
	s_wait_loadcnt 0x0
	ds_store_b64 v1, v[128:129]
	s_wait_storecnt_dscnt 0x0
	s_barrier_signal -1
	s_barrier_wait -1
	s_wait_xcnt 0x0
	v_cmpx_gt_u32_e32 29, v0
	s_cbranch_execz .LBB125_900
; %bb.891:
	v_cmp_ne_u32_e32 vcc_lo, 1, v130
	s_cbranch_vccnz .LBB125_893
; %bb.892:
	scratch_load_b64 v[128:129], v59, off
	ds_load_b64 v[132:133], v1
	s_wait_loadcnt_dscnt 0x0
	v_pk_mul_f32 v[134:135], v[132:133], v[128:129] op_sel:[1,1] op_sel_hi:[0,1]
	s_delay_alu instid0(VALU_DEP_1) | instskip(SKIP_1) | instid1(VALU_DEP_2)
	v_pk_fma_f32 v[136:137], v[132:133], v[128:129], v[134:135] op_sel_hi:[1,0,1]
	v_pk_fma_f32 v[128:129], v[132:133], v[128:129], v[134:135] neg_lo:[0,0,1] neg_hi:[0,0,1]
	v_mov_b32_e32 v129, v137
	s_cbranch_execz .LBB125_894
	s_branch .LBB125_895
.LBB125_893:
                                        ; implicit-def: $vgpr128_vgpr129
.LBB125_894:
	ds_load_b64 v[128:129], v1
.LBB125_895:
	s_mov_b32 s2, exec_lo
	v_cmpx_ne_u32_e32 28, v0
	s_cbranch_execz .LBB125_899
; %bb.896:
	v_add_nc_u32_e32 v131, 0x1f8, v58
	v_add3_u32 v132, 0, v58, 8
	v_mov_b32_e32 v133, v0
	s_mov_b32 s3, 0
.LBB125_897:                            ; =>This Inner Loop Header: Depth=1
	scratch_load_b64 v[134:135], v132, off
	ds_load_b64 v[136:137], v131
	s_wait_xcnt 0x0
	v_dual_add_nc_u32 v131, 8, v131 :: v_dual_add_nc_u32 v132, 8, v132
	s_wait_loadcnt_dscnt 0x0
	v_pk_mul_f32 v[138:139], v[136:137], v[134:135] op_sel:[1,1] op_sel_hi:[0,1]
	s_delay_alu instid0(VALU_DEP_1) | instskip(SKIP_2) | instid1(VALU_DEP_3)
	v_pk_fma_f32 v[140:141], v[136:137], v[134:135], v[138:139] op_sel_hi:[1,0,1]
	v_add_nc_u32_e32 v133, 1, v133
	v_pk_fma_f32 v[134:135], v[136:137], v[134:135], v[138:139] neg_lo:[0,0,1] neg_hi:[0,0,1]
	v_mov_b32_e32 v135, v141
	s_delay_alu instid0(VALU_DEP_3) | instskip(NEXT) | instid1(VALU_DEP_2)
	v_cmp_lt_u32_e32 vcc_lo, 27, v133
	v_pk_add_f32 v[128:129], v[128:129], v[134:135]
	s_or_b32 s3, vcc_lo, s3
	s_delay_alu instid0(SALU_CYCLE_1)
	s_and_not1_b32 exec_lo, exec_lo, s3
	s_cbranch_execnz .LBB125_897
; %bb.898:
	s_or_b32 exec_lo, exec_lo, s3
.LBB125_899:
	s_delay_alu instid0(SALU_CYCLE_1) | instskip(SKIP_4) | instid1(VALU_DEP_1)
	s_or_b32 exec_lo, exec_lo, s2
	v_mov_b32_e32 v131, 0
	ds_load_b64 v[132:133], v131 offset:232
	s_wait_dscnt 0x0
	v_pk_mul_f32 v[134:135], v[128:129], v[132:133] op_sel:[1,1] op_sel_hi:[0,1]
	v_pk_fma_f32 v[136:137], v[128:129], v[132:133], v[134:135] op_sel_hi:[1,0,1]
	v_pk_fma_f32 v[128:129], v[128:129], v[132:133], v[134:135] neg_lo:[0,0,1] neg_hi:[0,0,1]
	s_delay_alu instid0(VALU_DEP_2)
	v_mov_b32_e32 v129, v137
	scratch_store_b64 off, v[128:129], off offset:232
.LBB125_900:
	s_wait_xcnt 0x0
	s_or_b32 exec_lo, exec_lo, s0
	scratch_load_b64 v[128:129], off, off offset:240
	s_mov_b32 s0, exec_lo
	s_wait_loadcnt 0x0
	ds_store_b64 v1, v[128:129]
	s_wait_storecnt_dscnt 0x0
	s_barrier_signal -1
	s_barrier_wait -1
	s_wait_xcnt 0x0
	v_cmpx_gt_u32_e32 30, v0
	s_cbranch_execz .LBB125_910
; %bb.901:
	v_cmp_ne_u32_e32 vcc_lo, 1, v130
	s_cbranch_vccnz .LBB125_903
; %bb.902:
	scratch_load_b64 v[128:129], v59, off
	ds_load_b64 v[132:133], v1
	s_wait_loadcnt_dscnt 0x0
	v_pk_mul_f32 v[134:135], v[132:133], v[128:129] op_sel:[1,1] op_sel_hi:[0,1]
	s_delay_alu instid0(VALU_DEP_1) | instskip(SKIP_1) | instid1(VALU_DEP_2)
	v_pk_fma_f32 v[136:137], v[132:133], v[128:129], v[134:135] op_sel_hi:[1,0,1]
	v_pk_fma_f32 v[128:129], v[132:133], v[128:129], v[134:135] neg_lo:[0,0,1] neg_hi:[0,0,1]
	v_mov_b32_e32 v129, v137
	s_cbranch_execz .LBB125_904
	s_branch .LBB125_905
.LBB125_903:
                                        ; implicit-def: $vgpr128_vgpr129
.LBB125_904:
	ds_load_b64 v[128:129], v1
.LBB125_905:
	s_mov_b32 s2, exec_lo
	v_cmpx_ne_u32_e32 29, v0
	s_cbranch_execz .LBB125_909
; %bb.906:
	v_add_nc_u32_e32 v131, 0x1f8, v58
	v_add3_u32 v132, 0, v58, 8
	v_mov_b32_e32 v133, v0
	s_mov_b32 s3, 0
.LBB125_907:                            ; =>This Inner Loop Header: Depth=1
	scratch_load_b64 v[134:135], v132, off
	ds_load_b64 v[136:137], v131
	s_wait_xcnt 0x0
	v_dual_add_nc_u32 v131, 8, v131 :: v_dual_add_nc_u32 v132, 8, v132
	s_wait_loadcnt_dscnt 0x0
	v_pk_mul_f32 v[138:139], v[136:137], v[134:135] op_sel:[1,1] op_sel_hi:[0,1]
	s_delay_alu instid0(VALU_DEP_1) | instskip(SKIP_2) | instid1(VALU_DEP_3)
	v_pk_fma_f32 v[140:141], v[136:137], v[134:135], v[138:139] op_sel_hi:[1,0,1]
	v_add_nc_u32_e32 v133, 1, v133
	v_pk_fma_f32 v[134:135], v[136:137], v[134:135], v[138:139] neg_lo:[0,0,1] neg_hi:[0,0,1]
	v_mov_b32_e32 v135, v141
	s_delay_alu instid0(VALU_DEP_3) | instskip(NEXT) | instid1(VALU_DEP_2)
	v_cmp_lt_u32_e32 vcc_lo, 28, v133
	v_pk_add_f32 v[128:129], v[128:129], v[134:135]
	s_or_b32 s3, vcc_lo, s3
	s_delay_alu instid0(SALU_CYCLE_1)
	s_and_not1_b32 exec_lo, exec_lo, s3
	s_cbranch_execnz .LBB125_907
; %bb.908:
	s_or_b32 exec_lo, exec_lo, s3
.LBB125_909:
	s_delay_alu instid0(SALU_CYCLE_1) | instskip(SKIP_4) | instid1(VALU_DEP_1)
	s_or_b32 exec_lo, exec_lo, s2
	v_mov_b32_e32 v131, 0
	ds_load_b64 v[132:133], v131 offset:240
	s_wait_dscnt 0x0
	v_pk_mul_f32 v[134:135], v[128:129], v[132:133] op_sel:[1,1] op_sel_hi:[0,1]
	v_pk_fma_f32 v[136:137], v[128:129], v[132:133], v[134:135] op_sel_hi:[1,0,1]
	v_pk_fma_f32 v[128:129], v[128:129], v[132:133], v[134:135] neg_lo:[0,0,1] neg_hi:[0,0,1]
	s_delay_alu instid0(VALU_DEP_2)
	v_mov_b32_e32 v129, v137
	scratch_store_b64 off, v[128:129], off offset:240
.LBB125_910:
	s_wait_xcnt 0x0
	s_or_b32 exec_lo, exec_lo, s0
	scratch_load_b64 v[128:129], off, off offset:248
	s_mov_b32 s0, exec_lo
	s_wait_loadcnt 0x0
	ds_store_b64 v1, v[128:129]
	s_wait_storecnt_dscnt 0x0
	s_barrier_signal -1
	s_barrier_wait -1
	s_wait_xcnt 0x0
	v_cmpx_gt_u32_e32 31, v0
	s_cbranch_execz .LBB125_920
; %bb.911:
	v_cmp_ne_u32_e32 vcc_lo, 1, v130
	s_cbranch_vccnz .LBB125_913
; %bb.912:
	scratch_load_b64 v[128:129], v59, off
	ds_load_b64 v[132:133], v1
	s_wait_loadcnt_dscnt 0x0
	v_pk_mul_f32 v[134:135], v[132:133], v[128:129] op_sel:[1,1] op_sel_hi:[0,1]
	s_delay_alu instid0(VALU_DEP_1) | instskip(SKIP_1) | instid1(VALU_DEP_2)
	v_pk_fma_f32 v[136:137], v[132:133], v[128:129], v[134:135] op_sel_hi:[1,0,1]
	v_pk_fma_f32 v[128:129], v[132:133], v[128:129], v[134:135] neg_lo:[0,0,1] neg_hi:[0,0,1]
	v_mov_b32_e32 v129, v137
	s_cbranch_execz .LBB125_914
	s_branch .LBB125_915
.LBB125_913:
                                        ; implicit-def: $vgpr128_vgpr129
.LBB125_914:
	ds_load_b64 v[128:129], v1
.LBB125_915:
	s_mov_b32 s2, exec_lo
	v_cmpx_ne_u32_e32 30, v0
	s_cbranch_execz .LBB125_919
; %bb.916:
	v_add_nc_u32_e32 v131, 0x1f8, v58
	v_add3_u32 v132, 0, v58, 8
	v_mov_b32_e32 v133, v0
	s_mov_b32 s3, 0
.LBB125_917:                            ; =>This Inner Loop Header: Depth=1
	scratch_load_b64 v[134:135], v132, off
	ds_load_b64 v[136:137], v131
	s_wait_xcnt 0x0
	v_dual_add_nc_u32 v131, 8, v131 :: v_dual_add_nc_u32 v132, 8, v132
	s_wait_loadcnt_dscnt 0x0
	v_pk_mul_f32 v[138:139], v[136:137], v[134:135] op_sel:[1,1] op_sel_hi:[0,1]
	s_delay_alu instid0(VALU_DEP_1) | instskip(SKIP_2) | instid1(VALU_DEP_3)
	v_pk_fma_f32 v[140:141], v[136:137], v[134:135], v[138:139] op_sel_hi:[1,0,1]
	v_add_nc_u32_e32 v133, 1, v133
	v_pk_fma_f32 v[134:135], v[136:137], v[134:135], v[138:139] neg_lo:[0,0,1] neg_hi:[0,0,1]
	v_mov_b32_e32 v135, v141
	s_delay_alu instid0(VALU_DEP_3) | instskip(NEXT) | instid1(VALU_DEP_2)
	v_cmp_lt_u32_e32 vcc_lo, 29, v133
	v_pk_add_f32 v[128:129], v[128:129], v[134:135]
	s_or_b32 s3, vcc_lo, s3
	s_delay_alu instid0(SALU_CYCLE_1)
	s_and_not1_b32 exec_lo, exec_lo, s3
	s_cbranch_execnz .LBB125_917
; %bb.918:
	s_or_b32 exec_lo, exec_lo, s3
.LBB125_919:
	s_delay_alu instid0(SALU_CYCLE_1) | instskip(SKIP_4) | instid1(VALU_DEP_1)
	s_or_b32 exec_lo, exec_lo, s2
	v_mov_b32_e32 v131, 0
	ds_load_b64 v[132:133], v131 offset:248
	s_wait_dscnt 0x0
	v_pk_mul_f32 v[134:135], v[128:129], v[132:133] op_sel:[1,1] op_sel_hi:[0,1]
	v_pk_fma_f32 v[136:137], v[128:129], v[132:133], v[134:135] op_sel_hi:[1,0,1]
	v_pk_fma_f32 v[128:129], v[128:129], v[132:133], v[134:135] neg_lo:[0,0,1] neg_hi:[0,0,1]
	s_delay_alu instid0(VALU_DEP_2)
	v_mov_b32_e32 v129, v137
	scratch_store_b64 off, v[128:129], off offset:248
.LBB125_920:
	s_wait_xcnt 0x0
	s_or_b32 exec_lo, exec_lo, s0
	scratch_load_b64 v[128:129], off, off offset:256
	s_mov_b32 s0, exec_lo
	s_wait_loadcnt 0x0
	ds_store_b64 v1, v[128:129]
	s_wait_storecnt_dscnt 0x0
	s_barrier_signal -1
	s_barrier_wait -1
	s_wait_xcnt 0x0
	v_cmpx_gt_u32_e32 32, v0
	s_cbranch_execz .LBB125_930
; %bb.921:
	v_cmp_ne_u32_e32 vcc_lo, 1, v130
	s_cbranch_vccnz .LBB125_923
; %bb.922:
	scratch_load_b64 v[128:129], v59, off
	ds_load_b64 v[132:133], v1
	s_wait_loadcnt_dscnt 0x0
	v_pk_mul_f32 v[134:135], v[132:133], v[128:129] op_sel:[1,1] op_sel_hi:[0,1]
	s_delay_alu instid0(VALU_DEP_1) | instskip(SKIP_1) | instid1(VALU_DEP_2)
	v_pk_fma_f32 v[136:137], v[132:133], v[128:129], v[134:135] op_sel_hi:[1,0,1]
	v_pk_fma_f32 v[128:129], v[132:133], v[128:129], v[134:135] neg_lo:[0,0,1] neg_hi:[0,0,1]
	v_mov_b32_e32 v129, v137
	s_cbranch_execz .LBB125_924
	s_branch .LBB125_925
.LBB125_923:
                                        ; implicit-def: $vgpr128_vgpr129
.LBB125_924:
	ds_load_b64 v[128:129], v1
.LBB125_925:
	s_mov_b32 s2, exec_lo
	v_cmpx_ne_u32_e32 31, v0
	s_cbranch_execz .LBB125_929
; %bb.926:
	v_add_nc_u32_e32 v131, 0x1f8, v58
	v_add3_u32 v132, 0, v58, 8
	v_mov_b32_e32 v133, v0
	s_mov_b32 s3, 0
.LBB125_927:                            ; =>This Inner Loop Header: Depth=1
	scratch_load_b64 v[134:135], v132, off
	ds_load_b64 v[136:137], v131
	s_wait_xcnt 0x0
	v_dual_add_nc_u32 v131, 8, v131 :: v_dual_add_nc_u32 v132, 8, v132
	s_wait_loadcnt_dscnt 0x0
	v_pk_mul_f32 v[138:139], v[136:137], v[134:135] op_sel:[1,1] op_sel_hi:[0,1]
	s_delay_alu instid0(VALU_DEP_1) | instskip(SKIP_2) | instid1(VALU_DEP_3)
	v_pk_fma_f32 v[140:141], v[136:137], v[134:135], v[138:139] op_sel_hi:[1,0,1]
	v_add_nc_u32_e32 v133, 1, v133
	v_pk_fma_f32 v[134:135], v[136:137], v[134:135], v[138:139] neg_lo:[0,0,1] neg_hi:[0,0,1]
	v_mov_b32_e32 v135, v141
	s_delay_alu instid0(VALU_DEP_3) | instskip(NEXT) | instid1(VALU_DEP_2)
	v_cmp_lt_u32_e32 vcc_lo, 30, v133
	v_pk_add_f32 v[128:129], v[128:129], v[134:135]
	s_or_b32 s3, vcc_lo, s3
	s_delay_alu instid0(SALU_CYCLE_1)
	s_and_not1_b32 exec_lo, exec_lo, s3
	s_cbranch_execnz .LBB125_927
; %bb.928:
	s_or_b32 exec_lo, exec_lo, s3
.LBB125_929:
	s_delay_alu instid0(SALU_CYCLE_1) | instskip(SKIP_4) | instid1(VALU_DEP_1)
	s_or_b32 exec_lo, exec_lo, s2
	v_mov_b32_e32 v131, 0
	ds_load_b64 v[132:133], v131 offset:256
	s_wait_dscnt 0x0
	v_pk_mul_f32 v[134:135], v[128:129], v[132:133] op_sel:[1,1] op_sel_hi:[0,1]
	v_pk_fma_f32 v[136:137], v[128:129], v[132:133], v[134:135] op_sel_hi:[1,0,1]
	v_pk_fma_f32 v[128:129], v[128:129], v[132:133], v[134:135] neg_lo:[0,0,1] neg_hi:[0,0,1]
	s_delay_alu instid0(VALU_DEP_2)
	v_mov_b32_e32 v129, v137
	scratch_store_b64 off, v[128:129], off offset:256
.LBB125_930:
	s_wait_xcnt 0x0
	s_or_b32 exec_lo, exec_lo, s0
	scratch_load_b64 v[128:129], off, off offset:264
	s_mov_b32 s0, exec_lo
	s_wait_loadcnt 0x0
	ds_store_b64 v1, v[128:129]
	s_wait_storecnt_dscnt 0x0
	s_barrier_signal -1
	s_barrier_wait -1
	s_wait_xcnt 0x0
	v_cmpx_gt_u32_e32 33, v0
	s_cbranch_execz .LBB125_940
; %bb.931:
	v_cmp_ne_u32_e32 vcc_lo, 1, v130
	s_cbranch_vccnz .LBB125_933
; %bb.932:
	scratch_load_b64 v[128:129], v59, off
	ds_load_b64 v[132:133], v1
	s_wait_loadcnt_dscnt 0x0
	v_pk_mul_f32 v[134:135], v[132:133], v[128:129] op_sel:[1,1] op_sel_hi:[0,1]
	s_delay_alu instid0(VALU_DEP_1) | instskip(SKIP_1) | instid1(VALU_DEP_2)
	v_pk_fma_f32 v[136:137], v[132:133], v[128:129], v[134:135] op_sel_hi:[1,0,1]
	v_pk_fma_f32 v[128:129], v[132:133], v[128:129], v[134:135] neg_lo:[0,0,1] neg_hi:[0,0,1]
	v_mov_b32_e32 v129, v137
	s_cbranch_execz .LBB125_934
	s_branch .LBB125_935
.LBB125_933:
                                        ; implicit-def: $vgpr128_vgpr129
.LBB125_934:
	ds_load_b64 v[128:129], v1
.LBB125_935:
	s_mov_b32 s2, exec_lo
	v_cmpx_ne_u32_e32 32, v0
	s_cbranch_execz .LBB125_939
; %bb.936:
	v_add_nc_u32_e32 v131, 0x1f8, v58
	v_add3_u32 v132, 0, v58, 8
	v_mov_b32_e32 v133, v0
	s_mov_b32 s3, 0
.LBB125_937:                            ; =>This Inner Loop Header: Depth=1
	scratch_load_b64 v[134:135], v132, off
	ds_load_b64 v[136:137], v131
	s_wait_xcnt 0x0
	v_dual_add_nc_u32 v131, 8, v131 :: v_dual_add_nc_u32 v132, 8, v132
	s_wait_loadcnt_dscnt 0x0
	v_pk_mul_f32 v[138:139], v[136:137], v[134:135] op_sel:[1,1] op_sel_hi:[0,1]
	s_delay_alu instid0(VALU_DEP_1) | instskip(SKIP_2) | instid1(VALU_DEP_3)
	v_pk_fma_f32 v[140:141], v[136:137], v[134:135], v[138:139] op_sel_hi:[1,0,1]
	v_add_nc_u32_e32 v133, 1, v133
	v_pk_fma_f32 v[134:135], v[136:137], v[134:135], v[138:139] neg_lo:[0,0,1] neg_hi:[0,0,1]
	v_mov_b32_e32 v135, v141
	s_delay_alu instid0(VALU_DEP_3) | instskip(NEXT) | instid1(VALU_DEP_2)
	v_cmp_lt_u32_e32 vcc_lo, 31, v133
	v_pk_add_f32 v[128:129], v[128:129], v[134:135]
	s_or_b32 s3, vcc_lo, s3
	s_delay_alu instid0(SALU_CYCLE_1)
	s_and_not1_b32 exec_lo, exec_lo, s3
	s_cbranch_execnz .LBB125_937
; %bb.938:
	s_or_b32 exec_lo, exec_lo, s3
.LBB125_939:
	s_delay_alu instid0(SALU_CYCLE_1) | instskip(SKIP_4) | instid1(VALU_DEP_1)
	s_or_b32 exec_lo, exec_lo, s2
	v_mov_b32_e32 v131, 0
	ds_load_b64 v[132:133], v131 offset:264
	s_wait_dscnt 0x0
	v_pk_mul_f32 v[134:135], v[128:129], v[132:133] op_sel:[1,1] op_sel_hi:[0,1]
	v_pk_fma_f32 v[136:137], v[128:129], v[132:133], v[134:135] op_sel_hi:[1,0,1]
	v_pk_fma_f32 v[128:129], v[128:129], v[132:133], v[134:135] neg_lo:[0,0,1] neg_hi:[0,0,1]
	s_delay_alu instid0(VALU_DEP_2)
	v_mov_b32_e32 v129, v137
	scratch_store_b64 off, v[128:129], off offset:264
.LBB125_940:
	s_wait_xcnt 0x0
	s_or_b32 exec_lo, exec_lo, s0
	scratch_load_b64 v[128:129], off, off offset:272
	s_mov_b32 s0, exec_lo
	s_wait_loadcnt 0x0
	ds_store_b64 v1, v[128:129]
	s_wait_storecnt_dscnt 0x0
	s_barrier_signal -1
	s_barrier_wait -1
	s_wait_xcnt 0x0
	v_cmpx_gt_u32_e32 34, v0
	s_cbranch_execz .LBB125_950
; %bb.941:
	v_cmp_ne_u32_e32 vcc_lo, 1, v130
	s_cbranch_vccnz .LBB125_943
; %bb.942:
	scratch_load_b64 v[128:129], v59, off
	ds_load_b64 v[132:133], v1
	s_wait_loadcnt_dscnt 0x0
	v_pk_mul_f32 v[134:135], v[132:133], v[128:129] op_sel:[1,1] op_sel_hi:[0,1]
	s_delay_alu instid0(VALU_DEP_1) | instskip(SKIP_1) | instid1(VALU_DEP_2)
	v_pk_fma_f32 v[136:137], v[132:133], v[128:129], v[134:135] op_sel_hi:[1,0,1]
	v_pk_fma_f32 v[128:129], v[132:133], v[128:129], v[134:135] neg_lo:[0,0,1] neg_hi:[0,0,1]
	v_mov_b32_e32 v129, v137
	s_cbranch_execz .LBB125_944
	s_branch .LBB125_945
.LBB125_943:
                                        ; implicit-def: $vgpr128_vgpr129
.LBB125_944:
	ds_load_b64 v[128:129], v1
.LBB125_945:
	s_mov_b32 s2, exec_lo
	v_cmpx_ne_u32_e32 33, v0
	s_cbranch_execz .LBB125_949
; %bb.946:
	v_add_nc_u32_e32 v131, 0x1f8, v58
	v_add3_u32 v132, 0, v58, 8
	v_mov_b32_e32 v133, v0
	s_mov_b32 s3, 0
.LBB125_947:                            ; =>This Inner Loop Header: Depth=1
	scratch_load_b64 v[134:135], v132, off
	ds_load_b64 v[136:137], v131
	s_wait_xcnt 0x0
	v_dual_add_nc_u32 v131, 8, v131 :: v_dual_add_nc_u32 v132, 8, v132
	s_wait_loadcnt_dscnt 0x0
	v_pk_mul_f32 v[138:139], v[136:137], v[134:135] op_sel:[1,1] op_sel_hi:[0,1]
	s_delay_alu instid0(VALU_DEP_1) | instskip(SKIP_2) | instid1(VALU_DEP_3)
	v_pk_fma_f32 v[140:141], v[136:137], v[134:135], v[138:139] op_sel_hi:[1,0,1]
	v_add_nc_u32_e32 v133, 1, v133
	v_pk_fma_f32 v[134:135], v[136:137], v[134:135], v[138:139] neg_lo:[0,0,1] neg_hi:[0,0,1]
	v_mov_b32_e32 v135, v141
	s_delay_alu instid0(VALU_DEP_3) | instskip(NEXT) | instid1(VALU_DEP_2)
	v_cmp_lt_u32_e32 vcc_lo, 32, v133
	v_pk_add_f32 v[128:129], v[128:129], v[134:135]
	s_or_b32 s3, vcc_lo, s3
	s_delay_alu instid0(SALU_CYCLE_1)
	s_and_not1_b32 exec_lo, exec_lo, s3
	s_cbranch_execnz .LBB125_947
; %bb.948:
	s_or_b32 exec_lo, exec_lo, s3
.LBB125_949:
	s_delay_alu instid0(SALU_CYCLE_1) | instskip(SKIP_4) | instid1(VALU_DEP_1)
	s_or_b32 exec_lo, exec_lo, s2
	v_mov_b32_e32 v131, 0
	ds_load_b64 v[132:133], v131 offset:272
	s_wait_dscnt 0x0
	v_pk_mul_f32 v[134:135], v[128:129], v[132:133] op_sel:[1,1] op_sel_hi:[0,1]
	v_pk_fma_f32 v[136:137], v[128:129], v[132:133], v[134:135] op_sel_hi:[1,0,1]
	v_pk_fma_f32 v[128:129], v[128:129], v[132:133], v[134:135] neg_lo:[0,0,1] neg_hi:[0,0,1]
	s_delay_alu instid0(VALU_DEP_2)
	v_mov_b32_e32 v129, v137
	scratch_store_b64 off, v[128:129], off offset:272
.LBB125_950:
	s_wait_xcnt 0x0
	s_or_b32 exec_lo, exec_lo, s0
	scratch_load_b64 v[128:129], off, off offset:280
	s_mov_b32 s0, exec_lo
	s_wait_loadcnt 0x0
	ds_store_b64 v1, v[128:129]
	s_wait_storecnt_dscnt 0x0
	s_barrier_signal -1
	s_barrier_wait -1
	s_wait_xcnt 0x0
	v_cmpx_gt_u32_e32 35, v0
	s_cbranch_execz .LBB125_960
; %bb.951:
	v_cmp_ne_u32_e32 vcc_lo, 1, v130
	s_cbranch_vccnz .LBB125_953
; %bb.952:
	scratch_load_b64 v[128:129], v59, off
	ds_load_b64 v[132:133], v1
	s_wait_loadcnt_dscnt 0x0
	v_pk_mul_f32 v[134:135], v[132:133], v[128:129] op_sel:[1,1] op_sel_hi:[0,1]
	s_delay_alu instid0(VALU_DEP_1) | instskip(SKIP_1) | instid1(VALU_DEP_2)
	v_pk_fma_f32 v[136:137], v[132:133], v[128:129], v[134:135] op_sel_hi:[1,0,1]
	v_pk_fma_f32 v[128:129], v[132:133], v[128:129], v[134:135] neg_lo:[0,0,1] neg_hi:[0,0,1]
	v_mov_b32_e32 v129, v137
	s_cbranch_execz .LBB125_954
	s_branch .LBB125_955
.LBB125_953:
                                        ; implicit-def: $vgpr128_vgpr129
.LBB125_954:
	ds_load_b64 v[128:129], v1
.LBB125_955:
	s_mov_b32 s2, exec_lo
	v_cmpx_ne_u32_e32 34, v0
	s_cbranch_execz .LBB125_959
; %bb.956:
	v_add_nc_u32_e32 v131, 0x1f8, v58
	v_add3_u32 v132, 0, v58, 8
	v_mov_b32_e32 v133, v0
	s_mov_b32 s3, 0
.LBB125_957:                            ; =>This Inner Loop Header: Depth=1
	scratch_load_b64 v[134:135], v132, off
	ds_load_b64 v[136:137], v131
	s_wait_xcnt 0x0
	v_dual_add_nc_u32 v131, 8, v131 :: v_dual_add_nc_u32 v132, 8, v132
	s_wait_loadcnt_dscnt 0x0
	v_pk_mul_f32 v[138:139], v[136:137], v[134:135] op_sel:[1,1] op_sel_hi:[0,1]
	s_delay_alu instid0(VALU_DEP_1) | instskip(SKIP_2) | instid1(VALU_DEP_3)
	v_pk_fma_f32 v[140:141], v[136:137], v[134:135], v[138:139] op_sel_hi:[1,0,1]
	v_add_nc_u32_e32 v133, 1, v133
	v_pk_fma_f32 v[134:135], v[136:137], v[134:135], v[138:139] neg_lo:[0,0,1] neg_hi:[0,0,1]
	v_mov_b32_e32 v135, v141
	s_delay_alu instid0(VALU_DEP_3) | instskip(NEXT) | instid1(VALU_DEP_2)
	v_cmp_lt_u32_e32 vcc_lo, 33, v133
	v_pk_add_f32 v[128:129], v[128:129], v[134:135]
	s_or_b32 s3, vcc_lo, s3
	s_delay_alu instid0(SALU_CYCLE_1)
	s_and_not1_b32 exec_lo, exec_lo, s3
	s_cbranch_execnz .LBB125_957
; %bb.958:
	s_or_b32 exec_lo, exec_lo, s3
.LBB125_959:
	s_delay_alu instid0(SALU_CYCLE_1) | instskip(SKIP_4) | instid1(VALU_DEP_1)
	s_or_b32 exec_lo, exec_lo, s2
	v_mov_b32_e32 v131, 0
	ds_load_b64 v[132:133], v131 offset:280
	s_wait_dscnt 0x0
	v_pk_mul_f32 v[134:135], v[128:129], v[132:133] op_sel:[1,1] op_sel_hi:[0,1]
	v_pk_fma_f32 v[136:137], v[128:129], v[132:133], v[134:135] op_sel_hi:[1,0,1]
	v_pk_fma_f32 v[128:129], v[128:129], v[132:133], v[134:135] neg_lo:[0,0,1] neg_hi:[0,0,1]
	s_delay_alu instid0(VALU_DEP_2)
	v_mov_b32_e32 v129, v137
	scratch_store_b64 off, v[128:129], off offset:280
.LBB125_960:
	s_wait_xcnt 0x0
	s_or_b32 exec_lo, exec_lo, s0
	scratch_load_b64 v[128:129], off, off offset:288
	s_mov_b32 s0, exec_lo
	s_wait_loadcnt 0x0
	ds_store_b64 v1, v[128:129]
	s_wait_storecnt_dscnt 0x0
	s_barrier_signal -1
	s_barrier_wait -1
	s_wait_xcnt 0x0
	v_cmpx_gt_u32_e32 36, v0
	s_cbranch_execz .LBB125_970
; %bb.961:
	v_cmp_ne_u32_e32 vcc_lo, 1, v130
	s_cbranch_vccnz .LBB125_963
; %bb.962:
	scratch_load_b64 v[128:129], v59, off
	ds_load_b64 v[132:133], v1
	s_wait_loadcnt_dscnt 0x0
	v_pk_mul_f32 v[134:135], v[132:133], v[128:129] op_sel:[1,1] op_sel_hi:[0,1]
	s_delay_alu instid0(VALU_DEP_1) | instskip(SKIP_1) | instid1(VALU_DEP_2)
	v_pk_fma_f32 v[136:137], v[132:133], v[128:129], v[134:135] op_sel_hi:[1,0,1]
	v_pk_fma_f32 v[128:129], v[132:133], v[128:129], v[134:135] neg_lo:[0,0,1] neg_hi:[0,0,1]
	v_mov_b32_e32 v129, v137
	s_cbranch_execz .LBB125_964
	s_branch .LBB125_965
.LBB125_963:
                                        ; implicit-def: $vgpr128_vgpr129
.LBB125_964:
	ds_load_b64 v[128:129], v1
.LBB125_965:
	s_mov_b32 s2, exec_lo
	v_cmpx_ne_u32_e32 35, v0
	s_cbranch_execz .LBB125_969
; %bb.966:
	v_add_nc_u32_e32 v131, 0x1f8, v58
	v_add3_u32 v132, 0, v58, 8
	v_mov_b32_e32 v133, v0
	s_mov_b32 s3, 0
.LBB125_967:                            ; =>This Inner Loop Header: Depth=1
	scratch_load_b64 v[134:135], v132, off
	ds_load_b64 v[136:137], v131
	s_wait_xcnt 0x0
	v_dual_add_nc_u32 v131, 8, v131 :: v_dual_add_nc_u32 v132, 8, v132
	s_wait_loadcnt_dscnt 0x0
	v_pk_mul_f32 v[138:139], v[136:137], v[134:135] op_sel:[1,1] op_sel_hi:[0,1]
	s_delay_alu instid0(VALU_DEP_1) | instskip(SKIP_2) | instid1(VALU_DEP_3)
	v_pk_fma_f32 v[140:141], v[136:137], v[134:135], v[138:139] op_sel_hi:[1,0,1]
	v_add_nc_u32_e32 v133, 1, v133
	v_pk_fma_f32 v[134:135], v[136:137], v[134:135], v[138:139] neg_lo:[0,0,1] neg_hi:[0,0,1]
	v_mov_b32_e32 v135, v141
	s_delay_alu instid0(VALU_DEP_3) | instskip(NEXT) | instid1(VALU_DEP_2)
	v_cmp_lt_u32_e32 vcc_lo, 34, v133
	v_pk_add_f32 v[128:129], v[128:129], v[134:135]
	s_or_b32 s3, vcc_lo, s3
	s_delay_alu instid0(SALU_CYCLE_1)
	s_and_not1_b32 exec_lo, exec_lo, s3
	s_cbranch_execnz .LBB125_967
; %bb.968:
	s_or_b32 exec_lo, exec_lo, s3
.LBB125_969:
	s_delay_alu instid0(SALU_CYCLE_1) | instskip(SKIP_4) | instid1(VALU_DEP_1)
	s_or_b32 exec_lo, exec_lo, s2
	v_mov_b32_e32 v131, 0
	ds_load_b64 v[132:133], v131 offset:288
	s_wait_dscnt 0x0
	v_pk_mul_f32 v[134:135], v[128:129], v[132:133] op_sel:[1,1] op_sel_hi:[0,1]
	v_pk_fma_f32 v[136:137], v[128:129], v[132:133], v[134:135] op_sel_hi:[1,0,1]
	v_pk_fma_f32 v[128:129], v[128:129], v[132:133], v[134:135] neg_lo:[0,0,1] neg_hi:[0,0,1]
	s_delay_alu instid0(VALU_DEP_2)
	v_mov_b32_e32 v129, v137
	scratch_store_b64 off, v[128:129], off offset:288
.LBB125_970:
	s_wait_xcnt 0x0
	s_or_b32 exec_lo, exec_lo, s0
	scratch_load_b64 v[128:129], off, off offset:296
	s_mov_b32 s0, exec_lo
	s_wait_loadcnt 0x0
	ds_store_b64 v1, v[128:129]
	s_wait_storecnt_dscnt 0x0
	s_barrier_signal -1
	s_barrier_wait -1
	s_wait_xcnt 0x0
	v_cmpx_gt_u32_e32 37, v0
	s_cbranch_execz .LBB125_980
; %bb.971:
	v_cmp_ne_u32_e32 vcc_lo, 1, v130
	s_cbranch_vccnz .LBB125_973
; %bb.972:
	scratch_load_b64 v[128:129], v59, off
	ds_load_b64 v[132:133], v1
	s_wait_loadcnt_dscnt 0x0
	v_pk_mul_f32 v[134:135], v[132:133], v[128:129] op_sel:[1,1] op_sel_hi:[0,1]
	s_delay_alu instid0(VALU_DEP_1) | instskip(SKIP_1) | instid1(VALU_DEP_2)
	v_pk_fma_f32 v[136:137], v[132:133], v[128:129], v[134:135] op_sel_hi:[1,0,1]
	v_pk_fma_f32 v[128:129], v[132:133], v[128:129], v[134:135] neg_lo:[0,0,1] neg_hi:[0,0,1]
	v_mov_b32_e32 v129, v137
	s_cbranch_execz .LBB125_974
	s_branch .LBB125_975
.LBB125_973:
                                        ; implicit-def: $vgpr128_vgpr129
.LBB125_974:
	ds_load_b64 v[128:129], v1
.LBB125_975:
	s_mov_b32 s2, exec_lo
	v_cmpx_ne_u32_e32 36, v0
	s_cbranch_execz .LBB125_979
; %bb.976:
	v_add_nc_u32_e32 v131, 0x1f8, v58
	v_add3_u32 v132, 0, v58, 8
	v_mov_b32_e32 v133, v0
	s_mov_b32 s3, 0
.LBB125_977:                            ; =>This Inner Loop Header: Depth=1
	scratch_load_b64 v[134:135], v132, off
	ds_load_b64 v[136:137], v131
	s_wait_xcnt 0x0
	v_dual_add_nc_u32 v131, 8, v131 :: v_dual_add_nc_u32 v132, 8, v132
	s_wait_loadcnt_dscnt 0x0
	v_pk_mul_f32 v[138:139], v[136:137], v[134:135] op_sel:[1,1] op_sel_hi:[0,1]
	s_delay_alu instid0(VALU_DEP_1) | instskip(SKIP_2) | instid1(VALU_DEP_3)
	v_pk_fma_f32 v[140:141], v[136:137], v[134:135], v[138:139] op_sel_hi:[1,0,1]
	v_add_nc_u32_e32 v133, 1, v133
	v_pk_fma_f32 v[134:135], v[136:137], v[134:135], v[138:139] neg_lo:[0,0,1] neg_hi:[0,0,1]
	v_mov_b32_e32 v135, v141
	s_delay_alu instid0(VALU_DEP_3) | instskip(NEXT) | instid1(VALU_DEP_2)
	v_cmp_lt_u32_e32 vcc_lo, 35, v133
	v_pk_add_f32 v[128:129], v[128:129], v[134:135]
	s_or_b32 s3, vcc_lo, s3
	s_delay_alu instid0(SALU_CYCLE_1)
	s_and_not1_b32 exec_lo, exec_lo, s3
	s_cbranch_execnz .LBB125_977
; %bb.978:
	s_or_b32 exec_lo, exec_lo, s3
.LBB125_979:
	s_delay_alu instid0(SALU_CYCLE_1) | instskip(SKIP_4) | instid1(VALU_DEP_1)
	s_or_b32 exec_lo, exec_lo, s2
	v_mov_b32_e32 v131, 0
	ds_load_b64 v[132:133], v131 offset:296
	s_wait_dscnt 0x0
	v_pk_mul_f32 v[134:135], v[128:129], v[132:133] op_sel:[1,1] op_sel_hi:[0,1]
	v_pk_fma_f32 v[136:137], v[128:129], v[132:133], v[134:135] op_sel_hi:[1,0,1]
	v_pk_fma_f32 v[128:129], v[128:129], v[132:133], v[134:135] neg_lo:[0,0,1] neg_hi:[0,0,1]
	s_delay_alu instid0(VALU_DEP_2)
	v_mov_b32_e32 v129, v137
	scratch_store_b64 off, v[128:129], off offset:296
.LBB125_980:
	s_wait_xcnt 0x0
	s_or_b32 exec_lo, exec_lo, s0
	scratch_load_b64 v[128:129], off, off offset:304
	s_mov_b32 s0, exec_lo
	s_wait_loadcnt 0x0
	ds_store_b64 v1, v[128:129]
	s_wait_storecnt_dscnt 0x0
	s_barrier_signal -1
	s_barrier_wait -1
	s_wait_xcnt 0x0
	v_cmpx_gt_u32_e32 38, v0
	s_cbranch_execz .LBB125_990
; %bb.981:
	v_cmp_ne_u32_e32 vcc_lo, 1, v130
	s_cbranch_vccnz .LBB125_983
; %bb.982:
	scratch_load_b64 v[128:129], v59, off
	ds_load_b64 v[132:133], v1
	s_wait_loadcnt_dscnt 0x0
	v_pk_mul_f32 v[134:135], v[132:133], v[128:129] op_sel:[1,1] op_sel_hi:[0,1]
	s_delay_alu instid0(VALU_DEP_1) | instskip(SKIP_1) | instid1(VALU_DEP_2)
	v_pk_fma_f32 v[136:137], v[132:133], v[128:129], v[134:135] op_sel_hi:[1,0,1]
	v_pk_fma_f32 v[128:129], v[132:133], v[128:129], v[134:135] neg_lo:[0,0,1] neg_hi:[0,0,1]
	v_mov_b32_e32 v129, v137
	s_cbranch_execz .LBB125_984
	s_branch .LBB125_985
.LBB125_983:
                                        ; implicit-def: $vgpr128_vgpr129
.LBB125_984:
	ds_load_b64 v[128:129], v1
.LBB125_985:
	s_mov_b32 s2, exec_lo
	v_cmpx_ne_u32_e32 37, v0
	s_cbranch_execz .LBB125_989
; %bb.986:
	v_add_nc_u32_e32 v131, 0x1f8, v58
	v_add3_u32 v132, 0, v58, 8
	v_mov_b32_e32 v133, v0
	s_mov_b32 s3, 0
.LBB125_987:                            ; =>This Inner Loop Header: Depth=1
	scratch_load_b64 v[134:135], v132, off
	ds_load_b64 v[136:137], v131
	s_wait_xcnt 0x0
	v_dual_add_nc_u32 v131, 8, v131 :: v_dual_add_nc_u32 v132, 8, v132
	s_wait_loadcnt_dscnt 0x0
	v_pk_mul_f32 v[138:139], v[136:137], v[134:135] op_sel:[1,1] op_sel_hi:[0,1]
	s_delay_alu instid0(VALU_DEP_1) | instskip(SKIP_2) | instid1(VALU_DEP_3)
	v_pk_fma_f32 v[140:141], v[136:137], v[134:135], v[138:139] op_sel_hi:[1,0,1]
	v_add_nc_u32_e32 v133, 1, v133
	v_pk_fma_f32 v[134:135], v[136:137], v[134:135], v[138:139] neg_lo:[0,0,1] neg_hi:[0,0,1]
	v_mov_b32_e32 v135, v141
	s_delay_alu instid0(VALU_DEP_3) | instskip(NEXT) | instid1(VALU_DEP_2)
	v_cmp_lt_u32_e32 vcc_lo, 36, v133
	v_pk_add_f32 v[128:129], v[128:129], v[134:135]
	s_or_b32 s3, vcc_lo, s3
	s_delay_alu instid0(SALU_CYCLE_1)
	s_and_not1_b32 exec_lo, exec_lo, s3
	s_cbranch_execnz .LBB125_987
; %bb.988:
	s_or_b32 exec_lo, exec_lo, s3
.LBB125_989:
	s_delay_alu instid0(SALU_CYCLE_1) | instskip(SKIP_4) | instid1(VALU_DEP_1)
	s_or_b32 exec_lo, exec_lo, s2
	v_mov_b32_e32 v131, 0
	ds_load_b64 v[132:133], v131 offset:304
	s_wait_dscnt 0x0
	v_pk_mul_f32 v[134:135], v[128:129], v[132:133] op_sel:[1,1] op_sel_hi:[0,1]
	v_pk_fma_f32 v[136:137], v[128:129], v[132:133], v[134:135] op_sel_hi:[1,0,1]
	v_pk_fma_f32 v[128:129], v[128:129], v[132:133], v[134:135] neg_lo:[0,0,1] neg_hi:[0,0,1]
	s_delay_alu instid0(VALU_DEP_2)
	v_mov_b32_e32 v129, v137
	scratch_store_b64 off, v[128:129], off offset:304
.LBB125_990:
	s_wait_xcnt 0x0
	s_or_b32 exec_lo, exec_lo, s0
	scratch_load_b64 v[128:129], off, off offset:312
	s_mov_b32 s0, exec_lo
	s_wait_loadcnt 0x0
	ds_store_b64 v1, v[128:129]
	s_wait_storecnt_dscnt 0x0
	s_barrier_signal -1
	s_barrier_wait -1
	s_wait_xcnt 0x0
	v_cmpx_gt_u32_e32 39, v0
	s_cbranch_execz .LBB125_1000
; %bb.991:
	v_cmp_ne_u32_e32 vcc_lo, 1, v130
	s_cbranch_vccnz .LBB125_993
; %bb.992:
	scratch_load_b64 v[128:129], v59, off
	ds_load_b64 v[132:133], v1
	s_wait_loadcnt_dscnt 0x0
	v_pk_mul_f32 v[134:135], v[132:133], v[128:129] op_sel:[1,1] op_sel_hi:[0,1]
	s_delay_alu instid0(VALU_DEP_1) | instskip(SKIP_1) | instid1(VALU_DEP_2)
	v_pk_fma_f32 v[136:137], v[132:133], v[128:129], v[134:135] op_sel_hi:[1,0,1]
	v_pk_fma_f32 v[128:129], v[132:133], v[128:129], v[134:135] neg_lo:[0,0,1] neg_hi:[0,0,1]
	v_mov_b32_e32 v129, v137
	s_cbranch_execz .LBB125_994
	s_branch .LBB125_995
.LBB125_993:
                                        ; implicit-def: $vgpr128_vgpr129
.LBB125_994:
	ds_load_b64 v[128:129], v1
.LBB125_995:
	s_mov_b32 s2, exec_lo
	v_cmpx_ne_u32_e32 38, v0
	s_cbranch_execz .LBB125_999
; %bb.996:
	v_add_nc_u32_e32 v131, 0x1f8, v58
	v_add3_u32 v132, 0, v58, 8
	v_mov_b32_e32 v133, v0
	s_mov_b32 s3, 0
.LBB125_997:                            ; =>This Inner Loop Header: Depth=1
	scratch_load_b64 v[134:135], v132, off
	ds_load_b64 v[136:137], v131
	s_wait_xcnt 0x0
	v_dual_add_nc_u32 v131, 8, v131 :: v_dual_add_nc_u32 v132, 8, v132
	s_wait_loadcnt_dscnt 0x0
	v_pk_mul_f32 v[138:139], v[136:137], v[134:135] op_sel:[1,1] op_sel_hi:[0,1]
	s_delay_alu instid0(VALU_DEP_1) | instskip(SKIP_2) | instid1(VALU_DEP_3)
	v_pk_fma_f32 v[140:141], v[136:137], v[134:135], v[138:139] op_sel_hi:[1,0,1]
	v_add_nc_u32_e32 v133, 1, v133
	v_pk_fma_f32 v[134:135], v[136:137], v[134:135], v[138:139] neg_lo:[0,0,1] neg_hi:[0,0,1]
	v_mov_b32_e32 v135, v141
	s_delay_alu instid0(VALU_DEP_3) | instskip(NEXT) | instid1(VALU_DEP_2)
	v_cmp_lt_u32_e32 vcc_lo, 37, v133
	v_pk_add_f32 v[128:129], v[128:129], v[134:135]
	s_or_b32 s3, vcc_lo, s3
	s_delay_alu instid0(SALU_CYCLE_1)
	s_and_not1_b32 exec_lo, exec_lo, s3
	s_cbranch_execnz .LBB125_997
; %bb.998:
	s_or_b32 exec_lo, exec_lo, s3
.LBB125_999:
	s_delay_alu instid0(SALU_CYCLE_1) | instskip(SKIP_4) | instid1(VALU_DEP_1)
	s_or_b32 exec_lo, exec_lo, s2
	v_mov_b32_e32 v131, 0
	ds_load_b64 v[132:133], v131 offset:312
	s_wait_dscnt 0x0
	v_pk_mul_f32 v[134:135], v[128:129], v[132:133] op_sel:[1,1] op_sel_hi:[0,1]
	v_pk_fma_f32 v[136:137], v[128:129], v[132:133], v[134:135] op_sel_hi:[1,0,1]
	v_pk_fma_f32 v[128:129], v[128:129], v[132:133], v[134:135] neg_lo:[0,0,1] neg_hi:[0,0,1]
	s_delay_alu instid0(VALU_DEP_2)
	v_mov_b32_e32 v129, v137
	scratch_store_b64 off, v[128:129], off offset:312
.LBB125_1000:
	s_wait_xcnt 0x0
	s_or_b32 exec_lo, exec_lo, s0
	scratch_load_b64 v[128:129], off, off offset:320
	s_mov_b32 s0, exec_lo
	s_wait_loadcnt 0x0
	ds_store_b64 v1, v[128:129]
	s_wait_storecnt_dscnt 0x0
	s_barrier_signal -1
	s_barrier_wait -1
	s_wait_xcnt 0x0
	v_cmpx_gt_u32_e32 40, v0
	s_cbranch_execz .LBB125_1010
; %bb.1001:
	v_cmp_ne_u32_e32 vcc_lo, 1, v130
	s_cbranch_vccnz .LBB125_1003
; %bb.1002:
	scratch_load_b64 v[128:129], v59, off
	ds_load_b64 v[132:133], v1
	s_wait_loadcnt_dscnt 0x0
	v_pk_mul_f32 v[134:135], v[132:133], v[128:129] op_sel:[1,1] op_sel_hi:[0,1]
	s_delay_alu instid0(VALU_DEP_1) | instskip(SKIP_1) | instid1(VALU_DEP_2)
	v_pk_fma_f32 v[136:137], v[132:133], v[128:129], v[134:135] op_sel_hi:[1,0,1]
	v_pk_fma_f32 v[128:129], v[132:133], v[128:129], v[134:135] neg_lo:[0,0,1] neg_hi:[0,0,1]
	v_mov_b32_e32 v129, v137
	s_cbranch_execz .LBB125_1004
	s_branch .LBB125_1005
.LBB125_1003:
                                        ; implicit-def: $vgpr128_vgpr129
.LBB125_1004:
	ds_load_b64 v[128:129], v1
.LBB125_1005:
	s_mov_b32 s2, exec_lo
	v_cmpx_ne_u32_e32 39, v0
	s_cbranch_execz .LBB125_1009
; %bb.1006:
	v_add_nc_u32_e32 v131, 0x1f8, v58
	v_add3_u32 v132, 0, v58, 8
	v_mov_b32_e32 v133, v0
	s_mov_b32 s3, 0
.LBB125_1007:                           ; =>This Inner Loop Header: Depth=1
	scratch_load_b64 v[134:135], v132, off
	ds_load_b64 v[136:137], v131
	s_wait_xcnt 0x0
	v_dual_add_nc_u32 v131, 8, v131 :: v_dual_add_nc_u32 v132, 8, v132
	s_wait_loadcnt_dscnt 0x0
	v_pk_mul_f32 v[138:139], v[136:137], v[134:135] op_sel:[1,1] op_sel_hi:[0,1]
	s_delay_alu instid0(VALU_DEP_1) | instskip(SKIP_2) | instid1(VALU_DEP_3)
	v_pk_fma_f32 v[140:141], v[136:137], v[134:135], v[138:139] op_sel_hi:[1,0,1]
	v_add_nc_u32_e32 v133, 1, v133
	v_pk_fma_f32 v[134:135], v[136:137], v[134:135], v[138:139] neg_lo:[0,0,1] neg_hi:[0,0,1]
	v_mov_b32_e32 v135, v141
	s_delay_alu instid0(VALU_DEP_3) | instskip(NEXT) | instid1(VALU_DEP_2)
	v_cmp_lt_u32_e32 vcc_lo, 38, v133
	v_pk_add_f32 v[128:129], v[128:129], v[134:135]
	s_or_b32 s3, vcc_lo, s3
	s_delay_alu instid0(SALU_CYCLE_1)
	s_and_not1_b32 exec_lo, exec_lo, s3
	s_cbranch_execnz .LBB125_1007
; %bb.1008:
	s_or_b32 exec_lo, exec_lo, s3
.LBB125_1009:
	s_delay_alu instid0(SALU_CYCLE_1) | instskip(SKIP_4) | instid1(VALU_DEP_1)
	s_or_b32 exec_lo, exec_lo, s2
	v_mov_b32_e32 v131, 0
	ds_load_b64 v[132:133], v131 offset:320
	s_wait_dscnt 0x0
	v_pk_mul_f32 v[134:135], v[128:129], v[132:133] op_sel:[1,1] op_sel_hi:[0,1]
	v_pk_fma_f32 v[136:137], v[128:129], v[132:133], v[134:135] op_sel_hi:[1,0,1]
	v_pk_fma_f32 v[128:129], v[128:129], v[132:133], v[134:135] neg_lo:[0,0,1] neg_hi:[0,0,1]
	s_delay_alu instid0(VALU_DEP_2)
	v_mov_b32_e32 v129, v137
	scratch_store_b64 off, v[128:129], off offset:320
.LBB125_1010:
	s_wait_xcnt 0x0
	s_or_b32 exec_lo, exec_lo, s0
	scratch_load_b64 v[128:129], off, off offset:328
	s_mov_b32 s0, exec_lo
	s_wait_loadcnt 0x0
	ds_store_b64 v1, v[128:129]
	s_wait_storecnt_dscnt 0x0
	s_barrier_signal -1
	s_barrier_wait -1
	s_wait_xcnt 0x0
	v_cmpx_gt_u32_e32 41, v0
	s_cbranch_execz .LBB125_1020
; %bb.1011:
	v_cmp_ne_u32_e32 vcc_lo, 1, v130
	s_cbranch_vccnz .LBB125_1013
; %bb.1012:
	scratch_load_b64 v[128:129], v59, off
	ds_load_b64 v[132:133], v1
	s_wait_loadcnt_dscnt 0x0
	v_pk_mul_f32 v[134:135], v[132:133], v[128:129] op_sel:[1,1] op_sel_hi:[0,1]
	s_delay_alu instid0(VALU_DEP_1) | instskip(SKIP_1) | instid1(VALU_DEP_2)
	v_pk_fma_f32 v[136:137], v[132:133], v[128:129], v[134:135] op_sel_hi:[1,0,1]
	v_pk_fma_f32 v[128:129], v[132:133], v[128:129], v[134:135] neg_lo:[0,0,1] neg_hi:[0,0,1]
	v_mov_b32_e32 v129, v137
	s_cbranch_execz .LBB125_1014
	s_branch .LBB125_1015
.LBB125_1013:
                                        ; implicit-def: $vgpr128_vgpr129
.LBB125_1014:
	ds_load_b64 v[128:129], v1
.LBB125_1015:
	s_mov_b32 s2, exec_lo
	v_cmpx_ne_u32_e32 40, v0
	s_cbranch_execz .LBB125_1019
; %bb.1016:
	v_add_nc_u32_e32 v131, 0x1f8, v58
	v_add3_u32 v132, 0, v58, 8
	v_mov_b32_e32 v133, v0
	s_mov_b32 s3, 0
.LBB125_1017:                           ; =>This Inner Loop Header: Depth=1
	scratch_load_b64 v[134:135], v132, off
	ds_load_b64 v[136:137], v131
	s_wait_xcnt 0x0
	v_dual_add_nc_u32 v131, 8, v131 :: v_dual_add_nc_u32 v132, 8, v132
	s_wait_loadcnt_dscnt 0x0
	v_pk_mul_f32 v[138:139], v[136:137], v[134:135] op_sel:[1,1] op_sel_hi:[0,1]
	s_delay_alu instid0(VALU_DEP_1) | instskip(SKIP_2) | instid1(VALU_DEP_3)
	v_pk_fma_f32 v[140:141], v[136:137], v[134:135], v[138:139] op_sel_hi:[1,0,1]
	v_add_nc_u32_e32 v133, 1, v133
	v_pk_fma_f32 v[134:135], v[136:137], v[134:135], v[138:139] neg_lo:[0,0,1] neg_hi:[0,0,1]
	v_mov_b32_e32 v135, v141
	s_delay_alu instid0(VALU_DEP_3) | instskip(NEXT) | instid1(VALU_DEP_2)
	v_cmp_lt_u32_e32 vcc_lo, 39, v133
	v_pk_add_f32 v[128:129], v[128:129], v[134:135]
	s_or_b32 s3, vcc_lo, s3
	s_delay_alu instid0(SALU_CYCLE_1)
	s_and_not1_b32 exec_lo, exec_lo, s3
	s_cbranch_execnz .LBB125_1017
; %bb.1018:
	s_or_b32 exec_lo, exec_lo, s3
.LBB125_1019:
	s_delay_alu instid0(SALU_CYCLE_1) | instskip(SKIP_4) | instid1(VALU_DEP_1)
	s_or_b32 exec_lo, exec_lo, s2
	v_mov_b32_e32 v131, 0
	ds_load_b64 v[132:133], v131 offset:328
	s_wait_dscnt 0x0
	v_pk_mul_f32 v[134:135], v[128:129], v[132:133] op_sel:[1,1] op_sel_hi:[0,1]
	v_pk_fma_f32 v[136:137], v[128:129], v[132:133], v[134:135] op_sel_hi:[1,0,1]
	v_pk_fma_f32 v[128:129], v[128:129], v[132:133], v[134:135] neg_lo:[0,0,1] neg_hi:[0,0,1]
	s_delay_alu instid0(VALU_DEP_2)
	v_mov_b32_e32 v129, v137
	scratch_store_b64 off, v[128:129], off offset:328
.LBB125_1020:
	s_wait_xcnt 0x0
	s_or_b32 exec_lo, exec_lo, s0
	scratch_load_b64 v[128:129], off, off offset:336
	s_mov_b32 s0, exec_lo
	s_wait_loadcnt 0x0
	ds_store_b64 v1, v[128:129]
	s_wait_storecnt_dscnt 0x0
	s_barrier_signal -1
	s_barrier_wait -1
	s_wait_xcnt 0x0
	v_cmpx_gt_u32_e32 42, v0
	s_cbranch_execz .LBB125_1030
; %bb.1021:
	v_cmp_ne_u32_e32 vcc_lo, 1, v130
	s_cbranch_vccnz .LBB125_1023
; %bb.1022:
	scratch_load_b64 v[128:129], v59, off
	ds_load_b64 v[132:133], v1
	s_wait_loadcnt_dscnt 0x0
	v_pk_mul_f32 v[134:135], v[132:133], v[128:129] op_sel:[1,1] op_sel_hi:[0,1]
	s_delay_alu instid0(VALU_DEP_1) | instskip(SKIP_1) | instid1(VALU_DEP_2)
	v_pk_fma_f32 v[136:137], v[132:133], v[128:129], v[134:135] op_sel_hi:[1,0,1]
	v_pk_fma_f32 v[128:129], v[132:133], v[128:129], v[134:135] neg_lo:[0,0,1] neg_hi:[0,0,1]
	v_mov_b32_e32 v129, v137
	s_cbranch_execz .LBB125_1024
	s_branch .LBB125_1025
.LBB125_1023:
                                        ; implicit-def: $vgpr128_vgpr129
.LBB125_1024:
	ds_load_b64 v[128:129], v1
.LBB125_1025:
	s_mov_b32 s2, exec_lo
	v_cmpx_ne_u32_e32 41, v0
	s_cbranch_execz .LBB125_1029
; %bb.1026:
	v_add_nc_u32_e32 v131, 0x1f8, v58
	v_add3_u32 v132, 0, v58, 8
	v_mov_b32_e32 v133, v0
	s_mov_b32 s3, 0
.LBB125_1027:                           ; =>This Inner Loop Header: Depth=1
	scratch_load_b64 v[134:135], v132, off
	ds_load_b64 v[136:137], v131
	s_wait_xcnt 0x0
	v_dual_add_nc_u32 v131, 8, v131 :: v_dual_add_nc_u32 v132, 8, v132
	s_wait_loadcnt_dscnt 0x0
	v_pk_mul_f32 v[138:139], v[136:137], v[134:135] op_sel:[1,1] op_sel_hi:[0,1]
	s_delay_alu instid0(VALU_DEP_1) | instskip(SKIP_2) | instid1(VALU_DEP_3)
	v_pk_fma_f32 v[140:141], v[136:137], v[134:135], v[138:139] op_sel_hi:[1,0,1]
	v_add_nc_u32_e32 v133, 1, v133
	v_pk_fma_f32 v[134:135], v[136:137], v[134:135], v[138:139] neg_lo:[0,0,1] neg_hi:[0,0,1]
	v_mov_b32_e32 v135, v141
	s_delay_alu instid0(VALU_DEP_3) | instskip(NEXT) | instid1(VALU_DEP_2)
	v_cmp_lt_u32_e32 vcc_lo, 40, v133
	v_pk_add_f32 v[128:129], v[128:129], v[134:135]
	s_or_b32 s3, vcc_lo, s3
	s_delay_alu instid0(SALU_CYCLE_1)
	s_and_not1_b32 exec_lo, exec_lo, s3
	s_cbranch_execnz .LBB125_1027
; %bb.1028:
	s_or_b32 exec_lo, exec_lo, s3
.LBB125_1029:
	s_delay_alu instid0(SALU_CYCLE_1) | instskip(SKIP_4) | instid1(VALU_DEP_1)
	s_or_b32 exec_lo, exec_lo, s2
	v_mov_b32_e32 v131, 0
	ds_load_b64 v[132:133], v131 offset:336
	s_wait_dscnt 0x0
	v_pk_mul_f32 v[134:135], v[128:129], v[132:133] op_sel:[1,1] op_sel_hi:[0,1]
	v_pk_fma_f32 v[136:137], v[128:129], v[132:133], v[134:135] op_sel_hi:[1,0,1]
	v_pk_fma_f32 v[128:129], v[128:129], v[132:133], v[134:135] neg_lo:[0,0,1] neg_hi:[0,0,1]
	s_delay_alu instid0(VALU_DEP_2)
	v_mov_b32_e32 v129, v137
	scratch_store_b64 off, v[128:129], off offset:336
.LBB125_1030:
	s_wait_xcnt 0x0
	s_or_b32 exec_lo, exec_lo, s0
	scratch_load_b64 v[128:129], off, off offset:344
	s_mov_b32 s0, exec_lo
	s_wait_loadcnt 0x0
	ds_store_b64 v1, v[128:129]
	s_wait_storecnt_dscnt 0x0
	s_barrier_signal -1
	s_barrier_wait -1
	s_wait_xcnt 0x0
	v_cmpx_gt_u32_e32 43, v0
	s_cbranch_execz .LBB125_1040
; %bb.1031:
	v_cmp_ne_u32_e32 vcc_lo, 1, v130
	s_cbranch_vccnz .LBB125_1033
; %bb.1032:
	scratch_load_b64 v[128:129], v59, off
	ds_load_b64 v[132:133], v1
	s_wait_loadcnt_dscnt 0x0
	v_pk_mul_f32 v[134:135], v[132:133], v[128:129] op_sel:[1,1] op_sel_hi:[0,1]
	s_delay_alu instid0(VALU_DEP_1) | instskip(SKIP_1) | instid1(VALU_DEP_2)
	v_pk_fma_f32 v[136:137], v[132:133], v[128:129], v[134:135] op_sel_hi:[1,0,1]
	v_pk_fma_f32 v[128:129], v[132:133], v[128:129], v[134:135] neg_lo:[0,0,1] neg_hi:[0,0,1]
	v_mov_b32_e32 v129, v137
	s_cbranch_execz .LBB125_1034
	s_branch .LBB125_1035
.LBB125_1033:
                                        ; implicit-def: $vgpr128_vgpr129
.LBB125_1034:
	ds_load_b64 v[128:129], v1
.LBB125_1035:
	s_mov_b32 s2, exec_lo
	v_cmpx_ne_u32_e32 42, v0
	s_cbranch_execz .LBB125_1039
; %bb.1036:
	v_add_nc_u32_e32 v131, 0x1f8, v58
	v_add3_u32 v132, 0, v58, 8
	v_mov_b32_e32 v133, v0
	s_mov_b32 s3, 0
.LBB125_1037:                           ; =>This Inner Loop Header: Depth=1
	scratch_load_b64 v[134:135], v132, off
	ds_load_b64 v[136:137], v131
	s_wait_xcnt 0x0
	v_dual_add_nc_u32 v131, 8, v131 :: v_dual_add_nc_u32 v132, 8, v132
	s_wait_loadcnt_dscnt 0x0
	v_pk_mul_f32 v[138:139], v[136:137], v[134:135] op_sel:[1,1] op_sel_hi:[0,1]
	s_delay_alu instid0(VALU_DEP_1) | instskip(SKIP_2) | instid1(VALU_DEP_3)
	v_pk_fma_f32 v[140:141], v[136:137], v[134:135], v[138:139] op_sel_hi:[1,0,1]
	v_add_nc_u32_e32 v133, 1, v133
	v_pk_fma_f32 v[134:135], v[136:137], v[134:135], v[138:139] neg_lo:[0,0,1] neg_hi:[0,0,1]
	v_mov_b32_e32 v135, v141
	s_delay_alu instid0(VALU_DEP_3) | instskip(NEXT) | instid1(VALU_DEP_2)
	v_cmp_lt_u32_e32 vcc_lo, 41, v133
	v_pk_add_f32 v[128:129], v[128:129], v[134:135]
	s_or_b32 s3, vcc_lo, s3
	s_delay_alu instid0(SALU_CYCLE_1)
	s_and_not1_b32 exec_lo, exec_lo, s3
	s_cbranch_execnz .LBB125_1037
; %bb.1038:
	s_or_b32 exec_lo, exec_lo, s3
.LBB125_1039:
	s_delay_alu instid0(SALU_CYCLE_1) | instskip(SKIP_4) | instid1(VALU_DEP_1)
	s_or_b32 exec_lo, exec_lo, s2
	v_mov_b32_e32 v131, 0
	ds_load_b64 v[132:133], v131 offset:344
	s_wait_dscnt 0x0
	v_pk_mul_f32 v[134:135], v[128:129], v[132:133] op_sel:[1,1] op_sel_hi:[0,1]
	v_pk_fma_f32 v[136:137], v[128:129], v[132:133], v[134:135] op_sel_hi:[1,0,1]
	v_pk_fma_f32 v[128:129], v[128:129], v[132:133], v[134:135] neg_lo:[0,0,1] neg_hi:[0,0,1]
	s_delay_alu instid0(VALU_DEP_2)
	v_mov_b32_e32 v129, v137
	scratch_store_b64 off, v[128:129], off offset:344
.LBB125_1040:
	s_wait_xcnt 0x0
	s_or_b32 exec_lo, exec_lo, s0
	scratch_load_b64 v[128:129], off, off offset:352
	s_mov_b32 s0, exec_lo
	s_wait_loadcnt 0x0
	ds_store_b64 v1, v[128:129]
	s_wait_storecnt_dscnt 0x0
	s_barrier_signal -1
	s_barrier_wait -1
	s_wait_xcnt 0x0
	v_cmpx_gt_u32_e32 44, v0
	s_cbranch_execz .LBB125_1050
; %bb.1041:
	v_cmp_ne_u32_e32 vcc_lo, 1, v130
	s_cbranch_vccnz .LBB125_1043
; %bb.1042:
	scratch_load_b64 v[128:129], v59, off
	ds_load_b64 v[132:133], v1
	s_wait_loadcnt_dscnt 0x0
	v_pk_mul_f32 v[134:135], v[132:133], v[128:129] op_sel:[1,1] op_sel_hi:[0,1]
	s_delay_alu instid0(VALU_DEP_1) | instskip(SKIP_1) | instid1(VALU_DEP_2)
	v_pk_fma_f32 v[136:137], v[132:133], v[128:129], v[134:135] op_sel_hi:[1,0,1]
	v_pk_fma_f32 v[128:129], v[132:133], v[128:129], v[134:135] neg_lo:[0,0,1] neg_hi:[0,0,1]
	v_mov_b32_e32 v129, v137
	s_cbranch_execz .LBB125_1044
	s_branch .LBB125_1045
.LBB125_1043:
                                        ; implicit-def: $vgpr128_vgpr129
.LBB125_1044:
	ds_load_b64 v[128:129], v1
.LBB125_1045:
	s_mov_b32 s2, exec_lo
	v_cmpx_ne_u32_e32 43, v0
	s_cbranch_execz .LBB125_1049
; %bb.1046:
	v_add_nc_u32_e32 v131, 0x1f8, v58
	v_add3_u32 v132, 0, v58, 8
	v_mov_b32_e32 v133, v0
	s_mov_b32 s3, 0
.LBB125_1047:                           ; =>This Inner Loop Header: Depth=1
	scratch_load_b64 v[134:135], v132, off
	ds_load_b64 v[136:137], v131
	s_wait_xcnt 0x0
	v_dual_add_nc_u32 v131, 8, v131 :: v_dual_add_nc_u32 v132, 8, v132
	s_wait_loadcnt_dscnt 0x0
	v_pk_mul_f32 v[138:139], v[136:137], v[134:135] op_sel:[1,1] op_sel_hi:[0,1]
	s_delay_alu instid0(VALU_DEP_1) | instskip(SKIP_2) | instid1(VALU_DEP_3)
	v_pk_fma_f32 v[140:141], v[136:137], v[134:135], v[138:139] op_sel_hi:[1,0,1]
	v_add_nc_u32_e32 v133, 1, v133
	v_pk_fma_f32 v[134:135], v[136:137], v[134:135], v[138:139] neg_lo:[0,0,1] neg_hi:[0,0,1]
	v_mov_b32_e32 v135, v141
	s_delay_alu instid0(VALU_DEP_3) | instskip(NEXT) | instid1(VALU_DEP_2)
	v_cmp_lt_u32_e32 vcc_lo, 42, v133
	v_pk_add_f32 v[128:129], v[128:129], v[134:135]
	s_or_b32 s3, vcc_lo, s3
	s_delay_alu instid0(SALU_CYCLE_1)
	s_and_not1_b32 exec_lo, exec_lo, s3
	s_cbranch_execnz .LBB125_1047
; %bb.1048:
	s_or_b32 exec_lo, exec_lo, s3
.LBB125_1049:
	s_delay_alu instid0(SALU_CYCLE_1) | instskip(SKIP_4) | instid1(VALU_DEP_1)
	s_or_b32 exec_lo, exec_lo, s2
	v_mov_b32_e32 v131, 0
	ds_load_b64 v[132:133], v131 offset:352
	s_wait_dscnt 0x0
	v_pk_mul_f32 v[134:135], v[128:129], v[132:133] op_sel:[1,1] op_sel_hi:[0,1]
	v_pk_fma_f32 v[136:137], v[128:129], v[132:133], v[134:135] op_sel_hi:[1,0,1]
	v_pk_fma_f32 v[128:129], v[128:129], v[132:133], v[134:135] neg_lo:[0,0,1] neg_hi:[0,0,1]
	s_delay_alu instid0(VALU_DEP_2)
	v_mov_b32_e32 v129, v137
	scratch_store_b64 off, v[128:129], off offset:352
.LBB125_1050:
	s_wait_xcnt 0x0
	s_or_b32 exec_lo, exec_lo, s0
	scratch_load_b64 v[128:129], off, off offset:360
	s_mov_b32 s0, exec_lo
	s_wait_loadcnt 0x0
	ds_store_b64 v1, v[128:129]
	s_wait_storecnt_dscnt 0x0
	s_barrier_signal -1
	s_barrier_wait -1
	s_wait_xcnt 0x0
	v_cmpx_gt_u32_e32 45, v0
	s_cbranch_execz .LBB125_1060
; %bb.1051:
	v_cmp_ne_u32_e32 vcc_lo, 1, v130
	s_cbranch_vccnz .LBB125_1053
; %bb.1052:
	scratch_load_b64 v[128:129], v59, off
	ds_load_b64 v[132:133], v1
	s_wait_loadcnt_dscnt 0x0
	v_pk_mul_f32 v[134:135], v[132:133], v[128:129] op_sel:[1,1] op_sel_hi:[0,1]
	s_delay_alu instid0(VALU_DEP_1) | instskip(SKIP_1) | instid1(VALU_DEP_2)
	v_pk_fma_f32 v[136:137], v[132:133], v[128:129], v[134:135] op_sel_hi:[1,0,1]
	v_pk_fma_f32 v[128:129], v[132:133], v[128:129], v[134:135] neg_lo:[0,0,1] neg_hi:[0,0,1]
	v_mov_b32_e32 v129, v137
	s_cbranch_execz .LBB125_1054
	s_branch .LBB125_1055
.LBB125_1053:
                                        ; implicit-def: $vgpr128_vgpr129
.LBB125_1054:
	ds_load_b64 v[128:129], v1
.LBB125_1055:
	s_mov_b32 s2, exec_lo
	v_cmpx_ne_u32_e32 44, v0
	s_cbranch_execz .LBB125_1059
; %bb.1056:
	v_add_nc_u32_e32 v131, 0x1f8, v58
	v_add3_u32 v132, 0, v58, 8
	v_mov_b32_e32 v133, v0
	s_mov_b32 s3, 0
.LBB125_1057:                           ; =>This Inner Loop Header: Depth=1
	scratch_load_b64 v[134:135], v132, off
	ds_load_b64 v[136:137], v131
	s_wait_xcnt 0x0
	v_dual_add_nc_u32 v131, 8, v131 :: v_dual_add_nc_u32 v132, 8, v132
	s_wait_loadcnt_dscnt 0x0
	v_pk_mul_f32 v[138:139], v[136:137], v[134:135] op_sel:[1,1] op_sel_hi:[0,1]
	s_delay_alu instid0(VALU_DEP_1) | instskip(SKIP_2) | instid1(VALU_DEP_3)
	v_pk_fma_f32 v[140:141], v[136:137], v[134:135], v[138:139] op_sel_hi:[1,0,1]
	v_add_nc_u32_e32 v133, 1, v133
	v_pk_fma_f32 v[134:135], v[136:137], v[134:135], v[138:139] neg_lo:[0,0,1] neg_hi:[0,0,1]
	v_mov_b32_e32 v135, v141
	s_delay_alu instid0(VALU_DEP_3) | instskip(NEXT) | instid1(VALU_DEP_2)
	v_cmp_lt_u32_e32 vcc_lo, 43, v133
	v_pk_add_f32 v[128:129], v[128:129], v[134:135]
	s_or_b32 s3, vcc_lo, s3
	s_delay_alu instid0(SALU_CYCLE_1)
	s_and_not1_b32 exec_lo, exec_lo, s3
	s_cbranch_execnz .LBB125_1057
; %bb.1058:
	s_or_b32 exec_lo, exec_lo, s3
.LBB125_1059:
	s_delay_alu instid0(SALU_CYCLE_1) | instskip(SKIP_4) | instid1(VALU_DEP_1)
	s_or_b32 exec_lo, exec_lo, s2
	v_mov_b32_e32 v131, 0
	ds_load_b64 v[132:133], v131 offset:360
	s_wait_dscnt 0x0
	v_pk_mul_f32 v[134:135], v[128:129], v[132:133] op_sel:[1,1] op_sel_hi:[0,1]
	v_pk_fma_f32 v[136:137], v[128:129], v[132:133], v[134:135] op_sel_hi:[1,0,1]
	v_pk_fma_f32 v[128:129], v[128:129], v[132:133], v[134:135] neg_lo:[0,0,1] neg_hi:[0,0,1]
	s_delay_alu instid0(VALU_DEP_2)
	v_mov_b32_e32 v129, v137
	scratch_store_b64 off, v[128:129], off offset:360
.LBB125_1060:
	s_wait_xcnt 0x0
	s_or_b32 exec_lo, exec_lo, s0
	scratch_load_b64 v[128:129], off, off offset:368
	s_mov_b32 s0, exec_lo
	s_wait_loadcnt 0x0
	ds_store_b64 v1, v[128:129]
	s_wait_storecnt_dscnt 0x0
	s_barrier_signal -1
	s_barrier_wait -1
	s_wait_xcnt 0x0
	v_cmpx_gt_u32_e32 46, v0
	s_cbranch_execz .LBB125_1070
; %bb.1061:
	v_cmp_ne_u32_e32 vcc_lo, 1, v130
	s_cbranch_vccnz .LBB125_1063
; %bb.1062:
	scratch_load_b64 v[128:129], v59, off
	ds_load_b64 v[132:133], v1
	s_wait_loadcnt_dscnt 0x0
	v_pk_mul_f32 v[134:135], v[132:133], v[128:129] op_sel:[1,1] op_sel_hi:[0,1]
	s_delay_alu instid0(VALU_DEP_1) | instskip(SKIP_1) | instid1(VALU_DEP_2)
	v_pk_fma_f32 v[136:137], v[132:133], v[128:129], v[134:135] op_sel_hi:[1,0,1]
	v_pk_fma_f32 v[128:129], v[132:133], v[128:129], v[134:135] neg_lo:[0,0,1] neg_hi:[0,0,1]
	v_mov_b32_e32 v129, v137
	s_cbranch_execz .LBB125_1064
	s_branch .LBB125_1065
.LBB125_1063:
                                        ; implicit-def: $vgpr128_vgpr129
.LBB125_1064:
	ds_load_b64 v[128:129], v1
.LBB125_1065:
	s_mov_b32 s2, exec_lo
	v_cmpx_ne_u32_e32 45, v0
	s_cbranch_execz .LBB125_1069
; %bb.1066:
	v_add_nc_u32_e32 v131, 0x1f8, v58
	v_add3_u32 v132, 0, v58, 8
	v_mov_b32_e32 v133, v0
	s_mov_b32 s3, 0
.LBB125_1067:                           ; =>This Inner Loop Header: Depth=1
	scratch_load_b64 v[134:135], v132, off
	ds_load_b64 v[136:137], v131
	s_wait_xcnt 0x0
	v_dual_add_nc_u32 v131, 8, v131 :: v_dual_add_nc_u32 v132, 8, v132
	s_wait_loadcnt_dscnt 0x0
	v_pk_mul_f32 v[138:139], v[136:137], v[134:135] op_sel:[1,1] op_sel_hi:[0,1]
	s_delay_alu instid0(VALU_DEP_1) | instskip(SKIP_2) | instid1(VALU_DEP_3)
	v_pk_fma_f32 v[140:141], v[136:137], v[134:135], v[138:139] op_sel_hi:[1,0,1]
	v_add_nc_u32_e32 v133, 1, v133
	v_pk_fma_f32 v[134:135], v[136:137], v[134:135], v[138:139] neg_lo:[0,0,1] neg_hi:[0,0,1]
	v_mov_b32_e32 v135, v141
	s_delay_alu instid0(VALU_DEP_3) | instskip(NEXT) | instid1(VALU_DEP_2)
	v_cmp_lt_u32_e32 vcc_lo, 44, v133
	v_pk_add_f32 v[128:129], v[128:129], v[134:135]
	s_or_b32 s3, vcc_lo, s3
	s_delay_alu instid0(SALU_CYCLE_1)
	s_and_not1_b32 exec_lo, exec_lo, s3
	s_cbranch_execnz .LBB125_1067
; %bb.1068:
	s_or_b32 exec_lo, exec_lo, s3
.LBB125_1069:
	s_delay_alu instid0(SALU_CYCLE_1) | instskip(SKIP_4) | instid1(VALU_DEP_1)
	s_or_b32 exec_lo, exec_lo, s2
	v_mov_b32_e32 v131, 0
	ds_load_b64 v[132:133], v131 offset:368
	s_wait_dscnt 0x0
	v_pk_mul_f32 v[134:135], v[128:129], v[132:133] op_sel:[1,1] op_sel_hi:[0,1]
	v_pk_fma_f32 v[136:137], v[128:129], v[132:133], v[134:135] op_sel_hi:[1,0,1]
	v_pk_fma_f32 v[128:129], v[128:129], v[132:133], v[134:135] neg_lo:[0,0,1] neg_hi:[0,0,1]
	s_delay_alu instid0(VALU_DEP_2)
	v_mov_b32_e32 v129, v137
	scratch_store_b64 off, v[128:129], off offset:368
.LBB125_1070:
	s_wait_xcnt 0x0
	s_or_b32 exec_lo, exec_lo, s0
	scratch_load_b64 v[128:129], off, off offset:376
	s_mov_b32 s0, exec_lo
	s_wait_loadcnt 0x0
	ds_store_b64 v1, v[128:129]
	s_wait_storecnt_dscnt 0x0
	s_barrier_signal -1
	s_barrier_wait -1
	s_wait_xcnt 0x0
	v_cmpx_gt_u32_e32 47, v0
	s_cbranch_execz .LBB125_1080
; %bb.1071:
	v_cmp_ne_u32_e32 vcc_lo, 1, v130
	s_cbranch_vccnz .LBB125_1073
; %bb.1072:
	scratch_load_b64 v[128:129], v59, off
	ds_load_b64 v[132:133], v1
	s_wait_loadcnt_dscnt 0x0
	v_pk_mul_f32 v[134:135], v[132:133], v[128:129] op_sel:[1,1] op_sel_hi:[0,1]
	s_delay_alu instid0(VALU_DEP_1) | instskip(SKIP_1) | instid1(VALU_DEP_2)
	v_pk_fma_f32 v[136:137], v[132:133], v[128:129], v[134:135] op_sel_hi:[1,0,1]
	v_pk_fma_f32 v[128:129], v[132:133], v[128:129], v[134:135] neg_lo:[0,0,1] neg_hi:[0,0,1]
	v_mov_b32_e32 v129, v137
	s_cbranch_execz .LBB125_1074
	s_branch .LBB125_1075
.LBB125_1073:
                                        ; implicit-def: $vgpr128_vgpr129
.LBB125_1074:
	ds_load_b64 v[128:129], v1
.LBB125_1075:
	s_mov_b32 s2, exec_lo
	v_cmpx_ne_u32_e32 46, v0
	s_cbranch_execz .LBB125_1079
; %bb.1076:
	v_add_nc_u32_e32 v131, 0x1f8, v58
	v_add3_u32 v132, 0, v58, 8
	v_mov_b32_e32 v133, v0
	s_mov_b32 s3, 0
.LBB125_1077:                           ; =>This Inner Loop Header: Depth=1
	scratch_load_b64 v[134:135], v132, off
	ds_load_b64 v[136:137], v131
	s_wait_xcnt 0x0
	v_dual_add_nc_u32 v131, 8, v131 :: v_dual_add_nc_u32 v132, 8, v132
	s_wait_loadcnt_dscnt 0x0
	v_pk_mul_f32 v[138:139], v[136:137], v[134:135] op_sel:[1,1] op_sel_hi:[0,1]
	s_delay_alu instid0(VALU_DEP_1) | instskip(SKIP_2) | instid1(VALU_DEP_3)
	v_pk_fma_f32 v[140:141], v[136:137], v[134:135], v[138:139] op_sel_hi:[1,0,1]
	v_add_nc_u32_e32 v133, 1, v133
	v_pk_fma_f32 v[134:135], v[136:137], v[134:135], v[138:139] neg_lo:[0,0,1] neg_hi:[0,0,1]
	v_mov_b32_e32 v135, v141
	s_delay_alu instid0(VALU_DEP_3) | instskip(NEXT) | instid1(VALU_DEP_2)
	v_cmp_lt_u32_e32 vcc_lo, 45, v133
	v_pk_add_f32 v[128:129], v[128:129], v[134:135]
	s_or_b32 s3, vcc_lo, s3
	s_delay_alu instid0(SALU_CYCLE_1)
	s_and_not1_b32 exec_lo, exec_lo, s3
	s_cbranch_execnz .LBB125_1077
; %bb.1078:
	s_or_b32 exec_lo, exec_lo, s3
.LBB125_1079:
	s_delay_alu instid0(SALU_CYCLE_1) | instskip(SKIP_4) | instid1(VALU_DEP_1)
	s_or_b32 exec_lo, exec_lo, s2
	v_mov_b32_e32 v131, 0
	ds_load_b64 v[132:133], v131 offset:376
	s_wait_dscnt 0x0
	v_pk_mul_f32 v[134:135], v[128:129], v[132:133] op_sel:[1,1] op_sel_hi:[0,1]
	v_pk_fma_f32 v[136:137], v[128:129], v[132:133], v[134:135] op_sel_hi:[1,0,1]
	v_pk_fma_f32 v[128:129], v[128:129], v[132:133], v[134:135] neg_lo:[0,0,1] neg_hi:[0,0,1]
	s_delay_alu instid0(VALU_DEP_2)
	v_mov_b32_e32 v129, v137
	scratch_store_b64 off, v[128:129], off offset:376
.LBB125_1080:
	s_wait_xcnt 0x0
	s_or_b32 exec_lo, exec_lo, s0
	scratch_load_b64 v[128:129], off, off offset:384
	s_mov_b32 s0, exec_lo
	s_wait_loadcnt 0x0
	ds_store_b64 v1, v[128:129]
	s_wait_storecnt_dscnt 0x0
	s_barrier_signal -1
	s_barrier_wait -1
	s_wait_xcnt 0x0
	v_cmpx_gt_u32_e32 48, v0
	s_cbranch_execz .LBB125_1090
; %bb.1081:
	v_cmp_ne_u32_e32 vcc_lo, 1, v130
	s_cbranch_vccnz .LBB125_1083
; %bb.1082:
	scratch_load_b64 v[128:129], v59, off
	ds_load_b64 v[132:133], v1
	s_wait_loadcnt_dscnt 0x0
	v_pk_mul_f32 v[134:135], v[132:133], v[128:129] op_sel:[1,1] op_sel_hi:[0,1]
	s_delay_alu instid0(VALU_DEP_1) | instskip(SKIP_1) | instid1(VALU_DEP_2)
	v_pk_fma_f32 v[136:137], v[132:133], v[128:129], v[134:135] op_sel_hi:[1,0,1]
	v_pk_fma_f32 v[128:129], v[132:133], v[128:129], v[134:135] neg_lo:[0,0,1] neg_hi:[0,0,1]
	v_mov_b32_e32 v129, v137
	s_cbranch_execz .LBB125_1084
	s_branch .LBB125_1085
.LBB125_1083:
                                        ; implicit-def: $vgpr128_vgpr129
.LBB125_1084:
	ds_load_b64 v[128:129], v1
.LBB125_1085:
	s_mov_b32 s2, exec_lo
	v_cmpx_ne_u32_e32 47, v0
	s_cbranch_execz .LBB125_1089
; %bb.1086:
	v_add_nc_u32_e32 v131, 0x1f8, v58
	v_add3_u32 v132, 0, v58, 8
	v_mov_b32_e32 v133, v0
	s_mov_b32 s3, 0
.LBB125_1087:                           ; =>This Inner Loop Header: Depth=1
	scratch_load_b64 v[134:135], v132, off
	ds_load_b64 v[136:137], v131
	s_wait_xcnt 0x0
	v_dual_add_nc_u32 v131, 8, v131 :: v_dual_add_nc_u32 v132, 8, v132
	s_wait_loadcnt_dscnt 0x0
	v_pk_mul_f32 v[138:139], v[136:137], v[134:135] op_sel:[1,1] op_sel_hi:[0,1]
	s_delay_alu instid0(VALU_DEP_1) | instskip(SKIP_2) | instid1(VALU_DEP_3)
	v_pk_fma_f32 v[140:141], v[136:137], v[134:135], v[138:139] op_sel_hi:[1,0,1]
	v_add_nc_u32_e32 v133, 1, v133
	v_pk_fma_f32 v[134:135], v[136:137], v[134:135], v[138:139] neg_lo:[0,0,1] neg_hi:[0,0,1]
	v_mov_b32_e32 v135, v141
	s_delay_alu instid0(VALU_DEP_3) | instskip(NEXT) | instid1(VALU_DEP_2)
	v_cmp_lt_u32_e32 vcc_lo, 46, v133
	v_pk_add_f32 v[128:129], v[128:129], v[134:135]
	s_or_b32 s3, vcc_lo, s3
	s_delay_alu instid0(SALU_CYCLE_1)
	s_and_not1_b32 exec_lo, exec_lo, s3
	s_cbranch_execnz .LBB125_1087
; %bb.1088:
	s_or_b32 exec_lo, exec_lo, s3
.LBB125_1089:
	s_delay_alu instid0(SALU_CYCLE_1) | instskip(SKIP_4) | instid1(VALU_DEP_1)
	s_or_b32 exec_lo, exec_lo, s2
	v_mov_b32_e32 v131, 0
	ds_load_b64 v[132:133], v131 offset:384
	s_wait_dscnt 0x0
	v_pk_mul_f32 v[134:135], v[128:129], v[132:133] op_sel:[1,1] op_sel_hi:[0,1]
	v_pk_fma_f32 v[136:137], v[128:129], v[132:133], v[134:135] op_sel_hi:[1,0,1]
	v_pk_fma_f32 v[128:129], v[128:129], v[132:133], v[134:135] neg_lo:[0,0,1] neg_hi:[0,0,1]
	s_delay_alu instid0(VALU_DEP_2)
	v_mov_b32_e32 v129, v137
	scratch_store_b64 off, v[128:129], off offset:384
.LBB125_1090:
	s_wait_xcnt 0x0
	s_or_b32 exec_lo, exec_lo, s0
	scratch_load_b64 v[128:129], off, off offset:392
	s_mov_b32 s0, exec_lo
	s_wait_loadcnt 0x0
	ds_store_b64 v1, v[128:129]
	s_wait_storecnt_dscnt 0x0
	s_barrier_signal -1
	s_barrier_wait -1
	s_wait_xcnt 0x0
	v_cmpx_gt_u32_e32 49, v0
	s_cbranch_execz .LBB125_1100
; %bb.1091:
	v_cmp_ne_u32_e32 vcc_lo, 1, v130
	s_cbranch_vccnz .LBB125_1093
; %bb.1092:
	scratch_load_b64 v[128:129], v59, off
	ds_load_b64 v[132:133], v1
	s_wait_loadcnt_dscnt 0x0
	v_pk_mul_f32 v[134:135], v[132:133], v[128:129] op_sel:[1,1] op_sel_hi:[0,1]
	s_delay_alu instid0(VALU_DEP_1) | instskip(SKIP_1) | instid1(VALU_DEP_2)
	v_pk_fma_f32 v[136:137], v[132:133], v[128:129], v[134:135] op_sel_hi:[1,0,1]
	v_pk_fma_f32 v[128:129], v[132:133], v[128:129], v[134:135] neg_lo:[0,0,1] neg_hi:[0,0,1]
	v_mov_b32_e32 v129, v137
	s_cbranch_execz .LBB125_1094
	s_branch .LBB125_1095
.LBB125_1093:
                                        ; implicit-def: $vgpr128_vgpr129
.LBB125_1094:
	ds_load_b64 v[128:129], v1
.LBB125_1095:
	s_mov_b32 s2, exec_lo
	v_cmpx_ne_u32_e32 48, v0
	s_cbranch_execz .LBB125_1099
; %bb.1096:
	v_add_nc_u32_e32 v131, 0x1f8, v58
	v_add3_u32 v132, 0, v58, 8
	v_mov_b32_e32 v133, v0
	s_mov_b32 s3, 0
.LBB125_1097:                           ; =>This Inner Loop Header: Depth=1
	scratch_load_b64 v[134:135], v132, off
	ds_load_b64 v[136:137], v131
	s_wait_xcnt 0x0
	v_dual_add_nc_u32 v131, 8, v131 :: v_dual_add_nc_u32 v132, 8, v132
	s_wait_loadcnt_dscnt 0x0
	v_pk_mul_f32 v[138:139], v[136:137], v[134:135] op_sel:[1,1] op_sel_hi:[0,1]
	s_delay_alu instid0(VALU_DEP_1) | instskip(SKIP_2) | instid1(VALU_DEP_3)
	v_pk_fma_f32 v[140:141], v[136:137], v[134:135], v[138:139] op_sel_hi:[1,0,1]
	v_add_nc_u32_e32 v133, 1, v133
	v_pk_fma_f32 v[134:135], v[136:137], v[134:135], v[138:139] neg_lo:[0,0,1] neg_hi:[0,0,1]
	v_mov_b32_e32 v135, v141
	s_delay_alu instid0(VALU_DEP_3) | instskip(NEXT) | instid1(VALU_DEP_2)
	v_cmp_lt_u32_e32 vcc_lo, 47, v133
	v_pk_add_f32 v[128:129], v[128:129], v[134:135]
	s_or_b32 s3, vcc_lo, s3
	s_delay_alu instid0(SALU_CYCLE_1)
	s_and_not1_b32 exec_lo, exec_lo, s3
	s_cbranch_execnz .LBB125_1097
; %bb.1098:
	s_or_b32 exec_lo, exec_lo, s3
.LBB125_1099:
	s_delay_alu instid0(SALU_CYCLE_1) | instskip(SKIP_4) | instid1(VALU_DEP_1)
	s_or_b32 exec_lo, exec_lo, s2
	v_mov_b32_e32 v131, 0
	ds_load_b64 v[132:133], v131 offset:392
	s_wait_dscnt 0x0
	v_pk_mul_f32 v[134:135], v[128:129], v[132:133] op_sel:[1,1] op_sel_hi:[0,1]
	v_pk_fma_f32 v[136:137], v[128:129], v[132:133], v[134:135] op_sel_hi:[1,0,1]
	v_pk_fma_f32 v[128:129], v[128:129], v[132:133], v[134:135] neg_lo:[0,0,1] neg_hi:[0,0,1]
	s_delay_alu instid0(VALU_DEP_2)
	v_mov_b32_e32 v129, v137
	scratch_store_b64 off, v[128:129], off offset:392
.LBB125_1100:
	s_wait_xcnt 0x0
	s_or_b32 exec_lo, exec_lo, s0
	scratch_load_b64 v[128:129], off, off offset:400
	s_mov_b32 s0, exec_lo
	s_wait_loadcnt 0x0
	ds_store_b64 v1, v[128:129]
	s_wait_storecnt_dscnt 0x0
	s_barrier_signal -1
	s_barrier_wait -1
	s_wait_xcnt 0x0
	v_cmpx_gt_u32_e32 50, v0
	s_cbranch_execz .LBB125_1110
; %bb.1101:
	v_cmp_ne_u32_e32 vcc_lo, 1, v130
	s_cbranch_vccnz .LBB125_1103
; %bb.1102:
	scratch_load_b64 v[128:129], v59, off
	ds_load_b64 v[132:133], v1
	s_wait_loadcnt_dscnt 0x0
	v_pk_mul_f32 v[134:135], v[132:133], v[128:129] op_sel:[1,1] op_sel_hi:[0,1]
	s_delay_alu instid0(VALU_DEP_1) | instskip(SKIP_1) | instid1(VALU_DEP_2)
	v_pk_fma_f32 v[136:137], v[132:133], v[128:129], v[134:135] op_sel_hi:[1,0,1]
	v_pk_fma_f32 v[128:129], v[132:133], v[128:129], v[134:135] neg_lo:[0,0,1] neg_hi:[0,0,1]
	v_mov_b32_e32 v129, v137
	s_cbranch_execz .LBB125_1104
	s_branch .LBB125_1105
.LBB125_1103:
                                        ; implicit-def: $vgpr128_vgpr129
.LBB125_1104:
	ds_load_b64 v[128:129], v1
.LBB125_1105:
	s_mov_b32 s2, exec_lo
	v_cmpx_ne_u32_e32 49, v0
	s_cbranch_execz .LBB125_1109
; %bb.1106:
	v_add_nc_u32_e32 v131, 0x1f8, v58
	v_add3_u32 v132, 0, v58, 8
	v_mov_b32_e32 v133, v0
	s_mov_b32 s3, 0
.LBB125_1107:                           ; =>This Inner Loop Header: Depth=1
	scratch_load_b64 v[134:135], v132, off
	ds_load_b64 v[136:137], v131
	s_wait_xcnt 0x0
	v_dual_add_nc_u32 v131, 8, v131 :: v_dual_add_nc_u32 v132, 8, v132
	s_wait_loadcnt_dscnt 0x0
	v_pk_mul_f32 v[138:139], v[136:137], v[134:135] op_sel:[1,1] op_sel_hi:[0,1]
	s_delay_alu instid0(VALU_DEP_1) | instskip(SKIP_2) | instid1(VALU_DEP_3)
	v_pk_fma_f32 v[140:141], v[136:137], v[134:135], v[138:139] op_sel_hi:[1,0,1]
	v_add_nc_u32_e32 v133, 1, v133
	v_pk_fma_f32 v[134:135], v[136:137], v[134:135], v[138:139] neg_lo:[0,0,1] neg_hi:[0,0,1]
	v_mov_b32_e32 v135, v141
	s_delay_alu instid0(VALU_DEP_3) | instskip(NEXT) | instid1(VALU_DEP_2)
	v_cmp_lt_u32_e32 vcc_lo, 48, v133
	v_pk_add_f32 v[128:129], v[128:129], v[134:135]
	s_or_b32 s3, vcc_lo, s3
	s_delay_alu instid0(SALU_CYCLE_1)
	s_and_not1_b32 exec_lo, exec_lo, s3
	s_cbranch_execnz .LBB125_1107
; %bb.1108:
	s_or_b32 exec_lo, exec_lo, s3
.LBB125_1109:
	s_delay_alu instid0(SALU_CYCLE_1) | instskip(SKIP_4) | instid1(VALU_DEP_1)
	s_or_b32 exec_lo, exec_lo, s2
	v_mov_b32_e32 v131, 0
	ds_load_b64 v[132:133], v131 offset:400
	s_wait_dscnt 0x0
	v_pk_mul_f32 v[134:135], v[128:129], v[132:133] op_sel:[1,1] op_sel_hi:[0,1]
	v_pk_fma_f32 v[136:137], v[128:129], v[132:133], v[134:135] op_sel_hi:[1,0,1]
	v_pk_fma_f32 v[128:129], v[128:129], v[132:133], v[134:135] neg_lo:[0,0,1] neg_hi:[0,0,1]
	s_delay_alu instid0(VALU_DEP_2)
	v_mov_b32_e32 v129, v137
	scratch_store_b64 off, v[128:129], off offset:400
.LBB125_1110:
	s_wait_xcnt 0x0
	s_or_b32 exec_lo, exec_lo, s0
	scratch_load_b64 v[128:129], off, off offset:408
	s_mov_b32 s0, exec_lo
	s_wait_loadcnt 0x0
	ds_store_b64 v1, v[128:129]
	s_wait_storecnt_dscnt 0x0
	s_barrier_signal -1
	s_barrier_wait -1
	s_wait_xcnt 0x0
	v_cmpx_gt_u32_e32 51, v0
	s_cbranch_execz .LBB125_1120
; %bb.1111:
	v_cmp_ne_u32_e32 vcc_lo, 1, v130
	s_cbranch_vccnz .LBB125_1113
; %bb.1112:
	scratch_load_b64 v[128:129], v59, off
	ds_load_b64 v[132:133], v1
	s_wait_loadcnt_dscnt 0x0
	v_pk_mul_f32 v[134:135], v[132:133], v[128:129] op_sel:[1,1] op_sel_hi:[0,1]
	s_delay_alu instid0(VALU_DEP_1) | instskip(SKIP_1) | instid1(VALU_DEP_2)
	v_pk_fma_f32 v[136:137], v[132:133], v[128:129], v[134:135] op_sel_hi:[1,0,1]
	v_pk_fma_f32 v[128:129], v[132:133], v[128:129], v[134:135] neg_lo:[0,0,1] neg_hi:[0,0,1]
	v_mov_b32_e32 v129, v137
	s_cbranch_execz .LBB125_1114
	s_branch .LBB125_1115
.LBB125_1113:
                                        ; implicit-def: $vgpr128_vgpr129
.LBB125_1114:
	ds_load_b64 v[128:129], v1
.LBB125_1115:
	s_mov_b32 s2, exec_lo
	v_cmpx_ne_u32_e32 50, v0
	s_cbranch_execz .LBB125_1119
; %bb.1116:
	v_add_nc_u32_e32 v131, 0x1f8, v58
	v_add3_u32 v132, 0, v58, 8
	v_mov_b32_e32 v133, v0
	s_mov_b32 s3, 0
.LBB125_1117:                           ; =>This Inner Loop Header: Depth=1
	scratch_load_b64 v[134:135], v132, off
	ds_load_b64 v[136:137], v131
	s_wait_xcnt 0x0
	v_dual_add_nc_u32 v131, 8, v131 :: v_dual_add_nc_u32 v132, 8, v132
	s_wait_loadcnt_dscnt 0x0
	v_pk_mul_f32 v[138:139], v[136:137], v[134:135] op_sel:[1,1] op_sel_hi:[0,1]
	s_delay_alu instid0(VALU_DEP_1) | instskip(SKIP_2) | instid1(VALU_DEP_3)
	v_pk_fma_f32 v[140:141], v[136:137], v[134:135], v[138:139] op_sel_hi:[1,0,1]
	v_add_nc_u32_e32 v133, 1, v133
	v_pk_fma_f32 v[134:135], v[136:137], v[134:135], v[138:139] neg_lo:[0,0,1] neg_hi:[0,0,1]
	v_mov_b32_e32 v135, v141
	s_delay_alu instid0(VALU_DEP_3) | instskip(NEXT) | instid1(VALU_DEP_2)
	v_cmp_lt_u32_e32 vcc_lo, 49, v133
	v_pk_add_f32 v[128:129], v[128:129], v[134:135]
	s_or_b32 s3, vcc_lo, s3
	s_delay_alu instid0(SALU_CYCLE_1)
	s_and_not1_b32 exec_lo, exec_lo, s3
	s_cbranch_execnz .LBB125_1117
; %bb.1118:
	s_or_b32 exec_lo, exec_lo, s3
.LBB125_1119:
	s_delay_alu instid0(SALU_CYCLE_1) | instskip(SKIP_4) | instid1(VALU_DEP_1)
	s_or_b32 exec_lo, exec_lo, s2
	v_mov_b32_e32 v131, 0
	ds_load_b64 v[132:133], v131 offset:408
	s_wait_dscnt 0x0
	v_pk_mul_f32 v[134:135], v[128:129], v[132:133] op_sel:[1,1] op_sel_hi:[0,1]
	v_pk_fma_f32 v[136:137], v[128:129], v[132:133], v[134:135] op_sel_hi:[1,0,1]
	v_pk_fma_f32 v[128:129], v[128:129], v[132:133], v[134:135] neg_lo:[0,0,1] neg_hi:[0,0,1]
	s_delay_alu instid0(VALU_DEP_2)
	v_mov_b32_e32 v129, v137
	scratch_store_b64 off, v[128:129], off offset:408
.LBB125_1120:
	s_wait_xcnt 0x0
	s_or_b32 exec_lo, exec_lo, s0
	scratch_load_b64 v[128:129], off, off offset:416
	s_mov_b32 s0, exec_lo
	s_wait_loadcnt 0x0
	ds_store_b64 v1, v[128:129]
	s_wait_storecnt_dscnt 0x0
	s_barrier_signal -1
	s_barrier_wait -1
	s_wait_xcnt 0x0
	v_cmpx_gt_u32_e32 52, v0
	s_cbranch_execz .LBB125_1130
; %bb.1121:
	v_cmp_ne_u32_e32 vcc_lo, 1, v130
	s_cbranch_vccnz .LBB125_1123
; %bb.1122:
	scratch_load_b64 v[128:129], v59, off
	ds_load_b64 v[132:133], v1
	s_wait_loadcnt_dscnt 0x0
	v_pk_mul_f32 v[134:135], v[132:133], v[128:129] op_sel:[1,1] op_sel_hi:[0,1]
	s_delay_alu instid0(VALU_DEP_1) | instskip(SKIP_1) | instid1(VALU_DEP_2)
	v_pk_fma_f32 v[136:137], v[132:133], v[128:129], v[134:135] op_sel_hi:[1,0,1]
	v_pk_fma_f32 v[128:129], v[132:133], v[128:129], v[134:135] neg_lo:[0,0,1] neg_hi:[0,0,1]
	v_mov_b32_e32 v129, v137
	s_cbranch_execz .LBB125_1124
	s_branch .LBB125_1125
.LBB125_1123:
                                        ; implicit-def: $vgpr128_vgpr129
.LBB125_1124:
	ds_load_b64 v[128:129], v1
.LBB125_1125:
	s_mov_b32 s2, exec_lo
	v_cmpx_ne_u32_e32 51, v0
	s_cbranch_execz .LBB125_1129
; %bb.1126:
	v_add_nc_u32_e32 v131, 0x1f8, v58
	v_add3_u32 v132, 0, v58, 8
	v_mov_b32_e32 v133, v0
	s_mov_b32 s3, 0
.LBB125_1127:                           ; =>This Inner Loop Header: Depth=1
	scratch_load_b64 v[134:135], v132, off
	ds_load_b64 v[136:137], v131
	s_wait_xcnt 0x0
	v_dual_add_nc_u32 v131, 8, v131 :: v_dual_add_nc_u32 v132, 8, v132
	s_wait_loadcnt_dscnt 0x0
	v_pk_mul_f32 v[138:139], v[136:137], v[134:135] op_sel:[1,1] op_sel_hi:[0,1]
	s_delay_alu instid0(VALU_DEP_1) | instskip(SKIP_2) | instid1(VALU_DEP_3)
	v_pk_fma_f32 v[140:141], v[136:137], v[134:135], v[138:139] op_sel_hi:[1,0,1]
	v_add_nc_u32_e32 v133, 1, v133
	v_pk_fma_f32 v[134:135], v[136:137], v[134:135], v[138:139] neg_lo:[0,0,1] neg_hi:[0,0,1]
	v_mov_b32_e32 v135, v141
	s_delay_alu instid0(VALU_DEP_3) | instskip(NEXT) | instid1(VALU_DEP_2)
	v_cmp_lt_u32_e32 vcc_lo, 50, v133
	v_pk_add_f32 v[128:129], v[128:129], v[134:135]
	s_or_b32 s3, vcc_lo, s3
	s_delay_alu instid0(SALU_CYCLE_1)
	s_and_not1_b32 exec_lo, exec_lo, s3
	s_cbranch_execnz .LBB125_1127
; %bb.1128:
	s_or_b32 exec_lo, exec_lo, s3
.LBB125_1129:
	s_delay_alu instid0(SALU_CYCLE_1) | instskip(SKIP_4) | instid1(VALU_DEP_1)
	s_or_b32 exec_lo, exec_lo, s2
	v_mov_b32_e32 v131, 0
	ds_load_b64 v[132:133], v131 offset:416
	s_wait_dscnt 0x0
	v_pk_mul_f32 v[134:135], v[128:129], v[132:133] op_sel:[1,1] op_sel_hi:[0,1]
	v_pk_fma_f32 v[136:137], v[128:129], v[132:133], v[134:135] op_sel_hi:[1,0,1]
	v_pk_fma_f32 v[128:129], v[128:129], v[132:133], v[134:135] neg_lo:[0,0,1] neg_hi:[0,0,1]
	s_delay_alu instid0(VALU_DEP_2)
	v_mov_b32_e32 v129, v137
	scratch_store_b64 off, v[128:129], off offset:416
.LBB125_1130:
	s_wait_xcnt 0x0
	s_or_b32 exec_lo, exec_lo, s0
	scratch_load_b64 v[128:129], off, off offset:424
	s_mov_b32 s0, exec_lo
	s_wait_loadcnt 0x0
	ds_store_b64 v1, v[128:129]
	s_wait_storecnt_dscnt 0x0
	s_barrier_signal -1
	s_barrier_wait -1
	s_wait_xcnt 0x0
	v_cmpx_gt_u32_e32 53, v0
	s_cbranch_execz .LBB125_1140
; %bb.1131:
	v_cmp_ne_u32_e32 vcc_lo, 1, v130
	s_cbranch_vccnz .LBB125_1133
; %bb.1132:
	scratch_load_b64 v[128:129], v59, off
	ds_load_b64 v[132:133], v1
	s_wait_loadcnt_dscnt 0x0
	v_pk_mul_f32 v[134:135], v[132:133], v[128:129] op_sel:[1,1] op_sel_hi:[0,1]
	s_delay_alu instid0(VALU_DEP_1) | instskip(SKIP_1) | instid1(VALU_DEP_2)
	v_pk_fma_f32 v[136:137], v[132:133], v[128:129], v[134:135] op_sel_hi:[1,0,1]
	v_pk_fma_f32 v[128:129], v[132:133], v[128:129], v[134:135] neg_lo:[0,0,1] neg_hi:[0,0,1]
	v_mov_b32_e32 v129, v137
	s_cbranch_execz .LBB125_1134
	s_branch .LBB125_1135
.LBB125_1133:
                                        ; implicit-def: $vgpr128_vgpr129
.LBB125_1134:
	ds_load_b64 v[128:129], v1
.LBB125_1135:
	s_mov_b32 s2, exec_lo
	v_cmpx_ne_u32_e32 52, v0
	s_cbranch_execz .LBB125_1139
; %bb.1136:
	v_add_nc_u32_e32 v131, 0x1f8, v58
	v_add3_u32 v132, 0, v58, 8
	v_mov_b32_e32 v133, v0
	s_mov_b32 s3, 0
.LBB125_1137:                           ; =>This Inner Loop Header: Depth=1
	scratch_load_b64 v[134:135], v132, off
	ds_load_b64 v[136:137], v131
	s_wait_xcnt 0x0
	v_dual_add_nc_u32 v131, 8, v131 :: v_dual_add_nc_u32 v132, 8, v132
	s_wait_loadcnt_dscnt 0x0
	v_pk_mul_f32 v[138:139], v[136:137], v[134:135] op_sel:[1,1] op_sel_hi:[0,1]
	s_delay_alu instid0(VALU_DEP_1) | instskip(SKIP_2) | instid1(VALU_DEP_3)
	v_pk_fma_f32 v[140:141], v[136:137], v[134:135], v[138:139] op_sel_hi:[1,0,1]
	v_add_nc_u32_e32 v133, 1, v133
	v_pk_fma_f32 v[134:135], v[136:137], v[134:135], v[138:139] neg_lo:[0,0,1] neg_hi:[0,0,1]
	v_mov_b32_e32 v135, v141
	s_delay_alu instid0(VALU_DEP_3) | instskip(NEXT) | instid1(VALU_DEP_2)
	v_cmp_lt_u32_e32 vcc_lo, 51, v133
	v_pk_add_f32 v[128:129], v[128:129], v[134:135]
	s_or_b32 s3, vcc_lo, s3
	s_delay_alu instid0(SALU_CYCLE_1)
	s_and_not1_b32 exec_lo, exec_lo, s3
	s_cbranch_execnz .LBB125_1137
; %bb.1138:
	s_or_b32 exec_lo, exec_lo, s3
.LBB125_1139:
	s_delay_alu instid0(SALU_CYCLE_1) | instskip(SKIP_4) | instid1(VALU_DEP_1)
	s_or_b32 exec_lo, exec_lo, s2
	v_mov_b32_e32 v131, 0
	ds_load_b64 v[132:133], v131 offset:424
	s_wait_dscnt 0x0
	v_pk_mul_f32 v[134:135], v[128:129], v[132:133] op_sel:[1,1] op_sel_hi:[0,1]
	v_pk_fma_f32 v[136:137], v[128:129], v[132:133], v[134:135] op_sel_hi:[1,0,1]
	v_pk_fma_f32 v[128:129], v[128:129], v[132:133], v[134:135] neg_lo:[0,0,1] neg_hi:[0,0,1]
	s_delay_alu instid0(VALU_DEP_2)
	v_mov_b32_e32 v129, v137
	scratch_store_b64 off, v[128:129], off offset:424
.LBB125_1140:
	s_wait_xcnt 0x0
	s_or_b32 exec_lo, exec_lo, s0
	scratch_load_b64 v[128:129], off, off offset:432
	s_mov_b32 s0, exec_lo
	s_wait_loadcnt 0x0
	ds_store_b64 v1, v[128:129]
	s_wait_storecnt_dscnt 0x0
	s_barrier_signal -1
	s_barrier_wait -1
	s_wait_xcnt 0x0
	v_cmpx_gt_u32_e32 54, v0
	s_cbranch_execz .LBB125_1150
; %bb.1141:
	v_cmp_ne_u32_e32 vcc_lo, 1, v130
	s_cbranch_vccnz .LBB125_1143
; %bb.1142:
	scratch_load_b64 v[128:129], v59, off
	ds_load_b64 v[132:133], v1
	s_wait_loadcnt_dscnt 0x0
	v_pk_mul_f32 v[134:135], v[132:133], v[128:129] op_sel:[1,1] op_sel_hi:[0,1]
	s_delay_alu instid0(VALU_DEP_1) | instskip(SKIP_1) | instid1(VALU_DEP_2)
	v_pk_fma_f32 v[136:137], v[132:133], v[128:129], v[134:135] op_sel_hi:[1,0,1]
	v_pk_fma_f32 v[128:129], v[132:133], v[128:129], v[134:135] neg_lo:[0,0,1] neg_hi:[0,0,1]
	v_mov_b32_e32 v129, v137
	s_cbranch_execz .LBB125_1144
	s_branch .LBB125_1145
.LBB125_1143:
                                        ; implicit-def: $vgpr128_vgpr129
.LBB125_1144:
	ds_load_b64 v[128:129], v1
.LBB125_1145:
	s_mov_b32 s2, exec_lo
	v_cmpx_ne_u32_e32 53, v0
	s_cbranch_execz .LBB125_1149
; %bb.1146:
	v_add_nc_u32_e32 v131, 0x1f8, v58
	v_add3_u32 v132, 0, v58, 8
	v_mov_b32_e32 v133, v0
	s_mov_b32 s3, 0
.LBB125_1147:                           ; =>This Inner Loop Header: Depth=1
	scratch_load_b64 v[134:135], v132, off
	ds_load_b64 v[136:137], v131
	s_wait_xcnt 0x0
	v_dual_add_nc_u32 v131, 8, v131 :: v_dual_add_nc_u32 v132, 8, v132
	s_wait_loadcnt_dscnt 0x0
	v_pk_mul_f32 v[138:139], v[136:137], v[134:135] op_sel:[1,1] op_sel_hi:[0,1]
	s_delay_alu instid0(VALU_DEP_1) | instskip(SKIP_2) | instid1(VALU_DEP_3)
	v_pk_fma_f32 v[140:141], v[136:137], v[134:135], v[138:139] op_sel_hi:[1,0,1]
	v_add_nc_u32_e32 v133, 1, v133
	v_pk_fma_f32 v[134:135], v[136:137], v[134:135], v[138:139] neg_lo:[0,0,1] neg_hi:[0,0,1]
	v_mov_b32_e32 v135, v141
	s_delay_alu instid0(VALU_DEP_3) | instskip(NEXT) | instid1(VALU_DEP_2)
	v_cmp_lt_u32_e32 vcc_lo, 52, v133
	v_pk_add_f32 v[128:129], v[128:129], v[134:135]
	s_or_b32 s3, vcc_lo, s3
	s_delay_alu instid0(SALU_CYCLE_1)
	s_and_not1_b32 exec_lo, exec_lo, s3
	s_cbranch_execnz .LBB125_1147
; %bb.1148:
	s_or_b32 exec_lo, exec_lo, s3
.LBB125_1149:
	s_delay_alu instid0(SALU_CYCLE_1) | instskip(SKIP_4) | instid1(VALU_DEP_1)
	s_or_b32 exec_lo, exec_lo, s2
	v_mov_b32_e32 v131, 0
	ds_load_b64 v[132:133], v131 offset:432
	s_wait_dscnt 0x0
	v_pk_mul_f32 v[134:135], v[128:129], v[132:133] op_sel:[1,1] op_sel_hi:[0,1]
	v_pk_fma_f32 v[136:137], v[128:129], v[132:133], v[134:135] op_sel_hi:[1,0,1]
	v_pk_fma_f32 v[128:129], v[128:129], v[132:133], v[134:135] neg_lo:[0,0,1] neg_hi:[0,0,1]
	s_delay_alu instid0(VALU_DEP_2)
	v_mov_b32_e32 v129, v137
	scratch_store_b64 off, v[128:129], off offset:432
.LBB125_1150:
	s_wait_xcnt 0x0
	s_or_b32 exec_lo, exec_lo, s0
	scratch_load_b64 v[128:129], off, off offset:440
	s_mov_b32 s0, exec_lo
	s_wait_loadcnt 0x0
	ds_store_b64 v1, v[128:129]
	s_wait_storecnt_dscnt 0x0
	s_barrier_signal -1
	s_barrier_wait -1
	s_wait_xcnt 0x0
	v_cmpx_gt_u32_e32 55, v0
	s_cbranch_execz .LBB125_1160
; %bb.1151:
	v_cmp_ne_u32_e32 vcc_lo, 1, v130
	s_cbranch_vccnz .LBB125_1153
; %bb.1152:
	scratch_load_b64 v[128:129], v59, off
	ds_load_b64 v[132:133], v1
	s_wait_loadcnt_dscnt 0x0
	v_pk_mul_f32 v[134:135], v[132:133], v[128:129] op_sel:[1,1] op_sel_hi:[0,1]
	s_delay_alu instid0(VALU_DEP_1) | instskip(SKIP_1) | instid1(VALU_DEP_2)
	v_pk_fma_f32 v[136:137], v[132:133], v[128:129], v[134:135] op_sel_hi:[1,0,1]
	v_pk_fma_f32 v[128:129], v[132:133], v[128:129], v[134:135] neg_lo:[0,0,1] neg_hi:[0,0,1]
	v_mov_b32_e32 v129, v137
	s_cbranch_execz .LBB125_1154
	s_branch .LBB125_1155
.LBB125_1153:
                                        ; implicit-def: $vgpr128_vgpr129
.LBB125_1154:
	ds_load_b64 v[128:129], v1
.LBB125_1155:
	s_mov_b32 s2, exec_lo
	v_cmpx_ne_u32_e32 54, v0
	s_cbranch_execz .LBB125_1159
; %bb.1156:
	v_add_nc_u32_e32 v131, 0x1f8, v58
	v_add3_u32 v132, 0, v58, 8
	v_mov_b32_e32 v133, v0
	s_mov_b32 s3, 0
.LBB125_1157:                           ; =>This Inner Loop Header: Depth=1
	scratch_load_b64 v[134:135], v132, off
	ds_load_b64 v[136:137], v131
	s_wait_xcnt 0x0
	v_dual_add_nc_u32 v131, 8, v131 :: v_dual_add_nc_u32 v132, 8, v132
	s_wait_loadcnt_dscnt 0x0
	v_pk_mul_f32 v[138:139], v[136:137], v[134:135] op_sel:[1,1] op_sel_hi:[0,1]
	s_delay_alu instid0(VALU_DEP_1) | instskip(SKIP_2) | instid1(VALU_DEP_3)
	v_pk_fma_f32 v[140:141], v[136:137], v[134:135], v[138:139] op_sel_hi:[1,0,1]
	v_add_nc_u32_e32 v133, 1, v133
	v_pk_fma_f32 v[134:135], v[136:137], v[134:135], v[138:139] neg_lo:[0,0,1] neg_hi:[0,0,1]
	v_mov_b32_e32 v135, v141
	s_delay_alu instid0(VALU_DEP_3) | instskip(NEXT) | instid1(VALU_DEP_2)
	v_cmp_lt_u32_e32 vcc_lo, 53, v133
	v_pk_add_f32 v[128:129], v[128:129], v[134:135]
	s_or_b32 s3, vcc_lo, s3
	s_delay_alu instid0(SALU_CYCLE_1)
	s_and_not1_b32 exec_lo, exec_lo, s3
	s_cbranch_execnz .LBB125_1157
; %bb.1158:
	s_or_b32 exec_lo, exec_lo, s3
.LBB125_1159:
	s_delay_alu instid0(SALU_CYCLE_1) | instskip(SKIP_4) | instid1(VALU_DEP_1)
	s_or_b32 exec_lo, exec_lo, s2
	v_mov_b32_e32 v131, 0
	ds_load_b64 v[132:133], v131 offset:440
	s_wait_dscnt 0x0
	v_pk_mul_f32 v[134:135], v[128:129], v[132:133] op_sel:[1,1] op_sel_hi:[0,1]
	v_pk_fma_f32 v[136:137], v[128:129], v[132:133], v[134:135] op_sel_hi:[1,0,1]
	v_pk_fma_f32 v[128:129], v[128:129], v[132:133], v[134:135] neg_lo:[0,0,1] neg_hi:[0,0,1]
	s_delay_alu instid0(VALU_DEP_2)
	v_mov_b32_e32 v129, v137
	scratch_store_b64 off, v[128:129], off offset:440
.LBB125_1160:
	s_wait_xcnt 0x0
	s_or_b32 exec_lo, exec_lo, s0
	scratch_load_b64 v[128:129], off, off offset:448
	s_mov_b32 s0, exec_lo
	s_wait_loadcnt 0x0
	ds_store_b64 v1, v[128:129]
	s_wait_storecnt_dscnt 0x0
	s_barrier_signal -1
	s_barrier_wait -1
	s_wait_xcnt 0x0
	v_cmpx_gt_u32_e32 56, v0
	s_cbranch_execz .LBB125_1170
; %bb.1161:
	v_cmp_ne_u32_e32 vcc_lo, 1, v130
	s_cbranch_vccnz .LBB125_1163
; %bb.1162:
	scratch_load_b64 v[128:129], v59, off
	ds_load_b64 v[132:133], v1
	s_wait_loadcnt_dscnt 0x0
	v_pk_mul_f32 v[134:135], v[132:133], v[128:129] op_sel:[1,1] op_sel_hi:[0,1]
	s_delay_alu instid0(VALU_DEP_1) | instskip(SKIP_1) | instid1(VALU_DEP_2)
	v_pk_fma_f32 v[136:137], v[132:133], v[128:129], v[134:135] op_sel_hi:[1,0,1]
	v_pk_fma_f32 v[128:129], v[132:133], v[128:129], v[134:135] neg_lo:[0,0,1] neg_hi:[0,0,1]
	v_mov_b32_e32 v129, v137
	s_cbranch_execz .LBB125_1164
	s_branch .LBB125_1165
.LBB125_1163:
                                        ; implicit-def: $vgpr128_vgpr129
.LBB125_1164:
	ds_load_b64 v[128:129], v1
.LBB125_1165:
	s_mov_b32 s2, exec_lo
	v_cmpx_ne_u32_e32 55, v0
	s_cbranch_execz .LBB125_1169
; %bb.1166:
	v_add_nc_u32_e32 v131, 0x1f8, v58
	v_add3_u32 v132, 0, v58, 8
	v_mov_b32_e32 v133, v0
	s_mov_b32 s3, 0
.LBB125_1167:                           ; =>This Inner Loop Header: Depth=1
	scratch_load_b64 v[134:135], v132, off
	ds_load_b64 v[136:137], v131
	s_wait_xcnt 0x0
	v_dual_add_nc_u32 v131, 8, v131 :: v_dual_add_nc_u32 v132, 8, v132
	s_wait_loadcnt_dscnt 0x0
	v_pk_mul_f32 v[138:139], v[136:137], v[134:135] op_sel:[1,1] op_sel_hi:[0,1]
	s_delay_alu instid0(VALU_DEP_1) | instskip(SKIP_2) | instid1(VALU_DEP_3)
	v_pk_fma_f32 v[140:141], v[136:137], v[134:135], v[138:139] op_sel_hi:[1,0,1]
	v_add_nc_u32_e32 v133, 1, v133
	v_pk_fma_f32 v[134:135], v[136:137], v[134:135], v[138:139] neg_lo:[0,0,1] neg_hi:[0,0,1]
	v_mov_b32_e32 v135, v141
	s_delay_alu instid0(VALU_DEP_3) | instskip(NEXT) | instid1(VALU_DEP_2)
	v_cmp_lt_u32_e32 vcc_lo, 54, v133
	v_pk_add_f32 v[128:129], v[128:129], v[134:135]
	s_or_b32 s3, vcc_lo, s3
	s_delay_alu instid0(SALU_CYCLE_1)
	s_and_not1_b32 exec_lo, exec_lo, s3
	s_cbranch_execnz .LBB125_1167
; %bb.1168:
	s_or_b32 exec_lo, exec_lo, s3
.LBB125_1169:
	s_delay_alu instid0(SALU_CYCLE_1) | instskip(SKIP_4) | instid1(VALU_DEP_1)
	s_or_b32 exec_lo, exec_lo, s2
	v_mov_b32_e32 v131, 0
	ds_load_b64 v[132:133], v131 offset:448
	s_wait_dscnt 0x0
	v_pk_mul_f32 v[134:135], v[128:129], v[132:133] op_sel:[1,1] op_sel_hi:[0,1]
	v_pk_fma_f32 v[136:137], v[128:129], v[132:133], v[134:135] op_sel_hi:[1,0,1]
	v_pk_fma_f32 v[128:129], v[128:129], v[132:133], v[134:135] neg_lo:[0,0,1] neg_hi:[0,0,1]
	s_delay_alu instid0(VALU_DEP_2)
	v_mov_b32_e32 v129, v137
	scratch_store_b64 off, v[128:129], off offset:448
.LBB125_1170:
	s_wait_xcnt 0x0
	s_or_b32 exec_lo, exec_lo, s0
	scratch_load_b64 v[128:129], off, off offset:456
	s_mov_b32 s0, exec_lo
	s_wait_loadcnt 0x0
	ds_store_b64 v1, v[128:129]
	s_wait_storecnt_dscnt 0x0
	s_barrier_signal -1
	s_barrier_wait -1
	s_wait_xcnt 0x0
	v_cmpx_gt_u32_e32 57, v0
	s_cbranch_execz .LBB125_1180
; %bb.1171:
	v_cmp_ne_u32_e32 vcc_lo, 1, v130
	s_cbranch_vccnz .LBB125_1173
; %bb.1172:
	scratch_load_b64 v[128:129], v59, off
	ds_load_b64 v[132:133], v1
	s_wait_loadcnt_dscnt 0x0
	v_pk_mul_f32 v[134:135], v[132:133], v[128:129] op_sel:[1,1] op_sel_hi:[0,1]
	s_delay_alu instid0(VALU_DEP_1) | instskip(SKIP_1) | instid1(VALU_DEP_2)
	v_pk_fma_f32 v[136:137], v[132:133], v[128:129], v[134:135] op_sel_hi:[1,0,1]
	v_pk_fma_f32 v[128:129], v[132:133], v[128:129], v[134:135] neg_lo:[0,0,1] neg_hi:[0,0,1]
	v_mov_b32_e32 v129, v137
	s_cbranch_execz .LBB125_1174
	s_branch .LBB125_1175
.LBB125_1173:
                                        ; implicit-def: $vgpr128_vgpr129
.LBB125_1174:
	ds_load_b64 v[128:129], v1
.LBB125_1175:
	s_mov_b32 s2, exec_lo
	v_cmpx_ne_u32_e32 56, v0
	s_cbranch_execz .LBB125_1179
; %bb.1176:
	v_add_nc_u32_e32 v131, 0x1f8, v58
	v_add3_u32 v132, 0, v58, 8
	v_mov_b32_e32 v133, v0
	s_mov_b32 s3, 0
.LBB125_1177:                           ; =>This Inner Loop Header: Depth=1
	scratch_load_b64 v[134:135], v132, off
	ds_load_b64 v[136:137], v131
	s_wait_xcnt 0x0
	v_dual_add_nc_u32 v131, 8, v131 :: v_dual_add_nc_u32 v132, 8, v132
	s_wait_loadcnt_dscnt 0x0
	v_pk_mul_f32 v[138:139], v[136:137], v[134:135] op_sel:[1,1] op_sel_hi:[0,1]
	s_delay_alu instid0(VALU_DEP_1) | instskip(SKIP_2) | instid1(VALU_DEP_3)
	v_pk_fma_f32 v[140:141], v[136:137], v[134:135], v[138:139] op_sel_hi:[1,0,1]
	v_add_nc_u32_e32 v133, 1, v133
	v_pk_fma_f32 v[134:135], v[136:137], v[134:135], v[138:139] neg_lo:[0,0,1] neg_hi:[0,0,1]
	v_mov_b32_e32 v135, v141
	s_delay_alu instid0(VALU_DEP_3) | instskip(NEXT) | instid1(VALU_DEP_2)
	v_cmp_lt_u32_e32 vcc_lo, 55, v133
	v_pk_add_f32 v[128:129], v[128:129], v[134:135]
	s_or_b32 s3, vcc_lo, s3
	s_delay_alu instid0(SALU_CYCLE_1)
	s_and_not1_b32 exec_lo, exec_lo, s3
	s_cbranch_execnz .LBB125_1177
; %bb.1178:
	s_or_b32 exec_lo, exec_lo, s3
.LBB125_1179:
	s_delay_alu instid0(SALU_CYCLE_1) | instskip(SKIP_4) | instid1(VALU_DEP_1)
	s_or_b32 exec_lo, exec_lo, s2
	v_mov_b32_e32 v131, 0
	ds_load_b64 v[132:133], v131 offset:456
	s_wait_dscnt 0x0
	v_pk_mul_f32 v[134:135], v[128:129], v[132:133] op_sel:[1,1] op_sel_hi:[0,1]
	v_pk_fma_f32 v[136:137], v[128:129], v[132:133], v[134:135] op_sel_hi:[1,0,1]
	v_pk_fma_f32 v[128:129], v[128:129], v[132:133], v[134:135] neg_lo:[0,0,1] neg_hi:[0,0,1]
	s_delay_alu instid0(VALU_DEP_2)
	v_mov_b32_e32 v129, v137
	scratch_store_b64 off, v[128:129], off offset:456
.LBB125_1180:
	s_wait_xcnt 0x0
	s_or_b32 exec_lo, exec_lo, s0
	scratch_load_b64 v[128:129], off, off offset:464
	s_mov_b32 s0, exec_lo
	s_wait_loadcnt 0x0
	ds_store_b64 v1, v[128:129]
	s_wait_storecnt_dscnt 0x0
	s_barrier_signal -1
	s_barrier_wait -1
	s_wait_xcnt 0x0
	v_cmpx_gt_u32_e32 58, v0
	s_cbranch_execz .LBB125_1190
; %bb.1181:
	v_cmp_ne_u32_e32 vcc_lo, 1, v130
	s_cbranch_vccnz .LBB125_1183
; %bb.1182:
	scratch_load_b64 v[128:129], v59, off
	ds_load_b64 v[132:133], v1
	s_wait_loadcnt_dscnt 0x0
	v_pk_mul_f32 v[134:135], v[132:133], v[128:129] op_sel:[1,1] op_sel_hi:[0,1]
	s_delay_alu instid0(VALU_DEP_1) | instskip(SKIP_1) | instid1(VALU_DEP_2)
	v_pk_fma_f32 v[136:137], v[132:133], v[128:129], v[134:135] op_sel_hi:[1,0,1]
	v_pk_fma_f32 v[128:129], v[132:133], v[128:129], v[134:135] neg_lo:[0,0,1] neg_hi:[0,0,1]
	v_mov_b32_e32 v129, v137
	s_cbranch_execz .LBB125_1184
	s_branch .LBB125_1185
.LBB125_1183:
                                        ; implicit-def: $vgpr128_vgpr129
.LBB125_1184:
	ds_load_b64 v[128:129], v1
.LBB125_1185:
	s_mov_b32 s2, exec_lo
	v_cmpx_ne_u32_e32 57, v0
	s_cbranch_execz .LBB125_1189
; %bb.1186:
	v_add_nc_u32_e32 v131, 0x1f8, v58
	v_add3_u32 v132, 0, v58, 8
	v_mov_b32_e32 v133, v0
	s_mov_b32 s3, 0
.LBB125_1187:                           ; =>This Inner Loop Header: Depth=1
	scratch_load_b64 v[134:135], v132, off
	ds_load_b64 v[136:137], v131
	s_wait_xcnt 0x0
	v_dual_add_nc_u32 v131, 8, v131 :: v_dual_add_nc_u32 v132, 8, v132
	s_wait_loadcnt_dscnt 0x0
	v_pk_mul_f32 v[138:139], v[136:137], v[134:135] op_sel:[1,1] op_sel_hi:[0,1]
	s_delay_alu instid0(VALU_DEP_1) | instskip(SKIP_2) | instid1(VALU_DEP_3)
	v_pk_fma_f32 v[140:141], v[136:137], v[134:135], v[138:139] op_sel_hi:[1,0,1]
	v_add_nc_u32_e32 v133, 1, v133
	v_pk_fma_f32 v[134:135], v[136:137], v[134:135], v[138:139] neg_lo:[0,0,1] neg_hi:[0,0,1]
	v_mov_b32_e32 v135, v141
	s_delay_alu instid0(VALU_DEP_3) | instskip(NEXT) | instid1(VALU_DEP_2)
	v_cmp_lt_u32_e32 vcc_lo, 56, v133
	v_pk_add_f32 v[128:129], v[128:129], v[134:135]
	s_or_b32 s3, vcc_lo, s3
	s_delay_alu instid0(SALU_CYCLE_1)
	s_and_not1_b32 exec_lo, exec_lo, s3
	s_cbranch_execnz .LBB125_1187
; %bb.1188:
	s_or_b32 exec_lo, exec_lo, s3
.LBB125_1189:
	s_delay_alu instid0(SALU_CYCLE_1) | instskip(SKIP_4) | instid1(VALU_DEP_1)
	s_or_b32 exec_lo, exec_lo, s2
	v_mov_b32_e32 v131, 0
	ds_load_b64 v[132:133], v131 offset:464
	s_wait_dscnt 0x0
	v_pk_mul_f32 v[134:135], v[128:129], v[132:133] op_sel:[1,1] op_sel_hi:[0,1]
	v_pk_fma_f32 v[136:137], v[128:129], v[132:133], v[134:135] op_sel_hi:[1,0,1]
	v_pk_fma_f32 v[128:129], v[128:129], v[132:133], v[134:135] neg_lo:[0,0,1] neg_hi:[0,0,1]
	s_delay_alu instid0(VALU_DEP_2)
	v_mov_b32_e32 v129, v137
	scratch_store_b64 off, v[128:129], off offset:464
.LBB125_1190:
	s_wait_xcnt 0x0
	s_or_b32 exec_lo, exec_lo, s0
	scratch_load_b64 v[128:129], off, off offset:472
	s_mov_b32 s0, exec_lo
	s_wait_loadcnt 0x0
	ds_store_b64 v1, v[128:129]
	s_wait_storecnt_dscnt 0x0
	s_barrier_signal -1
	s_barrier_wait -1
	s_wait_xcnt 0x0
	v_cmpx_gt_u32_e32 59, v0
	s_cbranch_execz .LBB125_1200
; %bb.1191:
	v_cmp_ne_u32_e32 vcc_lo, 1, v130
	s_cbranch_vccnz .LBB125_1193
; %bb.1192:
	scratch_load_b64 v[128:129], v59, off
	ds_load_b64 v[132:133], v1
	s_wait_loadcnt_dscnt 0x0
	v_pk_mul_f32 v[134:135], v[132:133], v[128:129] op_sel:[1,1] op_sel_hi:[0,1]
	s_delay_alu instid0(VALU_DEP_1) | instskip(SKIP_1) | instid1(VALU_DEP_2)
	v_pk_fma_f32 v[136:137], v[132:133], v[128:129], v[134:135] op_sel_hi:[1,0,1]
	v_pk_fma_f32 v[128:129], v[132:133], v[128:129], v[134:135] neg_lo:[0,0,1] neg_hi:[0,0,1]
	v_mov_b32_e32 v129, v137
	s_cbranch_execz .LBB125_1194
	s_branch .LBB125_1195
.LBB125_1193:
                                        ; implicit-def: $vgpr128_vgpr129
.LBB125_1194:
	ds_load_b64 v[128:129], v1
.LBB125_1195:
	s_mov_b32 s2, exec_lo
	v_cmpx_ne_u32_e32 58, v0
	s_cbranch_execz .LBB125_1199
; %bb.1196:
	v_add_nc_u32_e32 v131, 0x1f8, v58
	v_add3_u32 v132, 0, v58, 8
	v_mov_b32_e32 v133, v0
	s_mov_b32 s3, 0
.LBB125_1197:                           ; =>This Inner Loop Header: Depth=1
	scratch_load_b64 v[134:135], v132, off
	ds_load_b64 v[136:137], v131
	s_wait_xcnt 0x0
	v_dual_add_nc_u32 v131, 8, v131 :: v_dual_add_nc_u32 v132, 8, v132
	s_wait_loadcnt_dscnt 0x0
	v_pk_mul_f32 v[138:139], v[136:137], v[134:135] op_sel:[1,1] op_sel_hi:[0,1]
	s_delay_alu instid0(VALU_DEP_1) | instskip(SKIP_2) | instid1(VALU_DEP_3)
	v_pk_fma_f32 v[140:141], v[136:137], v[134:135], v[138:139] op_sel_hi:[1,0,1]
	v_add_nc_u32_e32 v133, 1, v133
	v_pk_fma_f32 v[134:135], v[136:137], v[134:135], v[138:139] neg_lo:[0,0,1] neg_hi:[0,0,1]
	v_mov_b32_e32 v135, v141
	s_delay_alu instid0(VALU_DEP_3) | instskip(NEXT) | instid1(VALU_DEP_2)
	v_cmp_lt_u32_e32 vcc_lo, 57, v133
	v_pk_add_f32 v[128:129], v[128:129], v[134:135]
	s_or_b32 s3, vcc_lo, s3
	s_delay_alu instid0(SALU_CYCLE_1)
	s_and_not1_b32 exec_lo, exec_lo, s3
	s_cbranch_execnz .LBB125_1197
; %bb.1198:
	s_or_b32 exec_lo, exec_lo, s3
.LBB125_1199:
	s_delay_alu instid0(SALU_CYCLE_1) | instskip(SKIP_4) | instid1(VALU_DEP_1)
	s_or_b32 exec_lo, exec_lo, s2
	v_mov_b32_e32 v131, 0
	ds_load_b64 v[132:133], v131 offset:472
	s_wait_dscnt 0x0
	v_pk_mul_f32 v[134:135], v[128:129], v[132:133] op_sel:[1,1] op_sel_hi:[0,1]
	v_pk_fma_f32 v[136:137], v[128:129], v[132:133], v[134:135] op_sel_hi:[1,0,1]
	v_pk_fma_f32 v[128:129], v[128:129], v[132:133], v[134:135] neg_lo:[0,0,1] neg_hi:[0,0,1]
	s_delay_alu instid0(VALU_DEP_2)
	v_mov_b32_e32 v129, v137
	scratch_store_b64 off, v[128:129], off offset:472
.LBB125_1200:
	s_wait_xcnt 0x0
	s_or_b32 exec_lo, exec_lo, s0
	scratch_load_b64 v[128:129], off, off offset:480
	v_cmp_gt_u32_e64 s0, 60, v0
	s_wait_loadcnt 0x0
	ds_store_b64 v1, v[128:129]
	s_wait_storecnt_dscnt 0x0
	s_barrier_signal -1
	s_barrier_wait -1
	s_wait_xcnt 0x0
	s_and_saveexec_b32 s2, s0
	s_cbranch_execz .LBB125_1210
; %bb.1201:
	v_cmp_ne_u32_e32 vcc_lo, 1, v130
	s_cbranch_vccnz .LBB125_1203
; %bb.1202:
	scratch_load_b64 v[128:129], v59, off
	ds_load_b64 v[132:133], v1
	s_wait_loadcnt_dscnt 0x0
	v_pk_mul_f32 v[134:135], v[132:133], v[128:129] op_sel:[1,1] op_sel_hi:[0,1]
	s_delay_alu instid0(VALU_DEP_1) | instskip(SKIP_1) | instid1(VALU_DEP_2)
	v_pk_fma_f32 v[136:137], v[132:133], v[128:129], v[134:135] op_sel_hi:[1,0,1]
	v_pk_fma_f32 v[128:129], v[132:133], v[128:129], v[134:135] neg_lo:[0,0,1] neg_hi:[0,0,1]
	v_mov_b32_e32 v129, v137
	s_cbranch_execz .LBB125_1204
	s_branch .LBB125_1205
.LBB125_1203:
                                        ; implicit-def: $vgpr128_vgpr129
.LBB125_1204:
	ds_load_b64 v[128:129], v1
.LBB125_1205:
	s_mov_b32 s3, exec_lo
	v_cmpx_ne_u32_e32 59, v0
	s_cbranch_execz .LBB125_1209
; %bb.1206:
	v_add_nc_u32_e32 v131, 0x1f8, v58
	v_add3_u32 v132, 0, v58, 8
	v_mov_b32_e32 v133, v0
	s_mov_b32 s4, 0
.LBB125_1207:                           ; =>This Inner Loop Header: Depth=1
	scratch_load_b64 v[134:135], v132, off
	ds_load_b64 v[136:137], v131
	s_wait_xcnt 0x0
	v_dual_add_nc_u32 v131, 8, v131 :: v_dual_add_nc_u32 v132, 8, v132
	s_wait_loadcnt_dscnt 0x0
	v_pk_mul_f32 v[138:139], v[136:137], v[134:135] op_sel:[1,1] op_sel_hi:[0,1]
	s_delay_alu instid0(VALU_DEP_1) | instskip(SKIP_2) | instid1(VALU_DEP_3)
	v_pk_fma_f32 v[140:141], v[136:137], v[134:135], v[138:139] op_sel_hi:[1,0,1]
	v_add_nc_u32_e32 v133, 1, v133
	v_pk_fma_f32 v[134:135], v[136:137], v[134:135], v[138:139] neg_lo:[0,0,1] neg_hi:[0,0,1]
	v_mov_b32_e32 v135, v141
	s_delay_alu instid0(VALU_DEP_3) | instskip(NEXT) | instid1(VALU_DEP_2)
	v_cmp_lt_u32_e32 vcc_lo, 58, v133
	v_pk_add_f32 v[128:129], v[128:129], v[134:135]
	s_or_b32 s4, vcc_lo, s4
	s_delay_alu instid0(SALU_CYCLE_1)
	s_and_not1_b32 exec_lo, exec_lo, s4
	s_cbranch_execnz .LBB125_1207
; %bb.1208:
	s_or_b32 exec_lo, exec_lo, s4
.LBB125_1209:
	s_delay_alu instid0(SALU_CYCLE_1) | instskip(SKIP_4) | instid1(VALU_DEP_1)
	s_or_b32 exec_lo, exec_lo, s3
	v_mov_b32_e32 v131, 0
	ds_load_b64 v[132:133], v131 offset:480
	s_wait_dscnt 0x0
	v_pk_mul_f32 v[134:135], v[128:129], v[132:133] op_sel:[1,1] op_sel_hi:[0,1]
	v_pk_fma_f32 v[136:137], v[128:129], v[132:133], v[134:135] op_sel_hi:[1,0,1]
	v_pk_fma_f32 v[128:129], v[128:129], v[132:133], v[134:135] neg_lo:[0,0,1] neg_hi:[0,0,1]
	s_delay_alu instid0(VALU_DEP_2)
	v_mov_b32_e32 v129, v137
	scratch_store_b64 off, v[128:129], off offset:480
.LBB125_1210:
	s_wait_xcnt 0x0
	s_or_b32 exec_lo, exec_lo, s2
	scratch_load_b64 v[128:129], off, off offset:488
	s_mov_b32 s2, exec_lo
                                        ; implicit-def: $vgpr186
                                        ; implicit-def: $sgpr5
	s_wait_loadcnt 0x0
	ds_store_b64 v1, v[128:129]
	s_wait_storecnt_dscnt 0x0
	s_barrier_signal -1
	s_barrier_wait -1
	s_wait_xcnt 0x0
	v_cmpx_ne_u32_e32 61, v0
	s_cbranch_execz .LBB125_1220
; %bb.1211:
	v_cmp_ne_u32_e32 vcc_lo, 1, v130
	s_cbranch_vccnz .LBB125_1213
; %bb.1212:
	scratch_load_b64 v[130:131], v59, off
	ds_load_b64 v[132:133], v1
	s_wait_loadcnt_dscnt 0x0
	v_dual_mul_f32 v59, v133, v131 :: v_dual_mul_f32 v129, v132, v131
	s_delay_alu instid0(VALU_DEP_1)
	v_dual_fma_f32 v128, v132, v130, -v59 :: v_dual_fmac_f32 v129, v133, v130
	s_cbranch_execz .LBB125_1214
	s_branch .LBB125_1215
.LBB125_1213:
                                        ; implicit-def: $vgpr129
.LBB125_1214:
	ds_load_b64 v[128:129], v1
.LBB125_1215:
	s_and_saveexec_b32 s3, s0
	s_cbranch_execz .LBB125_1219
; %bb.1216:
	v_add_nc_u32_e32 v1, 0x1f8, v58
	v_add3_u32 v58, 0, v58, 8
	s_mov_b32 s0, 0
.LBB125_1217:                           ; =>This Inner Loop Header: Depth=1
	scratch_load_b64 v[130:131], v58, off
	ds_load_b64 v[132:133], v1
	s_wait_loadcnt_dscnt 0x0
	v_dual_add_nc_u32 v1, 8, v1 :: v_dual_mul_f32 v59, v133, v131
	v_dual_mul_f32 v131, v132, v131 :: v_dual_add_nc_u32 v0, 1, v0
	s_delay_alu instid0(VALU_DEP_2) | instskip(NEXT) | instid1(VALU_DEP_2)
	v_fma_f32 v59, v132, v130, -v59
	v_fmac_f32_e32 v131, v133, v130
	s_delay_alu instid0(VALU_DEP_3) | instskip(NEXT) | instid1(VALU_DEP_3)
	v_cmp_lt_u32_e32 vcc_lo, 59, v0
	v_dual_add_nc_u32 v58, 8, v58 :: v_dual_add_f32 v128, v128, v59
	s_delay_alu instid0(VALU_DEP_3) | instskip(SKIP_1) | instid1(SALU_CYCLE_1)
	v_add_f32_e32 v129, v129, v131
	s_or_b32 s0, vcc_lo, s0
	s_and_not1_b32 exec_lo, exec_lo, s0
	s_cbranch_execnz .LBB125_1217
; %bb.1218:
	s_or_b32 exec_lo, exec_lo, s0
.LBB125_1219:
	s_delay_alu instid0(SALU_CYCLE_1)
	s_or_b32 exec_lo, exec_lo, s3
	v_mov_b32_e32 v0, 0
	s_movk_i32 s5, 0x1ec
	s_or_b32 s1, s1, exec_lo
	ds_load_b64 v[0:1], v0 offset:488
	s_wait_dscnt 0x0
	v_dual_mul_f32 v58, v129, v1 :: v_dual_mul_f32 v186, v128, v1
	s_delay_alu instid0(VALU_DEP_1) | instskip(NEXT) | instid1(VALU_DEP_2)
	v_fma_f32 v1, v128, v0, -v58
	v_fmac_f32_e32 v186, v129, v0
	scratch_store_b32 off, v1, off offset:488
.LBB125_1220:
	s_wait_xcnt 0x0
	s_or_b32 exec_lo, exec_lo, s2
.LBB125_1221:
	v_lshl_add_u64 v[184:185], v[6:7], 3, s[6:7]
	v_lshl_add_u64 v[182:183], v[8:9], 3, s[6:7]
	;; [unrolled: 1-line block ×60, first 2 shown]
	s_and_saveexec_b32 s0, s1
	s_cbranch_execz .LBB125_1223
; %bb.1222:
	scratch_store_b32 off, v186, s5
.LBB125_1223:
	s_wait_xcnt 0x0
	s_or_b32 exec_lo, exec_lo, s0
	scratch_load_b64 v[66:67], off, off
	s_wait_loadcnt 0x0
	flat_store_b64 v[2:3], v[66:67]
	scratch_load_b64 v[2:3], off, off offset:8
	s_wait_loadcnt 0x0
	flat_store_b64 v[4:5], v[2:3]
	scratch_load_b64 v[2:3], off, off offset:16
	;; [unrolled: 3-line block ×61, first 2 shown]
	s_wait_loadcnt 0x0
	flat_store_b64 v[0:1], v[2:3]
.LBB125_1224:
	s_sendmsg sendmsg(MSG_DEALLOC_VGPRS)
	s_endpgm
	.section	.rodata,"a",@progbits
	.p2align	6, 0x0
	.amdhsa_kernel _ZN9rocsolver6v33100L18trti2_kernel_smallILi62E19rocblas_complex_numIfEPKPS3_EEv13rocblas_fill_17rocblas_diagonal_T1_iil
		.amdhsa_group_segment_fixed_size 992
		.amdhsa_private_segment_fixed_size 512
		.amdhsa_kernarg_size 32
		.amdhsa_user_sgpr_count 2
		.amdhsa_user_sgpr_dispatch_ptr 0
		.amdhsa_user_sgpr_queue_ptr 0
		.amdhsa_user_sgpr_kernarg_segment_ptr 1
		.amdhsa_user_sgpr_dispatch_id 0
		.amdhsa_user_sgpr_kernarg_preload_length 0
		.amdhsa_user_sgpr_kernarg_preload_offset 0
		.amdhsa_user_sgpr_private_segment_size 0
		.amdhsa_wavefront_size32 1
		.amdhsa_uses_dynamic_stack 0
		.amdhsa_enable_private_segment 1
		.amdhsa_system_sgpr_workgroup_id_x 1
		.amdhsa_system_sgpr_workgroup_id_y 0
		.amdhsa_system_sgpr_workgroup_id_z 0
		.amdhsa_system_sgpr_workgroup_info 0
		.amdhsa_system_vgpr_workitem_id 0
		.amdhsa_next_free_vgpr 187
		.amdhsa_next_free_sgpr 68
		.amdhsa_named_barrier_count 0
		.amdhsa_reserve_vcc 1
		.amdhsa_float_round_mode_32 0
		.amdhsa_float_round_mode_16_64 0
		.amdhsa_float_denorm_mode_32 3
		.amdhsa_float_denorm_mode_16_64 3
		.amdhsa_fp16_overflow 0
		.amdhsa_memory_ordered 1
		.amdhsa_forward_progress 1
		.amdhsa_inst_pref_size 255
		.amdhsa_round_robin_scheduling 0
		.amdhsa_exception_fp_ieee_invalid_op 0
		.amdhsa_exception_fp_denorm_src 0
		.amdhsa_exception_fp_ieee_div_zero 0
		.amdhsa_exception_fp_ieee_overflow 0
		.amdhsa_exception_fp_ieee_underflow 0
		.amdhsa_exception_fp_ieee_inexact 0
		.amdhsa_exception_int_div_zero 0
	.end_amdhsa_kernel
	.section	.text._ZN9rocsolver6v33100L18trti2_kernel_smallILi62E19rocblas_complex_numIfEPKPS3_EEv13rocblas_fill_17rocblas_diagonal_T1_iil,"axG",@progbits,_ZN9rocsolver6v33100L18trti2_kernel_smallILi62E19rocblas_complex_numIfEPKPS3_EEv13rocblas_fill_17rocblas_diagonal_T1_iil,comdat
.Lfunc_end125:
	.size	_ZN9rocsolver6v33100L18trti2_kernel_smallILi62E19rocblas_complex_numIfEPKPS3_EEv13rocblas_fill_17rocblas_diagonal_T1_iil, .Lfunc_end125-_ZN9rocsolver6v33100L18trti2_kernel_smallILi62E19rocblas_complex_numIfEPKPS3_EEv13rocblas_fill_17rocblas_diagonal_T1_iil
                                        ; -- End function
	.set _ZN9rocsolver6v33100L18trti2_kernel_smallILi62E19rocblas_complex_numIfEPKPS3_EEv13rocblas_fill_17rocblas_diagonal_T1_iil.num_vgpr, 187
	.set _ZN9rocsolver6v33100L18trti2_kernel_smallILi62E19rocblas_complex_numIfEPKPS3_EEv13rocblas_fill_17rocblas_diagonal_T1_iil.num_agpr, 0
	.set _ZN9rocsolver6v33100L18trti2_kernel_smallILi62E19rocblas_complex_numIfEPKPS3_EEv13rocblas_fill_17rocblas_diagonal_T1_iil.numbered_sgpr, 68
	.set _ZN9rocsolver6v33100L18trti2_kernel_smallILi62E19rocblas_complex_numIfEPKPS3_EEv13rocblas_fill_17rocblas_diagonal_T1_iil.num_named_barrier, 0
	.set _ZN9rocsolver6v33100L18trti2_kernel_smallILi62E19rocblas_complex_numIfEPKPS3_EEv13rocblas_fill_17rocblas_diagonal_T1_iil.private_seg_size, 512
	.set _ZN9rocsolver6v33100L18trti2_kernel_smallILi62E19rocblas_complex_numIfEPKPS3_EEv13rocblas_fill_17rocblas_diagonal_T1_iil.uses_vcc, 1
	.set _ZN9rocsolver6v33100L18trti2_kernel_smallILi62E19rocblas_complex_numIfEPKPS3_EEv13rocblas_fill_17rocblas_diagonal_T1_iil.uses_flat_scratch, 0
	.set _ZN9rocsolver6v33100L18trti2_kernel_smallILi62E19rocblas_complex_numIfEPKPS3_EEv13rocblas_fill_17rocblas_diagonal_T1_iil.has_dyn_sized_stack, 0
	.set _ZN9rocsolver6v33100L18trti2_kernel_smallILi62E19rocblas_complex_numIfEPKPS3_EEv13rocblas_fill_17rocblas_diagonal_T1_iil.has_recursion, 0
	.set _ZN9rocsolver6v33100L18trti2_kernel_smallILi62E19rocblas_complex_numIfEPKPS3_EEv13rocblas_fill_17rocblas_diagonal_T1_iil.has_indirect_call, 0
	.section	.AMDGPU.csdata,"",@progbits
; Kernel info:
; codeLenInByte = 47952
; TotalNumSgprs: 70
; NumVgprs: 187
; ScratchSize: 512
; MemoryBound: 0
; FloatMode: 240
; IeeeMode: 1
; LDSByteSize: 992 bytes/workgroup (compile time only)
; SGPRBlocks: 0
; VGPRBlocks: 11
; NumSGPRsForWavesPerEU: 70
; NumVGPRsForWavesPerEU: 187
; NamedBarCnt: 0
; Occupancy: 5
; WaveLimiterHint : 1
; COMPUTE_PGM_RSRC2:SCRATCH_EN: 1
; COMPUTE_PGM_RSRC2:USER_SGPR: 2
; COMPUTE_PGM_RSRC2:TRAP_HANDLER: 0
; COMPUTE_PGM_RSRC2:TGID_X_EN: 1
; COMPUTE_PGM_RSRC2:TGID_Y_EN: 0
; COMPUTE_PGM_RSRC2:TGID_Z_EN: 0
; COMPUTE_PGM_RSRC2:TIDIG_COMP_CNT: 0
	.section	.text._ZN9rocsolver6v33100L18trti2_kernel_smallILi63E19rocblas_complex_numIfEPKPS3_EEv13rocblas_fill_17rocblas_diagonal_T1_iil,"axG",@progbits,_ZN9rocsolver6v33100L18trti2_kernel_smallILi63E19rocblas_complex_numIfEPKPS3_EEv13rocblas_fill_17rocblas_diagonal_T1_iil,comdat
	.globl	_ZN9rocsolver6v33100L18trti2_kernel_smallILi63E19rocblas_complex_numIfEPKPS3_EEv13rocblas_fill_17rocblas_diagonal_T1_iil ; -- Begin function _ZN9rocsolver6v33100L18trti2_kernel_smallILi63E19rocblas_complex_numIfEPKPS3_EEv13rocblas_fill_17rocblas_diagonal_T1_iil
	.p2align	8
	.type	_ZN9rocsolver6v33100L18trti2_kernel_smallILi63E19rocblas_complex_numIfEPKPS3_EEv13rocblas_fill_17rocblas_diagonal_T1_iil,@function
_ZN9rocsolver6v33100L18trti2_kernel_smallILi63E19rocblas_complex_numIfEPKPS3_EEv13rocblas_fill_17rocblas_diagonal_T1_iil: ; @_ZN9rocsolver6v33100L18trti2_kernel_smallILi63E19rocblas_complex_numIfEPKPS3_EEv13rocblas_fill_17rocblas_diagonal_T1_iil
; %bb.0:
	s_mov_b32 s2, exec_lo
	v_cmpx_gt_u32_e32 63, v0
	s_cbranch_execz .LBB126_1244
; %bb.1:
	s_clause 0x1
	s_load_b64 s[8:9], s[0:1], 0x10
	s_load_b128 s[4:7], s[0:1], 0x0
	s_wait_xcnt 0x0
	s_bfe_u32 s0, ttmp6, 0x4000c
	s_and_b32 s1, ttmp6, 15
	s_add_co_i32 s0, s0, 1
	s_getreg_b32 s2, hwreg(HW_REG_IB_STS2, 6, 4)
	s_mul_i32 s0, ttmp9, s0
	v_dual_mov_b32 v59, 0 :: v_dual_lshlrev_b32 v58, 3, v0
	s_add_co_i32 s0, s1, s0
	s_wait_kmcnt 0x0
	s_ashr_i32 s1, s8, 31
	s_cmp_eq_u32 s2, 0
	s_cselect_b32 s2, ttmp9, s0
	s_mov_b32 s0, s8
	s_ashr_i32 s3, s2, 31
	s_lshl_b64 s[0:1], s[0:1], 3
	s_lshl_b64 s[2:3], s[2:3], 3
	s_delay_alu instid0(SALU_CYCLE_1)
	s_add_nc_u64 s[2:3], s[6:7], s[2:3]
	s_load_b64 s[2:3], s[2:3], 0x0
	s_wait_kmcnt 0x0
	s_add_nc_u64 s[2:3], s[2:3], s[0:1]
	s_mov_b32 s0, s9
	flat_load_b64 v[6:7], v0, s[2:3] scale_offset
	v_add_nc_u64_e32 v[2:3], s[2:3], v[58:59]
	s_ashr_i32 s1, s9, 31
	s_cmp_lg_u32 s5, 0x84
	s_cselect_b32 s5, -1, 0
	s_delay_alu instid0(SALU_CYCLE_1) | instskip(NEXT) | instid1(VALU_DEP_1)
	s_and_b32 vcc_lo, exec_lo, s5
	v_lshl_add_u64 v[4:5], s[0:1], 3, v[2:3]
	s_mov_b32 s0, -1
	s_wait_loadcnt_dscnt 0x0
	scratch_store_b64 off, v[6:7], off
	flat_load_b64 v[8:9], v[4:5]
	s_wait_xcnt 0x1
	v_add3_u32 v6, s9, s9, v0
	s_wait_loadcnt_dscnt 0x0
	scratch_store_b64 off, v[8:9], off offset:8
	flat_load_b64 v[10:11], v6, s[2:3] scale_offset
	s_wait_xcnt 0x1
	v_add_nc_u32_e32 v8, s9, v6
	s_wait_loadcnt_dscnt 0x0
	scratch_store_b64 off, v[10:11], off offset:16
	flat_load_b64 v[12:13], v8, s[2:3] scale_offset
	s_wait_xcnt 0x1
	v_add_nc_u32_e32 v10, s9, v8
	;; [unrolled: 5-line block ×60, first 2 shown]
	s_wait_loadcnt_dscnt 0x0
	scratch_store_b64 off, v[130:131], off offset:488
	flat_load_b64 v[130:131], v128, s[2:3] scale_offset
	s_wait_loadcnt_dscnt 0x0
	scratch_store_b64 off, v[130:131], off offset:496
	s_cbranch_vccz .LBB126_7
; %bb.2:
	scratch_load_b64 v[130:131], v0, off scale_offset
                                        ; implicit-def: $vgpr135
                                        ; implicit-def: $vgpr132
	s_wait_loadcnt 0x0
	v_cmp_ngt_f32_e64 s0, |v130|, |v131|
	s_wait_xcnt 0x0
	s_and_saveexec_b32 s1, s0
	s_delay_alu instid0(SALU_CYCLE_1)
	s_xor_b32 s0, exec_lo, s1
	s_cbranch_execz .LBB126_4
; %bb.3:
	v_div_scale_f32 v1, null, v131, v131, v130
	v_div_scale_f32 v11, vcc_lo, v130, v131, v130
	s_delay_alu instid0(VALU_DEP_2) | instskip(SKIP_1) | instid1(TRANS32_DEP_1)
	v_rcp_f32_e32 v7, v1
	v_nop
	v_fma_f32 v9, -v1, v7, 1.0
	s_delay_alu instid0(VALU_DEP_1) | instskip(NEXT) | instid1(VALU_DEP_1)
	v_fmac_f32_e32 v7, v9, v7
	v_mul_f32_e32 v9, v11, v7
	s_delay_alu instid0(VALU_DEP_1) | instskip(NEXT) | instid1(VALU_DEP_1)
	v_fma_f32 v13, -v1, v9, v11
	v_fmac_f32_e32 v9, v13, v7
	s_delay_alu instid0(VALU_DEP_1) | instskip(NEXT) | instid1(VALU_DEP_1)
	v_fma_f32 v1, -v1, v9, v11
	v_div_fmas_f32 v1, v1, v7, v9
	s_delay_alu instid0(VALU_DEP_1) | instskip(NEXT) | instid1(VALU_DEP_1)
	v_div_fixup_f32 v1, v1, v131, v130
	v_fmac_f32_e32 v131, v130, v1
	s_delay_alu instid0(VALU_DEP_1) | instskip(NEXT) | instid1(VALU_DEP_1)
	v_div_scale_f32 v7, null, v131, v131, -1.0
	v_rcp_f32_e32 v9, v7
	v_nop
	s_delay_alu instid0(TRANS32_DEP_1) | instskip(NEXT) | instid1(VALU_DEP_1)
	v_fma_f32 v11, -v7, v9, 1.0
	v_fmac_f32_e32 v9, v11, v9
	v_div_scale_f32 v11, vcc_lo, -1.0, v131, -1.0
	s_delay_alu instid0(VALU_DEP_1) | instskip(NEXT) | instid1(VALU_DEP_1)
	v_mul_f32_e32 v13, v11, v9
	v_fma_f32 v15, -v7, v13, v11
	s_delay_alu instid0(VALU_DEP_1) | instskip(NEXT) | instid1(VALU_DEP_1)
	v_fmac_f32_e32 v13, v15, v9
	v_fma_f32 v7, -v7, v13, v11
	s_delay_alu instid0(VALU_DEP_1) | instskip(NEXT) | instid1(VALU_DEP_1)
	v_div_fmas_f32 v7, v7, v9, v13
	v_div_fixup_f32 v135, v7, v131, -1.0
                                        ; implicit-def: $vgpr130_vgpr131
	s_delay_alu instid0(VALU_DEP_1) | instskip(NEXT) | instid1(VALU_DEP_1)
	v_mul_f32_e32 v132, v1, v135
	v_xor_b32_e32 v134, 0x80000000, v132
.LBB126_4:
	s_or_saveexec_b32 s0, s0
	v_lshl_add_u32 v1, v0, 3, 0
	s_xor_b32 exec_lo, exec_lo, s0
	s_cbranch_execz .LBB126_6
; %bb.5:
	v_div_scale_f32 v7, null, v130, v130, v131
	v_div_scale_f32 v13, vcc_lo, v131, v130, v131
	s_delay_alu instid0(VALU_DEP_2) | instskip(SKIP_1) | instid1(TRANS32_DEP_1)
	v_rcp_f32_e32 v9, v7
	v_nop
	v_fma_f32 v11, -v7, v9, 1.0
	s_delay_alu instid0(VALU_DEP_1) | instskip(NEXT) | instid1(VALU_DEP_1)
	v_fmac_f32_e32 v9, v11, v9
	v_mul_f32_e32 v11, v13, v9
	s_delay_alu instid0(VALU_DEP_1) | instskip(NEXT) | instid1(VALU_DEP_1)
	v_fma_f32 v15, -v7, v11, v13
	v_fmac_f32_e32 v11, v15, v9
	s_delay_alu instid0(VALU_DEP_1) | instskip(NEXT) | instid1(VALU_DEP_1)
	v_fma_f32 v7, -v7, v11, v13
	v_div_fmas_f32 v7, v7, v9, v11
	s_delay_alu instid0(VALU_DEP_1) | instskip(NEXT) | instid1(VALU_DEP_1)
	v_div_fixup_f32 v7, v7, v130, v131
	v_fmac_f32_e32 v130, v131, v7
	s_delay_alu instid0(VALU_DEP_1) | instskip(SKIP_1) | instid1(VALU_DEP_2)
	v_div_scale_f32 v9, null, v130, v130, 1.0
	v_div_scale_f32 v15, vcc_lo, 1.0, v130, 1.0
	v_rcp_f32_e32 v11, v9
	v_nop
	s_delay_alu instid0(TRANS32_DEP_1) | instskip(NEXT) | instid1(VALU_DEP_1)
	v_fma_f32 v13, -v9, v11, 1.0
	v_fmac_f32_e32 v11, v13, v11
	s_delay_alu instid0(VALU_DEP_1) | instskip(NEXT) | instid1(VALU_DEP_1)
	v_mul_f32_e32 v13, v15, v11
	v_fma_f32 v17, -v9, v13, v15
	s_delay_alu instid0(VALU_DEP_1) | instskip(NEXT) | instid1(VALU_DEP_1)
	v_fmac_f32_e32 v13, v17, v11
	v_fma_f32 v9, -v9, v13, v15
	s_delay_alu instid0(VALU_DEP_1) | instskip(NEXT) | instid1(VALU_DEP_1)
	v_div_fmas_f32 v9, v9, v11, v13
	v_div_fixup_f32 v134, v9, v130, 1.0
	s_delay_alu instid0(VALU_DEP_1)
	v_xor_b32_e32 v132, 0x80000000, v134
	v_mul_f32_e64 v135, v7, -v134
.LBB126_6:
	s_or_b32 exec_lo, exec_lo, s0
	s_delay_alu instid0(VALU_DEP_1)
	v_xor_b32_e32 v133, 0x80000000, v135
	s_mov_b32 s0, 0
	scratch_store_b64 v1, v[134:135], off
	ds_store_b64 v58, v[132:133]
.LBB126_7:
	s_and_b32 vcc_lo, exec_lo, s0
	s_cbranch_vccz .LBB126_9
; %bb.8:
	s_mov_b64 s[0:1], 0xbf800000
	s_wait_xcnt 0x0
	v_mov_b64_e32 v[130:131], s[0:1]
	ds_store_b64 v58, v[130:131]
.LBB126_9:
	v_dual_ashrrev_i32 v7, 31, v6 :: v_dual_ashrrev_i32 v9, 31, v8
	v_dual_ashrrev_i32 v11, 31, v10 :: v_dual_ashrrev_i32 v13, 31, v12
	;; [unrolled: 1-line block ×30, first 2 shown]
	v_dual_ashrrev_i32 v129, 31, v128 :: v_dual_mov_b32 v59, v58
	s_wait_xcnt 0x0
	v_or_b32_e32 v1, 0x200, v58
	s_cmp_eq_u32 s4, 0x79
	s_cbranch_scc1 .LBB126_13
; %bb.10:
	scratch_load_b64 v[130:131], off, off offset:488
	v_cmp_eq_u32_e64 s0, 62, v0
	s_movk_i32 s1, 0x48
	s_movk_i32 s14, 0x50
	;; [unrolled: 1-line block ×52, first 2 shown]
	s_wait_loadcnt 0x0
	ds_store_b64 v1, v[130:131]
	s_wait_storecnt_dscnt 0x0
	s_barrier_signal -1
	s_barrier_wait -1
	s_wait_xcnt 0x0
	s_and_saveexec_b32 s4, s0
	s_cbranch_execz .LBB126_17
; %bb.11:
	s_and_b32 vcc_lo, exec_lo, s5
	s_cbranch_vccz .LBB126_14
; %bb.12:
	scratch_load_b64 v[130:131], v59, off
	ds_load_b64 v[132:133], v1
	s_wait_loadcnt_dscnt 0x0
	v_pk_mul_f32 v[134:135], v[132:133], v[130:131] op_sel:[1,1] op_sel_hi:[0,1]
	v_pk_mul_f32 v[136:137], v[132:133], v[130:131] op_sel_hi:[1,0]
	s_delay_alu instid0(VALU_DEP_2) | instskip(NEXT) | instid1(VALU_DEP_2)
	v_pk_fma_f32 v[130:131], v[132:133], v[130:131], v[134:135] op_sel_hi:[1,0,1]
	v_sub_f32_e32 v130, v136, v134
	s_cbranch_execz .LBB126_15
	s_branch .LBB126_16
.LBB126_13:
	s_mov_b32 s1, 0
                                        ; implicit-def: $vgpr188
                                        ; implicit-def: $sgpr7
	s_cbranch_execnz .LBB126_626
	s_branch .LBB126_1241
.LBB126_14:
                                        ; implicit-def: $vgpr131
.LBB126_15:
	ds_load_b64 v[130:131], v1
.LBB126_16:
	s_wait_dscnt 0x0
	v_dual_mov_b32 v132, 0 :: v_dual_mov_b32 v134, v131
	v_mov_b32_e32 v135, v130
	ds_load_b64 v[132:133], v132 offset:488
	s_wait_dscnt 0x0
	v_pk_mul_f32 v[134:135], v[134:135], v[132:133] op_sel:[0,1]
	s_delay_alu instid0(VALU_DEP_1) | instskip(SKIP_1) | instid1(VALU_DEP_2)
	v_pk_fma_f32 v[136:137], v[130:131], v[132:133], v[134:135] op_sel_hi:[1,0,1]
	v_pk_fma_f32 v[130:131], v[130:131], v[132:133], v[134:135] neg_lo:[0,0,1] neg_hi:[0,0,1]
	v_mov_b32_e32 v131, v137
	scratch_store_b64 off, v[130:131], off offset:488
.LBB126_17:
	s_wait_xcnt 0x0
	s_or_b32 exec_lo, exec_lo, s4
	scratch_load_b64 v[130:131], off, off offset:480
	s_mov_b32 s13, s1
	v_cmp_lt_u32_e64 s1, 60, v0
	s_or_b32 s4, 0, 8
	s_mov_b32 s6, 16
	s_mov_b32 s7, 24
	;; [unrolled: 1-line block ×7, first 2 shown]
	s_wait_loadcnt 0x0
	ds_store_b64 v1, v[130:131]
	s_wait_storecnt_dscnt 0x0
	s_barrier_signal -1
	s_barrier_wait -1
	s_wait_xcnt 0x0
	s_and_saveexec_b32 s66, s1
	s_cbranch_execz .LBB126_25
; %bb.18:
	s_and_not1_b32 vcc_lo, exec_lo, s5
	s_cbranch_vccnz .LBB126_20
; %bb.19:
	scratch_load_b64 v[130:131], v59, off
	ds_load_b64 v[132:133], v1
	s_wait_loadcnt_dscnt 0x0
	v_pk_mul_f32 v[134:135], v[132:133], v[130:131] op_sel:[1,1] op_sel_hi:[0,1]
	s_delay_alu instid0(VALU_DEP_1) | instskip(SKIP_1) | instid1(VALU_DEP_2)
	v_pk_fma_f32 v[136:137], v[132:133], v[130:131], v[134:135] op_sel_hi:[1,0,1]
	v_pk_fma_f32 v[130:131], v[132:133], v[130:131], v[134:135] neg_lo:[0,0,1] neg_hi:[0,0,1]
	v_mov_b32_e32 v131, v137
	s_cbranch_execz .LBB126_21
	s_branch .LBB126_22
.LBB126_20:
                                        ; implicit-def: $vgpr130_vgpr131
.LBB126_21:
	ds_load_b64 v[130:131], v1
.LBB126_22:
	s_and_saveexec_b32 s67, s0
	s_cbranch_execz .LBB126_24
; %bb.23:
	scratch_load_b64 v[132:133], off, off offset:488
	v_mov_b32_e32 v134, 0
	ds_load_b64 v[134:135], v134 offset:1000
	s_wait_loadcnt_dscnt 0x0
	v_pk_mul_f32 v[136:137], v[134:135], v[132:133] op_sel:[1,1] op_sel_hi:[0,1]
	s_delay_alu instid0(VALU_DEP_1) | instskip(SKIP_1) | instid1(VALU_DEP_2)
	v_pk_fma_f32 v[138:139], v[134:135], v[132:133], v[136:137] op_sel_hi:[1,0,1]
	v_pk_fma_f32 v[132:133], v[134:135], v[132:133], v[136:137] neg_lo:[0,0,1] neg_hi:[0,0,1]
	v_mov_b32_e32 v133, v139
	s_delay_alu instid0(VALU_DEP_1)
	v_pk_add_f32 v[130:131], v[130:131], v[132:133]
.LBB126_24:
	s_or_b32 exec_lo, exec_lo, s67
	v_mov_b32_e32 v132, 0
	ds_load_b64 v[132:133], v132 offset:480
	s_wait_dscnt 0x0
	v_pk_mul_f32 v[134:135], v[130:131], v[132:133] op_sel:[1,1] op_sel_hi:[0,1]
	s_delay_alu instid0(VALU_DEP_1) | instskip(SKIP_1) | instid1(VALU_DEP_2)
	v_pk_fma_f32 v[136:137], v[130:131], v[132:133], v[134:135] op_sel_hi:[1,0,1]
	v_pk_fma_f32 v[130:131], v[130:131], v[132:133], v[134:135] neg_lo:[0,0,1] neg_hi:[0,0,1]
	v_mov_b32_e32 v131, v137
	scratch_store_b64 off, v[130:131], off offset:480
.LBB126_25:
	s_wait_xcnt 0x0
	s_or_b32 exec_lo, exec_lo, s66
	scratch_load_b64 v[130:131], off, off offset:472
	v_cmp_lt_u32_e64 s0, 59, v0
	s_wait_loadcnt 0x0
	ds_store_b64 v1, v[130:131]
	s_wait_storecnt_dscnt 0x0
	s_barrier_signal -1
	s_barrier_wait -1
	s_wait_xcnt 0x0
	s_and_saveexec_b32 s66, s0
	s_cbranch_execz .LBB126_35
; %bb.26:
	s_and_not1_b32 vcc_lo, exec_lo, s5
	s_cbranch_vccnz .LBB126_28
; %bb.27:
	scratch_load_b64 v[130:131], v59, off
	ds_load_b64 v[132:133], v1
	s_wait_loadcnt_dscnt 0x0
	v_pk_mul_f32 v[134:135], v[132:133], v[130:131] op_sel:[1,1] op_sel_hi:[0,1]
	s_delay_alu instid0(VALU_DEP_1) | instskip(SKIP_1) | instid1(VALU_DEP_2)
	v_pk_fma_f32 v[136:137], v[132:133], v[130:131], v[134:135] op_sel_hi:[1,0,1]
	v_pk_fma_f32 v[130:131], v[132:133], v[130:131], v[134:135] neg_lo:[0,0,1] neg_hi:[0,0,1]
	v_mov_b32_e32 v131, v137
	s_cbranch_execz .LBB126_29
	s_branch .LBB126_30
.LBB126_28:
                                        ; implicit-def: $vgpr130_vgpr131
.LBB126_29:
	ds_load_b64 v[130:131], v1
.LBB126_30:
	s_and_saveexec_b32 s67, s1
	s_cbranch_execz .LBB126_34
; %bb.31:
	v_subrev_nc_u32_e32 v132, 60, v0
	s_movk_i32 s68, 0x3e0
	s_mov_b32 s1, 0
.LBB126_32:                             ; =>This Inner Loop Header: Depth=1
	scratch_load_b64 v[134:135], off, s65
	v_dual_mov_b32 v133, s68 :: v_dual_add_nc_u32 v132, -1, v132
	s_add_co_i32 s68, s68, 8
	s_wait_xcnt 0x0
	s_add_co_i32 s65, s65, 8
	ds_load_b64 v[136:137], v133
	v_cmp_eq_u32_e32 vcc_lo, 0, v132
	s_or_b32 s1, vcc_lo, s1
	s_wait_loadcnt_dscnt 0x0
	v_pk_mul_f32 v[138:139], v[136:137], v[134:135] op_sel:[1,1] op_sel_hi:[0,1]
	s_delay_alu instid0(VALU_DEP_1) | instskip(SKIP_1) | instid1(VALU_DEP_2)
	v_pk_fma_f32 v[140:141], v[136:137], v[134:135], v[138:139] op_sel_hi:[1,0,1]
	v_pk_fma_f32 v[134:135], v[136:137], v[134:135], v[138:139] neg_lo:[0,0,1] neg_hi:[0,0,1]
	v_mov_b32_e32 v135, v141
	s_delay_alu instid0(VALU_DEP_1)
	v_pk_add_f32 v[130:131], v[130:131], v[134:135]
	s_and_not1_b32 exec_lo, exec_lo, s1
	s_cbranch_execnz .LBB126_32
; %bb.33:
	s_or_b32 exec_lo, exec_lo, s1
.LBB126_34:
	s_delay_alu instid0(SALU_CYCLE_1) | instskip(SKIP_4) | instid1(VALU_DEP_1)
	s_or_b32 exec_lo, exec_lo, s67
	v_mov_b32_e32 v132, 0
	ds_load_b64 v[132:133], v132 offset:472
	s_wait_dscnt 0x0
	v_pk_mul_f32 v[134:135], v[130:131], v[132:133] op_sel:[1,1] op_sel_hi:[0,1]
	v_pk_fma_f32 v[136:137], v[130:131], v[132:133], v[134:135] op_sel_hi:[1,0,1]
	v_pk_fma_f32 v[130:131], v[130:131], v[132:133], v[134:135] neg_lo:[0,0,1] neg_hi:[0,0,1]
	s_delay_alu instid0(VALU_DEP_2)
	v_mov_b32_e32 v131, v137
	scratch_store_b64 off, v[130:131], off offset:472
.LBB126_35:
	s_wait_xcnt 0x0
	s_or_b32 exec_lo, exec_lo, s66
	scratch_load_b64 v[130:131], off, off offset:464
	v_cmp_lt_u32_e64 s1, 58, v0
	s_wait_loadcnt 0x0
	ds_store_b64 v1, v[130:131]
	s_wait_storecnt_dscnt 0x0
	s_barrier_signal -1
	s_barrier_wait -1
	s_wait_xcnt 0x0
	s_and_saveexec_b32 s65, s1
	s_cbranch_execz .LBB126_45
; %bb.36:
	s_and_not1_b32 vcc_lo, exec_lo, s5
	s_cbranch_vccnz .LBB126_38
; %bb.37:
	scratch_load_b64 v[130:131], v59, off
	ds_load_b64 v[132:133], v1
	s_wait_loadcnt_dscnt 0x0
	v_pk_mul_f32 v[134:135], v[132:133], v[130:131] op_sel:[1,1] op_sel_hi:[0,1]
	s_delay_alu instid0(VALU_DEP_1) | instskip(SKIP_1) | instid1(VALU_DEP_2)
	v_pk_fma_f32 v[136:137], v[132:133], v[130:131], v[134:135] op_sel_hi:[1,0,1]
	v_pk_fma_f32 v[130:131], v[132:133], v[130:131], v[134:135] neg_lo:[0,0,1] neg_hi:[0,0,1]
	v_mov_b32_e32 v131, v137
	s_cbranch_execz .LBB126_39
	s_branch .LBB126_40
.LBB126_38:
                                        ; implicit-def: $vgpr130_vgpr131
.LBB126_39:
	ds_load_b64 v[130:131], v1
.LBB126_40:
	s_and_saveexec_b32 s66, s0
	s_cbranch_execz .LBB126_44
; %bb.41:
	v_subrev_nc_u32_e32 v132, 59, v0
	s_movk_i32 s67, 0x3d8
	s_mov_b32 s0, 0
.LBB126_42:                             ; =>This Inner Loop Header: Depth=1
	scratch_load_b64 v[134:135], off, s64
	v_dual_mov_b32 v133, s67 :: v_dual_add_nc_u32 v132, -1, v132
	s_add_co_i32 s67, s67, 8
	s_wait_xcnt 0x0
	s_add_co_i32 s64, s64, 8
	ds_load_b64 v[136:137], v133
	v_cmp_eq_u32_e32 vcc_lo, 0, v132
	s_or_b32 s0, vcc_lo, s0
	s_wait_loadcnt_dscnt 0x0
	v_pk_mul_f32 v[138:139], v[136:137], v[134:135] op_sel:[1,1] op_sel_hi:[0,1]
	s_delay_alu instid0(VALU_DEP_1) | instskip(SKIP_1) | instid1(VALU_DEP_2)
	v_pk_fma_f32 v[140:141], v[136:137], v[134:135], v[138:139] op_sel_hi:[1,0,1]
	v_pk_fma_f32 v[134:135], v[136:137], v[134:135], v[138:139] neg_lo:[0,0,1] neg_hi:[0,0,1]
	v_mov_b32_e32 v135, v141
	s_delay_alu instid0(VALU_DEP_1)
	v_pk_add_f32 v[130:131], v[130:131], v[134:135]
	s_and_not1_b32 exec_lo, exec_lo, s0
	s_cbranch_execnz .LBB126_42
; %bb.43:
	s_or_b32 exec_lo, exec_lo, s0
.LBB126_44:
	s_delay_alu instid0(SALU_CYCLE_1) | instskip(SKIP_4) | instid1(VALU_DEP_1)
	s_or_b32 exec_lo, exec_lo, s66
	v_mov_b32_e32 v132, 0
	ds_load_b64 v[132:133], v132 offset:464
	s_wait_dscnt 0x0
	v_pk_mul_f32 v[134:135], v[130:131], v[132:133] op_sel:[1,1] op_sel_hi:[0,1]
	v_pk_fma_f32 v[136:137], v[130:131], v[132:133], v[134:135] op_sel_hi:[1,0,1]
	v_pk_fma_f32 v[130:131], v[130:131], v[132:133], v[134:135] neg_lo:[0,0,1] neg_hi:[0,0,1]
	s_delay_alu instid0(VALU_DEP_2)
	v_mov_b32_e32 v131, v137
	scratch_store_b64 off, v[130:131], off offset:464
.LBB126_45:
	s_wait_xcnt 0x0
	s_or_b32 exec_lo, exec_lo, s65
	scratch_load_b64 v[130:131], off, off offset:456
	v_cmp_lt_u32_e64 s0, 57, v0
	s_wait_loadcnt 0x0
	ds_store_b64 v1, v[130:131]
	s_wait_storecnt_dscnt 0x0
	s_barrier_signal -1
	s_barrier_wait -1
	s_wait_xcnt 0x0
	s_and_saveexec_b32 s64, s0
	s_cbranch_execz .LBB126_55
; %bb.46:
	s_and_not1_b32 vcc_lo, exec_lo, s5
	s_cbranch_vccnz .LBB126_48
; %bb.47:
	scratch_load_b64 v[130:131], v59, off
	ds_load_b64 v[132:133], v1
	s_wait_loadcnt_dscnt 0x0
	v_pk_mul_f32 v[134:135], v[132:133], v[130:131] op_sel:[1,1] op_sel_hi:[0,1]
	s_delay_alu instid0(VALU_DEP_1) | instskip(SKIP_1) | instid1(VALU_DEP_2)
	v_pk_fma_f32 v[136:137], v[132:133], v[130:131], v[134:135] op_sel_hi:[1,0,1]
	v_pk_fma_f32 v[130:131], v[132:133], v[130:131], v[134:135] neg_lo:[0,0,1] neg_hi:[0,0,1]
	v_mov_b32_e32 v131, v137
	s_cbranch_execz .LBB126_49
	s_branch .LBB126_50
.LBB126_48:
                                        ; implicit-def: $vgpr130_vgpr131
.LBB126_49:
	ds_load_b64 v[130:131], v1
.LBB126_50:
	s_and_saveexec_b32 s65, s1
	s_cbranch_execz .LBB126_54
; %bb.51:
	v_subrev_nc_u32_e32 v132, 58, v0
	s_movk_i32 s66, 0x3d0
	s_mov_b32 s1, 0
.LBB126_52:                             ; =>This Inner Loop Header: Depth=1
	scratch_load_b64 v[134:135], off, s63
	v_dual_mov_b32 v133, s66 :: v_dual_add_nc_u32 v132, -1, v132
	s_add_co_i32 s66, s66, 8
	s_wait_xcnt 0x0
	s_add_co_i32 s63, s63, 8
	ds_load_b64 v[136:137], v133
	v_cmp_eq_u32_e32 vcc_lo, 0, v132
	s_or_b32 s1, vcc_lo, s1
	s_wait_loadcnt_dscnt 0x0
	v_pk_mul_f32 v[138:139], v[136:137], v[134:135] op_sel:[1,1] op_sel_hi:[0,1]
	s_delay_alu instid0(VALU_DEP_1) | instskip(SKIP_1) | instid1(VALU_DEP_2)
	v_pk_fma_f32 v[140:141], v[136:137], v[134:135], v[138:139] op_sel_hi:[1,0,1]
	v_pk_fma_f32 v[134:135], v[136:137], v[134:135], v[138:139] neg_lo:[0,0,1] neg_hi:[0,0,1]
	v_mov_b32_e32 v135, v141
	s_delay_alu instid0(VALU_DEP_1)
	v_pk_add_f32 v[130:131], v[130:131], v[134:135]
	s_and_not1_b32 exec_lo, exec_lo, s1
	s_cbranch_execnz .LBB126_52
; %bb.53:
	s_or_b32 exec_lo, exec_lo, s1
.LBB126_54:
	s_delay_alu instid0(SALU_CYCLE_1) | instskip(SKIP_4) | instid1(VALU_DEP_1)
	s_or_b32 exec_lo, exec_lo, s65
	v_mov_b32_e32 v132, 0
	ds_load_b64 v[132:133], v132 offset:456
	s_wait_dscnt 0x0
	v_pk_mul_f32 v[134:135], v[130:131], v[132:133] op_sel:[1,1] op_sel_hi:[0,1]
	v_pk_fma_f32 v[136:137], v[130:131], v[132:133], v[134:135] op_sel_hi:[1,0,1]
	v_pk_fma_f32 v[130:131], v[130:131], v[132:133], v[134:135] neg_lo:[0,0,1] neg_hi:[0,0,1]
	s_delay_alu instid0(VALU_DEP_2)
	v_mov_b32_e32 v131, v137
	scratch_store_b64 off, v[130:131], off offset:456
.LBB126_55:
	s_wait_xcnt 0x0
	s_or_b32 exec_lo, exec_lo, s64
	scratch_load_b64 v[130:131], off, off offset:448
	v_cmp_lt_u32_e64 s1, 56, v0
	s_wait_loadcnt 0x0
	ds_store_b64 v1, v[130:131]
	s_wait_storecnt_dscnt 0x0
	s_barrier_signal -1
	s_barrier_wait -1
	s_wait_xcnt 0x0
	s_and_saveexec_b32 s63, s1
	s_cbranch_execz .LBB126_65
; %bb.56:
	s_and_not1_b32 vcc_lo, exec_lo, s5
	s_cbranch_vccnz .LBB126_58
; %bb.57:
	scratch_load_b64 v[130:131], v59, off
	ds_load_b64 v[132:133], v1
	s_wait_loadcnt_dscnt 0x0
	v_pk_mul_f32 v[134:135], v[132:133], v[130:131] op_sel:[1,1] op_sel_hi:[0,1]
	s_delay_alu instid0(VALU_DEP_1) | instskip(SKIP_1) | instid1(VALU_DEP_2)
	v_pk_fma_f32 v[136:137], v[132:133], v[130:131], v[134:135] op_sel_hi:[1,0,1]
	v_pk_fma_f32 v[130:131], v[132:133], v[130:131], v[134:135] neg_lo:[0,0,1] neg_hi:[0,0,1]
	v_mov_b32_e32 v131, v137
	s_cbranch_execz .LBB126_59
	s_branch .LBB126_60
.LBB126_58:
                                        ; implicit-def: $vgpr130_vgpr131
.LBB126_59:
	ds_load_b64 v[130:131], v1
.LBB126_60:
	s_and_saveexec_b32 s64, s0
	s_cbranch_execz .LBB126_64
; %bb.61:
	v_subrev_nc_u32_e32 v132, 57, v0
	s_movk_i32 s65, 0x3c8
	s_mov_b32 s0, 0
.LBB126_62:                             ; =>This Inner Loop Header: Depth=1
	scratch_load_b64 v[134:135], off, s62
	v_dual_mov_b32 v133, s65 :: v_dual_add_nc_u32 v132, -1, v132
	s_add_co_i32 s65, s65, 8
	s_wait_xcnt 0x0
	s_add_co_i32 s62, s62, 8
	ds_load_b64 v[136:137], v133
	v_cmp_eq_u32_e32 vcc_lo, 0, v132
	s_or_b32 s0, vcc_lo, s0
	s_wait_loadcnt_dscnt 0x0
	v_pk_mul_f32 v[138:139], v[136:137], v[134:135] op_sel:[1,1] op_sel_hi:[0,1]
	s_delay_alu instid0(VALU_DEP_1) | instskip(SKIP_1) | instid1(VALU_DEP_2)
	v_pk_fma_f32 v[140:141], v[136:137], v[134:135], v[138:139] op_sel_hi:[1,0,1]
	v_pk_fma_f32 v[134:135], v[136:137], v[134:135], v[138:139] neg_lo:[0,0,1] neg_hi:[0,0,1]
	v_mov_b32_e32 v135, v141
	s_delay_alu instid0(VALU_DEP_1)
	v_pk_add_f32 v[130:131], v[130:131], v[134:135]
	s_and_not1_b32 exec_lo, exec_lo, s0
	s_cbranch_execnz .LBB126_62
; %bb.63:
	s_or_b32 exec_lo, exec_lo, s0
.LBB126_64:
	s_delay_alu instid0(SALU_CYCLE_1) | instskip(SKIP_4) | instid1(VALU_DEP_1)
	s_or_b32 exec_lo, exec_lo, s64
	v_mov_b32_e32 v132, 0
	ds_load_b64 v[132:133], v132 offset:448
	s_wait_dscnt 0x0
	v_pk_mul_f32 v[134:135], v[130:131], v[132:133] op_sel:[1,1] op_sel_hi:[0,1]
	v_pk_fma_f32 v[136:137], v[130:131], v[132:133], v[134:135] op_sel_hi:[1,0,1]
	v_pk_fma_f32 v[130:131], v[130:131], v[132:133], v[134:135] neg_lo:[0,0,1] neg_hi:[0,0,1]
	s_delay_alu instid0(VALU_DEP_2)
	v_mov_b32_e32 v131, v137
	scratch_store_b64 off, v[130:131], off offset:448
.LBB126_65:
	s_wait_xcnt 0x0
	s_or_b32 exec_lo, exec_lo, s63
	scratch_load_b64 v[130:131], off, off offset:440
	v_cmp_lt_u32_e64 s0, 55, v0
	s_wait_loadcnt 0x0
	ds_store_b64 v1, v[130:131]
	s_wait_storecnt_dscnt 0x0
	s_barrier_signal -1
	s_barrier_wait -1
	s_wait_xcnt 0x0
	s_and_saveexec_b32 s62, s0
	s_cbranch_execz .LBB126_75
; %bb.66:
	s_and_not1_b32 vcc_lo, exec_lo, s5
	s_cbranch_vccnz .LBB126_68
; %bb.67:
	scratch_load_b64 v[130:131], v59, off
	ds_load_b64 v[132:133], v1
	s_wait_loadcnt_dscnt 0x0
	v_pk_mul_f32 v[134:135], v[132:133], v[130:131] op_sel:[1,1] op_sel_hi:[0,1]
	s_delay_alu instid0(VALU_DEP_1) | instskip(SKIP_1) | instid1(VALU_DEP_2)
	v_pk_fma_f32 v[136:137], v[132:133], v[130:131], v[134:135] op_sel_hi:[1,0,1]
	v_pk_fma_f32 v[130:131], v[132:133], v[130:131], v[134:135] neg_lo:[0,0,1] neg_hi:[0,0,1]
	v_mov_b32_e32 v131, v137
	s_cbranch_execz .LBB126_69
	s_branch .LBB126_70
.LBB126_68:
                                        ; implicit-def: $vgpr130_vgpr131
.LBB126_69:
	ds_load_b64 v[130:131], v1
.LBB126_70:
	s_and_saveexec_b32 s63, s1
	s_cbranch_execz .LBB126_74
; %bb.71:
	v_subrev_nc_u32_e32 v132, 56, v0
	s_movk_i32 s64, 0x3c0
	s_mov_b32 s1, 0
.LBB126_72:                             ; =>This Inner Loop Header: Depth=1
	scratch_load_b64 v[134:135], off, s61
	v_dual_mov_b32 v133, s64 :: v_dual_add_nc_u32 v132, -1, v132
	s_add_co_i32 s64, s64, 8
	s_wait_xcnt 0x0
	s_add_co_i32 s61, s61, 8
	ds_load_b64 v[136:137], v133
	v_cmp_eq_u32_e32 vcc_lo, 0, v132
	s_or_b32 s1, vcc_lo, s1
	s_wait_loadcnt_dscnt 0x0
	v_pk_mul_f32 v[138:139], v[136:137], v[134:135] op_sel:[1,1] op_sel_hi:[0,1]
	s_delay_alu instid0(VALU_DEP_1) | instskip(SKIP_1) | instid1(VALU_DEP_2)
	v_pk_fma_f32 v[140:141], v[136:137], v[134:135], v[138:139] op_sel_hi:[1,0,1]
	v_pk_fma_f32 v[134:135], v[136:137], v[134:135], v[138:139] neg_lo:[0,0,1] neg_hi:[0,0,1]
	v_mov_b32_e32 v135, v141
	s_delay_alu instid0(VALU_DEP_1)
	v_pk_add_f32 v[130:131], v[130:131], v[134:135]
	s_and_not1_b32 exec_lo, exec_lo, s1
	s_cbranch_execnz .LBB126_72
; %bb.73:
	s_or_b32 exec_lo, exec_lo, s1
.LBB126_74:
	s_delay_alu instid0(SALU_CYCLE_1) | instskip(SKIP_4) | instid1(VALU_DEP_1)
	s_or_b32 exec_lo, exec_lo, s63
	v_mov_b32_e32 v132, 0
	ds_load_b64 v[132:133], v132 offset:440
	s_wait_dscnt 0x0
	v_pk_mul_f32 v[134:135], v[130:131], v[132:133] op_sel:[1,1] op_sel_hi:[0,1]
	v_pk_fma_f32 v[136:137], v[130:131], v[132:133], v[134:135] op_sel_hi:[1,0,1]
	v_pk_fma_f32 v[130:131], v[130:131], v[132:133], v[134:135] neg_lo:[0,0,1] neg_hi:[0,0,1]
	s_delay_alu instid0(VALU_DEP_2)
	v_mov_b32_e32 v131, v137
	scratch_store_b64 off, v[130:131], off offset:440
.LBB126_75:
	s_wait_xcnt 0x0
	s_or_b32 exec_lo, exec_lo, s62
	scratch_load_b64 v[130:131], off, off offset:432
	v_cmp_lt_u32_e64 s1, 54, v0
	s_wait_loadcnt 0x0
	ds_store_b64 v1, v[130:131]
	s_wait_storecnt_dscnt 0x0
	s_barrier_signal -1
	s_barrier_wait -1
	s_wait_xcnt 0x0
	s_and_saveexec_b32 s61, s1
	s_cbranch_execz .LBB126_85
; %bb.76:
	s_and_not1_b32 vcc_lo, exec_lo, s5
	s_cbranch_vccnz .LBB126_78
; %bb.77:
	scratch_load_b64 v[130:131], v59, off
	ds_load_b64 v[132:133], v1
	s_wait_loadcnt_dscnt 0x0
	v_pk_mul_f32 v[134:135], v[132:133], v[130:131] op_sel:[1,1] op_sel_hi:[0,1]
	s_delay_alu instid0(VALU_DEP_1) | instskip(SKIP_1) | instid1(VALU_DEP_2)
	v_pk_fma_f32 v[136:137], v[132:133], v[130:131], v[134:135] op_sel_hi:[1,0,1]
	v_pk_fma_f32 v[130:131], v[132:133], v[130:131], v[134:135] neg_lo:[0,0,1] neg_hi:[0,0,1]
	v_mov_b32_e32 v131, v137
	s_cbranch_execz .LBB126_79
	s_branch .LBB126_80
.LBB126_78:
                                        ; implicit-def: $vgpr130_vgpr131
.LBB126_79:
	ds_load_b64 v[130:131], v1
.LBB126_80:
	s_and_saveexec_b32 s62, s0
	s_cbranch_execz .LBB126_84
; %bb.81:
	v_subrev_nc_u32_e32 v132, 55, v0
	s_movk_i32 s63, 0x3b8
	s_mov_b32 s0, 0
.LBB126_82:                             ; =>This Inner Loop Header: Depth=1
	scratch_load_b64 v[134:135], off, s60
	v_dual_mov_b32 v133, s63 :: v_dual_add_nc_u32 v132, -1, v132
	s_add_co_i32 s63, s63, 8
	s_wait_xcnt 0x0
	s_add_co_i32 s60, s60, 8
	ds_load_b64 v[136:137], v133
	v_cmp_eq_u32_e32 vcc_lo, 0, v132
	s_or_b32 s0, vcc_lo, s0
	s_wait_loadcnt_dscnt 0x0
	v_pk_mul_f32 v[138:139], v[136:137], v[134:135] op_sel:[1,1] op_sel_hi:[0,1]
	s_delay_alu instid0(VALU_DEP_1) | instskip(SKIP_1) | instid1(VALU_DEP_2)
	v_pk_fma_f32 v[140:141], v[136:137], v[134:135], v[138:139] op_sel_hi:[1,0,1]
	v_pk_fma_f32 v[134:135], v[136:137], v[134:135], v[138:139] neg_lo:[0,0,1] neg_hi:[0,0,1]
	v_mov_b32_e32 v135, v141
	s_delay_alu instid0(VALU_DEP_1)
	v_pk_add_f32 v[130:131], v[130:131], v[134:135]
	s_and_not1_b32 exec_lo, exec_lo, s0
	s_cbranch_execnz .LBB126_82
; %bb.83:
	s_or_b32 exec_lo, exec_lo, s0
.LBB126_84:
	s_delay_alu instid0(SALU_CYCLE_1) | instskip(SKIP_4) | instid1(VALU_DEP_1)
	s_or_b32 exec_lo, exec_lo, s62
	v_mov_b32_e32 v132, 0
	ds_load_b64 v[132:133], v132 offset:432
	s_wait_dscnt 0x0
	v_pk_mul_f32 v[134:135], v[130:131], v[132:133] op_sel:[1,1] op_sel_hi:[0,1]
	v_pk_fma_f32 v[136:137], v[130:131], v[132:133], v[134:135] op_sel_hi:[1,0,1]
	v_pk_fma_f32 v[130:131], v[130:131], v[132:133], v[134:135] neg_lo:[0,0,1] neg_hi:[0,0,1]
	s_delay_alu instid0(VALU_DEP_2)
	v_mov_b32_e32 v131, v137
	scratch_store_b64 off, v[130:131], off offset:432
.LBB126_85:
	s_wait_xcnt 0x0
	s_or_b32 exec_lo, exec_lo, s61
	scratch_load_b64 v[130:131], off, off offset:424
	v_cmp_lt_u32_e64 s0, 53, v0
	s_wait_loadcnt 0x0
	ds_store_b64 v1, v[130:131]
	s_wait_storecnt_dscnt 0x0
	s_barrier_signal -1
	s_barrier_wait -1
	s_wait_xcnt 0x0
	s_and_saveexec_b32 s60, s0
	s_cbranch_execz .LBB126_95
; %bb.86:
	s_and_not1_b32 vcc_lo, exec_lo, s5
	s_cbranch_vccnz .LBB126_88
; %bb.87:
	scratch_load_b64 v[130:131], v59, off
	ds_load_b64 v[132:133], v1
	s_wait_loadcnt_dscnt 0x0
	v_pk_mul_f32 v[134:135], v[132:133], v[130:131] op_sel:[1,1] op_sel_hi:[0,1]
	s_delay_alu instid0(VALU_DEP_1) | instskip(SKIP_1) | instid1(VALU_DEP_2)
	v_pk_fma_f32 v[136:137], v[132:133], v[130:131], v[134:135] op_sel_hi:[1,0,1]
	v_pk_fma_f32 v[130:131], v[132:133], v[130:131], v[134:135] neg_lo:[0,0,1] neg_hi:[0,0,1]
	v_mov_b32_e32 v131, v137
	s_cbranch_execz .LBB126_89
	s_branch .LBB126_90
.LBB126_88:
                                        ; implicit-def: $vgpr130_vgpr131
.LBB126_89:
	ds_load_b64 v[130:131], v1
.LBB126_90:
	s_and_saveexec_b32 s61, s1
	s_cbranch_execz .LBB126_94
; %bb.91:
	v_subrev_nc_u32_e32 v132, 54, v0
	s_movk_i32 s62, 0x3b0
	s_mov_b32 s1, 0
.LBB126_92:                             ; =>This Inner Loop Header: Depth=1
	scratch_load_b64 v[134:135], off, s59
	v_dual_mov_b32 v133, s62 :: v_dual_add_nc_u32 v132, -1, v132
	s_add_co_i32 s62, s62, 8
	s_wait_xcnt 0x0
	s_add_co_i32 s59, s59, 8
	ds_load_b64 v[136:137], v133
	v_cmp_eq_u32_e32 vcc_lo, 0, v132
	s_or_b32 s1, vcc_lo, s1
	s_wait_loadcnt_dscnt 0x0
	v_pk_mul_f32 v[138:139], v[136:137], v[134:135] op_sel:[1,1] op_sel_hi:[0,1]
	s_delay_alu instid0(VALU_DEP_1) | instskip(SKIP_1) | instid1(VALU_DEP_2)
	v_pk_fma_f32 v[140:141], v[136:137], v[134:135], v[138:139] op_sel_hi:[1,0,1]
	v_pk_fma_f32 v[134:135], v[136:137], v[134:135], v[138:139] neg_lo:[0,0,1] neg_hi:[0,0,1]
	v_mov_b32_e32 v135, v141
	s_delay_alu instid0(VALU_DEP_1)
	v_pk_add_f32 v[130:131], v[130:131], v[134:135]
	s_and_not1_b32 exec_lo, exec_lo, s1
	s_cbranch_execnz .LBB126_92
; %bb.93:
	s_or_b32 exec_lo, exec_lo, s1
.LBB126_94:
	s_delay_alu instid0(SALU_CYCLE_1) | instskip(SKIP_4) | instid1(VALU_DEP_1)
	s_or_b32 exec_lo, exec_lo, s61
	v_mov_b32_e32 v132, 0
	ds_load_b64 v[132:133], v132 offset:424
	s_wait_dscnt 0x0
	v_pk_mul_f32 v[134:135], v[130:131], v[132:133] op_sel:[1,1] op_sel_hi:[0,1]
	v_pk_fma_f32 v[136:137], v[130:131], v[132:133], v[134:135] op_sel_hi:[1,0,1]
	v_pk_fma_f32 v[130:131], v[130:131], v[132:133], v[134:135] neg_lo:[0,0,1] neg_hi:[0,0,1]
	s_delay_alu instid0(VALU_DEP_2)
	v_mov_b32_e32 v131, v137
	scratch_store_b64 off, v[130:131], off offset:424
.LBB126_95:
	s_wait_xcnt 0x0
	s_or_b32 exec_lo, exec_lo, s60
	scratch_load_b64 v[130:131], off, off offset:416
	v_cmp_lt_u32_e64 s1, 52, v0
	s_wait_loadcnt 0x0
	ds_store_b64 v1, v[130:131]
	s_wait_storecnt_dscnt 0x0
	s_barrier_signal -1
	s_barrier_wait -1
	s_wait_xcnt 0x0
	s_and_saveexec_b32 s59, s1
	s_cbranch_execz .LBB126_105
; %bb.96:
	s_and_not1_b32 vcc_lo, exec_lo, s5
	s_cbranch_vccnz .LBB126_98
; %bb.97:
	scratch_load_b64 v[130:131], v59, off
	ds_load_b64 v[132:133], v1
	s_wait_loadcnt_dscnt 0x0
	v_pk_mul_f32 v[134:135], v[132:133], v[130:131] op_sel:[1,1] op_sel_hi:[0,1]
	s_delay_alu instid0(VALU_DEP_1) | instskip(SKIP_1) | instid1(VALU_DEP_2)
	v_pk_fma_f32 v[136:137], v[132:133], v[130:131], v[134:135] op_sel_hi:[1,0,1]
	v_pk_fma_f32 v[130:131], v[132:133], v[130:131], v[134:135] neg_lo:[0,0,1] neg_hi:[0,0,1]
	v_mov_b32_e32 v131, v137
	s_cbranch_execz .LBB126_99
	s_branch .LBB126_100
.LBB126_98:
                                        ; implicit-def: $vgpr130_vgpr131
.LBB126_99:
	ds_load_b64 v[130:131], v1
.LBB126_100:
	s_and_saveexec_b32 s60, s0
	s_cbranch_execz .LBB126_104
; %bb.101:
	v_subrev_nc_u32_e32 v132, 53, v0
	s_movk_i32 s61, 0x3a8
	s_mov_b32 s0, 0
.LBB126_102:                            ; =>This Inner Loop Header: Depth=1
	scratch_load_b64 v[134:135], off, s58
	v_dual_mov_b32 v133, s61 :: v_dual_add_nc_u32 v132, -1, v132
	s_add_co_i32 s61, s61, 8
	s_wait_xcnt 0x0
	s_add_co_i32 s58, s58, 8
	ds_load_b64 v[136:137], v133
	v_cmp_eq_u32_e32 vcc_lo, 0, v132
	s_or_b32 s0, vcc_lo, s0
	s_wait_loadcnt_dscnt 0x0
	v_pk_mul_f32 v[138:139], v[136:137], v[134:135] op_sel:[1,1] op_sel_hi:[0,1]
	s_delay_alu instid0(VALU_DEP_1) | instskip(SKIP_1) | instid1(VALU_DEP_2)
	v_pk_fma_f32 v[140:141], v[136:137], v[134:135], v[138:139] op_sel_hi:[1,0,1]
	v_pk_fma_f32 v[134:135], v[136:137], v[134:135], v[138:139] neg_lo:[0,0,1] neg_hi:[0,0,1]
	v_mov_b32_e32 v135, v141
	s_delay_alu instid0(VALU_DEP_1)
	v_pk_add_f32 v[130:131], v[130:131], v[134:135]
	s_and_not1_b32 exec_lo, exec_lo, s0
	s_cbranch_execnz .LBB126_102
; %bb.103:
	s_or_b32 exec_lo, exec_lo, s0
.LBB126_104:
	s_delay_alu instid0(SALU_CYCLE_1) | instskip(SKIP_4) | instid1(VALU_DEP_1)
	s_or_b32 exec_lo, exec_lo, s60
	v_mov_b32_e32 v132, 0
	ds_load_b64 v[132:133], v132 offset:416
	s_wait_dscnt 0x0
	v_pk_mul_f32 v[134:135], v[130:131], v[132:133] op_sel:[1,1] op_sel_hi:[0,1]
	v_pk_fma_f32 v[136:137], v[130:131], v[132:133], v[134:135] op_sel_hi:[1,0,1]
	v_pk_fma_f32 v[130:131], v[130:131], v[132:133], v[134:135] neg_lo:[0,0,1] neg_hi:[0,0,1]
	s_delay_alu instid0(VALU_DEP_2)
	v_mov_b32_e32 v131, v137
	scratch_store_b64 off, v[130:131], off offset:416
.LBB126_105:
	s_wait_xcnt 0x0
	s_or_b32 exec_lo, exec_lo, s59
	scratch_load_b64 v[130:131], off, off offset:408
	v_cmp_lt_u32_e64 s0, 51, v0
	s_wait_loadcnt 0x0
	ds_store_b64 v1, v[130:131]
	s_wait_storecnt_dscnt 0x0
	s_barrier_signal -1
	s_barrier_wait -1
	s_wait_xcnt 0x0
	s_and_saveexec_b32 s58, s0
	s_cbranch_execz .LBB126_115
; %bb.106:
	s_and_not1_b32 vcc_lo, exec_lo, s5
	s_cbranch_vccnz .LBB126_108
; %bb.107:
	scratch_load_b64 v[130:131], v59, off
	ds_load_b64 v[132:133], v1
	s_wait_loadcnt_dscnt 0x0
	v_pk_mul_f32 v[134:135], v[132:133], v[130:131] op_sel:[1,1] op_sel_hi:[0,1]
	s_delay_alu instid0(VALU_DEP_1) | instskip(SKIP_1) | instid1(VALU_DEP_2)
	v_pk_fma_f32 v[136:137], v[132:133], v[130:131], v[134:135] op_sel_hi:[1,0,1]
	v_pk_fma_f32 v[130:131], v[132:133], v[130:131], v[134:135] neg_lo:[0,0,1] neg_hi:[0,0,1]
	v_mov_b32_e32 v131, v137
	s_cbranch_execz .LBB126_109
	s_branch .LBB126_110
.LBB126_108:
                                        ; implicit-def: $vgpr130_vgpr131
.LBB126_109:
	ds_load_b64 v[130:131], v1
.LBB126_110:
	s_and_saveexec_b32 s59, s1
	s_cbranch_execz .LBB126_114
; %bb.111:
	v_subrev_nc_u32_e32 v132, 52, v0
	s_movk_i32 s60, 0x3a0
	s_mov_b32 s1, 0
.LBB126_112:                            ; =>This Inner Loop Header: Depth=1
	scratch_load_b64 v[134:135], off, s57
	v_dual_mov_b32 v133, s60 :: v_dual_add_nc_u32 v132, -1, v132
	s_add_co_i32 s60, s60, 8
	s_wait_xcnt 0x0
	s_add_co_i32 s57, s57, 8
	ds_load_b64 v[136:137], v133
	v_cmp_eq_u32_e32 vcc_lo, 0, v132
	s_or_b32 s1, vcc_lo, s1
	s_wait_loadcnt_dscnt 0x0
	v_pk_mul_f32 v[138:139], v[136:137], v[134:135] op_sel:[1,1] op_sel_hi:[0,1]
	s_delay_alu instid0(VALU_DEP_1) | instskip(SKIP_1) | instid1(VALU_DEP_2)
	v_pk_fma_f32 v[140:141], v[136:137], v[134:135], v[138:139] op_sel_hi:[1,0,1]
	v_pk_fma_f32 v[134:135], v[136:137], v[134:135], v[138:139] neg_lo:[0,0,1] neg_hi:[0,0,1]
	v_mov_b32_e32 v135, v141
	s_delay_alu instid0(VALU_DEP_1)
	v_pk_add_f32 v[130:131], v[130:131], v[134:135]
	s_and_not1_b32 exec_lo, exec_lo, s1
	s_cbranch_execnz .LBB126_112
; %bb.113:
	s_or_b32 exec_lo, exec_lo, s1
.LBB126_114:
	s_delay_alu instid0(SALU_CYCLE_1) | instskip(SKIP_4) | instid1(VALU_DEP_1)
	s_or_b32 exec_lo, exec_lo, s59
	v_mov_b32_e32 v132, 0
	ds_load_b64 v[132:133], v132 offset:408
	s_wait_dscnt 0x0
	v_pk_mul_f32 v[134:135], v[130:131], v[132:133] op_sel:[1,1] op_sel_hi:[0,1]
	v_pk_fma_f32 v[136:137], v[130:131], v[132:133], v[134:135] op_sel_hi:[1,0,1]
	v_pk_fma_f32 v[130:131], v[130:131], v[132:133], v[134:135] neg_lo:[0,0,1] neg_hi:[0,0,1]
	s_delay_alu instid0(VALU_DEP_2)
	v_mov_b32_e32 v131, v137
	scratch_store_b64 off, v[130:131], off offset:408
.LBB126_115:
	s_wait_xcnt 0x0
	s_or_b32 exec_lo, exec_lo, s58
	scratch_load_b64 v[130:131], off, off offset:400
	v_cmp_lt_u32_e64 s1, 50, v0
	s_wait_loadcnt 0x0
	ds_store_b64 v1, v[130:131]
	s_wait_storecnt_dscnt 0x0
	s_barrier_signal -1
	s_barrier_wait -1
	s_wait_xcnt 0x0
	s_and_saveexec_b32 s57, s1
	s_cbranch_execz .LBB126_125
; %bb.116:
	s_and_not1_b32 vcc_lo, exec_lo, s5
	s_cbranch_vccnz .LBB126_118
; %bb.117:
	scratch_load_b64 v[130:131], v59, off
	ds_load_b64 v[132:133], v1
	s_wait_loadcnt_dscnt 0x0
	v_pk_mul_f32 v[134:135], v[132:133], v[130:131] op_sel:[1,1] op_sel_hi:[0,1]
	s_delay_alu instid0(VALU_DEP_1) | instskip(SKIP_1) | instid1(VALU_DEP_2)
	v_pk_fma_f32 v[136:137], v[132:133], v[130:131], v[134:135] op_sel_hi:[1,0,1]
	v_pk_fma_f32 v[130:131], v[132:133], v[130:131], v[134:135] neg_lo:[0,0,1] neg_hi:[0,0,1]
	v_mov_b32_e32 v131, v137
	s_cbranch_execz .LBB126_119
	s_branch .LBB126_120
.LBB126_118:
                                        ; implicit-def: $vgpr130_vgpr131
.LBB126_119:
	ds_load_b64 v[130:131], v1
.LBB126_120:
	s_and_saveexec_b32 s58, s0
	s_cbranch_execz .LBB126_124
; %bb.121:
	v_subrev_nc_u32_e32 v132, 51, v0
	s_movk_i32 s59, 0x398
	s_mov_b32 s0, 0
.LBB126_122:                            ; =>This Inner Loop Header: Depth=1
	scratch_load_b64 v[134:135], off, s56
	v_dual_mov_b32 v133, s59 :: v_dual_add_nc_u32 v132, -1, v132
	s_add_co_i32 s59, s59, 8
	s_wait_xcnt 0x0
	s_add_co_i32 s56, s56, 8
	ds_load_b64 v[136:137], v133
	v_cmp_eq_u32_e32 vcc_lo, 0, v132
	s_or_b32 s0, vcc_lo, s0
	s_wait_loadcnt_dscnt 0x0
	v_pk_mul_f32 v[138:139], v[136:137], v[134:135] op_sel:[1,1] op_sel_hi:[0,1]
	s_delay_alu instid0(VALU_DEP_1) | instskip(SKIP_1) | instid1(VALU_DEP_2)
	v_pk_fma_f32 v[140:141], v[136:137], v[134:135], v[138:139] op_sel_hi:[1,0,1]
	v_pk_fma_f32 v[134:135], v[136:137], v[134:135], v[138:139] neg_lo:[0,0,1] neg_hi:[0,0,1]
	v_mov_b32_e32 v135, v141
	s_delay_alu instid0(VALU_DEP_1)
	v_pk_add_f32 v[130:131], v[130:131], v[134:135]
	s_and_not1_b32 exec_lo, exec_lo, s0
	s_cbranch_execnz .LBB126_122
; %bb.123:
	s_or_b32 exec_lo, exec_lo, s0
.LBB126_124:
	s_delay_alu instid0(SALU_CYCLE_1) | instskip(SKIP_4) | instid1(VALU_DEP_1)
	s_or_b32 exec_lo, exec_lo, s58
	v_mov_b32_e32 v132, 0
	ds_load_b64 v[132:133], v132 offset:400
	s_wait_dscnt 0x0
	v_pk_mul_f32 v[134:135], v[130:131], v[132:133] op_sel:[1,1] op_sel_hi:[0,1]
	v_pk_fma_f32 v[136:137], v[130:131], v[132:133], v[134:135] op_sel_hi:[1,0,1]
	v_pk_fma_f32 v[130:131], v[130:131], v[132:133], v[134:135] neg_lo:[0,0,1] neg_hi:[0,0,1]
	s_delay_alu instid0(VALU_DEP_2)
	v_mov_b32_e32 v131, v137
	scratch_store_b64 off, v[130:131], off offset:400
.LBB126_125:
	s_wait_xcnt 0x0
	s_or_b32 exec_lo, exec_lo, s57
	scratch_load_b64 v[130:131], off, off offset:392
	v_cmp_lt_u32_e64 s0, 49, v0
	s_wait_loadcnt 0x0
	ds_store_b64 v1, v[130:131]
	s_wait_storecnt_dscnt 0x0
	s_barrier_signal -1
	s_barrier_wait -1
	s_wait_xcnt 0x0
	s_and_saveexec_b32 s56, s0
	s_cbranch_execz .LBB126_135
; %bb.126:
	s_and_not1_b32 vcc_lo, exec_lo, s5
	s_cbranch_vccnz .LBB126_128
; %bb.127:
	scratch_load_b64 v[130:131], v59, off
	ds_load_b64 v[132:133], v1
	s_wait_loadcnt_dscnt 0x0
	v_pk_mul_f32 v[134:135], v[132:133], v[130:131] op_sel:[1,1] op_sel_hi:[0,1]
	s_delay_alu instid0(VALU_DEP_1) | instskip(SKIP_1) | instid1(VALU_DEP_2)
	v_pk_fma_f32 v[136:137], v[132:133], v[130:131], v[134:135] op_sel_hi:[1,0,1]
	v_pk_fma_f32 v[130:131], v[132:133], v[130:131], v[134:135] neg_lo:[0,0,1] neg_hi:[0,0,1]
	v_mov_b32_e32 v131, v137
	s_cbranch_execz .LBB126_129
	s_branch .LBB126_130
.LBB126_128:
                                        ; implicit-def: $vgpr130_vgpr131
.LBB126_129:
	ds_load_b64 v[130:131], v1
.LBB126_130:
	s_and_saveexec_b32 s57, s1
	s_cbranch_execz .LBB126_134
; %bb.131:
	v_subrev_nc_u32_e32 v132, 50, v0
	s_movk_i32 s58, 0x390
	s_mov_b32 s1, 0
.LBB126_132:                            ; =>This Inner Loop Header: Depth=1
	scratch_load_b64 v[134:135], off, s55
	v_dual_mov_b32 v133, s58 :: v_dual_add_nc_u32 v132, -1, v132
	s_add_co_i32 s58, s58, 8
	s_wait_xcnt 0x0
	s_add_co_i32 s55, s55, 8
	ds_load_b64 v[136:137], v133
	v_cmp_eq_u32_e32 vcc_lo, 0, v132
	s_or_b32 s1, vcc_lo, s1
	s_wait_loadcnt_dscnt 0x0
	v_pk_mul_f32 v[138:139], v[136:137], v[134:135] op_sel:[1,1] op_sel_hi:[0,1]
	s_delay_alu instid0(VALU_DEP_1) | instskip(SKIP_1) | instid1(VALU_DEP_2)
	v_pk_fma_f32 v[140:141], v[136:137], v[134:135], v[138:139] op_sel_hi:[1,0,1]
	v_pk_fma_f32 v[134:135], v[136:137], v[134:135], v[138:139] neg_lo:[0,0,1] neg_hi:[0,0,1]
	v_mov_b32_e32 v135, v141
	s_delay_alu instid0(VALU_DEP_1)
	v_pk_add_f32 v[130:131], v[130:131], v[134:135]
	s_and_not1_b32 exec_lo, exec_lo, s1
	s_cbranch_execnz .LBB126_132
; %bb.133:
	s_or_b32 exec_lo, exec_lo, s1
.LBB126_134:
	s_delay_alu instid0(SALU_CYCLE_1) | instskip(SKIP_4) | instid1(VALU_DEP_1)
	s_or_b32 exec_lo, exec_lo, s57
	v_mov_b32_e32 v132, 0
	ds_load_b64 v[132:133], v132 offset:392
	s_wait_dscnt 0x0
	v_pk_mul_f32 v[134:135], v[130:131], v[132:133] op_sel:[1,1] op_sel_hi:[0,1]
	v_pk_fma_f32 v[136:137], v[130:131], v[132:133], v[134:135] op_sel_hi:[1,0,1]
	v_pk_fma_f32 v[130:131], v[130:131], v[132:133], v[134:135] neg_lo:[0,0,1] neg_hi:[0,0,1]
	s_delay_alu instid0(VALU_DEP_2)
	v_mov_b32_e32 v131, v137
	scratch_store_b64 off, v[130:131], off offset:392
.LBB126_135:
	s_wait_xcnt 0x0
	s_or_b32 exec_lo, exec_lo, s56
	scratch_load_b64 v[130:131], off, off offset:384
	v_cmp_lt_u32_e64 s1, 48, v0
	s_wait_loadcnt 0x0
	ds_store_b64 v1, v[130:131]
	s_wait_storecnt_dscnt 0x0
	s_barrier_signal -1
	s_barrier_wait -1
	s_wait_xcnt 0x0
	s_and_saveexec_b32 s55, s1
	s_cbranch_execz .LBB126_145
; %bb.136:
	s_and_not1_b32 vcc_lo, exec_lo, s5
	s_cbranch_vccnz .LBB126_138
; %bb.137:
	scratch_load_b64 v[130:131], v59, off
	ds_load_b64 v[132:133], v1
	s_wait_loadcnt_dscnt 0x0
	v_pk_mul_f32 v[134:135], v[132:133], v[130:131] op_sel:[1,1] op_sel_hi:[0,1]
	s_delay_alu instid0(VALU_DEP_1) | instskip(SKIP_1) | instid1(VALU_DEP_2)
	v_pk_fma_f32 v[136:137], v[132:133], v[130:131], v[134:135] op_sel_hi:[1,0,1]
	v_pk_fma_f32 v[130:131], v[132:133], v[130:131], v[134:135] neg_lo:[0,0,1] neg_hi:[0,0,1]
	v_mov_b32_e32 v131, v137
	s_cbranch_execz .LBB126_139
	s_branch .LBB126_140
.LBB126_138:
                                        ; implicit-def: $vgpr130_vgpr131
.LBB126_139:
	ds_load_b64 v[130:131], v1
.LBB126_140:
	s_and_saveexec_b32 s56, s0
	s_cbranch_execz .LBB126_144
; %bb.141:
	v_subrev_nc_u32_e32 v132, 49, v0
	s_movk_i32 s57, 0x388
	s_mov_b32 s0, 0
.LBB126_142:                            ; =>This Inner Loop Header: Depth=1
	scratch_load_b64 v[134:135], off, s54
	v_dual_mov_b32 v133, s57 :: v_dual_add_nc_u32 v132, -1, v132
	s_add_co_i32 s57, s57, 8
	s_wait_xcnt 0x0
	s_add_co_i32 s54, s54, 8
	ds_load_b64 v[136:137], v133
	v_cmp_eq_u32_e32 vcc_lo, 0, v132
	s_or_b32 s0, vcc_lo, s0
	s_wait_loadcnt_dscnt 0x0
	v_pk_mul_f32 v[138:139], v[136:137], v[134:135] op_sel:[1,1] op_sel_hi:[0,1]
	s_delay_alu instid0(VALU_DEP_1) | instskip(SKIP_1) | instid1(VALU_DEP_2)
	v_pk_fma_f32 v[140:141], v[136:137], v[134:135], v[138:139] op_sel_hi:[1,0,1]
	v_pk_fma_f32 v[134:135], v[136:137], v[134:135], v[138:139] neg_lo:[0,0,1] neg_hi:[0,0,1]
	v_mov_b32_e32 v135, v141
	s_delay_alu instid0(VALU_DEP_1)
	v_pk_add_f32 v[130:131], v[130:131], v[134:135]
	s_and_not1_b32 exec_lo, exec_lo, s0
	s_cbranch_execnz .LBB126_142
; %bb.143:
	s_or_b32 exec_lo, exec_lo, s0
.LBB126_144:
	s_delay_alu instid0(SALU_CYCLE_1) | instskip(SKIP_4) | instid1(VALU_DEP_1)
	s_or_b32 exec_lo, exec_lo, s56
	v_mov_b32_e32 v132, 0
	ds_load_b64 v[132:133], v132 offset:384
	s_wait_dscnt 0x0
	v_pk_mul_f32 v[134:135], v[130:131], v[132:133] op_sel:[1,1] op_sel_hi:[0,1]
	v_pk_fma_f32 v[136:137], v[130:131], v[132:133], v[134:135] op_sel_hi:[1,0,1]
	v_pk_fma_f32 v[130:131], v[130:131], v[132:133], v[134:135] neg_lo:[0,0,1] neg_hi:[0,0,1]
	s_delay_alu instid0(VALU_DEP_2)
	v_mov_b32_e32 v131, v137
	scratch_store_b64 off, v[130:131], off offset:384
.LBB126_145:
	s_wait_xcnt 0x0
	s_or_b32 exec_lo, exec_lo, s55
	scratch_load_b64 v[130:131], off, off offset:376
	v_cmp_lt_u32_e64 s0, 47, v0
	s_wait_loadcnt 0x0
	ds_store_b64 v1, v[130:131]
	s_wait_storecnt_dscnt 0x0
	s_barrier_signal -1
	s_barrier_wait -1
	s_wait_xcnt 0x0
	s_and_saveexec_b32 s54, s0
	s_cbranch_execz .LBB126_155
; %bb.146:
	s_and_not1_b32 vcc_lo, exec_lo, s5
	s_cbranch_vccnz .LBB126_148
; %bb.147:
	scratch_load_b64 v[130:131], v59, off
	ds_load_b64 v[132:133], v1
	s_wait_loadcnt_dscnt 0x0
	v_pk_mul_f32 v[134:135], v[132:133], v[130:131] op_sel:[1,1] op_sel_hi:[0,1]
	s_delay_alu instid0(VALU_DEP_1) | instskip(SKIP_1) | instid1(VALU_DEP_2)
	v_pk_fma_f32 v[136:137], v[132:133], v[130:131], v[134:135] op_sel_hi:[1,0,1]
	v_pk_fma_f32 v[130:131], v[132:133], v[130:131], v[134:135] neg_lo:[0,0,1] neg_hi:[0,0,1]
	v_mov_b32_e32 v131, v137
	s_cbranch_execz .LBB126_149
	s_branch .LBB126_150
.LBB126_148:
                                        ; implicit-def: $vgpr130_vgpr131
.LBB126_149:
	ds_load_b64 v[130:131], v1
.LBB126_150:
	s_and_saveexec_b32 s55, s1
	s_cbranch_execz .LBB126_154
; %bb.151:
	v_subrev_nc_u32_e32 v132, 48, v0
	s_movk_i32 s56, 0x380
	s_mov_b32 s1, 0
.LBB126_152:                            ; =>This Inner Loop Header: Depth=1
	scratch_load_b64 v[134:135], off, s53
	v_dual_mov_b32 v133, s56 :: v_dual_add_nc_u32 v132, -1, v132
	s_add_co_i32 s56, s56, 8
	s_wait_xcnt 0x0
	s_add_co_i32 s53, s53, 8
	ds_load_b64 v[136:137], v133
	v_cmp_eq_u32_e32 vcc_lo, 0, v132
	s_or_b32 s1, vcc_lo, s1
	s_wait_loadcnt_dscnt 0x0
	v_pk_mul_f32 v[138:139], v[136:137], v[134:135] op_sel:[1,1] op_sel_hi:[0,1]
	s_delay_alu instid0(VALU_DEP_1) | instskip(SKIP_1) | instid1(VALU_DEP_2)
	v_pk_fma_f32 v[140:141], v[136:137], v[134:135], v[138:139] op_sel_hi:[1,0,1]
	v_pk_fma_f32 v[134:135], v[136:137], v[134:135], v[138:139] neg_lo:[0,0,1] neg_hi:[0,0,1]
	v_mov_b32_e32 v135, v141
	s_delay_alu instid0(VALU_DEP_1)
	v_pk_add_f32 v[130:131], v[130:131], v[134:135]
	s_and_not1_b32 exec_lo, exec_lo, s1
	s_cbranch_execnz .LBB126_152
; %bb.153:
	s_or_b32 exec_lo, exec_lo, s1
.LBB126_154:
	s_delay_alu instid0(SALU_CYCLE_1) | instskip(SKIP_4) | instid1(VALU_DEP_1)
	s_or_b32 exec_lo, exec_lo, s55
	v_mov_b32_e32 v132, 0
	ds_load_b64 v[132:133], v132 offset:376
	s_wait_dscnt 0x0
	v_pk_mul_f32 v[134:135], v[130:131], v[132:133] op_sel:[1,1] op_sel_hi:[0,1]
	v_pk_fma_f32 v[136:137], v[130:131], v[132:133], v[134:135] op_sel_hi:[1,0,1]
	v_pk_fma_f32 v[130:131], v[130:131], v[132:133], v[134:135] neg_lo:[0,0,1] neg_hi:[0,0,1]
	s_delay_alu instid0(VALU_DEP_2)
	v_mov_b32_e32 v131, v137
	scratch_store_b64 off, v[130:131], off offset:376
.LBB126_155:
	s_wait_xcnt 0x0
	s_or_b32 exec_lo, exec_lo, s54
	scratch_load_b64 v[130:131], off, off offset:368
	v_cmp_lt_u32_e64 s1, 46, v0
	s_wait_loadcnt 0x0
	ds_store_b64 v1, v[130:131]
	s_wait_storecnt_dscnt 0x0
	s_barrier_signal -1
	s_barrier_wait -1
	s_wait_xcnt 0x0
	s_and_saveexec_b32 s53, s1
	s_cbranch_execz .LBB126_165
; %bb.156:
	s_and_not1_b32 vcc_lo, exec_lo, s5
	s_cbranch_vccnz .LBB126_158
; %bb.157:
	scratch_load_b64 v[130:131], v59, off
	ds_load_b64 v[132:133], v1
	s_wait_loadcnt_dscnt 0x0
	v_pk_mul_f32 v[134:135], v[132:133], v[130:131] op_sel:[1,1] op_sel_hi:[0,1]
	s_delay_alu instid0(VALU_DEP_1) | instskip(SKIP_1) | instid1(VALU_DEP_2)
	v_pk_fma_f32 v[136:137], v[132:133], v[130:131], v[134:135] op_sel_hi:[1,0,1]
	v_pk_fma_f32 v[130:131], v[132:133], v[130:131], v[134:135] neg_lo:[0,0,1] neg_hi:[0,0,1]
	v_mov_b32_e32 v131, v137
	s_cbranch_execz .LBB126_159
	s_branch .LBB126_160
.LBB126_158:
                                        ; implicit-def: $vgpr130_vgpr131
.LBB126_159:
	ds_load_b64 v[130:131], v1
.LBB126_160:
	s_and_saveexec_b32 s54, s0
	s_cbranch_execz .LBB126_164
; %bb.161:
	v_subrev_nc_u32_e32 v132, 47, v0
	s_movk_i32 s55, 0x378
	s_mov_b32 s0, 0
.LBB126_162:                            ; =>This Inner Loop Header: Depth=1
	scratch_load_b64 v[134:135], off, s52
	v_dual_mov_b32 v133, s55 :: v_dual_add_nc_u32 v132, -1, v132
	s_add_co_i32 s55, s55, 8
	s_wait_xcnt 0x0
	s_add_co_i32 s52, s52, 8
	ds_load_b64 v[136:137], v133
	v_cmp_eq_u32_e32 vcc_lo, 0, v132
	s_or_b32 s0, vcc_lo, s0
	s_wait_loadcnt_dscnt 0x0
	v_pk_mul_f32 v[138:139], v[136:137], v[134:135] op_sel:[1,1] op_sel_hi:[0,1]
	s_delay_alu instid0(VALU_DEP_1) | instskip(SKIP_1) | instid1(VALU_DEP_2)
	v_pk_fma_f32 v[140:141], v[136:137], v[134:135], v[138:139] op_sel_hi:[1,0,1]
	v_pk_fma_f32 v[134:135], v[136:137], v[134:135], v[138:139] neg_lo:[0,0,1] neg_hi:[0,0,1]
	v_mov_b32_e32 v135, v141
	s_delay_alu instid0(VALU_DEP_1)
	v_pk_add_f32 v[130:131], v[130:131], v[134:135]
	s_and_not1_b32 exec_lo, exec_lo, s0
	s_cbranch_execnz .LBB126_162
; %bb.163:
	s_or_b32 exec_lo, exec_lo, s0
.LBB126_164:
	s_delay_alu instid0(SALU_CYCLE_1) | instskip(SKIP_4) | instid1(VALU_DEP_1)
	s_or_b32 exec_lo, exec_lo, s54
	v_mov_b32_e32 v132, 0
	ds_load_b64 v[132:133], v132 offset:368
	s_wait_dscnt 0x0
	v_pk_mul_f32 v[134:135], v[130:131], v[132:133] op_sel:[1,1] op_sel_hi:[0,1]
	v_pk_fma_f32 v[136:137], v[130:131], v[132:133], v[134:135] op_sel_hi:[1,0,1]
	v_pk_fma_f32 v[130:131], v[130:131], v[132:133], v[134:135] neg_lo:[0,0,1] neg_hi:[0,0,1]
	s_delay_alu instid0(VALU_DEP_2)
	v_mov_b32_e32 v131, v137
	scratch_store_b64 off, v[130:131], off offset:368
.LBB126_165:
	s_wait_xcnt 0x0
	s_or_b32 exec_lo, exec_lo, s53
	scratch_load_b64 v[130:131], off, off offset:360
	v_cmp_lt_u32_e64 s0, 45, v0
	s_wait_loadcnt 0x0
	ds_store_b64 v1, v[130:131]
	s_wait_storecnt_dscnt 0x0
	s_barrier_signal -1
	s_barrier_wait -1
	s_wait_xcnt 0x0
	s_and_saveexec_b32 s52, s0
	s_cbranch_execz .LBB126_175
; %bb.166:
	s_and_not1_b32 vcc_lo, exec_lo, s5
	s_cbranch_vccnz .LBB126_168
; %bb.167:
	scratch_load_b64 v[130:131], v59, off
	ds_load_b64 v[132:133], v1
	s_wait_loadcnt_dscnt 0x0
	v_pk_mul_f32 v[134:135], v[132:133], v[130:131] op_sel:[1,1] op_sel_hi:[0,1]
	s_delay_alu instid0(VALU_DEP_1) | instskip(SKIP_1) | instid1(VALU_DEP_2)
	v_pk_fma_f32 v[136:137], v[132:133], v[130:131], v[134:135] op_sel_hi:[1,0,1]
	v_pk_fma_f32 v[130:131], v[132:133], v[130:131], v[134:135] neg_lo:[0,0,1] neg_hi:[0,0,1]
	v_mov_b32_e32 v131, v137
	s_cbranch_execz .LBB126_169
	s_branch .LBB126_170
.LBB126_168:
                                        ; implicit-def: $vgpr130_vgpr131
.LBB126_169:
	ds_load_b64 v[130:131], v1
.LBB126_170:
	s_and_saveexec_b32 s53, s1
	s_cbranch_execz .LBB126_174
; %bb.171:
	v_subrev_nc_u32_e32 v132, 46, v0
	s_movk_i32 s54, 0x370
	s_mov_b32 s1, 0
.LBB126_172:                            ; =>This Inner Loop Header: Depth=1
	scratch_load_b64 v[134:135], off, s51
	v_dual_mov_b32 v133, s54 :: v_dual_add_nc_u32 v132, -1, v132
	s_add_co_i32 s54, s54, 8
	s_wait_xcnt 0x0
	s_add_co_i32 s51, s51, 8
	ds_load_b64 v[136:137], v133
	v_cmp_eq_u32_e32 vcc_lo, 0, v132
	s_or_b32 s1, vcc_lo, s1
	s_wait_loadcnt_dscnt 0x0
	v_pk_mul_f32 v[138:139], v[136:137], v[134:135] op_sel:[1,1] op_sel_hi:[0,1]
	s_delay_alu instid0(VALU_DEP_1) | instskip(SKIP_1) | instid1(VALU_DEP_2)
	v_pk_fma_f32 v[140:141], v[136:137], v[134:135], v[138:139] op_sel_hi:[1,0,1]
	v_pk_fma_f32 v[134:135], v[136:137], v[134:135], v[138:139] neg_lo:[0,0,1] neg_hi:[0,0,1]
	v_mov_b32_e32 v135, v141
	s_delay_alu instid0(VALU_DEP_1)
	v_pk_add_f32 v[130:131], v[130:131], v[134:135]
	s_and_not1_b32 exec_lo, exec_lo, s1
	s_cbranch_execnz .LBB126_172
; %bb.173:
	s_or_b32 exec_lo, exec_lo, s1
.LBB126_174:
	s_delay_alu instid0(SALU_CYCLE_1) | instskip(SKIP_4) | instid1(VALU_DEP_1)
	s_or_b32 exec_lo, exec_lo, s53
	v_mov_b32_e32 v132, 0
	ds_load_b64 v[132:133], v132 offset:360
	s_wait_dscnt 0x0
	v_pk_mul_f32 v[134:135], v[130:131], v[132:133] op_sel:[1,1] op_sel_hi:[0,1]
	v_pk_fma_f32 v[136:137], v[130:131], v[132:133], v[134:135] op_sel_hi:[1,0,1]
	v_pk_fma_f32 v[130:131], v[130:131], v[132:133], v[134:135] neg_lo:[0,0,1] neg_hi:[0,0,1]
	s_delay_alu instid0(VALU_DEP_2)
	v_mov_b32_e32 v131, v137
	scratch_store_b64 off, v[130:131], off offset:360
.LBB126_175:
	s_wait_xcnt 0x0
	s_or_b32 exec_lo, exec_lo, s52
	scratch_load_b64 v[130:131], off, off offset:352
	v_cmp_lt_u32_e64 s1, 44, v0
	s_wait_loadcnt 0x0
	ds_store_b64 v1, v[130:131]
	s_wait_storecnt_dscnt 0x0
	s_barrier_signal -1
	s_barrier_wait -1
	s_wait_xcnt 0x0
	s_and_saveexec_b32 s51, s1
	s_cbranch_execz .LBB126_185
; %bb.176:
	s_and_not1_b32 vcc_lo, exec_lo, s5
	s_cbranch_vccnz .LBB126_178
; %bb.177:
	scratch_load_b64 v[130:131], v59, off
	ds_load_b64 v[132:133], v1
	s_wait_loadcnt_dscnt 0x0
	v_pk_mul_f32 v[134:135], v[132:133], v[130:131] op_sel:[1,1] op_sel_hi:[0,1]
	s_delay_alu instid0(VALU_DEP_1) | instskip(SKIP_1) | instid1(VALU_DEP_2)
	v_pk_fma_f32 v[136:137], v[132:133], v[130:131], v[134:135] op_sel_hi:[1,0,1]
	v_pk_fma_f32 v[130:131], v[132:133], v[130:131], v[134:135] neg_lo:[0,0,1] neg_hi:[0,0,1]
	v_mov_b32_e32 v131, v137
	s_cbranch_execz .LBB126_179
	s_branch .LBB126_180
.LBB126_178:
                                        ; implicit-def: $vgpr130_vgpr131
.LBB126_179:
	ds_load_b64 v[130:131], v1
.LBB126_180:
	s_and_saveexec_b32 s52, s0
	s_cbranch_execz .LBB126_184
; %bb.181:
	v_subrev_nc_u32_e32 v132, 45, v0
	s_movk_i32 s53, 0x368
	s_mov_b32 s0, 0
.LBB126_182:                            ; =>This Inner Loop Header: Depth=1
	scratch_load_b64 v[134:135], off, s50
	v_dual_mov_b32 v133, s53 :: v_dual_add_nc_u32 v132, -1, v132
	s_add_co_i32 s53, s53, 8
	s_wait_xcnt 0x0
	s_add_co_i32 s50, s50, 8
	ds_load_b64 v[136:137], v133
	v_cmp_eq_u32_e32 vcc_lo, 0, v132
	s_or_b32 s0, vcc_lo, s0
	s_wait_loadcnt_dscnt 0x0
	v_pk_mul_f32 v[138:139], v[136:137], v[134:135] op_sel:[1,1] op_sel_hi:[0,1]
	s_delay_alu instid0(VALU_DEP_1) | instskip(SKIP_1) | instid1(VALU_DEP_2)
	v_pk_fma_f32 v[140:141], v[136:137], v[134:135], v[138:139] op_sel_hi:[1,0,1]
	v_pk_fma_f32 v[134:135], v[136:137], v[134:135], v[138:139] neg_lo:[0,0,1] neg_hi:[0,0,1]
	v_mov_b32_e32 v135, v141
	s_delay_alu instid0(VALU_DEP_1)
	v_pk_add_f32 v[130:131], v[130:131], v[134:135]
	s_and_not1_b32 exec_lo, exec_lo, s0
	s_cbranch_execnz .LBB126_182
; %bb.183:
	s_or_b32 exec_lo, exec_lo, s0
.LBB126_184:
	s_delay_alu instid0(SALU_CYCLE_1) | instskip(SKIP_4) | instid1(VALU_DEP_1)
	s_or_b32 exec_lo, exec_lo, s52
	v_mov_b32_e32 v132, 0
	ds_load_b64 v[132:133], v132 offset:352
	s_wait_dscnt 0x0
	v_pk_mul_f32 v[134:135], v[130:131], v[132:133] op_sel:[1,1] op_sel_hi:[0,1]
	v_pk_fma_f32 v[136:137], v[130:131], v[132:133], v[134:135] op_sel_hi:[1,0,1]
	v_pk_fma_f32 v[130:131], v[130:131], v[132:133], v[134:135] neg_lo:[0,0,1] neg_hi:[0,0,1]
	s_delay_alu instid0(VALU_DEP_2)
	v_mov_b32_e32 v131, v137
	scratch_store_b64 off, v[130:131], off offset:352
.LBB126_185:
	s_wait_xcnt 0x0
	s_or_b32 exec_lo, exec_lo, s51
	scratch_load_b64 v[130:131], off, off offset:344
	v_cmp_lt_u32_e64 s0, 43, v0
	s_wait_loadcnt 0x0
	ds_store_b64 v1, v[130:131]
	s_wait_storecnt_dscnt 0x0
	s_barrier_signal -1
	s_barrier_wait -1
	s_wait_xcnt 0x0
	s_and_saveexec_b32 s50, s0
	s_cbranch_execz .LBB126_195
; %bb.186:
	s_and_not1_b32 vcc_lo, exec_lo, s5
	s_cbranch_vccnz .LBB126_188
; %bb.187:
	scratch_load_b64 v[130:131], v59, off
	ds_load_b64 v[132:133], v1
	s_wait_loadcnt_dscnt 0x0
	v_pk_mul_f32 v[134:135], v[132:133], v[130:131] op_sel:[1,1] op_sel_hi:[0,1]
	s_delay_alu instid0(VALU_DEP_1) | instskip(SKIP_1) | instid1(VALU_DEP_2)
	v_pk_fma_f32 v[136:137], v[132:133], v[130:131], v[134:135] op_sel_hi:[1,0,1]
	v_pk_fma_f32 v[130:131], v[132:133], v[130:131], v[134:135] neg_lo:[0,0,1] neg_hi:[0,0,1]
	v_mov_b32_e32 v131, v137
	s_cbranch_execz .LBB126_189
	s_branch .LBB126_190
.LBB126_188:
                                        ; implicit-def: $vgpr130_vgpr131
.LBB126_189:
	ds_load_b64 v[130:131], v1
.LBB126_190:
	s_and_saveexec_b32 s51, s1
	s_cbranch_execz .LBB126_194
; %bb.191:
	v_subrev_nc_u32_e32 v132, 44, v0
	s_movk_i32 s52, 0x360
	s_mov_b32 s1, 0
.LBB126_192:                            ; =>This Inner Loop Header: Depth=1
	scratch_load_b64 v[134:135], off, s49
	v_dual_mov_b32 v133, s52 :: v_dual_add_nc_u32 v132, -1, v132
	s_add_co_i32 s52, s52, 8
	s_wait_xcnt 0x0
	s_add_co_i32 s49, s49, 8
	ds_load_b64 v[136:137], v133
	v_cmp_eq_u32_e32 vcc_lo, 0, v132
	s_or_b32 s1, vcc_lo, s1
	s_wait_loadcnt_dscnt 0x0
	v_pk_mul_f32 v[138:139], v[136:137], v[134:135] op_sel:[1,1] op_sel_hi:[0,1]
	s_delay_alu instid0(VALU_DEP_1) | instskip(SKIP_1) | instid1(VALU_DEP_2)
	v_pk_fma_f32 v[140:141], v[136:137], v[134:135], v[138:139] op_sel_hi:[1,0,1]
	v_pk_fma_f32 v[134:135], v[136:137], v[134:135], v[138:139] neg_lo:[0,0,1] neg_hi:[0,0,1]
	v_mov_b32_e32 v135, v141
	s_delay_alu instid0(VALU_DEP_1)
	v_pk_add_f32 v[130:131], v[130:131], v[134:135]
	s_and_not1_b32 exec_lo, exec_lo, s1
	s_cbranch_execnz .LBB126_192
; %bb.193:
	s_or_b32 exec_lo, exec_lo, s1
.LBB126_194:
	s_delay_alu instid0(SALU_CYCLE_1) | instskip(SKIP_4) | instid1(VALU_DEP_1)
	s_or_b32 exec_lo, exec_lo, s51
	v_mov_b32_e32 v132, 0
	ds_load_b64 v[132:133], v132 offset:344
	s_wait_dscnt 0x0
	v_pk_mul_f32 v[134:135], v[130:131], v[132:133] op_sel:[1,1] op_sel_hi:[0,1]
	v_pk_fma_f32 v[136:137], v[130:131], v[132:133], v[134:135] op_sel_hi:[1,0,1]
	v_pk_fma_f32 v[130:131], v[130:131], v[132:133], v[134:135] neg_lo:[0,0,1] neg_hi:[0,0,1]
	s_delay_alu instid0(VALU_DEP_2)
	v_mov_b32_e32 v131, v137
	scratch_store_b64 off, v[130:131], off offset:344
.LBB126_195:
	s_wait_xcnt 0x0
	s_or_b32 exec_lo, exec_lo, s50
	scratch_load_b64 v[130:131], off, off offset:336
	v_cmp_lt_u32_e64 s1, 42, v0
	s_wait_loadcnt 0x0
	ds_store_b64 v1, v[130:131]
	s_wait_storecnt_dscnt 0x0
	s_barrier_signal -1
	s_barrier_wait -1
	s_wait_xcnt 0x0
	s_and_saveexec_b32 s49, s1
	s_cbranch_execz .LBB126_205
; %bb.196:
	s_and_not1_b32 vcc_lo, exec_lo, s5
	s_cbranch_vccnz .LBB126_198
; %bb.197:
	scratch_load_b64 v[130:131], v59, off
	ds_load_b64 v[132:133], v1
	s_wait_loadcnt_dscnt 0x0
	v_pk_mul_f32 v[134:135], v[132:133], v[130:131] op_sel:[1,1] op_sel_hi:[0,1]
	s_delay_alu instid0(VALU_DEP_1) | instskip(SKIP_1) | instid1(VALU_DEP_2)
	v_pk_fma_f32 v[136:137], v[132:133], v[130:131], v[134:135] op_sel_hi:[1,0,1]
	v_pk_fma_f32 v[130:131], v[132:133], v[130:131], v[134:135] neg_lo:[0,0,1] neg_hi:[0,0,1]
	v_mov_b32_e32 v131, v137
	s_cbranch_execz .LBB126_199
	s_branch .LBB126_200
.LBB126_198:
                                        ; implicit-def: $vgpr130_vgpr131
.LBB126_199:
	ds_load_b64 v[130:131], v1
.LBB126_200:
	s_and_saveexec_b32 s50, s0
	s_cbranch_execz .LBB126_204
; %bb.201:
	v_subrev_nc_u32_e32 v132, 43, v0
	s_movk_i32 s51, 0x358
	s_mov_b32 s0, 0
.LBB126_202:                            ; =>This Inner Loop Header: Depth=1
	scratch_load_b64 v[134:135], off, s48
	v_dual_mov_b32 v133, s51 :: v_dual_add_nc_u32 v132, -1, v132
	s_add_co_i32 s51, s51, 8
	s_wait_xcnt 0x0
	s_add_co_i32 s48, s48, 8
	ds_load_b64 v[136:137], v133
	v_cmp_eq_u32_e32 vcc_lo, 0, v132
	s_or_b32 s0, vcc_lo, s0
	s_wait_loadcnt_dscnt 0x0
	v_pk_mul_f32 v[138:139], v[136:137], v[134:135] op_sel:[1,1] op_sel_hi:[0,1]
	s_delay_alu instid0(VALU_DEP_1) | instskip(SKIP_1) | instid1(VALU_DEP_2)
	v_pk_fma_f32 v[140:141], v[136:137], v[134:135], v[138:139] op_sel_hi:[1,0,1]
	v_pk_fma_f32 v[134:135], v[136:137], v[134:135], v[138:139] neg_lo:[0,0,1] neg_hi:[0,0,1]
	v_mov_b32_e32 v135, v141
	s_delay_alu instid0(VALU_DEP_1)
	v_pk_add_f32 v[130:131], v[130:131], v[134:135]
	s_and_not1_b32 exec_lo, exec_lo, s0
	s_cbranch_execnz .LBB126_202
; %bb.203:
	s_or_b32 exec_lo, exec_lo, s0
.LBB126_204:
	s_delay_alu instid0(SALU_CYCLE_1) | instskip(SKIP_4) | instid1(VALU_DEP_1)
	s_or_b32 exec_lo, exec_lo, s50
	v_mov_b32_e32 v132, 0
	ds_load_b64 v[132:133], v132 offset:336
	s_wait_dscnt 0x0
	v_pk_mul_f32 v[134:135], v[130:131], v[132:133] op_sel:[1,1] op_sel_hi:[0,1]
	v_pk_fma_f32 v[136:137], v[130:131], v[132:133], v[134:135] op_sel_hi:[1,0,1]
	v_pk_fma_f32 v[130:131], v[130:131], v[132:133], v[134:135] neg_lo:[0,0,1] neg_hi:[0,0,1]
	s_delay_alu instid0(VALU_DEP_2)
	v_mov_b32_e32 v131, v137
	scratch_store_b64 off, v[130:131], off offset:336
.LBB126_205:
	s_wait_xcnt 0x0
	s_or_b32 exec_lo, exec_lo, s49
	scratch_load_b64 v[130:131], off, off offset:328
	v_cmp_lt_u32_e64 s0, 41, v0
	s_wait_loadcnt 0x0
	ds_store_b64 v1, v[130:131]
	s_wait_storecnt_dscnt 0x0
	s_barrier_signal -1
	s_barrier_wait -1
	s_wait_xcnt 0x0
	s_and_saveexec_b32 s48, s0
	s_cbranch_execz .LBB126_215
; %bb.206:
	s_and_not1_b32 vcc_lo, exec_lo, s5
	s_cbranch_vccnz .LBB126_208
; %bb.207:
	scratch_load_b64 v[130:131], v59, off
	ds_load_b64 v[132:133], v1
	s_wait_loadcnt_dscnt 0x0
	v_pk_mul_f32 v[134:135], v[132:133], v[130:131] op_sel:[1,1] op_sel_hi:[0,1]
	s_delay_alu instid0(VALU_DEP_1) | instskip(SKIP_1) | instid1(VALU_DEP_2)
	v_pk_fma_f32 v[136:137], v[132:133], v[130:131], v[134:135] op_sel_hi:[1,0,1]
	v_pk_fma_f32 v[130:131], v[132:133], v[130:131], v[134:135] neg_lo:[0,0,1] neg_hi:[0,0,1]
	v_mov_b32_e32 v131, v137
	s_cbranch_execz .LBB126_209
	s_branch .LBB126_210
.LBB126_208:
                                        ; implicit-def: $vgpr130_vgpr131
.LBB126_209:
	ds_load_b64 v[130:131], v1
.LBB126_210:
	s_and_saveexec_b32 s49, s1
	s_cbranch_execz .LBB126_214
; %bb.211:
	v_subrev_nc_u32_e32 v132, 42, v0
	s_movk_i32 s50, 0x350
	s_mov_b32 s1, 0
.LBB126_212:                            ; =>This Inner Loop Header: Depth=1
	scratch_load_b64 v[134:135], off, s47
	v_dual_mov_b32 v133, s50 :: v_dual_add_nc_u32 v132, -1, v132
	s_add_co_i32 s50, s50, 8
	s_wait_xcnt 0x0
	s_add_co_i32 s47, s47, 8
	ds_load_b64 v[136:137], v133
	v_cmp_eq_u32_e32 vcc_lo, 0, v132
	s_or_b32 s1, vcc_lo, s1
	s_wait_loadcnt_dscnt 0x0
	v_pk_mul_f32 v[138:139], v[136:137], v[134:135] op_sel:[1,1] op_sel_hi:[0,1]
	s_delay_alu instid0(VALU_DEP_1) | instskip(SKIP_1) | instid1(VALU_DEP_2)
	v_pk_fma_f32 v[140:141], v[136:137], v[134:135], v[138:139] op_sel_hi:[1,0,1]
	v_pk_fma_f32 v[134:135], v[136:137], v[134:135], v[138:139] neg_lo:[0,0,1] neg_hi:[0,0,1]
	v_mov_b32_e32 v135, v141
	s_delay_alu instid0(VALU_DEP_1)
	v_pk_add_f32 v[130:131], v[130:131], v[134:135]
	s_and_not1_b32 exec_lo, exec_lo, s1
	s_cbranch_execnz .LBB126_212
; %bb.213:
	s_or_b32 exec_lo, exec_lo, s1
.LBB126_214:
	s_delay_alu instid0(SALU_CYCLE_1) | instskip(SKIP_4) | instid1(VALU_DEP_1)
	s_or_b32 exec_lo, exec_lo, s49
	v_mov_b32_e32 v132, 0
	ds_load_b64 v[132:133], v132 offset:328
	s_wait_dscnt 0x0
	v_pk_mul_f32 v[134:135], v[130:131], v[132:133] op_sel:[1,1] op_sel_hi:[0,1]
	v_pk_fma_f32 v[136:137], v[130:131], v[132:133], v[134:135] op_sel_hi:[1,0,1]
	v_pk_fma_f32 v[130:131], v[130:131], v[132:133], v[134:135] neg_lo:[0,0,1] neg_hi:[0,0,1]
	s_delay_alu instid0(VALU_DEP_2)
	v_mov_b32_e32 v131, v137
	scratch_store_b64 off, v[130:131], off offset:328
.LBB126_215:
	s_wait_xcnt 0x0
	s_or_b32 exec_lo, exec_lo, s48
	scratch_load_b64 v[130:131], off, off offset:320
	v_cmp_lt_u32_e64 s1, 40, v0
	s_wait_loadcnt 0x0
	ds_store_b64 v1, v[130:131]
	s_wait_storecnt_dscnt 0x0
	s_barrier_signal -1
	s_barrier_wait -1
	s_wait_xcnt 0x0
	s_and_saveexec_b32 s47, s1
	s_cbranch_execz .LBB126_225
; %bb.216:
	s_and_not1_b32 vcc_lo, exec_lo, s5
	s_cbranch_vccnz .LBB126_218
; %bb.217:
	scratch_load_b64 v[130:131], v59, off
	ds_load_b64 v[132:133], v1
	s_wait_loadcnt_dscnt 0x0
	v_pk_mul_f32 v[134:135], v[132:133], v[130:131] op_sel:[1,1] op_sel_hi:[0,1]
	s_delay_alu instid0(VALU_DEP_1) | instskip(SKIP_1) | instid1(VALU_DEP_2)
	v_pk_fma_f32 v[136:137], v[132:133], v[130:131], v[134:135] op_sel_hi:[1,0,1]
	v_pk_fma_f32 v[130:131], v[132:133], v[130:131], v[134:135] neg_lo:[0,0,1] neg_hi:[0,0,1]
	v_mov_b32_e32 v131, v137
	s_cbranch_execz .LBB126_219
	s_branch .LBB126_220
.LBB126_218:
                                        ; implicit-def: $vgpr130_vgpr131
.LBB126_219:
	ds_load_b64 v[130:131], v1
.LBB126_220:
	s_and_saveexec_b32 s48, s0
	s_cbranch_execz .LBB126_224
; %bb.221:
	v_subrev_nc_u32_e32 v132, 41, v0
	s_movk_i32 s49, 0x348
	s_mov_b32 s0, 0
.LBB126_222:                            ; =>This Inner Loop Header: Depth=1
	scratch_load_b64 v[134:135], off, s46
	v_dual_mov_b32 v133, s49 :: v_dual_add_nc_u32 v132, -1, v132
	s_add_co_i32 s49, s49, 8
	s_wait_xcnt 0x0
	s_add_co_i32 s46, s46, 8
	ds_load_b64 v[136:137], v133
	v_cmp_eq_u32_e32 vcc_lo, 0, v132
	s_or_b32 s0, vcc_lo, s0
	s_wait_loadcnt_dscnt 0x0
	v_pk_mul_f32 v[138:139], v[136:137], v[134:135] op_sel:[1,1] op_sel_hi:[0,1]
	s_delay_alu instid0(VALU_DEP_1) | instskip(SKIP_1) | instid1(VALU_DEP_2)
	v_pk_fma_f32 v[140:141], v[136:137], v[134:135], v[138:139] op_sel_hi:[1,0,1]
	v_pk_fma_f32 v[134:135], v[136:137], v[134:135], v[138:139] neg_lo:[0,0,1] neg_hi:[0,0,1]
	v_mov_b32_e32 v135, v141
	s_delay_alu instid0(VALU_DEP_1)
	v_pk_add_f32 v[130:131], v[130:131], v[134:135]
	s_and_not1_b32 exec_lo, exec_lo, s0
	s_cbranch_execnz .LBB126_222
; %bb.223:
	s_or_b32 exec_lo, exec_lo, s0
.LBB126_224:
	s_delay_alu instid0(SALU_CYCLE_1) | instskip(SKIP_4) | instid1(VALU_DEP_1)
	s_or_b32 exec_lo, exec_lo, s48
	v_mov_b32_e32 v132, 0
	ds_load_b64 v[132:133], v132 offset:320
	s_wait_dscnt 0x0
	v_pk_mul_f32 v[134:135], v[130:131], v[132:133] op_sel:[1,1] op_sel_hi:[0,1]
	v_pk_fma_f32 v[136:137], v[130:131], v[132:133], v[134:135] op_sel_hi:[1,0,1]
	v_pk_fma_f32 v[130:131], v[130:131], v[132:133], v[134:135] neg_lo:[0,0,1] neg_hi:[0,0,1]
	s_delay_alu instid0(VALU_DEP_2)
	v_mov_b32_e32 v131, v137
	scratch_store_b64 off, v[130:131], off offset:320
.LBB126_225:
	s_wait_xcnt 0x0
	s_or_b32 exec_lo, exec_lo, s47
	scratch_load_b64 v[130:131], off, off offset:312
	v_cmp_lt_u32_e64 s0, 39, v0
	s_wait_loadcnt 0x0
	ds_store_b64 v1, v[130:131]
	s_wait_storecnt_dscnt 0x0
	s_barrier_signal -1
	s_barrier_wait -1
	s_wait_xcnt 0x0
	s_and_saveexec_b32 s46, s0
	s_cbranch_execz .LBB126_235
; %bb.226:
	s_and_not1_b32 vcc_lo, exec_lo, s5
	s_cbranch_vccnz .LBB126_228
; %bb.227:
	scratch_load_b64 v[130:131], v59, off
	ds_load_b64 v[132:133], v1
	s_wait_loadcnt_dscnt 0x0
	v_pk_mul_f32 v[134:135], v[132:133], v[130:131] op_sel:[1,1] op_sel_hi:[0,1]
	s_delay_alu instid0(VALU_DEP_1) | instskip(SKIP_1) | instid1(VALU_DEP_2)
	v_pk_fma_f32 v[136:137], v[132:133], v[130:131], v[134:135] op_sel_hi:[1,0,1]
	v_pk_fma_f32 v[130:131], v[132:133], v[130:131], v[134:135] neg_lo:[0,0,1] neg_hi:[0,0,1]
	v_mov_b32_e32 v131, v137
	s_cbranch_execz .LBB126_229
	s_branch .LBB126_230
.LBB126_228:
                                        ; implicit-def: $vgpr130_vgpr131
.LBB126_229:
	ds_load_b64 v[130:131], v1
.LBB126_230:
	s_and_saveexec_b32 s47, s1
	s_cbranch_execz .LBB126_234
; %bb.231:
	v_subrev_nc_u32_e32 v132, 40, v0
	s_movk_i32 s48, 0x340
	s_mov_b32 s1, 0
.LBB126_232:                            ; =>This Inner Loop Header: Depth=1
	scratch_load_b64 v[134:135], off, s45
	v_dual_mov_b32 v133, s48 :: v_dual_add_nc_u32 v132, -1, v132
	s_add_co_i32 s48, s48, 8
	s_wait_xcnt 0x0
	s_add_co_i32 s45, s45, 8
	ds_load_b64 v[136:137], v133
	v_cmp_eq_u32_e32 vcc_lo, 0, v132
	s_or_b32 s1, vcc_lo, s1
	s_wait_loadcnt_dscnt 0x0
	v_pk_mul_f32 v[138:139], v[136:137], v[134:135] op_sel:[1,1] op_sel_hi:[0,1]
	s_delay_alu instid0(VALU_DEP_1) | instskip(SKIP_1) | instid1(VALU_DEP_2)
	v_pk_fma_f32 v[140:141], v[136:137], v[134:135], v[138:139] op_sel_hi:[1,0,1]
	v_pk_fma_f32 v[134:135], v[136:137], v[134:135], v[138:139] neg_lo:[0,0,1] neg_hi:[0,0,1]
	v_mov_b32_e32 v135, v141
	s_delay_alu instid0(VALU_DEP_1)
	v_pk_add_f32 v[130:131], v[130:131], v[134:135]
	s_and_not1_b32 exec_lo, exec_lo, s1
	s_cbranch_execnz .LBB126_232
; %bb.233:
	s_or_b32 exec_lo, exec_lo, s1
.LBB126_234:
	s_delay_alu instid0(SALU_CYCLE_1) | instskip(SKIP_4) | instid1(VALU_DEP_1)
	s_or_b32 exec_lo, exec_lo, s47
	v_mov_b32_e32 v132, 0
	ds_load_b64 v[132:133], v132 offset:312
	s_wait_dscnt 0x0
	v_pk_mul_f32 v[134:135], v[130:131], v[132:133] op_sel:[1,1] op_sel_hi:[0,1]
	v_pk_fma_f32 v[136:137], v[130:131], v[132:133], v[134:135] op_sel_hi:[1,0,1]
	v_pk_fma_f32 v[130:131], v[130:131], v[132:133], v[134:135] neg_lo:[0,0,1] neg_hi:[0,0,1]
	s_delay_alu instid0(VALU_DEP_2)
	v_mov_b32_e32 v131, v137
	scratch_store_b64 off, v[130:131], off offset:312
.LBB126_235:
	s_wait_xcnt 0x0
	s_or_b32 exec_lo, exec_lo, s46
	scratch_load_b64 v[130:131], off, off offset:304
	v_cmp_lt_u32_e64 s1, 38, v0
	s_wait_loadcnt 0x0
	ds_store_b64 v1, v[130:131]
	s_wait_storecnt_dscnt 0x0
	s_barrier_signal -1
	s_barrier_wait -1
	s_wait_xcnt 0x0
	s_and_saveexec_b32 s45, s1
	s_cbranch_execz .LBB126_245
; %bb.236:
	s_and_not1_b32 vcc_lo, exec_lo, s5
	s_cbranch_vccnz .LBB126_238
; %bb.237:
	scratch_load_b64 v[130:131], v59, off
	ds_load_b64 v[132:133], v1
	s_wait_loadcnt_dscnt 0x0
	v_pk_mul_f32 v[134:135], v[132:133], v[130:131] op_sel:[1,1] op_sel_hi:[0,1]
	s_delay_alu instid0(VALU_DEP_1) | instskip(SKIP_1) | instid1(VALU_DEP_2)
	v_pk_fma_f32 v[136:137], v[132:133], v[130:131], v[134:135] op_sel_hi:[1,0,1]
	v_pk_fma_f32 v[130:131], v[132:133], v[130:131], v[134:135] neg_lo:[0,0,1] neg_hi:[0,0,1]
	v_mov_b32_e32 v131, v137
	s_cbranch_execz .LBB126_239
	s_branch .LBB126_240
.LBB126_238:
                                        ; implicit-def: $vgpr130_vgpr131
.LBB126_239:
	ds_load_b64 v[130:131], v1
.LBB126_240:
	s_and_saveexec_b32 s46, s0
	s_cbranch_execz .LBB126_244
; %bb.241:
	v_subrev_nc_u32_e32 v132, 39, v0
	s_movk_i32 s47, 0x338
	s_mov_b32 s0, 0
.LBB126_242:                            ; =>This Inner Loop Header: Depth=1
	scratch_load_b64 v[134:135], off, s44
	v_dual_mov_b32 v133, s47 :: v_dual_add_nc_u32 v132, -1, v132
	s_add_co_i32 s47, s47, 8
	s_wait_xcnt 0x0
	s_add_co_i32 s44, s44, 8
	ds_load_b64 v[136:137], v133
	v_cmp_eq_u32_e32 vcc_lo, 0, v132
	s_or_b32 s0, vcc_lo, s0
	s_wait_loadcnt_dscnt 0x0
	v_pk_mul_f32 v[138:139], v[136:137], v[134:135] op_sel:[1,1] op_sel_hi:[0,1]
	s_delay_alu instid0(VALU_DEP_1) | instskip(SKIP_1) | instid1(VALU_DEP_2)
	v_pk_fma_f32 v[140:141], v[136:137], v[134:135], v[138:139] op_sel_hi:[1,0,1]
	v_pk_fma_f32 v[134:135], v[136:137], v[134:135], v[138:139] neg_lo:[0,0,1] neg_hi:[0,0,1]
	v_mov_b32_e32 v135, v141
	s_delay_alu instid0(VALU_DEP_1)
	v_pk_add_f32 v[130:131], v[130:131], v[134:135]
	s_and_not1_b32 exec_lo, exec_lo, s0
	s_cbranch_execnz .LBB126_242
; %bb.243:
	s_or_b32 exec_lo, exec_lo, s0
.LBB126_244:
	s_delay_alu instid0(SALU_CYCLE_1) | instskip(SKIP_4) | instid1(VALU_DEP_1)
	s_or_b32 exec_lo, exec_lo, s46
	v_mov_b32_e32 v132, 0
	ds_load_b64 v[132:133], v132 offset:304
	s_wait_dscnt 0x0
	v_pk_mul_f32 v[134:135], v[130:131], v[132:133] op_sel:[1,1] op_sel_hi:[0,1]
	v_pk_fma_f32 v[136:137], v[130:131], v[132:133], v[134:135] op_sel_hi:[1,0,1]
	v_pk_fma_f32 v[130:131], v[130:131], v[132:133], v[134:135] neg_lo:[0,0,1] neg_hi:[0,0,1]
	s_delay_alu instid0(VALU_DEP_2)
	v_mov_b32_e32 v131, v137
	scratch_store_b64 off, v[130:131], off offset:304
.LBB126_245:
	s_wait_xcnt 0x0
	s_or_b32 exec_lo, exec_lo, s45
	scratch_load_b64 v[130:131], off, off offset:296
	v_cmp_lt_u32_e64 s0, 37, v0
	s_wait_loadcnt 0x0
	ds_store_b64 v1, v[130:131]
	s_wait_storecnt_dscnt 0x0
	s_barrier_signal -1
	s_barrier_wait -1
	s_wait_xcnt 0x0
	s_and_saveexec_b32 s44, s0
	s_cbranch_execz .LBB126_255
; %bb.246:
	s_and_not1_b32 vcc_lo, exec_lo, s5
	s_cbranch_vccnz .LBB126_248
; %bb.247:
	scratch_load_b64 v[130:131], v59, off
	ds_load_b64 v[132:133], v1
	s_wait_loadcnt_dscnt 0x0
	v_pk_mul_f32 v[134:135], v[132:133], v[130:131] op_sel:[1,1] op_sel_hi:[0,1]
	s_delay_alu instid0(VALU_DEP_1) | instskip(SKIP_1) | instid1(VALU_DEP_2)
	v_pk_fma_f32 v[136:137], v[132:133], v[130:131], v[134:135] op_sel_hi:[1,0,1]
	v_pk_fma_f32 v[130:131], v[132:133], v[130:131], v[134:135] neg_lo:[0,0,1] neg_hi:[0,0,1]
	v_mov_b32_e32 v131, v137
	s_cbranch_execz .LBB126_249
	s_branch .LBB126_250
.LBB126_248:
                                        ; implicit-def: $vgpr130_vgpr131
.LBB126_249:
	ds_load_b64 v[130:131], v1
.LBB126_250:
	s_and_saveexec_b32 s45, s1
	s_cbranch_execz .LBB126_254
; %bb.251:
	v_subrev_nc_u32_e32 v132, 38, v0
	s_movk_i32 s46, 0x330
	s_mov_b32 s1, 0
.LBB126_252:                            ; =>This Inner Loop Header: Depth=1
	scratch_load_b64 v[134:135], off, s43
	v_dual_mov_b32 v133, s46 :: v_dual_add_nc_u32 v132, -1, v132
	s_add_co_i32 s46, s46, 8
	s_wait_xcnt 0x0
	s_add_co_i32 s43, s43, 8
	ds_load_b64 v[136:137], v133
	v_cmp_eq_u32_e32 vcc_lo, 0, v132
	s_or_b32 s1, vcc_lo, s1
	s_wait_loadcnt_dscnt 0x0
	v_pk_mul_f32 v[138:139], v[136:137], v[134:135] op_sel:[1,1] op_sel_hi:[0,1]
	s_delay_alu instid0(VALU_DEP_1) | instskip(SKIP_1) | instid1(VALU_DEP_2)
	v_pk_fma_f32 v[140:141], v[136:137], v[134:135], v[138:139] op_sel_hi:[1,0,1]
	v_pk_fma_f32 v[134:135], v[136:137], v[134:135], v[138:139] neg_lo:[0,0,1] neg_hi:[0,0,1]
	v_mov_b32_e32 v135, v141
	s_delay_alu instid0(VALU_DEP_1)
	v_pk_add_f32 v[130:131], v[130:131], v[134:135]
	s_and_not1_b32 exec_lo, exec_lo, s1
	s_cbranch_execnz .LBB126_252
; %bb.253:
	s_or_b32 exec_lo, exec_lo, s1
.LBB126_254:
	s_delay_alu instid0(SALU_CYCLE_1) | instskip(SKIP_4) | instid1(VALU_DEP_1)
	s_or_b32 exec_lo, exec_lo, s45
	v_mov_b32_e32 v132, 0
	ds_load_b64 v[132:133], v132 offset:296
	s_wait_dscnt 0x0
	v_pk_mul_f32 v[134:135], v[130:131], v[132:133] op_sel:[1,1] op_sel_hi:[0,1]
	v_pk_fma_f32 v[136:137], v[130:131], v[132:133], v[134:135] op_sel_hi:[1,0,1]
	v_pk_fma_f32 v[130:131], v[130:131], v[132:133], v[134:135] neg_lo:[0,0,1] neg_hi:[0,0,1]
	s_delay_alu instid0(VALU_DEP_2)
	v_mov_b32_e32 v131, v137
	scratch_store_b64 off, v[130:131], off offset:296
.LBB126_255:
	s_wait_xcnt 0x0
	s_or_b32 exec_lo, exec_lo, s44
	scratch_load_b64 v[130:131], off, off offset:288
	v_cmp_lt_u32_e64 s1, 36, v0
	s_wait_loadcnt 0x0
	ds_store_b64 v1, v[130:131]
	s_wait_storecnt_dscnt 0x0
	s_barrier_signal -1
	s_barrier_wait -1
	s_wait_xcnt 0x0
	s_and_saveexec_b32 s43, s1
	s_cbranch_execz .LBB126_265
; %bb.256:
	s_and_not1_b32 vcc_lo, exec_lo, s5
	s_cbranch_vccnz .LBB126_258
; %bb.257:
	scratch_load_b64 v[130:131], v59, off
	ds_load_b64 v[132:133], v1
	s_wait_loadcnt_dscnt 0x0
	v_pk_mul_f32 v[134:135], v[132:133], v[130:131] op_sel:[1,1] op_sel_hi:[0,1]
	s_delay_alu instid0(VALU_DEP_1) | instskip(SKIP_1) | instid1(VALU_DEP_2)
	v_pk_fma_f32 v[136:137], v[132:133], v[130:131], v[134:135] op_sel_hi:[1,0,1]
	v_pk_fma_f32 v[130:131], v[132:133], v[130:131], v[134:135] neg_lo:[0,0,1] neg_hi:[0,0,1]
	v_mov_b32_e32 v131, v137
	s_cbranch_execz .LBB126_259
	s_branch .LBB126_260
.LBB126_258:
                                        ; implicit-def: $vgpr130_vgpr131
.LBB126_259:
	ds_load_b64 v[130:131], v1
.LBB126_260:
	s_and_saveexec_b32 s44, s0
	s_cbranch_execz .LBB126_264
; %bb.261:
	v_subrev_nc_u32_e32 v132, 37, v0
	s_movk_i32 s45, 0x328
	s_mov_b32 s0, 0
.LBB126_262:                            ; =>This Inner Loop Header: Depth=1
	scratch_load_b64 v[134:135], off, s42
	v_dual_mov_b32 v133, s45 :: v_dual_add_nc_u32 v132, -1, v132
	s_add_co_i32 s45, s45, 8
	s_wait_xcnt 0x0
	s_add_co_i32 s42, s42, 8
	ds_load_b64 v[136:137], v133
	v_cmp_eq_u32_e32 vcc_lo, 0, v132
	s_or_b32 s0, vcc_lo, s0
	s_wait_loadcnt_dscnt 0x0
	v_pk_mul_f32 v[138:139], v[136:137], v[134:135] op_sel:[1,1] op_sel_hi:[0,1]
	s_delay_alu instid0(VALU_DEP_1) | instskip(SKIP_1) | instid1(VALU_DEP_2)
	v_pk_fma_f32 v[140:141], v[136:137], v[134:135], v[138:139] op_sel_hi:[1,0,1]
	v_pk_fma_f32 v[134:135], v[136:137], v[134:135], v[138:139] neg_lo:[0,0,1] neg_hi:[0,0,1]
	v_mov_b32_e32 v135, v141
	s_delay_alu instid0(VALU_DEP_1)
	v_pk_add_f32 v[130:131], v[130:131], v[134:135]
	s_and_not1_b32 exec_lo, exec_lo, s0
	s_cbranch_execnz .LBB126_262
; %bb.263:
	s_or_b32 exec_lo, exec_lo, s0
.LBB126_264:
	s_delay_alu instid0(SALU_CYCLE_1) | instskip(SKIP_4) | instid1(VALU_DEP_1)
	s_or_b32 exec_lo, exec_lo, s44
	v_mov_b32_e32 v132, 0
	ds_load_b64 v[132:133], v132 offset:288
	s_wait_dscnt 0x0
	v_pk_mul_f32 v[134:135], v[130:131], v[132:133] op_sel:[1,1] op_sel_hi:[0,1]
	v_pk_fma_f32 v[136:137], v[130:131], v[132:133], v[134:135] op_sel_hi:[1,0,1]
	v_pk_fma_f32 v[130:131], v[130:131], v[132:133], v[134:135] neg_lo:[0,0,1] neg_hi:[0,0,1]
	s_delay_alu instid0(VALU_DEP_2)
	v_mov_b32_e32 v131, v137
	scratch_store_b64 off, v[130:131], off offset:288
.LBB126_265:
	s_wait_xcnt 0x0
	s_or_b32 exec_lo, exec_lo, s43
	scratch_load_b64 v[130:131], off, off offset:280
	v_cmp_lt_u32_e64 s0, 35, v0
	s_wait_loadcnt 0x0
	ds_store_b64 v1, v[130:131]
	s_wait_storecnt_dscnt 0x0
	s_barrier_signal -1
	s_barrier_wait -1
	s_wait_xcnt 0x0
	s_and_saveexec_b32 s42, s0
	s_cbranch_execz .LBB126_275
; %bb.266:
	s_and_not1_b32 vcc_lo, exec_lo, s5
	s_cbranch_vccnz .LBB126_268
; %bb.267:
	scratch_load_b64 v[130:131], v59, off
	ds_load_b64 v[132:133], v1
	s_wait_loadcnt_dscnt 0x0
	v_pk_mul_f32 v[134:135], v[132:133], v[130:131] op_sel:[1,1] op_sel_hi:[0,1]
	s_delay_alu instid0(VALU_DEP_1) | instskip(SKIP_1) | instid1(VALU_DEP_2)
	v_pk_fma_f32 v[136:137], v[132:133], v[130:131], v[134:135] op_sel_hi:[1,0,1]
	v_pk_fma_f32 v[130:131], v[132:133], v[130:131], v[134:135] neg_lo:[0,0,1] neg_hi:[0,0,1]
	v_mov_b32_e32 v131, v137
	s_cbranch_execz .LBB126_269
	s_branch .LBB126_270
.LBB126_268:
                                        ; implicit-def: $vgpr130_vgpr131
.LBB126_269:
	ds_load_b64 v[130:131], v1
.LBB126_270:
	s_and_saveexec_b32 s43, s1
	s_cbranch_execz .LBB126_274
; %bb.271:
	v_subrev_nc_u32_e32 v132, 36, v0
	s_movk_i32 s44, 0x320
	s_mov_b32 s1, 0
.LBB126_272:                            ; =>This Inner Loop Header: Depth=1
	scratch_load_b64 v[134:135], off, s41
	v_dual_mov_b32 v133, s44 :: v_dual_add_nc_u32 v132, -1, v132
	s_add_co_i32 s44, s44, 8
	s_wait_xcnt 0x0
	s_add_co_i32 s41, s41, 8
	ds_load_b64 v[136:137], v133
	v_cmp_eq_u32_e32 vcc_lo, 0, v132
	s_or_b32 s1, vcc_lo, s1
	s_wait_loadcnt_dscnt 0x0
	v_pk_mul_f32 v[138:139], v[136:137], v[134:135] op_sel:[1,1] op_sel_hi:[0,1]
	s_delay_alu instid0(VALU_DEP_1) | instskip(SKIP_1) | instid1(VALU_DEP_2)
	v_pk_fma_f32 v[140:141], v[136:137], v[134:135], v[138:139] op_sel_hi:[1,0,1]
	v_pk_fma_f32 v[134:135], v[136:137], v[134:135], v[138:139] neg_lo:[0,0,1] neg_hi:[0,0,1]
	v_mov_b32_e32 v135, v141
	s_delay_alu instid0(VALU_DEP_1)
	v_pk_add_f32 v[130:131], v[130:131], v[134:135]
	s_and_not1_b32 exec_lo, exec_lo, s1
	s_cbranch_execnz .LBB126_272
; %bb.273:
	s_or_b32 exec_lo, exec_lo, s1
.LBB126_274:
	s_delay_alu instid0(SALU_CYCLE_1) | instskip(SKIP_4) | instid1(VALU_DEP_1)
	s_or_b32 exec_lo, exec_lo, s43
	v_mov_b32_e32 v132, 0
	ds_load_b64 v[132:133], v132 offset:280
	s_wait_dscnt 0x0
	v_pk_mul_f32 v[134:135], v[130:131], v[132:133] op_sel:[1,1] op_sel_hi:[0,1]
	v_pk_fma_f32 v[136:137], v[130:131], v[132:133], v[134:135] op_sel_hi:[1,0,1]
	v_pk_fma_f32 v[130:131], v[130:131], v[132:133], v[134:135] neg_lo:[0,0,1] neg_hi:[0,0,1]
	s_delay_alu instid0(VALU_DEP_2)
	v_mov_b32_e32 v131, v137
	scratch_store_b64 off, v[130:131], off offset:280
.LBB126_275:
	s_wait_xcnt 0x0
	s_or_b32 exec_lo, exec_lo, s42
	scratch_load_b64 v[130:131], off, off offset:272
	v_cmp_lt_u32_e64 s1, 34, v0
	s_wait_loadcnt 0x0
	ds_store_b64 v1, v[130:131]
	s_wait_storecnt_dscnt 0x0
	s_barrier_signal -1
	s_barrier_wait -1
	s_wait_xcnt 0x0
	s_and_saveexec_b32 s41, s1
	s_cbranch_execz .LBB126_285
; %bb.276:
	s_and_not1_b32 vcc_lo, exec_lo, s5
	s_cbranch_vccnz .LBB126_278
; %bb.277:
	scratch_load_b64 v[130:131], v59, off
	ds_load_b64 v[132:133], v1
	s_wait_loadcnt_dscnt 0x0
	v_pk_mul_f32 v[134:135], v[132:133], v[130:131] op_sel:[1,1] op_sel_hi:[0,1]
	s_delay_alu instid0(VALU_DEP_1) | instskip(SKIP_1) | instid1(VALU_DEP_2)
	v_pk_fma_f32 v[136:137], v[132:133], v[130:131], v[134:135] op_sel_hi:[1,0,1]
	v_pk_fma_f32 v[130:131], v[132:133], v[130:131], v[134:135] neg_lo:[0,0,1] neg_hi:[0,0,1]
	v_mov_b32_e32 v131, v137
	s_cbranch_execz .LBB126_279
	s_branch .LBB126_280
.LBB126_278:
                                        ; implicit-def: $vgpr130_vgpr131
.LBB126_279:
	ds_load_b64 v[130:131], v1
.LBB126_280:
	s_and_saveexec_b32 s42, s0
	s_cbranch_execz .LBB126_284
; %bb.281:
	v_subrev_nc_u32_e32 v132, 35, v0
	s_movk_i32 s43, 0x318
	s_mov_b32 s0, 0
.LBB126_282:                            ; =>This Inner Loop Header: Depth=1
	scratch_load_b64 v[134:135], off, s40
	v_dual_mov_b32 v133, s43 :: v_dual_add_nc_u32 v132, -1, v132
	s_add_co_i32 s43, s43, 8
	s_wait_xcnt 0x0
	s_add_co_i32 s40, s40, 8
	ds_load_b64 v[136:137], v133
	v_cmp_eq_u32_e32 vcc_lo, 0, v132
	s_or_b32 s0, vcc_lo, s0
	s_wait_loadcnt_dscnt 0x0
	v_pk_mul_f32 v[138:139], v[136:137], v[134:135] op_sel:[1,1] op_sel_hi:[0,1]
	s_delay_alu instid0(VALU_DEP_1) | instskip(SKIP_1) | instid1(VALU_DEP_2)
	v_pk_fma_f32 v[140:141], v[136:137], v[134:135], v[138:139] op_sel_hi:[1,0,1]
	v_pk_fma_f32 v[134:135], v[136:137], v[134:135], v[138:139] neg_lo:[0,0,1] neg_hi:[0,0,1]
	v_mov_b32_e32 v135, v141
	s_delay_alu instid0(VALU_DEP_1)
	v_pk_add_f32 v[130:131], v[130:131], v[134:135]
	s_and_not1_b32 exec_lo, exec_lo, s0
	s_cbranch_execnz .LBB126_282
; %bb.283:
	s_or_b32 exec_lo, exec_lo, s0
.LBB126_284:
	s_delay_alu instid0(SALU_CYCLE_1) | instskip(SKIP_4) | instid1(VALU_DEP_1)
	s_or_b32 exec_lo, exec_lo, s42
	v_mov_b32_e32 v132, 0
	ds_load_b64 v[132:133], v132 offset:272
	s_wait_dscnt 0x0
	v_pk_mul_f32 v[134:135], v[130:131], v[132:133] op_sel:[1,1] op_sel_hi:[0,1]
	v_pk_fma_f32 v[136:137], v[130:131], v[132:133], v[134:135] op_sel_hi:[1,0,1]
	v_pk_fma_f32 v[130:131], v[130:131], v[132:133], v[134:135] neg_lo:[0,0,1] neg_hi:[0,0,1]
	s_delay_alu instid0(VALU_DEP_2)
	v_mov_b32_e32 v131, v137
	scratch_store_b64 off, v[130:131], off offset:272
.LBB126_285:
	s_wait_xcnt 0x0
	s_or_b32 exec_lo, exec_lo, s41
	scratch_load_b64 v[130:131], off, off offset:264
	v_cmp_lt_u32_e64 s0, 33, v0
	s_wait_loadcnt 0x0
	ds_store_b64 v1, v[130:131]
	s_wait_storecnt_dscnt 0x0
	s_barrier_signal -1
	s_barrier_wait -1
	s_wait_xcnt 0x0
	s_and_saveexec_b32 s40, s0
	s_cbranch_execz .LBB126_295
; %bb.286:
	s_and_not1_b32 vcc_lo, exec_lo, s5
	s_cbranch_vccnz .LBB126_288
; %bb.287:
	scratch_load_b64 v[130:131], v59, off
	ds_load_b64 v[132:133], v1
	s_wait_loadcnt_dscnt 0x0
	v_pk_mul_f32 v[134:135], v[132:133], v[130:131] op_sel:[1,1] op_sel_hi:[0,1]
	s_delay_alu instid0(VALU_DEP_1) | instskip(SKIP_1) | instid1(VALU_DEP_2)
	v_pk_fma_f32 v[136:137], v[132:133], v[130:131], v[134:135] op_sel_hi:[1,0,1]
	v_pk_fma_f32 v[130:131], v[132:133], v[130:131], v[134:135] neg_lo:[0,0,1] neg_hi:[0,0,1]
	v_mov_b32_e32 v131, v137
	s_cbranch_execz .LBB126_289
	s_branch .LBB126_290
.LBB126_288:
                                        ; implicit-def: $vgpr130_vgpr131
.LBB126_289:
	ds_load_b64 v[130:131], v1
.LBB126_290:
	s_and_saveexec_b32 s41, s1
	s_cbranch_execz .LBB126_294
; %bb.291:
	v_subrev_nc_u32_e32 v132, 34, v0
	s_movk_i32 s42, 0x310
	s_mov_b32 s1, 0
.LBB126_292:                            ; =>This Inner Loop Header: Depth=1
	scratch_load_b64 v[134:135], off, s39
	v_dual_mov_b32 v133, s42 :: v_dual_add_nc_u32 v132, -1, v132
	s_add_co_i32 s42, s42, 8
	s_wait_xcnt 0x0
	s_add_co_i32 s39, s39, 8
	ds_load_b64 v[136:137], v133
	v_cmp_eq_u32_e32 vcc_lo, 0, v132
	s_or_b32 s1, vcc_lo, s1
	s_wait_loadcnt_dscnt 0x0
	v_pk_mul_f32 v[138:139], v[136:137], v[134:135] op_sel:[1,1] op_sel_hi:[0,1]
	s_delay_alu instid0(VALU_DEP_1) | instskip(SKIP_1) | instid1(VALU_DEP_2)
	v_pk_fma_f32 v[140:141], v[136:137], v[134:135], v[138:139] op_sel_hi:[1,0,1]
	v_pk_fma_f32 v[134:135], v[136:137], v[134:135], v[138:139] neg_lo:[0,0,1] neg_hi:[0,0,1]
	v_mov_b32_e32 v135, v141
	s_delay_alu instid0(VALU_DEP_1)
	v_pk_add_f32 v[130:131], v[130:131], v[134:135]
	s_and_not1_b32 exec_lo, exec_lo, s1
	s_cbranch_execnz .LBB126_292
; %bb.293:
	s_or_b32 exec_lo, exec_lo, s1
.LBB126_294:
	s_delay_alu instid0(SALU_CYCLE_1) | instskip(SKIP_4) | instid1(VALU_DEP_1)
	s_or_b32 exec_lo, exec_lo, s41
	v_mov_b32_e32 v132, 0
	ds_load_b64 v[132:133], v132 offset:264
	s_wait_dscnt 0x0
	v_pk_mul_f32 v[134:135], v[130:131], v[132:133] op_sel:[1,1] op_sel_hi:[0,1]
	v_pk_fma_f32 v[136:137], v[130:131], v[132:133], v[134:135] op_sel_hi:[1,0,1]
	v_pk_fma_f32 v[130:131], v[130:131], v[132:133], v[134:135] neg_lo:[0,0,1] neg_hi:[0,0,1]
	s_delay_alu instid0(VALU_DEP_2)
	v_mov_b32_e32 v131, v137
	scratch_store_b64 off, v[130:131], off offset:264
.LBB126_295:
	s_wait_xcnt 0x0
	s_or_b32 exec_lo, exec_lo, s40
	scratch_load_b64 v[130:131], off, off offset:256
	v_cmp_lt_u32_e64 s1, 32, v0
	s_wait_loadcnt 0x0
	ds_store_b64 v1, v[130:131]
	s_wait_storecnt_dscnt 0x0
	s_barrier_signal -1
	s_barrier_wait -1
	s_wait_xcnt 0x0
	s_and_saveexec_b32 s39, s1
	s_cbranch_execz .LBB126_305
; %bb.296:
	s_and_not1_b32 vcc_lo, exec_lo, s5
	s_cbranch_vccnz .LBB126_298
; %bb.297:
	scratch_load_b64 v[130:131], v59, off
	ds_load_b64 v[132:133], v1
	s_wait_loadcnt_dscnt 0x0
	v_pk_mul_f32 v[134:135], v[132:133], v[130:131] op_sel:[1,1] op_sel_hi:[0,1]
	s_delay_alu instid0(VALU_DEP_1) | instskip(SKIP_1) | instid1(VALU_DEP_2)
	v_pk_fma_f32 v[136:137], v[132:133], v[130:131], v[134:135] op_sel_hi:[1,0,1]
	v_pk_fma_f32 v[130:131], v[132:133], v[130:131], v[134:135] neg_lo:[0,0,1] neg_hi:[0,0,1]
	v_mov_b32_e32 v131, v137
	s_cbranch_execz .LBB126_299
	s_branch .LBB126_300
.LBB126_298:
                                        ; implicit-def: $vgpr130_vgpr131
.LBB126_299:
	ds_load_b64 v[130:131], v1
.LBB126_300:
	s_and_saveexec_b32 s40, s0
	s_cbranch_execz .LBB126_304
; %bb.301:
	v_subrev_nc_u32_e32 v132, 33, v0
	s_movk_i32 s41, 0x308
	s_mov_b32 s0, 0
.LBB126_302:                            ; =>This Inner Loop Header: Depth=1
	scratch_load_b64 v[134:135], off, s38
	v_dual_mov_b32 v133, s41 :: v_dual_add_nc_u32 v132, -1, v132
	s_add_co_i32 s41, s41, 8
	s_wait_xcnt 0x0
	s_add_co_i32 s38, s38, 8
	ds_load_b64 v[136:137], v133
	v_cmp_eq_u32_e32 vcc_lo, 0, v132
	s_or_b32 s0, vcc_lo, s0
	s_wait_loadcnt_dscnt 0x0
	v_pk_mul_f32 v[138:139], v[136:137], v[134:135] op_sel:[1,1] op_sel_hi:[0,1]
	s_delay_alu instid0(VALU_DEP_1) | instskip(SKIP_1) | instid1(VALU_DEP_2)
	v_pk_fma_f32 v[140:141], v[136:137], v[134:135], v[138:139] op_sel_hi:[1,0,1]
	v_pk_fma_f32 v[134:135], v[136:137], v[134:135], v[138:139] neg_lo:[0,0,1] neg_hi:[0,0,1]
	v_mov_b32_e32 v135, v141
	s_delay_alu instid0(VALU_DEP_1)
	v_pk_add_f32 v[130:131], v[130:131], v[134:135]
	s_and_not1_b32 exec_lo, exec_lo, s0
	s_cbranch_execnz .LBB126_302
; %bb.303:
	s_or_b32 exec_lo, exec_lo, s0
.LBB126_304:
	s_delay_alu instid0(SALU_CYCLE_1) | instskip(SKIP_4) | instid1(VALU_DEP_1)
	s_or_b32 exec_lo, exec_lo, s40
	v_mov_b32_e32 v132, 0
	ds_load_b64 v[132:133], v132 offset:256
	s_wait_dscnt 0x0
	v_pk_mul_f32 v[134:135], v[130:131], v[132:133] op_sel:[1,1] op_sel_hi:[0,1]
	v_pk_fma_f32 v[136:137], v[130:131], v[132:133], v[134:135] op_sel_hi:[1,0,1]
	v_pk_fma_f32 v[130:131], v[130:131], v[132:133], v[134:135] neg_lo:[0,0,1] neg_hi:[0,0,1]
	s_delay_alu instid0(VALU_DEP_2)
	v_mov_b32_e32 v131, v137
	scratch_store_b64 off, v[130:131], off offset:256
.LBB126_305:
	s_wait_xcnt 0x0
	s_or_b32 exec_lo, exec_lo, s39
	scratch_load_b64 v[130:131], off, off offset:248
	v_cmp_lt_u32_e64 s0, 31, v0
	s_wait_loadcnt 0x0
	ds_store_b64 v1, v[130:131]
	s_wait_storecnt_dscnt 0x0
	s_barrier_signal -1
	s_barrier_wait -1
	s_wait_xcnt 0x0
	s_and_saveexec_b32 s38, s0
	s_cbranch_execz .LBB126_315
; %bb.306:
	s_and_not1_b32 vcc_lo, exec_lo, s5
	s_cbranch_vccnz .LBB126_308
; %bb.307:
	scratch_load_b64 v[130:131], v59, off
	ds_load_b64 v[132:133], v1
	s_wait_loadcnt_dscnt 0x0
	v_pk_mul_f32 v[134:135], v[132:133], v[130:131] op_sel:[1,1] op_sel_hi:[0,1]
	s_delay_alu instid0(VALU_DEP_1) | instskip(SKIP_1) | instid1(VALU_DEP_2)
	v_pk_fma_f32 v[136:137], v[132:133], v[130:131], v[134:135] op_sel_hi:[1,0,1]
	v_pk_fma_f32 v[130:131], v[132:133], v[130:131], v[134:135] neg_lo:[0,0,1] neg_hi:[0,0,1]
	v_mov_b32_e32 v131, v137
	s_cbranch_execz .LBB126_309
	s_branch .LBB126_310
.LBB126_308:
                                        ; implicit-def: $vgpr130_vgpr131
.LBB126_309:
	ds_load_b64 v[130:131], v1
.LBB126_310:
	s_and_saveexec_b32 s39, s1
	s_cbranch_execz .LBB126_314
; %bb.311:
	v_subrev_nc_u32_e32 v132, 32, v0
	s_movk_i32 s40, 0x300
	s_mov_b32 s1, 0
.LBB126_312:                            ; =>This Inner Loop Header: Depth=1
	scratch_load_b64 v[134:135], off, s37
	v_dual_mov_b32 v133, s40 :: v_dual_add_nc_u32 v132, -1, v132
	s_add_co_i32 s40, s40, 8
	s_wait_xcnt 0x0
	s_add_co_i32 s37, s37, 8
	ds_load_b64 v[136:137], v133
	v_cmp_eq_u32_e32 vcc_lo, 0, v132
	s_or_b32 s1, vcc_lo, s1
	s_wait_loadcnt_dscnt 0x0
	v_pk_mul_f32 v[138:139], v[136:137], v[134:135] op_sel:[1,1] op_sel_hi:[0,1]
	s_delay_alu instid0(VALU_DEP_1) | instskip(SKIP_1) | instid1(VALU_DEP_2)
	v_pk_fma_f32 v[140:141], v[136:137], v[134:135], v[138:139] op_sel_hi:[1,0,1]
	v_pk_fma_f32 v[134:135], v[136:137], v[134:135], v[138:139] neg_lo:[0,0,1] neg_hi:[0,0,1]
	v_mov_b32_e32 v135, v141
	s_delay_alu instid0(VALU_DEP_1)
	v_pk_add_f32 v[130:131], v[130:131], v[134:135]
	s_and_not1_b32 exec_lo, exec_lo, s1
	s_cbranch_execnz .LBB126_312
; %bb.313:
	s_or_b32 exec_lo, exec_lo, s1
.LBB126_314:
	s_delay_alu instid0(SALU_CYCLE_1) | instskip(SKIP_4) | instid1(VALU_DEP_1)
	s_or_b32 exec_lo, exec_lo, s39
	v_mov_b32_e32 v132, 0
	ds_load_b64 v[132:133], v132 offset:248
	s_wait_dscnt 0x0
	v_pk_mul_f32 v[134:135], v[130:131], v[132:133] op_sel:[1,1] op_sel_hi:[0,1]
	v_pk_fma_f32 v[136:137], v[130:131], v[132:133], v[134:135] op_sel_hi:[1,0,1]
	v_pk_fma_f32 v[130:131], v[130:131], v[132:133], v[134:135] neg_lo:[0,0,1] neg_hi:[0,0,1]
	s_delay_alu instid0(VALU_DEP_2)
	v_mov_b32_e32 v131, v137
	scratch_store_b64 off, v[130:131], off offset:248
.LBB126_315:
	s_wait_xcnt 0x0
	s_or_b32 exec_lo, exec_lo, s38
	scratch_load_b64 v[130:131], off, off offset:240
	v_cmp_lt_u32_e64 s1, 30, v0
	s_wait_loadcnt 0x0
	ds_store_b64 v1, v[130:131]
	s_wait_storecnt_dscnt 0x0
	s_barrier_signal -1
	s_barrier_wait -1
	s_wait_xcnt 0x0
	s_and_saveexec_b32 s37, s1
	s_cbranch_execz .LBB126_325
; %bb.316:
	s_and_not1_b32 vcc_lo, exec_lo, s5
	s_cbranch_vccnz .LBB126_318
; %bb.317:
	scratch_load_b64 v[130:131], v59, off
	ds_load_b64 v[132:133], v1
	s_wait_loadcnt_dscnt 0x0
	v_pk_mul_f32 v[134:135], v[132:133], v[130:131] op_sel:[1,1] op_sel_hi:[0,1]
	s_delay_alu instid0(VALU_DEP_1) | instskip(SKIP_1) | instid1(VALU_DEP_2)
	v_pk_fma_f32 v[136:137], v[132:133], v[130:131], v[134:135] op_sel_hi:[1,0,1]
	v_pk_fma_f32 v[130:131], v[132:133], v[130:131], v[134:135] neg_lo:[0,0,1] neg_hi:[0,0,1]
	v_mov_b32_e32 v131, v137
	s_cbranch_execz .LBB126_319
	s_branch .LBB126_320
.LBB126_318:
                                        ; implicit-def: $vgpr130_vgpr131
.LBB126_319:
	ds_load_b64 v[130:131], v1
.LBB126_320:
	s_and_saveexec_b32 s38, s0
	s_cbranch_execz .LBB126_324
; %bb.321:
	v_subrev_nc_u32_e32 v132, 31, v0
	s_movk_i32 s39, 0x2f8
	s_mov_b32 s0, 0
.LBB126_322:                            ; =>This Inner Loop Header: Depth=1
	scratch_load_b64 v[134:135], off, s36
	v_dual_mov_b32 v133, s39 :: v_dual_add_nc_u32 v132, -1, v132
	s_add_co_i32 s39, s39, 8
	s_wait_xcnt 0x0
	s_add_co_i32 s36, s36, 8
	ds_load_b64 v[136:137], v133
	v_cmp_eq_u32_e32 vcc_lo, 0, v132
	s_or_b32 s0, vcc_lo, s0
	s_wait_loadcnt_dscnt 0x0
	v_pk_mul_f32 v[138:139], v[136:137], v[134:135] op_sel:[1,1] op_sel_hi:[0,1]
	s_delay_alu instid0(VALU_DEP_1) | instskip(SKIP_1) | instid1(VALU_DEP_2)
	v_pk_fma_f32 v[140:141], v[136:137], v[134:135], v[138:139] op_sel_hi:[1,0,1]
	v_pk_fma_f32 v[134:135], v[136:137], v[134:135], v[138:139] neg_lo:[0,0,1] neg_hi:[0,0,1]
	v_mov_b32_e32 v135, v141
	s_delay_alu instid0(VALU_DEP_1)
	v_pk_add_f32 v[130:131], v[130:131], v[134:135]
	s_and_not1_b32 exec_lo, exec_lo, s0
	s_cbranch_execnz .LBB126_322
; %bb.323:
	s_or_b32 exec_lo, exec_lo, s0
.LBB126_324:
	s_delay_alu instid0(SALU_CYCLE_1) | instskip(SKIP_4) | instid1(VALU_DEP_1)
	s_or_b32 exec_lo, exec_lo, s38
	v_mov_b32_e32 v132, 0
	ds_load_b64 v[132:133], v132 offset:240
	s_wait_dscnt 0x0
	v_pk_mul_f32 v[134:135], v[130:131], v[132:133] op_sel:[1,1] op_sel_hi:[0,1]
	v_pk_fma_f32 v[136:137], v[130:131], v[132:133], v[134:135] op_sel_hi:[1,0,1]
	v_pk_fma_f32 v[130:131], v[130:131], v[132:133], v[134:135] neg_lo:[0,0,1] neg_hi:[0,0,1]
	s_delay_alu instid0(VALU_DEP_2)
	v_mov_b32_e32 v131, v137
	scratch_store_b64 off, v[130:131], off offset:240
.LBB126_325:
	s_wait_xcnt 0x0
	s_or_b32 exec_lo, exec_lo, s37
	scratch_load_b64 v[130:131], off, off offset:232
	v_cmp_lt_u32_e64 s0, 29, v0
	s_wait_loadcnt 0x0
	ds_store_b64 v1, v[130:131]
	s_wait_storecnt_dscnt 0x0
	s_barrier_signal -1
	s_barrier_wait -1
	s_wait_xcnt 0x0
	s_and_saveexec_b32 s36, s0
	s_cbranch_execz .LBB126_335
; %bb.326:
	s_and_not1_b32 vcc_lo, exec_lo, s5
	s_cbranch_vccnz .LBB126_328
; %bb.327:
	scratch_load_b64 v[130:131], v59, off
	ds_load_b64 v[132:133], v1
	s_wait_loadcnt_dscnt 0x0
	v_pk_mul_f32 v[134:135], v[132:133], v[130:131] op_sel:[1,1] op_sel_hi:[0,1]
	s_delay_alu instid0(VALU_DEP_1) | instskip(SKIP_1) | instid1(VALU_DEP_2)
	v_pk_fma_f32 v[136:137], v[132:133], v[130:131], v[134:135] op_sel_hi:[1,0,1]
	v_pk_fma_f32 v[130:131], v[132:133], v[130:131], v[134:135] neg_lo:[0,0,1] neg_hi:[0,0,1]
	v_mov_b32_e32 v131, v137
	s_cbranch_execz .LBB126_329
	s_branch .LBB126_330
.LBB126_328:
                                        ; implicit-def: $vgpr130_vgpr131
.LBB126_329:
	ds_load_b64 v[130:131], v1
.LBB126_330:
	s_and_saveexec_b32 s37, s1
	s_cbranch_execz .LBB126_334
; %bb.331:
	v_subrev_nc_u32_e32 v132, 30, v0
	s_movk_i32 s38, 0x2f0
	s_mov_b32 s1, 0
.LBB126_332:                            ; =>This Inner Loop Header: Depth=1
	scratch_load_b64 v[134:135], off, s35
	v_dual_mov_b32 v133, s38 :: v_dual_add_nc_u32 v132, -1, v132
	s_add_co_i32 s38, s38, 8
	s_wait_xcnt 0x0
	s_add_co_i32 s35, s35, 8
	ds_load_b64 v[136:137], v133
	v_cmp_eq_u32_e32 vcc_lo, 0, v132
	s_or_b32 s1, vcc_lo, s1
	s_wait_loadcnt_dscnt 0x0
	v_pk_mul_f32 v[138:139], v[136:137], v[134:135] op_sel:[1,1] op_sel_hi:[0,1]
	s_delay_alu instid0(VALU_DEP_1) | instskip(SKIP_1) | instid1(VALU_DEP_2)
	v_pk_fma_f32 v[140:141], v[136:137], v[134:135], v[138:139] op_sel_hi:[1,0,1]
	v_pk_fma_f32 v[134:135], v[136:137], v[134:135], v[138:139] neg_lo:[0,0,1] neg_hi:[0,0,1]
	v_mov_b32_e32 v135, v141
	s_delay_alu instid0(VALU_DEP_1)
	v_pk_add_f32 v[130:131], v[130:131], v[134:135]
	s_and_not1_b32 exec_lo, exec_lo, s1
	s_cbranch_execnz .LBB126_332
; %bb.333:
	s_or_b32 exec_lo, exec_lo, s1
.LBB126_334:
	s_delay_alu instid0(SALU_CYCLE_1) | instskip(SKIP_4) | instid1(VALU_DEP_1)
	s_or_b32 exec_lo, exec_lo, s37
	v_mov_b32_e32 v132, 0
	ds_load_b64 v[132:133], v132 offset:232
	s_wait_dscnt 0x0
	v_pk_mul_f32 v[134:135], v[130:131], v[132:133] op_sel:[1,1] op_sel_hi:[0,1]
	v_pk_fma_f32 v[136:137], v[130:131], v[132:133], v[134:135] op_sel_hi:[1,0,1]
	v_pk_fma_f32 v[130:131], v[130:131], v[132:133], v[134:135] neg_lo:[0,0,1] neg_hi:[0,0,1]
	s_delay_alu instid0(VALU_DEP_2)
	v_mov_b32_e32 v131, v137
	scratch_store_b64 off, v[130:131], off offset:232
.LBB126_335:
	s_wait_xcnt 0x0
	s_or_b32 exec_lo, exec_lo, s36
	scratch_load_b64 v[130:131], off, off offset:224
	v_cmp_lt_u32_e64 s1, 28, v0
	s_wait_loadcnt 0x0
	ds_store_b64 v1, v[130:131]
	s_wait_storecnt_dscnt 0x0
	s_barrier_signal -1
	s_barrier_wait -1
	s_wait_xcnt 0x0
	s_and_saveexec_b32 s35, s1
	s_cbranch_execz .LBB126_345
; %bb.336:
	s_and_not1_b32 vcc_lo, exec_lo, s5
	s_cbranch_vccnz .LBB126_338
; %bb.337:
	scratch_load_b64 v[130:131], v59, off
	ds_load_b64 v[132:133], v1
	s_wait_loadcnt_dscnt 0x0
	v_pk_mul_f32 v[134:135], v[132:133], v[130:131] op_sel:[1,1] op_sel_hi:[0,1]
	s_delay_alu instid0(VALU_DEP_1) | instskip(SKIP_1) | instid1(VALU_DEP_2)
	v_pk_fma_f32 v[136:137], v[132:133], v[130:131], v[134:135] op_sel_hi:[1,0,1]
	v_pk_fma_f32 v[130:131], v[132:133], v[130:131], v[134:135] neg_lo:[0,0,1] neg_hi:[0,0,1]
	v_mov_b32_e32 v131, v137
	s_cbranch_execz .LBB126_339
	s_branch .LBB126_340
.LBB126_338:
                                        ; implicit-def: $vgpr130_vgpr131
.LBB126_339:
	ds_load_b64 v[130:131], v1
.LBB126_340:
	s_and_saveexec_b32 s36, s0
	s_cbranch_execz .LBB126_344
; %bb.341:
	v_subrev_nc_u32_e32 v132, 29, v0
	s_movk_i32 s37, 0x2e8
	s_mov_b32 s0, 0
.LBB126_342:                            ; =>This Inner Loop Header: Depth=1
	scratch_load_b64 v[134:135], off, s34
	v_dual_mov_b32 v133, s37 :: v_dual_add_nc_u32 v132, -1, v132
	s_add_co_i32 s37, s37, 8
	s_wait_xcnt 0x0
	s_add_co_i32 s34, s34, 8
	ds_load_b64 v[136:137], v133
	v_cmp_eq_u32_e32 vcc_lo, 0, v132
	s_or_b32 s0, vcc_lo, s0
	s_wait_loadcnt_dscnt 0x0
	v_pk_mul_f32 v[138:139], v[136:137], v[134:135] op_sel:[1,1] op_sel_hi:[0,1]
	s_delay_alu instid0(VALU_DEP_1) | instskip(SKIP_1) | instid1(VALU_DEP_2)
	v_pk_fma_f32 v[140:141], v[136:137], v[134:135], v[138:139] op_sel_hi:[1,0,1]
	v_pk_fma_f32 v[134:135], v[136:137], v[134:135], v[138:139] neg_lo:[0,0,1] neg_hi:[0,0,1]
	v_mov_b32_e32 v135, v141
	s_delay_alu instid0(VALU_DEP_1)
	v_pk_add_f32 v[130:131], v[130:131], v[134:135]
	s_and_not1_b32 exec_lo, exec_lo, s0
	s_cbranch_execnz .LBB126_342
; %bb.343:
	s_or_b32 exec_lo, exec_lo, s0
.LBB126_344:
	s_delay_alu instid0(SALU_CYCLE_1) | instskip(SKIP_4) | instid1(VALU_DEP_1)
	s_or_b32 exec_lo, exec_lo, s36
	v_mov_b32_e32 v132, 0
	ds_load_b64 v[132:133], v132 offset:224
	s_wait_dscnt 0x0
	v_pk_mul_f32 v[134:135], v[130:131], v[132:133] op_sel:[1,1] op_sel_hi:[0,1]
	v_pk_fma_f32 v[136:137], v[130:131], v[132:133], v[134:135] op_sel_hi:[1,0,1]
	v_pk_fma_f32 v[130:131], v[130:131], v[132:133], v[134:135] neg_lo:[0,0,1] neg_hi:[0,0,1]
	s_delay_alu instid0(VALU_DEP_2)
	v_mov_b32_e32 v131, v137
	scratch_store_b64 off, v[130:131], off offset:224
.LBB126_345:
	s_wait_xcnt 0x0
	s_or_b32 exec_lo, exec_lo, s35
	scratch_load_b64 v[130:131], off, off offset:216
	v_cmp_lt_u32_e64 s0, 27, v0
	s_wait_loadcnt 0x0
	ds_store_b64 v1, v[130:131]
	s_wait_storecnt_dscnt 0x0
	s_barrier_signal -1
	s_barrier_wait -1
	s_wait_xcnt 0x0
	s_and_saveexec_b32 s34, s0
	s_cbranch_execz .LBB126_355
; %bb.346:
	s_and_not1_b32 vcc_lo, exec_lo, s5
	s_cbranch_vccnz .LBB126_348
; %bb.347:
	scratch_load_b64 v[130:131], v59, off
	ds_load_b64 v[132:133], v1
	s_wait_loadcnt_dscnt 0x0
	v_pk_mul_f32 v[134:135], v[132:133], v[130:131] op_sel:[1,1] op_sel_hi:[0,1]
	s_delay_alu instid0(VALU_DEP_1) | instskip(SKIP_1) | instid1(VALU_DEP_2)
	v_pk_fma_f32 v[136:137], v[132:133], v[130:131], v[134:135] op_sel_hi:[1,0,1]
	v_pk_fma_f32 v[130:131], v[132:133], v[130:131], v[134:135] neg_lo:[0,0,1] neg_hi:[0,0,1]
	v_mov_b32_e32 v131, v137
	s_cbranch_execz .LBB126_349
	s_branch .LBB126_350
.LBB126_348:
                                        ; implicit-def: $vgpr130_vgpr131
.LBB126_349:
	ds_load_b64 v[130:131], v1
.LBB126_350:
	s_and_saveexec_b32 s35, s1
	s_cbranch_execz .LBB126_354
; %bb.351:
	v_subrev_nc_u32_e32 v132, 28, v0
	s_movk_i32 s36, 0x2e0
	s_mov_b32 s1, 0
.LBB126_352:                            ; =>This Inner Loop Header: Depth=1
	scratch_load_b64 v[134:135], off, s33
	v_dual_mov_b32 v133, s36 :: v_dual_add_nc_u32 v132, -1, v132
	s_add_co_i32 s36, s36, 8
	s_wait_xcnt 0x0
	s_add_co_i32 s33, s33, 8
	ds_load_b64 v[136:137], v133
	v_cmp_eq_u32_e32 vcc_lo, 0, v132
	s_or_b32 s1, vcc_lo, s1
	s_wait_loadcnt_dscnt 0x0
	v_pk_mul_f32 v[138:139], v[136:137], v[134:135] op_sel:[1,1] op_sel_hi:[0,1]
	s_delay_alu instid0(VALU_DEP_1) | instskip(SKIP_1) | instid1(VALU_DEP_2)
	v_pk_fma_f32 v[140:141], v[136:137], v[134:135], v[138:139] op_sel_hi:[1,0,1]
	v_pk_fma_f32 v[134:135], v[136:137], v[134:135], v[138:139] neg_lo:[0,0,1] neg_hi:[0,0,1]
	v_mov_b32_e32 v135, v141
	s_delay_alu instid0(VALU_DEP_1)
	v_pk_add_f32 v[130:131], v[130:131], v[134:135]
	s_and_not1_b32 exec_lo, exec_lo, s1
	s_cbranch_execnz .LBB126_352
; %bb.353:
	s_or_b32 exec_lo, exec_lo, s1
.LBB126_354:
	s_delay_alu instid0(SALU_CYCLE_1) | instskip(SKIP_4) | instid1(VALU_DEP_1)
	s_or_b32 exec_lo, exec_lo, s35
	v_mov_b32_e32 v132, 0
	ds_load_b64 v[132:133], v132 offset:216
	s_wait_dscnt 0x0
	v_pk_mul_f32 v[134:135], v[130:131], v[132:133] op_sel:[1,1] op_sel_hi:[0,1]
	v_pk_fma_f32 v[136:137], v[130:131], v[132:133], v[134:135] op_sel_hi:[1,0,1]
	v_pk_fma_f32 v[130:131], v[130:131], v[132:133], v[134:135] neg_lo:[0,0,1] neg_hi:[0,0,1]
	s_delay_alu instid0(VALU_DEP_2)
	v_mov_b32_e32 v131, v137
	scratch_store_b64 off, v[130:131], off offset:216
.LBB126_355:
	s_wait_xcnt 0x0
	s_or_b32 exec_lo, exec_lo, s34
	scratch_load_b64 v[130:131], off, off offset:208
	v_cmp_lt_u32_e64 s1, 26, v0
	s_wait_loadcnt 0x0
	ds_store_b64 v1, v[130:131]
	s_wait_storecnt_dscnt 0x0
	s_barrier_signal -1
	s_barrier_wait -1
	s_wait_xcnt 0x0
	s_and_saveexec_b32 s33, s1
	s_cbranch_execz .LBB126_365
; %bb.356:
	s_and_not1_b32 vcc_lo, exec_lo, s5
	s_cbranch_vccnz .LBB126_358
; %bb.357:
	scratch_load_b64 v[130:131], v59, off
	ds_load_b64 v[132:133], v1
	s_wait_loadcnt_dscnt 0x0
	v_pk_mul_f32 v[134:135], v[132:133], v[130:131] op_sel:[1,1] op_sel_hi:[0,1]
	s_delay_alu instid0(VALU_DEP_1) | instskip(SKIP_1) | instid1(VALU_DEP_2)
	v_pk_fma_f32 v[136:137], v[132:133], v[130:131], v[134:135] op_sel_hi:[1,0,1]
	v_pk_fma_f32 v[130:131], v[132:133], v[130:131], v[134:135] neg_lo:[0,0,1] neg_hi:[0,0,1]
	v_mov_b32_e32 v131, v137
	s_cbranch_execz .LBB126_359
	s_branch .LBB126_360
.LBB126_358:
                                        ; implicit-def: $vgpr130_vgpr131
.LBB126_359:
	ds_load_b64 v[130:131], v1
.LBB126_360:
	s_and_saveexec_b32 s34, s0
	s_cbranch_execz .LBB126_364
; %bb.361:
	v_subrev_nc_u32_e32 v132, 27, v0
	s_movk_i32 s35, 0x2d8
	s_mov_b32 s0, 0
.LBB126_362:                            ; =>This Inner Loop Header: Depth=1
	scratch_load_b64 v[134:135], off, s31
	v_dual_mov_b32 v133, s35 :: v_dual_add_nc_u32 v132, -1, v132
	s_add_co_i32 s35, s35, 8
	s_wait_xcnt 0x0
	s_add_co_i32 s31, s31, 8
	ds_load_b64 v[136:137], v133
	v_cmp_eq_u32_e32 vcc_lo, 0, v132
	s_or_b32 s0, vcc_lo, s0
	s_wait_loadcnt_dscnt 0x0
	v_pk_mul_f32 v[138:139], v[136:137], v[134:135] op_sel:[1,1] op_sel_hi:[0,1]
	s_delay_alu instid0(VALU_DEP_1) | instskip(SKIP_1) | instid1(VALU_DEP_2)
	v_pk_fma_f32 v[140:141], v[136:137], v[134:135], v[138:139] op_sel_hi:[1,0,1]
	v_pk_fma_f32 v[134:135], v[136:137], v[134:135], v[138:139] neg_lo:[0,0,1] neg_hi:[0,0,1]
	v_mov_b32_e32 v135, v141
	s_delay_alu instid0(VALU_DEP_1)
	v_pk_add_f32 v[130:131], v[130:131], v[134:135]
	s_and_not1_b32 exec_lo, exec_lo, s0
	s_cbranch_execnz .LBB126_362
; %bb.363:
	s_or_b32 exec_lo, exec_lo, s0
.LBB126_364:
	s_delay_alu instid0(SALU_CYCLE_1) | instskip(SKIP_4) | instid1(VALU_DEP_1)
	s_or_b32 exec_lo, exec_lo, s34
	v_mov_b32_e32 v132, 0
	ds_load_b64 v[132:133], v132 offset:208
	s_wait_dscnt 0x0
	v_pk_mul_f32 v[134:135], v[130:131], v[132:133] op_sel:[1,1] op_sel_hi:[0,1]
	v_pk_fma_f32 v[136:137], v[130:131], v[132:133], v[134:135] op_sel_hi:[1,0,1]
	v_pk_fma_f32 v[130:131], v[130:131], v[132:133], v[134:135] neg_lo:[0,0,1] neg_hi:[0,0,1]
	s_delay_alu instid0(VALU_DEP_2)
	v_mov_b32_e32 v131, v137
	scratch_store_b64 off, v[130:131], off offset:208
.LBB126_365:
	s_wait_xcnt 0x0
	s_or_b32 exec_lo, exec_lo, s33
	scratch_load_b64 v[130:131], off, off offset:200
	v_cmp_lt_u32_e64 s0, 25, v0
	s_wait_loadcnt 0x0
	ds_store_b64 v1, v[130:131]
	s_wait_storecnt_dscnt 0x0
	s_barrier_signal -1
	s_barrier_wait -1
	s_wait_xcnt 0x0
	s_and_saveexec_b32 s31, s0
	s_cbranch_execz .LBB126_375
; %bb.366:
	s_and_not1_b32 vcc_lo, exec_lo, s5
	s_cbranch_vccnz .LBB126_368
; %bb.367:
	scratch_load_b64 v[130:131], v59, off
	ds_load_b64 v[132:133], v1
	s_wait_loadcnt_dscnt 0x0
	v_pk_mul_f32 v[134:135], v[132:133], v[130:131] op_sel:[1,1] op_sel_hi:[0,1]
	s_delay_alu instid0(VALU_DEP_1) | instskip(SKIP_1) | instid1(VALU_DEP_2)
	v_pk_fma_f32 v[136:137], v[132:133], v[130:131], v[134:135] op_sel_hi:[1,0,1]
	v_pk_fma_f32 v[130:131], v[132:133], v[130:131], v[134:135] neg_lo:[0,0,1] neg_hi:[0,0,1]
	v_mov_b32_e32 v131, v137
	s_cbranch_execz .LBB126_369
	s_branch .LBB126_370
.LBB126_368:
                                        ; implicit-def: $vgpr130_vgpr131
.LBB126_369:
	ds_load_b64 v[130:131], v1
.LBB126_370:
	s_and_saveexec_b32 s33, s1
	s_cbranch_execz .LBB126_374
; %bb.371:
	v_subrev_nc_u32_e32 v132, 26, v0
	s_movk_i32 s34, 0x2d0
	s_mov_b32 s1, 0
.LBB126_372:                            ; =>This Inner Loop Header: Depth=1
	scratch_load_b64 v[134:135], off, s30
	v_dual_mov_b32 v133, s34 :: v_dual_add_nc_u32 v132, -1, v132
	s_add_co_i32 s34, s34, 8
	s_wait_xcnt 0x0
	s_add_co_i32 s30, s30, 8
	ds_load_b64 v[136:137], v133
	v_cmp_eq_u32_e32 vcc_lo, 0, v132
	s_or_b32 s1, vcc_lo, s1
	s_wait_loadcnt_dscnt 0x0
	v_pk_mul_f32 v[138:139], v[136:137], v[134:135] op_sel:[1,1] op_sel_hi:[0,1]
	s_delay_alu instid0(VALU_DEP_1) | instskip(SKIP_1) | instid1(VALU_DEP_2)
	v_pk_fma_f32 v[140:141], v[136:137], v[134:135], v[138:139] op_sel_hi:[1,0,1]
	v_pk_fma_f32 v[134:135], v[136:137], v[134:135], v[138:139] neg_lo:[0,0,1] neg_hi:[0,0,1]
	v_mov_b32_e32 v135, v141
	s_delay_alu instid0(VALU_DEP_1)
	v_pk_add_f32 v[130:131], v[130:131], v[134:135]
	s_and_not1_b32 exec_lo, exec_lo, s1
	s_cbranch_execnz .LBB126_372
; %bb.373:
	s_or_b32 exec_lo, exec_lo, s1
.LBB126_374:
	s_delay_alu instid0(SALU_CYCLE_1) | instskip(SKIP_4) | instid1(VALU_DEP_1)
	s_or_b32 exec_lo, exec_lo, s33
	v_mov_b32_e32 v132, 0
	ds_load_b64 v[132:133], v132 offset:200
	s_wait_dscnt 0x0
	v_pk_mul_f32 v[134:135], v[130:131], v[132:133] op_sel:[1,1] op_sel_hi:[0,1]
	v_pk_fma_f32 v[136:137], v[130:131], v[132:133], v[134:135] op_sel_hi:[1,0,1]
	v_pk_fma_f32 v[130:131], v[130:131], v[132:133], v[134:135] neg_lo:[0,0,1] neg_hi:[0,0,1]
	s_delay_alu instid0(VALU_DEP_2)
	v_mov_b32_e32 v131, v137
	scratch_store_b64 off, v[130:131], off offset:200
.LBB126_375:
	s_wait_xcnt 0x0
	s_or_b32 exec_lo, exec_lo, s31
	scratch_load_b64 v[130:131], off, off offset:192
	v_cmp_lt_u32_e64 s1, 24, v0
	s_wait_loadcnt 0x0
	ds_store_b64 v1, v[130:131]
	s_wait_storecnt_dscnt 0x0
	s_barrier_signal -1
	s_barrier_wait -1
	s_wait_xcnt 0x0
	s_and_saveexec_b32 s30, s1
	s_cbranch_execz .LBB126_385
; %bb.376:
	s_and_not1_b32 vcc_lo, exec_lo, s5
	s_cbranch_vccnz .LBB126_378
; %bb.377:
	scratch_load_b64 v[130:131], v59, off
	ds_load_b64 v[132:133], v1
	s_wait_loadcnt_dscnt 0x0
	v_pk_mul_f32 v[134:135], v[132:133], v[130:131] op_sel:[1,1] op_sel_hi:[0,1]
	s_delay_alu instid0(VALU_DEP_1) | instskip(SKIP_1) | instid1(VALU_DEP_2)
	v_pk_fma_f32 v[136:137], v[132:133], v[130:131], v[134:135] op_sel_hi:[1,0,1]
	v_pk_fma_f32 v[130:131], v[132:133], v[130:131], v[134:135] neg_lo:[0,0,1] neg_hi:[0,0,1]
	v_mov_b32_e32 v131, v137
	s_cbranch_execz .LBB126_379
	s_branch .LBB126_380
.LBB126_378:
                                        ; implicit-def: $vgpr130_vgpr131
.LBB126_379:
	ds_load_b64 v[130:131], v1
.LBB126_380:
	s_and_saveexec_b32 s31, s0
	s_cbranch_execz .LBB126_384
; %bb.381:
	v_subrev_nc_u32_e32 v132, 25, v0
	s_movk_i32 s33, 0x2c8
	s_mov_b32 s0, 0
.LBB126_382:                            ; =>This Inner Loop Header: Depth=1
	scratch_load_b64 v[134:135], off, s29
	v_dual_mov_b32 v133, s33 :: v_dual_add_nc_u32 v132, -1, v132
	s_add_co_i32 s33, s33, 8
	s_wait_xcnt 0x0
	s_add_co_i32 s29, s29, 8
	ds_load_b64 v[136:137], v133
	v_cmp_eq_u32_e32 vcc_lo, 0, v132
	s_or_b32 s0, vcc_lo, s0
	s_wait_loadcnt_dscnt 0x0
	v_pk_mul_f32 v[138:139], v[136:137], v[134:135] op_sel:[1,1] op_sel_hi:[0,1]
	s_delay_alu instid0(VALU_DEP_1) | instskip(SKIP_1) | instid1(VALU_DEP_2)
	v_pk_fma_f32 v[140:141], v[136:137], v[134:135], v[138:139] op_sel_hi:[1,0,1]
	v_pk_fma_f32 v[134:135], v[136:137], v[134:135], v[138:139] neg_lo:[0,0,1] neg_hi:[0,0,1]
	v_mov_b32_e32 v135, v141
	s_delay_alu instid0(VALU_DEP_1)
	v_pk_add_f32 v[130:131], v[130:131], v[134:135]
	s_and_not1_b32 exec_lo, exec_lo, s0
	s_cbranch_execnz .LBB126_382
; %bb.383:
	s_or_b32 exec_lo, exec_lo, s0
.LBB126_384:
	s_delay_alu instid0(SALU_CYCLE_1) | instskip(SKIP_4) | instid1(VALU_DEP_1)
	s_or_b32 exec_lo, exec_lo, s31
	v_mov_b32_e32 v132, 0
	ds_load_b64 v[132:133], v132 offset:192
	s_wait_dscnt 0x0
	v_pk_mul_f32 v[134:135], v[130:131], v[132:133] op_sel:[1,1] op_sel_hi:[0,1]
	v_pk_fma_f32 v[136:137], v[130:131], v[132:133], v[134:135] op_sel_hi:[1,0,1]
	v_pk_fma_f32 v[130:131], v[130:131], v[132:133], v[134:135] neg_lo:[0,0,1] neg_hi:[0,0,1]
	s_delay_alu instid0(VALU_DEP_2)
	v_mov_b32_e32 v131, v137
	scratch_store_b64 off, v[130:131], off offset:192
.LBB126_385:
	s_wait_xcnt 0x0
	s_or_b32 exec_lo, exec_lo, s30
	scratch_load_b64 v[130:131], off, off offset:184
	v_cmp_lt_u32_e64 s0, 23, v0
	s_wait_loadcnt 0x0
	ds_store_b64 v1, v[130:131]
	s_wait_storecnt_dscnt 0x0
	s_barrier_signal -1
	s_barrier_wait -1
	s_wait_xcnt 0x0
	s_and_saveexec_b32 s29, s0
	s_cbranch_execz .LBB126_395
; %bb.386:
	s_and_not1_b32 vcc_lo, exec_lo, s5
	s_cbranch_vccnz .LBB126_388
; %bb.387:
	scratch_load_b64 v[130:131], v59, off
	ds_load_b64 v[132:133], v1
	s_wait_loadcnt_dscnt 0x0
	v_pk_mul_f32 v[134:135], v[132:133], v[130:131] op_sel:[1,1] op_sel_hi:[0,1]
	s_delay_alu instid0(VALU_DEP_1) | instskip(SKIP_1) | instid1(VALU_DEP_2)
	v_pk_fma_f32 v[136:137], v[132:133], v[130:131], v[134:135] op_sel_hi:[1,0,1]
	v_pk_fma_f32 v[130:131], v[132:133], v[130:131], v[134:135] neg_lo:[0,0,1] neg_hi:[0,0,1]
	v_mov_b32_e32 v131, v137
	s_cbranch_execz .LBB126_389
	s_branch .LBB126_390
.LBB126_388:
                                        ; implicit-def: $vgpr130_vgpr131
.LBB126_389:
	ds_load_b64 v[130:131], v1
.LBB126_390:
	s_and_saveexec_b32 s30, s1
	s_cbranch_execz .LBB126_394
; %bb.391:
	v_subrev_nc_u32_e32 v132, 24, v0
	s_movk_i32 s31, 0x2c0
	s_mov_b32 s1, 0
.LBB126_392:                            ; =>This Inner Loop Header: Depth=1
	scratch_load_b64 v[134:135], off, s28
	v_dual_mov_b32 v133, s31 :: v_dual_add_nc_u32 v132, -1, v132
	s_add_co_i32 s31, s31, 8
	s_wait_xcnt 0x0
	s_add_co_i32 s28, s28, 8
	ds_load_b64 v[136:137], v133
	v_cmp_eq_u32_e32 vcc_lo, 0, v132
	s_or_b32 s1, vcc_lo, s1
	s_wait_loadcnt_dscnt 0x0
	v_pk_mul_f32 v[138:139], v[136:137], v[134:135] op_sel:[1,1] op_sel_hi:[0,1]
	s_delay_alu instid0(VALU_DEP_1) | instskip(SKIP_1) | instid1(VALU_DEP_2)
	v_pk_fma_f32 v[140:141], v[136:137], v[134:135], v[138:139] op_sel_hi:[1,0,1]
	v_pk_fma_f32 v[134:135], v[136:137], v[134:135], v[138:139] neg_lo:[0,0,1] neg_hi:[0,0,1]
	v_mov_b32_e32 v135, v141
	s_delay_alu instid0(VALU_DEP_1)
	v_pk_add_f32 v[130:131], v[130:131], v[134:135]
	s_and_not1_b32 exec_lo, exec_lo, s1
	s_cbranch_execnz .LBB126_392
; %bb.393:
	s_or_b32 exec_lo, exec_lo, s1
.LBB126_394:
	s_delay_alu instid0(SALU_CYCLE_1) | instskip(SKIP_4) | instid1(VALU_DEP_1)
	s_or_b32 exec_lo, exec_lo, s30
	v_mov_b32_e32 v132, 0
	ds_load_b64 v[132:133], v132 offset:184
	s_wait_dscnt 0x0
	v_pk_mul_f32 v[134:135], v[130:131], v[132:133] op_sel:[1,1] op_sel_hi:[0,1]
	v_pk_fma_f32 v[136:137], v[130:131], v[132:133], v[134:135] op_sel_hi:[1,0,1]
	v_pk_fma_f32 v[130:131], v[130:131], v[132:133], v[134:135] neg_lo:[0,0,1] neg_hi:[0,0,1]
	s_delay_alu instid0(VALU_DEP_2)
	v_mov_b32_e32 v131, v137
	scratch_store_b64 off, v[130:131], off offset:184
.LBB126_395:
	s_wait_xcnt 0x0
	s_or_b32 exec_lo, exec_lo, s29
	scratch_load_b64 v[130:131], off, off offset:176
	v_cmp_lt_u32_e64 s1, 22, v0
	s_wait_loadcnt 0x0
	ds_store_b64 v1, v[130:131]
	s_wait_storecnt_dscnt 0x0
	s_barrier_signal -1
	s_barrier_wait -1
	s_wait_xcnt 0x0
	s_and_saveexec_b32 s28, s1
	s_cbranch_execz .LBB126_405
; %bb.396:
	s_and_not1_b32 vcc_lo, exec_lo, s5
	s_cbranch_vccnz .LBB126_398
; %bb.397:
	scratch_load_b64 v[130:131], v59, off
	ds_load_b64 v[132:133], v1
	s_wait_loadcnt_dscnt 0x0
	v_pk_mul_f32 v[134:135], v[132:133], v[130:131] op_sel:[1,1] op_sel_hi:[0,1]
	s_delay_alu instid0(VALU_DEP_1) | instskip(SKIP_1) | instid1(VALU_DEP_2)
	v_pk_fma_f32 v[136:137], v[132:133], v[130:131], v[134:135] op_sel_hi:[1,0,1]
	v_pk_fma_f32 v[130:131], v[132:133], v[130:131], v[134:135] neg_lo:[0,0,1] neg_hi:[0,0,1]
	v_mov_b32_e32 v131, v137
	s_cbranch_execz .LBB126_399
	s_branch .LBB126_400
.LBB126_398:
                                        ; implicit-def: $vgpr130_vgpr131
.LBB126_399:
	ds_load_b64 v[130:131], v1
.LBB126_400:
	s_and_saveexec_b32 s29, s0
	s_cbranch_execz .LBB126_404
; %bb.401:
	v_subrev_nc_u32_e32 v132, 23, v0
	s_movk_i32 s30, 0x2b8
	s_mov_b32 s0, 0
.LBB126_402:                            ; =>This Inner Loop Header: Depth=1
	scratch_load_b64 v[134:135], off, s27
	v_dual_mov_b32 v133, s30 :: v_dual_add_nc_u32 v132, -1, v132
	s_add_co_i32 s30, s30, 8
	s_wait_xcnt 0x0
	s_add_co_i32 s27, s27, 8
	ds_load_b64 v[136:137], v133
	v_cmp_eq_u32_e32 vcc_lo, 0, v132
	s_or_b32 s0, vcc_lo, s0
	s_wait_loadcnt_dscnt 0x0
	v_pk_mul_f32 v[138:139], v[136:137], v[134:135] op_sel:[1,1] op_sel_hi:[0,1]
	s_delay_alu instid0(VALU_DEP_1) | instskip(SKIP_1) | instid1(VALU_DEP_2)
	v_pk_fma_f32 v[140:141], v[136:137], v[134:135], v[138:139] op_sel_hi:[1,0,1]
	v_pk_fma_f32 v[134:135], v[136:137], v[134:135], v[138:139] neg_lo:[0,0,1] neg_hi:[0,0,1]
	v_mov_b32_e32 v135, v141
	s_delay_alu instid0(VALU_DEP_1)
	v_pk_add_f32 v[130:131], v[130:131], v[134:135]
	s_and_not1_b32 exec_lo, exec_lo, s0
	s_cbranch_execnz .LBB126_402
; %bb.403:
	s_or_b32 exec_lo, exec_lo, s0
.LBB126_404:
	s_delay_alu instid0(SALU_CYCLE_1) | instskip(SKIP_4) | instid1(VALU_DEP_1)
	s_or_b32 exec_lo, exec_lo, s29
	v_mov_b32_e32 v132, 0
	ds_load_b64 v[132:133], v132 offset:176
	s_wait_dscnt 0x0
	v_pk_mul_f32 v[134:135], v[130:131], v[132:133] op_sel:[1,1] op_sel_hi:[0,1]
	v_pk_fma_f32 v[136:137], v[130:131], v[132:133], v[134:135] op_sel_hi:[1,0,1]
	v_pk_fma_f32 v[130:131], v[130:131], v[132:133], v[134:135] neg_lo:[0,0,1] neg_hi:[0,0,1]
	s_delay_alu instid0(VALU_DEP_2)
	v_mov_b32_e32 v131, v137
	scratch_store_b64 off, v[130:131], off offset:176
.LBB126_405:
	s_wait_xcnt 0x0
	s_or_b32 exec_lo, exec_lo, s28
	scratch_load_b64 v[130:131], off, off offset:168
	v_cmp_lt_u32_e64 s0, 21, v0
	s_wait_loadcnt 0x0
	ds_store_b64 v1, v[130:131]
	s_wait_storecnt_dscnt 0x0
	s_barrier_signal -1
	s_barrier_wait -1
	s_wait_xcnt 0x0
	s_and_saveexec_b32 s27, s0
	s_cbranch_execz .LBB126_415
; %bb.406:
	s_and_not1_b32 vcc_lo, exec_lo, s5
	s_cbranch_vccnz .LBB126_408
; %bb.407:
	scratch_load_b64 v[130:131], v59, off
	ds_load_b64 v[132:133], v1
	s_wait_loadcnt_dscnt 0x0
	v_pk_mul_f32 v[134:135], v[132:133], v[130:131] op_sel:[1,1] op_sel_hi:[0,1]
	s_delay_alu instid0(VALU_DEP_1) | instskip(SKIP_1) | instid1(VALU_DEP_2)
	v_pk_fma_f32 v[136:137], v[132:133], v[130:131], v[134:135] op_sel_hi:[1,0,1]
	v_pk_fma_f32 v[130:131], v[132:133], v[130:131], v[134:135] neg_lo:[0,0,1] neg_hi:[0,0,1]
	v_mov_b32_e32 v131, v137
	s_cbranch_execz .LBB126_409
	s_branch .LBB126_410
.LBB126_408:
                                        ; implicit-def: $vgpr130_vgpr131
.LBB126_409:
	ds_load_b64 v[130:131], v1
.LBB126_410:
	s_and_saveexec_b32 s28, s1
	s_cbranch_execz .LBB126_414
; %bb.411:
	v_subrev_nc_u32_e32 v132, 22, v0
	s_movk_i32 s29, 0x2b0
	s_mov_b32 s1, 0
.LBB126_412:                            ; =>This Inner Loop Header: Depth=1
	scratch_load_b64 v[134:135], off, s26
	v_dual_mov_b32 v133, s29 :: v_dual_add_nc_u32 v132, -1, v132
	s_add_co_i32 s29, s29, 8
	s_wait_xcnt 0x0
	s_add_co_i32 s26, s26, 8
	ds_load_b64 v[136:137], v133
	v_cmp_eq_u32_e32 vcc_lo, 0, v132
	s_or_b32 s1, vcc_lo, s1
	s_wait_loadcnt_dscnt 0x0
	v_pk_mul_f32 v[138:139], v[136:137], v[134:135] op_sel:[1,1] op_sel_hi:[0,1]
	s_delay_alu instid0(VALU_DEP_1) | instskip(SKIP_1) | instid1(VALU_DEP_2)
	v_pk_fma_f32 v[140:141], v[136:137], v[134:135], v[138:139] op_sel_hi:[1,0,1]
	v_pk_fma_f32 v[134:135], v[136:137], v[134:135], v[138:139] neg_lo:[0,0,1] neg_hi:[0,0,1]
	v_mov_b32_e32 v135, v141
	s_delay_alu instid0(VALU_DEP_1)
	v_pk_add_f32 v[130:131], v[130:131], v[134:135]
	s_and_not1_b32 exec_lo, exec_lo, s1
	s_cbranch_execnz .LBB126_412
; %bb.413:
	s_or_b32 exec_lo, exec_lo, s1
.LBB126_414:
	s_delay_alu instid0(SALU_CYCLE_1) | instskip(SKIP_4) | instid1(VALU_DEP_1)
	s_or_b32 exec_lo, exec_lo, s28
	v_mov_b32_e32 v132, 0
	ds_load_b64 v[132:133], v132 offset:168
	s_wait_dscnt 0x0
	v_pk_mul_f32 v[134:135], v[130:131], v[132:133] op_sel:[1,1] op_sel_hi:[0,1]
	v_pk_fma_f32 v[136:137], v[130:131], v[132:133], v[134:135] op_sel_hi:[1,0,1]
	v_pk_fma_f32 v[130:131], v[130:131], v[132:133], v[134:135] neg_lo:[0,0,1] neg_hi:[0,0,1]
	s_delay_alu instid0(VALU_DEP_2)
	v_mov_b32_e32 v131, v137
	scratch_store_b64 off, v[130:131], off offset:168
.LBB126_415:
	s_wait_xcnt 0x0
	s_or_b32 exec_lo, exec_lo, s27
	scratch_load_b64 v[130:131], off, off offset:160
	v_cmp_lt_u32_e64 s1, 20, v0
	s_wait_loadcnt 0x0
	ds_store_b64 v1, v[130:131]
	s_wait_storecnt_dscnt 0x0
	s_barrier_signal -1
	s_barrier_wait -1
	s_wait_xcnt 0x0
	s_and_saveexec_b32 s26, s1
	s_cbranch_execz .LBB126_425
; %bb.416:
	s_and_not1_b32 vcc_lo, exec_lo, s5
	s_cbranch_vccnz .LBB126_418
; %bb.417:
	scratch_load_b64 v[130:131], v59, off
	ds_load_b64 v[132:133], v1
	s_wait_loadcnt_dscnt 0x0
	v_pk_mul_f32 v[134:135], v[132:133], v[130:131] op_sel:[1,1] op_sel_hi:[0,1]
	s_delay_alu instid0(VALU_DEP_1) | instskip(SKIP_1) | instid1(VALU_DEP_2)
	v_pk_fma_f32 v[136:137], v[132:133], v[130:131], v[134:135] op_sel_hi:[1,0,1]
	v_pk_fma_f32 v[130:131], v[132:133], v[130:131], v[134:135] neg_lo:[0,0,1] neg_hi:[0,0,1]
	v_mov_b32_e32 v131, v137
	s_cbranch_execz .LBB126_419
	s_branch .LBB126_420
.LBB126_418:
                                        ; implicit-def: $vgpr130_vgpr131
.LBB126_419:
	ds_load_b64 v[130:131], v1
.LBB126_420:
	s_and_saveexec_b32 s27, s0
	s_cbranch_execz .LBB126_424
; %bb.421:
	v_subrev_nc_u32_e32 v132, 21, v0
	s_movk_i32 s28, 0x2a8
	s_mov_b32 s0, 0
.LBB126_422:                            ; =>This Inner Loop Header: Depth=1
	scratch_load_b64 v[134:135], off, s25
	v_dual_mov_b32 v133, s28 :: v_dual_add_nc_u32 v132, -1, v132
	s_add_co_i32 s28, s28, 8
	s_wait_xcnt 0x0
	s_add_co_i32 s25, s25, 8
	ds_load_b64 v[136:137], v133
	v_cmp_eq_u32_e32 vcc_lo, 0, v132
	s_or_b32 s0, vcc_lo, s0
	s_wait_loadcnt_dscnt 0x0
	v_pk_mul_f32 v[138:139], v[136:137], v[134:135] op_sel:[1,1] op_sel_hi:[0,1]
	s_delay_alu instid0(VALU_DEP_1) | instskip(SKIP_1) | instid1(VALU_DEP_2)
	v_pk_fma_f32 v[140:141], v[136:137], v[134:135], v[138:139] op_sel_hi:[1,0,1]
	v_pk_fma_f32 v[134:135], v[136:137], v[134:135], v[138:139] neg_lo:[0,0,1] neg_hi:[0,0,1]
	v_mov_b32_e32 v135, v141
	s_delay_alu instid0(VALU_DEP_1)
	v_pk_add_f32 v[130:131], v[130:131], v[134:135]
	s_and_not1_b32 exec_lo, exec_lo, s0
	s_cbranch_execnz .LBB126_422
; %bb.423:
	s_or_b32 exec_lo, exec_lo, s0
.LBB126_424:
	s_delay_alu instid0(SALU_CYCLE_1) | instskip(SKIP_4) | instid1(VALU_DEP_1)
	s_or_b32 exec_lo, exec_lo, s27
	v_mov_b32_e32 v132, 0
	ds_load_b64 v[132:133], v132 offset:160
	s_wait_dscnt 0x0
	v_pk_mul_f32 v[134:135], v[130:131], v[132:133] op_sel:[1,1] op_sel_hi:[0,1]
	v_pk_fma_f32 v[136:137], v[130:131], v[132:133], v[134:135] op_sel_hi:[1,0,1]
	v_pk_fma_f32 v[130:131], v[130:131], v[132:133], v[134:135] neg_lo:[0,0,1] neg_hi:[0,0,1]
	s_delay_alu instid0(VALU_DEP_2)
	v_mov_b32_e32 v131, v137
	scratch_store_b64 off, v[130:131], off offset:160
.LBB126_425:
	s_wait_xcnt 0x0
	s_or_b32 exec_lo, exec_lo, s26
	scratch_load_b64 v[130:131], off, off offset:152
	v_cmp_lt_u32_e64 s0, 19, v0
	s_wait_loadcnt 0x0
	ds_store_b64 v1, v[130:131]
	s_wait_storecnt_dscnt 0x0
	s_barrier_signal -1
	s_barrier_wait -1
	s_wait_xcnt 0x0
	s_and_saveexec_b32 s25, s0
	s_cbranch_execz .LBB126_435
; %bb.426:
	s_and_not1_b32 vcc_lo, exec_lo, s5
	s_cbranch_vccnz .LBB126_428
; %bb.427:
	scratch_load_b64 v[130:131], v59, off
	ds_load_b64 v[132:133], v1
	s_wait_loadcnt_dscnt 0x0
	v_pk_mul_f32 v[134:135], v[132:133], v[130:131] op_sel:[1,1] op_sel_hi:[0,1]
	s_delay_alu instid0(VALU_DEP_1) | instskip(SKIP_1) | instid1(VALU_DEP_2)
	v_pk_fma_f32 v[136:137], v[132:133], v[130:131], v[134:135] op_sel_hi:[1,0,1]
	v_pk_fma_f32 v[130:131], v[132:133], v[130:131], v[134:135] neg_lo:[0,0,1] neg_hi:[0,0,1]
	v_mov_b32_e32 v131, v137
	s_cbranch_execz .LBB126_429
	s_branch .LBB126_430
.LBB126_428:
                                        ; implicit-def: $vgpr130_vgpr131
.LBB126_429:
	ds_load_b64 v[130:131], v1
.LBB126_430:
	s_and_saveexec_b32 s26, s1
	s_cbranch_execz .LBB126_434
; %bb.431:
	v_subrev_nc_u32_e32 v132, 20, v0
	s_movk_i32 s27, 0x2a0
	s_mov_b32 s1, 0
.LBB126_432:                            ; =>This Inner Loop Header: Depth=1
	scratch_load_b64 v[134:135], off, s24
	v_dual_mov_b32 v133, s27 :: v_dual_add_nc_u32 v132, -1, v132
	s_add_co_i32 s27, s27, 8
	s_wait_xcnt 0x0
	s_add_co_i32 s24, s24, 8
	ds_load_b64 v[136:137], v133
	v_cmp_eq_u32_e32 vcc_lo, 0, v132
	s_or_b32 s1, vcc_lo, s1
	s_wait_loadcnt_dscnt 0x0
	v_pk_mul_f32 v[138:139], v[136:137], v[134:135] op_sel:[1,1] op_sel_hi:[0,1]
	s_delay_alu instid0(VALU_DEP_1) | instskip(SKIP_1) | instid1(VALU_DEP_2)
	v_pk_fma_f32 v[140:141], v[136:137], v[134:135], v[138:139] op_sel_hi:[1,0,1]
	v_pk_fma_f32 v[134:135], v[136:137], v[134:135], v[138:139] neg_lo:[0,0,1] neg_hi:[0,0,1]
	v_mov_b32_e32 v135, v141
	s_delay_alu instid0(VALU_DEP_1)
	v_pk_add_f32 v[130:131], v[130:131], v[134:135]
	s_and_not1_b32 exec_lo, exec_lo, s1
	s_cbranch_execnz .LBB126_432
; %bb.433:
	s_or_b32 exec_lo, exec_lo, s1
.LBB126_434:
	s_delay_alu instid0(SALU_CYCLE_1) | instskip(SKIP_4) | instid1(VALU_DEP_1)
	s_or_b32 exec_lo, exec_lo, s26
	v_mov_b32_e32 v132, 0
	ds_load_b64 v[132:133], v132 offset:152
	s_wait_dscnt 0x0
	v_pk_mul_f32 v[134:135], v[130:131], v[132:133] op_sel:[1,1] op_sel_hi:[0,1]
	v_pk_fma_f32 v[136:137], v[130:131], v[132:133], v[134:135] op_sel_hi:[1,0,1]
	v_pk_fma_f32 v[130:131], v[130:131], v[132:133], v[134:135] neg_lo:[0,0,1] neg_hi:[0,0,1]
	s_delay_alu instid0(VALU_DEP_2)
	v_mov_b32_e32 v131, v137
	scratch_store_b64 off, v[130:131], off offset:152
.LBB126_435:
	s_wait_xcnt 0x0
	s_or_b32 exec_lo, exec_lo, s25
	scratch_load_b64 v[130:131], off, off offset:144
	v_cmp_lt_u32_e64 s1, 18, v0
	s_wait_loadcnt 0x0
	ds_store_b64 v1, v[130:131]
	s_wait_storecnt_dscnt 0x0
	s_barrier_signal -1
	s_barrier_wait -1
	s_wait_xcnt 0x0
	s_and_saveexec_b32 s24, s1
	s_cbranch_execz .LBB126_445
; %bb.436:
	s_and_not1_b32 vcc_lo, exec_lo, s5
	s_cbranch_vccnz .LBB126_438
; %bb.437:
	scratch_load_b64 v[130:131], v59, off
	ds_load_b64 v[132:133], v1
	s_wait_loadcnt_dscnt 0x0
	v_pk_mul_f32 v[134:135], v[132:133], v[130:131] op_sel:[1,1] op_sel_hi:[0,1]
	s_delay_alu instid0(VALU_DEP_1) | instskip(SKIP_1) | instid1(VALU_DEP_2)
	v_pk_fma_f32 v[136:137], v[132:133], v[130:131], v[134:135] op_sel_hi:[1,0,1]
	v_pk_fma_f32 v[130:131], v[132:133], v[130:131], v[134:135] neg_lo:[0,0,1] neg_hi:[0,0,1]
	v_mov_b32_e32 v131, v137
	s_cbranch_execz .LBB126_439
	s_branch .LBB126_440
.LBB126_438:
                                        ; implicit-def: $vgpr130_vgpr131
.LBB126_439:
	ds_load_b64 v[130:131], v1
.LBB126_440:
	s_and_saveexec_b32 s25, s0
	s_cbranch_execz .LBB126_444
; %bb.441:
	v_subrev_nc_u32_e32 v132, 19, v0
	s_movk_i32 s26, 0x298
	s_mov_b32 s0, 0
.LBB126_442:                            ; =>This Inner Loop Header: Depth=1
	scratch_load_b64 v[134:135], off, s23
	v_dual_mov_b32 v133, s26 :: v_dual_add_nc_u32 v132, -1, v132
	s_add_co_i32 s26, s26, 8
	s_wait_xcnt 0x0
	s_add_co_i32 s23, s23, 8
	ds_load_b64 v[136:137], v133
	v_cmp_eq_u32_e32 vcc_lo, 0, v132
	s_or_b32 s0, vcc_lo, s0
	s_wait_loadcnt_dscnt 0x0
	v_pk_mul_f32 v[138:139], v[136:137], v[134:135] op_sel:[1,1] op_sel_hi:[0,1]
	s_delay_alu instid0(VALU_DEP_1) | instskip(SKIP_1) | instid1(VALU_DEP_2)
	v_pk_fma_f32 v[140:141], v[136:137], v[134:135], v[138:139] op_sel_hi:[1,0,1]
	v_pk_fma_f32 v[134:135], v[136:137], v[134:135], v[138:139] neg_lo:[0,0,1] neg_hi:[0,0,1]
	v_mov_b32_e32 v135, v141
	s_delay_alu instid0(VALU_DEP_1)
	v_pk_add_f32 v[130:131], v[130:131], v[134:135]
	s_and_not1_b32 exec_lo, exec_lo, s0
	s_cbranch_execnz .LBB126_442
; %bb.443:
	s_or_b32 exec_lo, exec_lo, s0
.LBB126_444:
	s_delay_alu instid0(SALU_CYCLE_1) | instskip(SKIP_4) | instid1(VALU_DEP_1)
	s_or_b32 exec_lo, exec_lo, s25
	v_mov_b32_e32 v132, 0
	ds_load_b64 v[132:133], v132 offset:144
	s_wait_dscnt 0x0
	v_pk_mul_f32 v[134:135], v[130:131], v[132:133] op_sel:[1,1] op_sel_hi:[0,1]
	v_pk_fma_f32 v[136:137], v[130:131], v[132:133], v[134:135] op_sel_hi:[1,0,1]
	v_pk_fma_f32 v[130:131], v[130:131], v[132:133], v[134:135] neg_lo:[0,0,1] neg_hi:[0,0,1]
	s_delay_alu instid0(VALU_DEP_2)
	v_mov_b32_e32 v131, v137
	scratch_store_b64 off, v[130:131], off offset:144
.LBB126_445:
	s_wait_xcnt 0x0
	s_or_b32 exec_lo, exec_lo, s24
	scratch_load_b64 v[130:131], off, off offset:136
	v_cmp_lt_u32_e64 s0, 17, v0
	s_wait_loadcnt 0x0
	ds_store_b64 v1, v[130:131]
	s_wait_storecnt_dscnt 0x0
	s_barrier_signal -1
	s_barrier_wait -1
	s_wait_xcnt 0x0
	s_and_saveexec_b32 s23, s0
	s_cbranch_execz .LBB126_455
; %bb.446:
	s_and_not1_b32 vcc_lo, exec_lo, s5
	s_cbranch_vccnz .LBB126_448
; %bb.447:
	scratch_load_b64 v[130:131], v59, off
	ds_load_b64 v[132:133], v1
	s_wait_loadcnt_dscnt 0x0
	v_pk_mul_f32 v[134:135], v[132:133], v[130:131] op_sel:[1,1] op_sel_hi:[0,1]
	s_delay_alu instid0(VALU_DEP_1) | instskip(SKIP_1) | instid1(VALU_DEP_2)
	v_pk_fma_f32 v[136:137], v[132:133], v[130:131], v[134:135] op_sel_hi:[1,0,1]
	v_pk_fma_f32 v[130:131], v[132:133], v[130:131], v[134:135] neg_lo:[0,0,1] neg_hi:[0,0,1]
	v_mov_b32_e32 v131, v137
	s_cbranch_execz .LBB126_449
	s_branch .LBB126_450
.LBB126_448:
                                        ; implicit-def: $vgpr130_vgpr131
.LBB126_449:
	ds_load_b64 v[130:131], v1
.LBB126_450:
	s_and_saveexec_b32 s24, s1
	s_cbranch_execz .LBB126_454
; %bb.451:
	v_subrev_nc_u32_e32 v132, 18, v0
	s_movk_i32 s25, 0x290
	s_mov_b32 s1, 0
.LBB126_452:                            ; =>This Inner Loop Header: Depth=1
	scratch_load_b64 v[134:135], off, s22
	v_dual_mov_b32 v133, s25 :: v_dual_add_nc_u32 v132, -1, v132
	s_add_co_i32 s25, s25, 8
	s_wait_xcnt 0x0
	s_add_co_i32 s22, s22, 8
	ds_load_b64 v[136:137], v133
	v_cmp_eq_u32_e32 vcc_lo, 0, v132
	s_or_b32 s1, vcc_lo, s1
	s_wait_loadcnt_dscnt 0x0
	v_pk_mul_f32 v[138:139], v[136:137], v[134:135] op_sel:[1,1] op_sel_hi:[0,1]
	s_delay_alu instid0(VALU_DEP_1) | instskip(SKIP_1) | instid1(VALU_DEP_2)
	v_pk_fma_f32 v[140:141], v[136:137], v[134:135], v[138:139] op_sel_hi:[1,0,1]
	v_pk_fma_f32 v[134:135], v[136:137], v[134:135], v[138:139] neg_lo:[0,0,1] neg_hi:[0,0,1]
	v_mov_b32_e32 v135, v141
	s_delay_alu instid0(VALU_DEP_1)
	v_pk_add_f32 v[130:131], v[130:131], v[134:135]
	s_and_not1_b32 exec_lo, exec_lo, s1
	s_cbranch_execnz .LBB126_452
; %bb.453:
	s_or_b32 exec_lo, exec_lo, s1
.LBB126_454:
	s_delay_alu instid0(SALU_CYCLE_1) | instskip(SKIP_4) | instid1(VALU_DEP_1)
	s_or_b32 exec_lo, exec_lo, s24
	v_mov_b32_e32 v132, 0
	ds_load_b64 v[132:133], v132 offset:136
	s_wait_dscnt 0x0
	v_pk_mul_f32 v[134:135], v[130:131], v[132:133] op_sel:[1,1] op_sel_hi:[0,1]
	v_pk_fma_f32 v[136:137], v[130:131], v[132:133], v[134:135] op_sel_hi:[1,0,1]
	v_pk_fma_f32 v[130:131], v[130:131], v[132:133], v[134:135] neg_lo:[0,0,1] neg_hi:[0,0,1]
	s_delay_alu instid0(VALU_DEP_2)
	v_mov_b32_e32 v131, v137
	scratch_store_b64 off, v[130:131], off offset:136
.LBB126_455:
	s_wait_xcnt 0x0
	s_or_b32 exec_lo, exec_lo, s23
	scratch_load_b64 v[130:131], off, off offset:128
	v_cmp_lt_u32_e64 s1, 16, v0
	s_wait_loadcnt 0x0
	ds_store_b64 v1, v[130:131]
	s_wait_storecnt_dscnt 0x0
	s_barrier_signal -1
	s_barrier_wait -1
	s_wait_xcnt 0x0
	s_and_saveexec_b32 s22, s1
	s_cbranch_execz .LBB126_465
; %bb.456:
	s_and_not1_b32 vcc_lo, exec_lo, s5
	s_cbranch_vccnz .LBB126_458
; %bb.457:
	scratch_load_b64 v[130:131], v59, off
	ds_load_b64 v[132:133], v1
	s_wait_loadcnt_dscnt 0x0
	v_pk_mul_f32 v[134:135], v[132:133], v[130:131] op_sel:[1,1] op_sel_hi:[0,1]
	s_delay_alu instid0(VALU_DEP_1) | instskip(SKIP_1) | instid1(VALU_DEP_2)
	v_pk_fma_f32 v[136:137], v[132:133], v[130:131], v[134:135] op_sel_hi:[1,0,1]
	v_pk_fma_f32 v[130:131], v[132:133], v[130:131], v[134:135] neg_lo:[0,0,1] neg_hi:[0,0,1]
	v_mov_b32_e32 v131, v137
	s_cbranch_execz .LBB126_459
	s_branch .LBB126_460
.LBB126_458:
                                        ; implicit-def: $vgpr130_vgpr131
.LBB126_459:
	ds_load_b64 v[130:131], v1
.LBB126_460:
	s_and_saveexec_b32 s23, s0
	s_cbranch_execz .LBB126_464
; %bb.461:
	v_subrev_nc_u32_e32 v132, 17, v0
	s_movk_i32 s24, 0x288
	s_mov_b32 s0, 0
.LBB126_462:                            ; =>This Inner Loop Header: Depth=1
	scratch_load_b64 v[134:135], off, s21
	v_dual_mov_b32 v133, s24 :: v_dual_add_nc_u32 v132, -1, v132
	s_add_co_i32 s24, s24, 8
	s_wait_xcnt 0x0
	s_add_co_i32 s21, s21, 8
	ds_load_b64 v[136:137], v133
	v_cmp_eq_u32_e32 vcc_lo, 0, v132
	s_or_b32 s0, vcc_lo, s0
	s_wait_loadcnt_dscnt 0x0
	v_pk_mul_f32 v[138:139], v[136:137], v[134:135] op_sel:[1,1] op_sel_hi:[0,1]
	s_delay_alu instid0(VALU_DEP_1) | instskip(SKIP_1) | instid1(VALU_DEP_2)
	v_pk_fma_f32 v[140:141], v[136:137], v[134:135], v[138:139] op_sel_hi:[1,0,1]
	v_pk_fma_f32 v[134:135], v[136:137], v[134:135], v[138:139] neg_lo:[0,0,1] neg_hi:[0,0,1]
	v_mov_b32_e32 v135, v141
	s_delay_alu instid0(VALU_DEP_1)
	v_pk_add_f32 v[130:131], v[130:131], v[134:135]
	s_and_not1_b32 exec_lo, exec_lo, s0
	s_cbranch_execnz .LBB126_462
; %bb.463:
	s_or_b32 exec_lo, exec_lo, s0
.LBB126_464:
	s_delay_alu instid0(SALU_CYCLE_1) | instskip(SKIP_4) | instid1(VALU_DEP_1)
	s_or_b32 exec_lo, exec_lo, s23
	v_mov_b32_e32 v132, 0
	ds_load_b64 v[132:133], v132 offset:128
	s_wait_dscnt 0x0
	v_pk_mul_f32 v[134:135], v[130:131], v[132:133] op_sel:[1,1] op_sel_hi:[0,1]
	v_pk_fma_f32 v[136:137], v[130:131], v[132:133], v[134:135] op_sel_hi:[1,0,1]
	v_pk_fma_f32 v[130:131], v[130:131], v[132:133], v[134:135] neg_lo:[0,0,1] neg_hi:[0,0,1]
	s_delay_alu instid0(VALU_DEP_2)
	v_mov_b32_e32 v131, v137
	scratch_store_b64 off, v[130:131], off offset:128
.LBB126_465:
	s_wait_xcnt 0x0
	s_or_b32 exec_lo, exec_lo, s22
	scratch_load_b64 v[130:131], off, off offset:120
	v_cmp_lt_u32_e64 s0, 15, v0
	s_wait_loadcnt 0x0
	ds_store_b64 v1, v[130:131]
	s_wait_storecnt_dscnt 0x0
	s_barrier_signal -1
	s_barrier_wait -1
	s_wait_xcnt 0x0
	s_and_saveexec_b32 s21, s0
	s_cbranch_execz .LBB126_475
; %bb.466:
	s_and_not1_b32 vcc_lo, exec_lo, s5
	s_cbranch_vccnz .LBB126_468
; %bb.467:
	scratch_load_b64 v[130:131], v59, off
	ds_load_b64 v[132:133], v1
	s_wait_loadcnt_dscnt 0x0
	v_pk_mul_f32 v[134:135], v[132:133], v[130:131] op_sel:[1,1] op_sel_hi:[0,1]
	s_delay_alu instid0(VALU_DEP_1) | instskip(SKIP_1) | instid1(VALU_DEP_2)
	v_pk_fma_f32 v[136:137], v[132:133], v[130:131], v[134:135] op_sel_hi:[1,0,1]
	v_pk_fma_f32 v[130:131], v[132:133], v[130:131], v[134:135] neg_lo:[0,0,1] neg_hi:[0,0,1]
	v_mov_b32_e32 v131, v137
	s_cbranch_execz .LBB126_469
	s_branch .LBB126_470
.LBB126_468:
                                        ; implicit-def: $vgpr130_vgpr131
.LBB126_469:
	ds_load_b64 v[130:131], v1
.LBB126_470:
	s_and_saveexec_b32 s22, s1
	s_cbranch_execz .LBB126_474
; %bb.471:
	v_add_nc_u32_e32 v132, -16, v0
	s_movk_i32 s23, 0x280
	s_mov_b32 s1, 0
.LBB126_472:                            ; =>This Inner Loop Header: Depth=1
	scratch_load_b64 v[134:135], off, s20
	v_dual_mov_b32 v133, s23 :: v_dual_add_nc_u32 v132, -1, v132
	s_add_co_i32 s23, s23, 8
	s_wait_xcnt 0x0
	s_add_co_i32 s20, s20, 8
	ds_load_b64 v[136:137], v133
	v_cmp_eq_u32_e32 vcc_lo, 0, v132
	s_or_b32 s1, vcc_lo, s1
	s_wait_loadcnt_dscnt 0x0
	v_pk_mul_f32 v[138:139], v[136:137], v[134:135] op_sel:[1,1] op_sel_hi:[0,1]
	s_delay_alu instid0(VALU_DEP_1) | instskip(SKIP_1) | instid1(VALU_DEP_2)
	v_pk_fma_f32 v[140:141], v[136:137], v[134:135], v[138:139] op_sel_hi:[1,0,1]
	v_pk_fma_f32 v[134:135], v[136:137], v[134:135], v[138:139] neg_lo:[0,0,1] neg_hi:[0,0,1]
	v_mov_b32_e32 v135, v141
	s_delay_alu instid0(VALU_DEP_1)
	v_pk_add_f32 v[130:131], v[130:131], v[134:135]
	s_and_not1_b32 exec_lo, exec_lo, s1
	s_cbranch_execnz .LBB126_472
; %bb.473:
	s_or_b32 exec_lo, exec_lo, s1
.LBB126_474:
	s_delay_alu instid0(SALU_CYCLE_1) | instskip(SKIP_4) | instid1(VALU_DEP_1)
	s_or_b32 exec_lo, exec_lo, s22
	v_mov_b32_e32 v132, 0
	ds_load_b64 v[132:133], v132 offset:120
	s_wait_dscnt 0x0
	v_pk_mul_f32 v[134:135], v[130:131], v[132:133] op_sel:[1,1] op_sel_hi:[0,1]
	v_pk_fma_f32 v[136:137], v[130:131], v[132:133], v[134:135] op_sel_hi:[1,0,1]
	v_pk_fma_f32 v[130:131], v[130:131], v[132:133], v[134:135] neg_lo:[0,0,1] neg_hi:[0,0,1]
	s_delay_alu instid0(VALU_DEP_2)
	v_mov_b32_e32 v131, v137
	scratch_store_b64 off, v[130:131], off offset:120
.LBB126_475:
	s_wait_xcnt 0x0
	s_or_b32 exec_lo, exec_lo, s21
	scratch_load_b64 v[130:131], off, off offset:112
	v_cmp_lt_u32_e64 s1, 14, v0
	s_wait_loadcnt 0x0
	ds_store_b64 v1, v[130:131]
	s_wait_storecnt_dscnt 0x0
	s_barrier_signal -1
	s_barrier_wait -1
	s_wait_xcnt 0x0
	s_and_saveexec_b32 s20, s1
	s_cbranch_execz .LBB126_485
; %bb.476:
	s_and_not1_b32 vcc_lo, exec_lo, s5
	s_cbranch_vccnz .LBB126_478
; %bb.477:
	scratch_load_b64 v[130:131], v59, off
	ds_load_b64 v[132:133], v1
	s_wait_loadcnt_dscnt 0x0
	v_pk_mul_f32 v[134:135], v[132:133], v[130:131] op_sel:[1,1] op_sel_hi:[0,1]
	s_delay_alu instid0(VALU_DEP_1) | instskip(SKIP_1) | instid1(VALU_DEP_2)
	v_pk_fma_f32 v[136:137], v[132:133], v[130:131], v[134:135] op_sel_hi:[1,0,1]
	v_pk_fma_f32 v[130:131], v[132:133], v[130:131], v[134:135] neg_lo:[0,0,1] neg_hi:[0,0,1]
	v_mov_b32_e32 v131, v137
	s_cbranch_execz .LBB126_479
	s_branch .LBB126_480
.LBB126_478:
                                        ; implicit-def: $vgpr130_vgpr131
.LBB126_479:
	ds_load_b64 v[130:131], v1
.LBB126_480:
	s_and_saveexec_b32 s21, s0
	s_cbranch_execz .LBB126_484
; %bb.481:
	v_add_nc_u32_e32 v132, -15, v0
	s_movk_i32 s22, 0x278
	s_mov_b32 s0, 0
.LBB126_482:                            ; =>This Inner Loop Header: Depth=1
	scratch_load_b64 v[134:135], off, s19
	v_dual_mov_b32 v133, s22 :: v_dual_add_nc_u32 v132, -1, v132
	s_add_co_i32 s22, s22, 8
	s_wait_xcnt 0x0
	s_add_co_i32 s19, s19, 8
	ds_load_b64 v[136:137], v133
	v_cmp_eq_u32_e32 vcc_lo, 0, v132
	s_or_b32 s0, vcc_lo, s0
	s_wait_loadcnt_dscnt 0x0
	v_pk_mul_f32 v[138:139], v[136:137], v[134:135] op_sel:[1,1] op_sel_hi:[0,1]
	s_delay_alu instid0(VALU_DEP_1) | instskip(SKIP_1) | instid1(VALU_DEP_2)
	v_pk_fma_f32 v[140:141], v[136:137], v[134:135], v[138:139] op_sel_hi:[1,0,1]
	v_pk_fma_f32 v[134:135], v[136:137], v[134:135], v[138:139] neg_lo:[0,0,1] neg_hi:[0,0,1]
	v_mov_b32_e32 v135, v141
	s_delay_alu instid0(VALU_DEP_1)
	v_pk_add_f32 v[130:131], v[130:131], v[134:135]
	s_and_not1_b32 exec_lo, exec_lo, s0
	s_cbranch_execnz .LBB126_482
; %bb.483:
	s_or_b32 exec_lo, exec_lo, s0
.LBB126_484:
	s_delay_alu instid0(SALU_CYCLE_1) | instskip(SKIP_4) | instid1(VALU_DEP_1)
	s_or_b32 exec_lo, exec_lo, s21
	v_mov_b32_e32 v132, 0
	ds_load_b64 v[132:133], v132 offset:112
	s_wait_dscnt 0x0
	v_pk_mul_f32 v[134:135], v[130:131], v[132:133] op_sel:[1,1] op_sel_hi:[0,1]
	v_pk_fma_f32 v[136:137], v[130:131], v[132:133], v[134:135] op_sel_hi:[1,0,1]
	v_pk_fma_f32 v[130:131], v[130:131], v[132:133], v[134:135] neg_lo:[0,0,1] neg_hi:[0,0,1]
	s_delay_alu instid0(VALU_DEP_2)
	v_mov_b32_e32 v131, v137
	scratch_store_b64 off, v[130:131], off offset:112
.LBB126_485:
	s_wait_xcnt 0x0
	s_or_b32 exec_lo, exec_lo, s20
	scratch_load_b64 v[130:131], off, off offset:104
	v_cmp_lt_u32_e64 s0, 13, v0
	s_wait_loadcnt 0x0
	ds_store_b64 v1, v[130:131]
	s_wait_storecnt_dscnt 0x0
	s_barrier_signal -1
	s_barrier_wait -1
	s_wait_xcnt 0x0
	s_and_saveexec_b32 s19, s0
	s_cbranch_execz .LBB126_495
; %bb.486:
	s_and_not1_b32 vcc_lo, exec_lo, s5
	s_cbranch_vccnz .LBB126_488
; %bb.487:
	scratch_load_b64 v[130:131], v59, off
	ds_load_b64 v[132:133], v1
	s_wait_loadcnt_dscnt 0x0
	v_pk_mul_f32 v[134:135], v[132:133], v[130:131] op_sel:[1,1] op_sel_hi:[0,1]
	s_delay_alu instid0(VALU_DEP_1) | instskip(SKIP_1) | instid1(VALU_DEP_2)
	v_pk_fma_f32 v[136:137], v[132:133], v[130:131], v[134:135] op_sel_hi:[1,0,1]
	v_pk_fma_f32 v[130:131], v[132:133], v[130:131], v[134:135] neg_lo:[0,0,1] neg_hi:[0,0,1]
	v_mov_b32_e32 v131, v137
	s_cbranch_execz .LBB126_489
	s_branch .LBB126_490
.LBB126_488:
                                        ; implicit-def: $vgpr130_vgpr131
.LBB126_489:
	ds_load_b64 v[130:131], v1
.LBB126_490:
	s_and_saveexec_b32 s20, s1
	s_cbranch_execz .LBB126_494
; %bb.491:
	v_add_nc_u32_e32 v132, -14, v0
	s_movk_i32 s21, 0x270
	s_mov_b32 s1, 0
.LBB126_492:                            ; =>This Inner Loop Header: Depth=1
	scratch_load_b64 v[134:135], off, s18
	v_dual_mov_b32 v133, s21 :: v_dual_add_nc_u32 v132, -1, v132
	s_add_co_i32 s21, s21, 8
	s_wait_xcnt 0x0
	s_add_co_i32 s18, s18, 8
	ds_load_b64 v[136:137], v133
	v_cmp_eq_u32_e32 vcc_lo, 0, v132
	s_or_b32 s1, vcc_lo, s1
	s_wait_loadcnt_dscnt 0x0
	v_pk_mul_f32 v[138:139], v[136:137], v[134:135] op_sel:[1,1] op_sel_hi:[0,1]
	s_delay_alu instid0(VALU_DEP_1) | instskip(SKIP_1) | instid1(VALU_DEP_2)
	v_pk_fma_f32 v[140:141], v[136:137], v[134:135], v[138:139] op_sel_hi:[1,0,1]
	v_pk_fma_f32 v[134:135], v[136:137], v[134:135], v[138:139] neg_lo:[0,0,1] neg_hi:[0,0,1]
	v_mov_b32_e32 v135, v141
	s_delay_alu instid0(VALU_DEP_1)
	v_pk_add_f32 v[130:131], v[130:131], v[134:135]
	s_and_not1_b32 exec_lo, exec_lo, s1
	s_cbranch_execnz .LBB126_492
; %bb.493:
	s_or_b32 exec_lo, exec_lo, s1
.LBB126_494:
	s_delay_alu instid0(SALU_CYCLE_1) | instskip(SKIP_4) | instid1(VALU_DEP_1)
	s_or_b32 exec_lo, exec_lo, s20
	v_mov_b32_e32 v132, 0
	ds_load_b64 v[132:133], v132 offset:104
	s_wait_dscnt 0x0
	v_pk_mul_f32 v[134:135], v[130:131], v[132:133] op_sel:[1,1] op_sel_hi:[0,1]
	v_pk_fma_f32 v[136:137], v[130:131], v[132:133], v[134:135] op_sel_hi:[1,0,1]
	v_pk_fma_f32 v[130:131], v[130:131], v[132:133], v[134:135] neg_lo:[0,0,1] neg_hi:[0,0,1]
	s_delay_alu instid0(VALU_DEP_2)
	v_mov_b32_e32 v131, v137
	scratch_store_b64 off, v[130:131], off offset:104
.LBB126_495:
	s_wait_xcnt 0x0
	s_or_b32 exec_lo, exec_lo, s19
	scratch_load_b64 v[130:131], off, off offset:96
	v_cmp_lt_u32_e64 s1, 12, v0
	s_wait_loadcnt 0x0
	ds_store_b64 v1, v[130:131]
	s_wait_storecnt_dscnt 0x0
	s_barrier_signal -1
	s_barrier_wait -1
	s_wait_xcnt 0x0
	s_and_saveexec_b32 s18, s1
	s_cbranch_execz .LBB126_505
; %bb.496:
	s_and_not1_b32 vcc_lo, exec_lo, s5
	s_cbranch_vccnz .LBB126_498
; %bb.497:
	scratch_load_b64 v[130:131], v59, off
	ds_load_b64 v[132:133], v1
	s_wait_loadcnt_dscnt 0x0
	v_pk_mul_f32 v[134:135], v[132:133], v[130:131] op_sel:[1,1] op_sel_hi:[0,1]
	s_delay_alu instid0(VALU_DEP_1) | instskip(SKIP_1) | instid1(VALU_DEP_2)
	v_pk_fma_f32 v[136:137], v[132:133], v[130:131], v[134:135] op_sel_hi:[1,0,1]
	v_pk_fma_f32 v[130:131], v[132:133], v[130:131], v[134:135] neg_lo:[0,0,1] neg_hi:[0,0,1]
	v_mov_b32_e32 v131, v137
	s_cbranch_execz .LBB126_499
	s_branch .LBB126_500
.LBB126_498:
                                        ; implicit-def: $vgpr130_vgpr131
.LBB126_499:
	ds_load_b64 v[130:131], v1
.LBB126_500:
	s_and_saveexec_b32 s19, s0
	s_cbranch_execz .LBB126_504
; %bb.501:
	v_add_nc_u32_e32 v132, -13, v0
	s_movk_i32 s20, 0x268
	s_mov_b32 s0, 0
.LBB126_502:                            ; =>This Inner Loop Header: Depth=1
	scratch_load_b64 v[134:135], off, s17
	v_dual_mov_b32 v133, s20 :: v_dual_add_nc_u32 v132, -1, v132
	s_add_co_i32 s20, s20, 8
	s_wait_xcnt 0x0
	s_add_co_i32 s17, s17, 8
	ds_load_b64 v[136:137], v133
	v_cmp_eq_u32_e32 vcc_lo, 0, v132
	s_or_b32 s0, vcc_lo, s0
	s_wait_loadcnt_dscnt 0x0
	v_pk_mul_f32 v[138:139], v[136:137], v[134:135] op_sel:[1,1] op_sel_hi:[0,1]
	s_delay_alu instid0(VALU_DEP_1) | instskip(SKIP_1) | instid1(VALU_DEP_2)
	v_pk_fma_f32 v[140:141], v[136:137], v[134:135], v[138:139] op_sel_hi:[1,0,1]
	v_pk_fma_f32 v[134:135], v[136:137], v[134:135], v[138:139] neg_lo:[0,0,1] neg_hi:[0,0,1]
	v_mov_b32_e32 v135, v141
	s_delay_alu instid0(VALU_DEP_1)
	v_pk_add_f32 v[130:131], v[130:131], v[134:135]
	s_and_not1_b32 exec_lo, exec_lo, s0
	s_cbranch_execnz .LBB126_502
; %bb.503:
	s_or_b32 exec_lo, exec_lo, s0
.LBB126_504:
	s_delay_alu instid0(SALU_CYCLE_1) | instskip(SKIP_4) | instid1(VALU_DEP_1)
	s_or_b32 exec_lo, exec_lo, s19
	v_mov_b32_e32 v132, 0
	ds_load_b64 v[132:133], v132 offset:96
	s_wait_dscnt 0x0
	v_pk_mul_f32 v[134:135], v[130:131], v[132:133] op_sel:[1,1] op_sel_hi:[0,1]
	v_pk_fma_f32 v[136:137], v[130:131], v[132:133], v[134:135] op_sel_hi:[1,0,1]
	v_pk_fma_f32 v[130:131], v[130:131], v[132:133], v[134:135] neg_lo:[0,0,1] neg_hi:[0,0,1]
	s_delay_alu instid0(VALU_DEP_2)
	v_mov_b32_e32 v131, v137
	scratch_store_b64 off, v[130:131], off offset:96
.LBB126_505:
	s_wait_xcnt 0x0
	s_or_b32 exec_lo, exec_lo, s18
	scratch_load_b64 v[130:131], off, off offset:88
	v_cmp_lt_u32_e64 s0, 11, v0
	s_wait_loadcnt 0x0
	ds_store_b64 v1, v[130:131]
	s_wait_storecnt_dscnt 0x0
	s_barrier_signal -1
	s_barrier_wait -1
	s_wait_xcnt 0x0
	s_and_saveexec_b32 s17, s0
	s_cbranch_execz .LBB126_515
; %bb.506:
	s_and_not1_b32 vcc_lo, exec_lo, s5
	s_cbranch_vccnz .LBB126_508
; %bb.507:
	scratch_load_b64 v[130:131], v59, off
	ds_load_b64 v[132:133], v1
	s_wait_loadcnt_dscnt 0x0
	v_pk_mul_f32 v[134:135], v[132:133], v[130:131] op_sel:[1,1] op_sel_hi:[0,1]
	s_delay_alu instid0(VALU_DEP_1) | instskip(SKIP_1) | instid1(VALU_DEP_2)
	v_pk_fma_f32 v[136:137], v[132:133], v[130:131], v[134:135] op_sel_hi:[1,0,1]
	v_pk_fma_f32 v[130:131], v[132:133], v[130:131], v[134:135] neg_lo:[0,0,1] neg_hi:[0,0,1]
	v_mov_b32_e32 v131, v137
	s_cbranch_execz .LBB126_509
	s_branch .LBB126_510
.LBB126_508:
                                        ; implicit-def: $vgpr130_vgpr131
.LBB126_509:
	ds_load_b64 v[130:131], v1
.LBB126_510:
	s_and_saveexec_b32 s18, s1
	s_cbranch_execz .LBB126_514
; %bb.511:
	v_add_nc_u32_e32 v132, -12, v0
	s_movk_i32 s19, 0x260
	s_mov_b32 s1, 0
.LBB126_512:                            ; =>This Inner Loop Header: Depth=1
	scratch_load_b64 v[134:135], off, s16
	v_dual_mov_b32 v133, s19 :: v_dual_add_nc_u32 v132, -1, v132
	s_add_co_i32 s19, s19, 8
	s_wait_xcnt 0x0
	s_add_co_i32 s16, s16, 8
	ds_load_b64 v[136:137], v133
	v_cmp_eq_u32_e32 vcc_lo, 0, v132
	s_or_b32 s1, vcc_lo, s1
	s_wait_loadcnt_dscnt 0x0
	v_pk_mul_f32 v[138:139], v[136:137], v[134:135] op_sel:[1,1] op_sel_hi:[0,1]
	s_delay_alu instid0(VALU_DEP_1) | instskip(SKIP_1) | instid1(VALU_DEP_2)
	v_pk_fma_f32 v[140:141], v[136:137], v[134:135], v[138:139] op_sel_hi:[1,0,1]
	v_pk_fma_f32 v[134:135], v[136:137], v[134:135], v[138:139] neg_lo:[0,0,1] neg_hi:[0,0,1]
	v_mov_b32_e32 v135, v141
	s_delay_alu instid0(VALU_DEP_1)
	v_pk_add_f32 v[130:131], v[130:131], v[134:135]
	s_and_not1_b32 exec_lo, exec_lo, s1
	s_cbranch_execnz .LBB126_512
; %bb.513:
	s_or_b32 exec_lo, exec_lo, s1
.LBB126_514:
	s_delay_alu instid0(SALU_CYCLE_1) | instskip(SKIP_4) | instid1(VALU_DEP_1)
	s_or_b32 exec_lo, exec_lo, s18
	v_mov_b32_e32 v132, 0
	ds_load_b64 v[132:133], v132 offset:88
	s_wait_dscnt 0x0
	v_pk_mul_f32 v[134:135], v[130:131], v[132:133] op_sel:[1,1] op_sel_hi:[0,1]
	v_pk_fma_f32 v[136:137], v[130:131], v[132:133], v[134:135] op_sel_hi:[1,0,1]
	v_pk_fma_f32 v[130:131], v[130:131], v[132:133], v[134:135] neg_lo:[0,0,1] neg_hi:[0,0,1]
	s_delay_alu instid0(VALU_DEP_2)
	v_mov_b32_e32 v131, v137
	scratch_store_b64 off, v[130:131], off offset:88
.LBB126_515:
	s_wait_xcnt 0x0
	s_or_b32 exec_lo, exec_lo, s17
	scratch_load_b64 v[130:131], off, off offset:80
	v_cmp_lt_u32_e64 s1, 10, v0
	s_wait_loadcnt 0x0
	ds_store_b64 v1, v[130:131]
	s_wait_storecnt_dscnt 0x0
	s_barrier_signal -1
	s_barrier_wait -1
	s_wait_xcnt 0x0
	s_and_saveexec_b32 s16, s1
	s_cbranch_execz .LBB126_525
; %bb.516:
	s_and_not1_b32 vcc_lo, exec_lo, s5
	s_cbranch_vccnz .LBB126_518
; %bb.517:
	scratch_load_b64 v[130:131], v59, off
	ds_load_b64 v[132:133], v1
	s_wait_loadcnt_dscnt 0x0
	v_pk_mul_f32 v[134:135], v[132:133], v[130:131] op_sel:[1,1] op_sel_hi:[0,1]
	s_delay_alu instid0(VALU_DEP_1) | instskip(SKIP_1) | instid1(VALU_DEP_2)
	v_pk_fma_f32 v[136:137], v[132:133], v[130:131], v[134:135] op_sel_hi:[1,0,1]
	v_pk_fma_f32 v[130:131], v[132:133], v[130:131], v[134:135] neg_lo:[0,0,1] neg_hi:[0,0,1]
	v_mov_b32_e32 v131, v137
	s_cbranch_execz .LBB126_519
	s_branch .LBB126_520
.LBB126_518:
                                        ; implicit-def: $vgpr130_vgpr131
.LBB126_519:
	ds_load_b64 v[130:131], v1
.LBB126_520:
	s_and_saveexec_b32 s17, s0
	s_cbranch_execz .LBB126_524
; %bb.521:
	v_add_nc_u32_e32 v132, -11, v0
	s_movk_i32 s18, 0x258
	s_mov_b32 s0, 0
.LBB126_522:                            ; =>This Inner Loop Header: Depth=1
	scratch_load_b64 v[134:135], off, s15
	v_dual_mov_b32 v133, s18 :: v_dual_add_nc_u32 v132, -1, v132
	s_add_co_i32 s18, s18, 8
	s_wait_xcnt 0x0
	s_add_co_i32 s15, s15, 8
	ds_load_b64 v[136:137], v133
	v_cmp_eq_u32_e32 vcc_lo, 0, v132
	s_or_b32 s0, vcc_lo, s0
	s_wait_loadcnt_dscnt 0x0
	v_pk_mul_f32 v[138:139], v[136:137], v[134:135] op_sel:[1,1] op_sel_hi:[0,1]
	s_delay_alu instid0(VALU_DEP_1) | instskip(SKIP_1) | instid1(VALU_DEP_2)
	v_pk_fma_f32 v[140:141], v[136:137], v[134:135], v[138:139] op_sel_hi:[1,0,1]
	v_pk_fma_f32 v[134:135], v[136:137], v[134:135], v[138:139] neg_lo:[0,0,1] neg_hi:[0,0,1]
	v_mov_b32_e32 v135, v141
	s_delay_alu instid0(VALU_DEP_1)
	v_pk_add_f32 v[130:131], v[130:131], v[134:135]
	s_and_not1_b32 exec_lo, exec_lo, s0
	s_cbranch_execnz .LBB126_522
; %bb.523:
	s_or_b32 exec_lo, exec_lo, s0
.LBB126_524:
	s_delay_alu instid0(SALU_CYCLE_1) | instskip(SKIP_4) | instid1(VALU_DEP_1)
	s_or_b32 exec_lo, exec_lo, s17
	v_mov_b32_e32 v132, 0
	ds_load_b64 v[132:133], v132 offset:80
	s_wait_dscnt 0x0
	v_pk_mul_f32 v[134:135], v[130:131], v[132:133] op_sel:[1,1] op_sel_hi:[0,1]
	v_pk_fma_f32 v[136:137], v[130:131], v[132:133], v[134:135] op_sel_hi:[1,0,1]
	v_pk_fma_f32 v[130:131], v[130:131], v[132:133], v[134:135] neg_lo:[0,0,1] neg_hi:[0,0,1]
	s_delay_alu instid0(VALU_DEP_2)
	v_mov_b32_e32 v131, v137
	scratch_store_b64 off, v[130:131], off offset:80
.LBB126_525:
	s_wait_xcnt 0x0
	s_or_b32 exec_lo, exec_lo, s16
	scratch_load_b64 v[130:131], off, off offset:72
	v_cmp_lt_u32_e64 s0, 9, v0
	s_wait_loadcnt 0x0
	ds_store_b64 v1, v[130:131]
	s_wait_storecnt_dscnt 0x0
	s_barrier_signal -1
	s_barrier_wait -1
	s_wait_xcnt 0x0
	s_and_saveexec_b32 s15, s0
	s_cbranch_execz .LBB126_535
; %bb.526:
	s_and_not1_b32 vcc_lo, exec_lo, s5
	s_cbranch_vccnz .LBB126_528
; %bb.527:
	scratch_load_b64 v[130:131], v59, off
	ds_load_b64 v[132:133], v1
	s_wait_loadcnt_dscnt 0x0
	v_pk_mul_f32 v[134:135], v[132:133], v[130:131] op_sel:[1,1] op_sel_hi:[0,1]
	s_delay_alu instid0(VALU_DEP_1) | instskip(SKIP_1) | instid1(VALU_DEP_2)
	v_pk_fma_f32 v[136:137], v[132:133], v[130:131], v[134:135] op_sel_hi:[1,0,1]
	v_pk_fma_f32 v[130:131], v[132:133], v[130:131], v[134:135] neg_lo:[0,0,1] neg_hi:[0,0,1]
	v_mov_b32_e32 v131, v137
	s_cbranch_execz .LBB126_529
	s_branch .LBB126_530
.LBB126_528:
                                        ; implicit-def: $vgpr130_vgpr131
.LBB126_529:
	ds_load_b64 v[130:131], v1
.LBB126_530:
	s_and_saveexec_b32 s16, s1
	s_cbranch_execz .LBB126_534
; %bb.531:
	v_add_nc_u32_e32 v132, -10, v0
	s_movk_i32 s17, 0x250
	s_mov_b32 s1, 0
.LBB126_532:                            ; =>This Inner Loop Header: Depth=1
	scratch_load_b64 v[134:135], off, s14
	v_dual_mov_b32 v133, s17 :: v_dual_add_nc_u32 v132, -1, v132
	s_add_co_i32 s17, s17, 8
	s_wait_xcnt 0x0
	s_add_co_i32 s14, s14, 8
	ds_load_b64 v[136:137], v133
	v_cmp_eq_u32_e32 vcc_lo, 0, v132
	s_or_b32 s1, vcc_lo, s1
	s_wait_loadcnt_dscnt 0x0
	v_pk_mul_f32 v[138:139], v[136:137], v[134:135] op_sel:[1,1] op_sel_hi:[0,1]
	s_delay_alu instid0(VALU_DEP_1) | instskip(SKIP_1) | instid1(VALU_DEP_2)
	v_pk_fma_f32 v[140:141], v[136:137], v[134:135], v[138:139] op_sel_hi:[1,0,1]
	v_pk_fma_f32 v[134:135], v[136:137], v[134:135], v[138:139] neg_lo:[0,0,1] neg_hi:[0,0,1]
	v_mov_b32_e32 v135, v141
	s_delay_alu instid0(VALU_DEP_1)
	v_pk_add_f32 v[130:131], v[130:131], v[134:135]
	s_and_not1_b32 exec_lo, exec_lo, s1
	s_cbranch_execnz .LBB126_532
; %bb.533:
	s_or_b32 exec_lo, exec_lo, s1
.LBB126_534:
	s_delay_alu instid0(SALU_CYCLE_1) | instskip(SKIP_4) | instid1(VALU_DEP_1)
	s_or_b32 exec_lo, exec_lo, s16
	v_mov_b32_e32 v132, 0
	ds_load_b64 v[132:133], v132 offset:72
	s_wait_dscnt 0x0
	v_pk_mul_f32 v[134:135], v[130:131], v[132:133] op_sel:[1,1] op_sel_hi:[0,1]
	v_pk_fma_f32 v[136:137], v[130:131], v[132:133], v[134:135] op_sel_hi:[1,0,1]
	v_pk_fma_f32 v[130:131], v[130:131], v[132:133], v[134:135] neg_lo:[0,0,1] neg_hi:[0,0,1]
	s_delay_alu instid0(VALU_DEP_2)
	v_mov_b32_e32 v131, v137
	scratch_store_b64 off, v[130:131], off offset:72
.LBB126_535:
	s_wait_xcnt 0x0
	s_or_b32 exec_lo, exec_lo, s15
	scratch_load_b64 v[130:131], off, off offset:64
	v_cmp_lt_u32_e64 s1, 8, v0
	s_wait_loadcnt 0x0
	ds_store_b64 v1, v[130:131]
	s_wait_storecnt_dscnt 0x0
	s_barrier_signal -1
	s_barrier_wait -1
	s_wait_xcnt 0x0
	s_and_saveexec_b32 s14, s1
	s_cbranch_execz .LBB126_545
; %bb.536:
	s_and_not1_b32 vcc_lo, exec_lo, s5
	s_cbranch_vccnz .LBB126_538
; %bb.537:
	scratch_load_b64 v[130:131], v59, off
	ds_load_b64 v[132:133], v1
	s_wait_loadcnt_dscnt 0x0
	v_pk_mul_f32 v[134:135], v[132:133], v[130:131] op_sel:[1,1] op_sel_hi:[0,1]
	s_delay_alu instid0(VALU_DEP_1) | instskip(SKIP_1) | instid1(VALU_DEP_2)
	v_pk_fma_f32 v[136:137], v[132:133], v[130:131], v[134:135] op_sel_hi:[1,0,1]
	v_pk_fma_f32 v[130:131], v[132:133], v[130:131], v[134:135] neg_lo:[0,0,1] neg_hi:[0,0,1]
	v_mov_b32_e32 v131, v137
	s_cbranch_execz .LBB126_539
	s_branch .LBB126_540
.LBB126_538:
                                        ; implicit-def: $vgpr130_vgpr131
.LBB126_539:
	ds_load_b64 v[130:131], v1
.LBB126_540:
	s_and_saveexec_b32 s15, s0
	s_cbranch_execz .LBB126_544
; %bb.541:
	v_add_nc_u32_e32 v132, -9, v0
	s_movk_i32 s16, 0x248
	s_mov_b32 s0, 0
.LBB126_542:                            ; =>This Inner Loop Header: Depth=1
	scratch_load_b64 v[134:135], off, s13
	v_dual_mov_b32 v133, s16 :: v_dual_add_nc_u32 v132, -1, v132
	s_add_co_i32 s16, s16, 8
	s_wait_xcnt 0x0
	s_add_co_i32 s13, s13, 8
	ds_load_b64 v[136:137], v133
	v_cmp_eq_u32_e32 vcc_lo, 0, v132
	s_or_b32 s0, vcc_lo, s0
	s_wait_loadcnt_dscnt 0x0
	v_pk_mul_f32 v[138:139], v[136:137], v[134:135] op_sel:[1,1] op_sel_hi:[0,1]
	s_delay_alu instid0(VALU_DEP_1) | instskip(SKIP_1) | instid1(VALU_DEP_2)
	v_pk_fma_f32 v[140:141], v[136:137], v[134:135], v[138:139] op_sel_hi:[1,0,1]
	v_pk_fma_f32 v[134:135], v[136:137], v[134:135], v[138:139] neg_lo:[0,0,1] neg_hi:[0,0,1]
	v_mov_b32_e32 v135, v141
	s_delay_alu instid0(VALU_DEP_1)
	v_pk_add_f32 v[130:131], v[130:131], v[134:135]
	s_and_not1_b32 exec_lo, exec_lo, s0
	s_cbranch_execnz .LBB126_542
; %bb.543:
	s_or_b32 exec_lo, exec_lo, s0
.LBB126_544:
	s_delay_alu instid0(SALU_CYCLE_1) | instskip(SKIP_4) | instid1(VALU_DEP_1)
	s_or_b32 exec_lo, exec_lo, s15
	v_mov_b32_e32 v132, 0
	ds_load_b64 v[132:133], v132 offset:64
	s_wait_dscnt 0x0
	v_pk_mul_f32 v[134:135], v[130:131], v[132:133] op_sel:[1,1] op_sel_hi:[0,1]
	v_pk_fma_f32 v[136:137], v[130:131], v[132:133], v[134:135] op_sel_hi:[1,0,1]
	v_pk_fma_f32 v[130:131], v[130:131], v[132:133], v[134:135] neg_lo:[0,0,1] neg_hi:[0,0,1]
	s_delay_alu instid0(VALU_DEP_2)
	v_mov_b32_e32 v131, v137
	scratch_store_b64 off, v[130:131], off offset:64
.LBB126_545:
	s_wait_xcnt 0x0
	s_or_b32 exec_lo, exec_lo, s14
	scratch_load_b64 v[130:131], off, off offset:56
	v_cmp_lt_u32_e64 s0, 7, v0
	s_wait_loadcnt 0x0
	ds_store_b64 v1, v[130:131]
	s_wait_storecnt_dscnt 0x0
	s_barrier_signal -1
	s_barrier_wait -1
	s_wait_xcnt 0x0
	s_and_saveexec_b32 s13, s0
	s_cbranch_execz .LBB126_555
; %bb.546:
	s_and_not1_b32 vcc_lo, exec_lo, s5
	s_cbranch_vccnz .LBB126_548
; %bb.547:
	scratch_load_b64 v[130:131], v59, off
	ds_load_b64 v[132:133], v1
	s_wait_loadcnt_dscnt 0x0
	v_pk_mul_f32 v[134:135], v[132:133], v[130:131] op_sel:[1,1] op_sel_hi:[0,1]
	s_delay_alu instid0(VALU_DEP_1) | instskip(SKIP_1) | instid1(VALU_DEP_2)
	v_pk_fma_f32 v[136:137], v[132:133], v[130:131], v[134:135] op_sel_hi:[1,0,1]
	v_pk_fma_f32 v[130:131], v[132:133], v[130:131], v[134:135] neg_lo:[0,0,1] neg_hi:[0,0,1]
	v_mov_b32_e32 v131, v137
	s_cbranch_execz .LBB126_549
	s_branch .LBB126_550
.LBB126_548:
                                        ; implicit-def: $vgpr130_vgpr131
.LBB126_549:
	ds_load_b64 v[130:131], v1
.LBB126_550:
	s_and_saveexec_b32 s14, s1
	s_cbranch_execz .LBB126_554
; %bb.551:
	v_add_nc_u32_e32 v132, -8, v0
	s_movk_i32 s15, 0x240
	s_mov_b32 s1, 0
.LBB126_552:                            ; =>This Inner Loop Header: Depth=1
	scratch_load_b64 v[134:135], off, s12
	v_dual_mov_b32 v133, s15 :: v_dual_add_nc_u32 v132, -1, v132
	s_add_co_i32 s15, s15, 8
	s_wait_xcnt 0x0
	s_add_co_i32 s12, s12, 8
	ds_load_b64 v[136:137], v133
	v_cmp_eq_u32_e32 vcc_lo, 0, v132
	s_or_b32 s1, vcc_lo, s1
	s_wait_loadcnt_dscnt 0x0
	v_pk_mul_f32 v[138:139], v[136:137], v[134:135] op_sel:[1,1] op_sel_hi:[0,1]
	s_delay_alu instid0(VALU_DEP_1) | instskip(SKIP_1) | instid1(VALU_DEP_2)
	v_pk_fma_f32 v[140:141], v[136:137], v[134:135], v[138:139] op_sel_hi:[1,0,1]
	v_pk_fma_f32 v[134:135], v[136:137], v[134:135], v[138:139] neg_lo:[0,0,1] neg_hi:[0,0,1]
	v_mov_b32_e32 v135, v141
	s_delay_alu instid0(VALU_DEP_1)
	v_pk_add_f32 v[130:131], v[130:131], v[134:135]
	s_and_not1_b32 exec_lo, exec_lo, s1
	s_cbranch_execnz .LBB126_552
; %bb.553:
	s_or_b32 exec_lo, exec_lo, s1
.LBB126_554:
	s_delay_alu instid0(SALU_CYCLE_1) | instskip(SKIP_4) | instid1(VALU_DEP_1)
	s_or_b32 exec_lo, exec_lo, s14
	v_mov_b32_e32 v132, 0
	ds_load_b64 v[132:133], v132 offset:56
	s_wait_dscnt 0x0
	v_pk_mul_f32 v[134:135], v[130:131], v[132:133] op_sel:[1,1] op_sel_hi:[0,1]
	v_pk_fma_f32 v[136:137], v[130:131], v[132:133], v[134:135] op_sel_hi:[1,0,1]
	v_pk_fma_f32 v[130:131], v[130:131], v[132:133], v[134:135] neg_lo:[0,0,1] neg_hi:[0,0,1]
	s_delay_alu instid0(VALU_DEP_2)
	v_mov_b32_e32 v131, v137
	scratch_store_b64 off, v[130:131], off offset:56
.LBB126_555:
	s_wait_xcnt 0x0
	s_or_b32 exec_lo, exec_lo, s13
	scratch_load_b64 v[130:131], off, off offset:48
	v_cmp_lt_u32_e64 s1, 6, v0
	s_wait_loadcnt 0x0
	ds_store_b64 v1, v[130:131]
	s_wait_storecnt_dscnt 0x0
	s_barrier_signal -1
	s_barrier_wait -1
	s_wait_xcnt 0x0
	s_and_saveexec_b32 s12, s1
	s_cbranch_execz .LBB126_565
; %bb.556:
	s_and_not1_b32 vcc_lo, exec_lo, s5
	s_cbranch_vccnz .LBB126_558
; %bb.557:
	scratch_load_b64 v[130:131], v59, off
	ds_load_b64 v[132:133], v1
	s_wait_loadcnt_dscnt 0x0
	v_pk_mul_f32 v[134:135], v[132:133], v[130:131] op_sel:[1,1] op_sel_hi:[0,1]
	s_delay_alu instid0(VALU_DEP_1) | instskip(SKIP_1) | instid1(VALU_DEP_2)
	v_pk_fma_f32 v[136:137], v[132:133], v[130:131], v[134:135] op_sel_hi:[1,0,1]
	v_pk_fma_f32 v[130:131], v[132:133], v[130:131], v[134:135] neg_lo:[0,0,1] neg_hi:[0,0,1]
	v_mov_b32_e32 v131, v137
	s_cbranch_execz .LBB126_559
	s_branch .LBB126_560
.LBB126_558:
                                        ; implicit-def: $vgpr130_vgpr131
.LBB126_559:
	ds_load_b64 v[130:131], v1
.LBB126_560:
	s_and_saveexec_b32 s13, s0
	s_cbranch_execz .LBB126_564
; %bb.561:
	v_add_nc_u32_e32 v132, -7, v0
	s_movk_i32 s14, 0x238
	s_mov_b32 s0, 0
.LBB126_562:                            ; =>This Inner Loop Header: Depth=1
	scratch_load_b64 v[134:135], off, s11
	v_dual_mov_b32 v133, s14 :: v_dual_add_nc_u32 v132, -1, v132
	s_add_co_i32 s14, s14, 8
	s_wait_xcnt 0x0
	s_add_co_i32 s11, s11, 8
	ds_load_b64 v[136:137], v133
	v_cmp_eq_u32_e32 vcc_lo, 0, v132
	s_or_b32 s0, vcc_lo, s0
	s_wait_loadcnt_dscnt 0x0
	v_pk_mul_f32 v[138:139], v[136:137], v[134:135] op_sel:[1,1] op_sel_hi:[0,1]
	s_delay_alu instid0(VALU_DEP_1) | instskip(SKIP_1) | instid1(VALU_DEP_2)
	v_pk_fma_f32 v[140:141], v[136:137], v[134:135], v[138:139] op_sel_hi:[1,0,1]
	v_pk_fma_f32 v[134:135], v[136:137], v[134:135], v[138:139] neg_lo:[0,0,1] neg_hi:[0,0,1]
	v_mov_b32_e32 v135, v141
	s_delay_alu instid0(VALU_DEP_1)
	v_pk_add_f32 v[130:131], v[130:131], v[134:135]
	s_and_not1_b32 exec_lo, exec_lo, s0
	s_cbranch_execnz .LBB126_562
; %bb.563:
	s_or_b32 exec_lo, exec_lo, s0
.LBB126_564:
	s_delay_alu instid0(SALU_CYCLE_1) | instskip(SKIP_4) | instid1(VALU_DEP_1)
	s_or_b32 exec_lo, exec_lo, s13
	v_mov_b32_e32 v132, 0
	ds_load_b64 v[132:133], v132 offset:48
	s_wait_dscnt 0x0
	v_pk_mul_f32 v[134:135], v[130:131], v[132:133] op_sel:[1,1] op_sel_hi:[0,1]
	v_pk_fma_f32 v[136:137], v[130:131], v[132:133], v[134:135] op_sel_hi:[1,0,1]
	v_pk_fma_f32 v[130:131], v[130:131], v[132:133], v[134:135] neg_lo:[0,0,1] neg_hi:[0,0,1]
	s_delay_alu instid0(VALU_DEP_2)
	v_mov_b32_e32 v131, v137
	scratch_store_b64 off, v[130:131], off offset:48
.LBB126_565:
	s_wait_xcnt 0x0
	s_or_b32 exec_lo, exec_lo, s12
	scratch_load_b64 v[130:131], off, off offset:40
	v_cmp_lt_u32_e64 s0, 5, v0
	s_wait_loadcnt 0x0
	ds_store_b64 v1, v[130:131]
	s_wait_storecnt_dscnt 0x0
	s_barrier_signal -1
	s_barrier_wait -1
	s_wait_xcnt 0x0
	s_and_saveexec_b32 s11, s0
	s_cbranch_execz .LBB126_575
; %bb.566:
	s_and_not1_b32 vcc_lo, exec_lo, s5
	s_cbranch_vccnz .LBB126_568
; %bb.567:
	scratch_load_b64 v[130:131], v59, off
	ds_load_b64 v[132:133], v1
	s_wait_loadcnt_dscnt 0x0
	v_pk_mul_f32 v[134:135], v[132:133], v[130:131] op_sel:[1,1] op_sel_hi:[0,1]
	s_delay_alu instid0(VALU_DEP_1) | instskip(SKIP_1) | instid1(VALU_DEP_2)
	v_pk_fma_f32 v[136:137], v[132:133], v[130:131], v[134:135] op_sel_hi:[1,0,1]
	v_pk_fma_f32 v[130:131], v[132:133], v[130:131], v[134:135] neg_lo:[0,0,1] neg_hi:[0,0,1]
	v_mov_b32_e32 v131, v137
	s_cbranch_execz .LBB126_569
	s_branch .LBB126_570
.LBB126_568:
                                        ; implicit-def: $vgpr130_vgpr131
.LBB126_569:
	ds_load_b64 v[130:131], v1
.LBB126_570:
	s_and_saveexec_b32 s12, s1
	s_cbranch_execz .LBB126_574
; %bb.571:
	v_add_nc_u32_e32 v132, -6, v0
	s_movk_i32 s13, 0x230
	s_mov_b32 s1, 0
.LBB126_572:                            ; =>This Inner Loop Header: Depth=1
	scratch_load_b64 v[134:135], off, s10
	v_dual_mov_b32 v133, s13 :: v_dual_add_nc_u32 v132, -1, v132
	s_add_co_i32 s13, s13, 8
	s_wait_xcnt 0x0
	s_add_co_i32 s10, s10, 8
	ds_load_b64 v[136:137], v133
	v_cmp_eq_u32_e32 vcc_lo, 0, v132
	s_or_b32 s1, vcc_lo, s1
	s_wait_loadcnt_dscnt 0x0
	v_pk_mul_f32 v[138:139], v[136:137], v[134:135] op_sel:[1,1] op_sel_hi:[0,1]
	s_delay_alu instid0(VALU_DEP_1) | instskip(SKIP_1) | instid1(VALU_DEP_2)
	v_pk_fma_f32 v[140:141], v[136:137], v[134:135], v[138:139] op_sel_hi:[1,0,1]
	v_pk_fma_f32 v[134:135], v[136:137], v[134:135], v[138:139] neg_lo:[0,0,1] neg_hi:[0,0,1]
	v_mov_b32_e32 v135, v141
	s_delay_alu instid0(VALU_DEP_1)
	v_pk_add_f32 v[130:131], v[130:131], v[134:135]
	s_and_not1_b32 exec_lo, exec_lo, s1
	s_cbranch_execnz .LBB126_572
; %bb.573:
	s_or_b32 exec_lo, exec_lo, s1
.LBB126_574:
	s_delay_alu instid0(SALU_CYCLE_1) | instskip(SKIP_4) | instid1(VALU_DEP_1)
	s_or_b32 exec_lo, exec_lo, s12
	v_mov_b32_e32 v132, 0
	ds_load_b64 v[132:133], v132 offset:40
	s_wait_dscnt 0x0
	v_pk_mul_f32 v[134:135], v[130:131], v[132:133] op_sel:[1,1] op_sel_hi:[0,1]
	v_pk_fma_f32 v[136:137], v[130:131], v[132:133], v[134:135] op_sel_hi:[1,0,1]
	v_pk_fma_f32 v[130:131], v[130:131], v[132:133], v[134:135] neg_lo:[0,0,1] neg_hi:[0,0,1]
	s_delay_alu instid0(VALU_DEP_2)
	v_mov_b32_e32 v131, v137
	scratch_store_b64 off, v[130:131], off offset:40
.LBB126_575:
	s_wait_xcnt 0x0
	s_or_b32 exec_lo, exec_lo, s11
	scratch_load_b64 v[130:131], off, off offset:32
	v_cmp_lt_u32_e64 s1, 4, v0
	s_wait_loadcnt 0x0
	ds_store_b64 v1, v[130:131]
	s_wait_storecnt_dscnt 0x0
	s_barrier_signal -1
	s_barrier_wait -1
	s_wait_xcnt 0x0
	s_and_saveexec_b32 s10, s1
	s_cbranch_execz .LBB126_585
; %bb.576:
	s_and_not1_b32 vcc_lo, exec_lo, s5
	s_cbranch_vccnz .LBB126_578
; %bb.577:
	scratch_load_b64 v[130:131], v59, off
	ds_load_b64 v[132:133], v1
	s_wait_loadcnt_dscnt 0x0
	v_pk_mul_f32 v[134:135], v[132:133], v[130:131] op_sel:[1,1] op_sel_hi:[0,1]
	s_delay_alu instid0(VALU_DEP_1) | instskip(SKIP_1) | instid1(VALU_DEP_2)
	v_pk_fma_f32 v[136:137], v[132:133], v[130:131], v[134:135] op_sel_hi:[1,0,1]
	v_pk_fma_f32 v[130:131], v[132:133], v[130:131], v[134:135] neg_lo:[0,0,1] neg_hi:[0,0,1]
	v_mov_b32_e32 v131, v137
	s_cbranch_execz .LBB126_579
	s_branch .LBB126_580
.LBB126_578:
                                        ; implicit-def: $vgpr130_vgpr131
.LBB126_579:
	ds_load_b64 v[130:131], v1
.LBB126_580:
	s_and_saveexec_b32 s11, s0
	s_cbranch_execz .LBB126_584
; %bb.581:
	v_add_nc_u32_e32 v132, -5, v0
	s_movk_i32 s12, 0x228
	s_mov_b32 s0, 0
.LBB126_582:                            ; =>This Inner Loop Header: Depth=1
	scratch_load_b64 v[134:135], off, s9
	v_dual_mov_b32 v133, s12 :: v_dual_add_nc_u32 v132, -1, v132
	s_add_co_i32 s12, s12, 8
	s_wait_xcnt 0x0
	s_add_co_i32 s9, s9, 8
	ds_load_b64 v[136:137], v133
	v_cmp_eq_u32_e32 vcc_lo, 0, v132
	s_or_b32 s0, vcc_lo, s0
	s_wait_loadcnt_dscnt 0x0
	v_pk_mul_f32 v[138:139], v[136:137], v[134:135] op_sel:[1,1] op_sel_hi:[0,1]
	s_delay_alu instid0(VALU_DEP_1) | instskip(SKIP_1) | instid1(VALU_DEP_2)
	v_pk_fma_f32 v[140:141], v[136:137], v[134:135], v[138:139] op_sel_hi:[1,0,1]
	v_pk_fma_f32 v[134:135], v[136:137], v[134:135], v[138:139] neg_lo:[0,0,1] neg_hi:[0,0,1]
	v_mov_b32_e32 v135, v141
	s_delay_alu instid0(VALU_DEP_1)
	v_pk_add_f32 v[130:131], v[130:131], v[134:135]
	s_and_not1_b32 exec_lo, exec_lo, s0
	s_cbranch_execnz .LBB126_582
; %bb.583:
	s_or_b32 exec_lo, exec_lo, s0
.LBB126_584:
	s_delay_alu instid0(SALU_CYCLE_1) | instskip(SKIP_4) | instid1(VALU_DEP_1)
	s_or_b32 exec_lo, exec_lo, s11
	v_mov_b32_e32 v132, 0
	ds_load_b64 v[132:133], v132 offset:32
	s_wait_dscnt 0x0
	v_pk_mul_f32 v[134:135], v[130:131], v[132:133] op_sel:[1,1] op_sel_hi:[0,1]
	v_pk_fma_f32 v[136:137], v[130:131], v[132:133], v[134:135] op_sel_hi:[1,0,1]
	v_pk_fma_f32 v[130:131], v[130:131], v[132:133], v[134:135] neg_lo:[0,0,1] neg_hi:[0,0,1]
	s_delay_alu instid0(VALU_DEP_2)
	v_mov_b32_e32 v131, v137
	scratch_store_b64 off, v[130:131], off offset:32
.LBB126_585:
	s_wait_xcnt 0x0
	s_or_b32 exec_lo, exec_lo, s10
	scratch_load_b64 v[130:131], off, off offset:24
	v_cmp_lt_u32_e64 s0, 3, v0
	s_wait_loadcnt 0x0
	ds_store_b64 v1, v[130:131]
	s_wait_storecnt_dscnt 0x0
	s_barrier_signal -1
	s_barrier_wait -1
	s_wait_xcnt 0x0
	s_and_saveexec_b32 s9, s0
	s_cbranch_execz .LBB126_595
; %bb.586:
	s_and_not1_b32 vcc_lo, exec_lo, s5
	s_cbranch_vccnz .LBB126_588
; %bb.587:
	scratch_load_b64 v[130:131], v59, off
	ds_load_b64 v[132:133], v1
	s_wait_loadcnt_dscnt 0x0
	v_pk_mul_f32 v[134:135], v[132:133], v[130:131] op_sel:[1,1] op_sel_hi:[0,1]
	s_delay_alu instid0(VALU_DEP_1) | instskip(SKIP_1) | instid1(VALU_DEP_2)
	v_pk_fma_f32 v[136:137], v[132:133], v[130:131], v[134:135] op_sel_hi:[1,0,1]
	v_pk_fma_f32 v[130:131], v[132:133], v[130:131], v[134:135] neg_lo:[0,0,1] neg_hi:[0,0,1]
	v_mov_b32_e32 v131, v137
	s_cbranch_execz .LBB126_589
	s_branch .LBB126_590
.LBB126_588:
                                        ; implicit-def: $vgpr130_vgpr131
.LBB126_589:
	ds_load_b64 v[130:131], v1
.LBB126_590:
	s_and_saveexec_b32 s10, s1
	s_cbranch_execz .LBB126_594
; %bb.591:
	v_add_nc_u32_e32 v132, -4, v0
	s_movk_i32 s11, 0x220
	s_mov_b32 s1, 0
.LBB126_592:                            ; =>This Inner Loop Header: Depth=1
	scratch_load_b64 v[134:135], off, s8
	v_dual_mov_b32 v133, s11 :: v_dual_add_nc_u32 v132, -1, v132
	s_add_co_i32 s11, s11, 8
	s_wait_xcnt 0x0
	s_add_co_i32 s8, s8, 8
	ds_load_b64 v[136:137], v133
	v_cmp_eq_u32_e32 vcc_lo, 0, v132
	s_or_b32 s1, vcc_lo, s1
	s_wait_loadcnt_dscnt 0x0
	v_pk_mul_f32 v[138:139], v[136:137], v[134:135] op_sel:[1,1] op_sel_hi:[0,1]
	s_delay_alu instid0(VALU_DEP_1) | instskip(SKIP_1) | instid1(VALU_DEP_2)
	v_pk_fma_f32 v[140:141], v[136:137], v[134:135], v[138:139] op_sel_hi:[1,0,1]
	v_pk_fma_f32 v[134:135], v[136:137], v[134:135], v[138:139] neg_lo:[0,0,1] neg_hi:[0,0,1]
	v_mov_b32_e32 v135, v141
	s_delay_alu instid0(VALU_DEP_1)
	v_pk_add_f32 v[130:131], v[130:131], v[134:135]
	s_and_not1_b32 exec_lo, exec_lo, s1
	s_cbranch_execnz .LBB126_592
; %bb.593:
	s_or_b32 exec_lo, exec_lo, s1
.LBB126_594:
	s_delay_alu instid0(SALU_CYCLE_1) | instskip(SKIP_4) | instid1(VALU_DEP_1)
	s_or_b32 exec_lo, exec_lo, s10
	v_mov_b32_e32 v132, 0
	ds_load_b64 v[132:133], v132 offset:24
	s_wait_dscnt 0x0
	v_pk_mul_f32 v[134:135], v[130:131], v[132:133] op_sel:[1,1] op_sel_hi:[0,1]
	v_pk_fma_f32 v[136:137], v[130:131], v[132:133], v[134:135] op_sel_hi:[1,0,1]
	v_pk_fma_f32 v[130:131], v[130:131], v[132:133], v[134:135] neg_lo:[0,0,1] neg_hi:[0,0,1]
	s_delay_alu instid0(VALU_DEP_2)
	v_mov_b32_e32 v131, v137
	scratch_store_b64 off, v[130:131], off offset:24
.LBB126_595:
	s_wait_xcnt 0x0
	s_or_b32 exec_lo, exec_lo, s9
	scratch_load_b64 v[130:131], off, off offset:16
	v_cmp_lt_u32_e64 s1, 2, v0
	s_wait_loadcnt 0x0
	ds_store_b64 v1, v[130:131]
	s_wait_storecnt_dscnt 0x0
	s_barrier_signal -1
	s_barrier_wait -1
	s_wait_xcnt 0x0
	s_and_saveexec_b32 s8, s1
	s_cbranch_execz .LBB126_605
; %bb.596:
	s_and_not1_b32 vcc_lo, exec_lo, s5
	s_cbranch_vccnz .LBB126_598
; %bb.597:
	scratch_load_b64 v[130:131], v59, off
	ds_load_b64 v[132:133], v1
	s_wait_loadcnt_dscnt 0x0
	v_pk_mul_f32 v[134:135], v[132:133], v[130:131] op_sel:[1,1] op_sel_hi:[0,1]
	s_delay_alu instid0(VALU_DEP_1) | instskip(SKIP_1) | instid1(VALU_DEP_2)
	v_pk_fma_f32 v[136:137], v[132:133], v[130:131], v[134:135] op_sel_hi:[1,0,1]
	v_pk_fma_f32 v[130:131], v[132:133], v[130:131], v[134:135] neg_lo:[0,0,1] neg_hi:[0,0,1]
	v_mov_b32_e32 v131, v137
	s_cbranch_execz .LBB126_599
	s_branch .LBB126_600
.LBB126_598:
                                        ; implicit-def: $vgpr130_vgpr131
.LBB126_599:
	ds_load_b64 v[130:131], v1
.LBB126_600:
	s_and_saveexec_b32 s9, s0
	s_cbranch_execz .LBB126_604
; %bb.601:
	v_add_nc_u32_e32 v132, -3, v0
	s_movk_i32 s10, 0x218
	s_mov_b32 s0, 0
.LBB126_602:                            ; =>This Inner Loop Header: Depth=1
	scratch_load_b64 v[134:135], off, s7
	v_dual_mov_b32 v133, s10 :: v_dual_add_nc_u32 v132, -1, v132
	s_add_co_i32 s10, s10, 8
	s_wait_xcnt 0x0
	s_add_co_i32 s7, s7, 8
	ds_load_b64 v[136:137], v133
	v_cmp_eq_u32_e32 vcc_lo, 0, v132
	s_or_b32 s0, vcc_lo, s0
	s_wait_loadcnt_dscnt 0x0
	v_pk_mul_f32 v[138:139], v[136:137], v[134:135] op_sel:[1,1] op_sel_hi:[0,1]
	s_delay_alu instid0(VALU_DEP_1) | instskip(SKIP_1) | instid1(VALU_DEP_2)
	v_pk_fma_f32 v[140:141], v[136:137], v[134:135], v[138:139] op_sel_hi:[1,0,1]
	v_pk_fma_f32 v[134:135], v[136:137], v[134:135], v[138:139] neg_lo:[0,0,1] neg_hi:[0,0,1]
	v_mov_b32_e32 v135, v141
	s_delay_alu instid0(VALU_DEP_1)
	v_pk_add_f32 v[130:131], v[130:131], v[134:135]
	s_and_not1_b32 exec_lo, exec_lo, s0
	s_cbranch_execnz .LBB126_602
; %bb.603:
	s_or_b32 exec_lo, exec_lo, s0
.LBB126_604:
	s_delay_alu instid0(SALU_CYCLE_1) | instskip(SKIP_4) | instid1(VALU_DEP_1)
	s_or_b32 exec_lo, exec_lo, s9
	v_mov_b32_e32 v132, 0
	ds_load_b64 v[132:133], v132 offset:16
	s_wait_dscnt 0x0
	v_pk_mul_f32 v[134:135], v[130:131], v[132:133] op_sel:[1,1] op_sel_hi:[0,1]
	v_pk_fma_f32 v[136:137], v[130:131], v[132:133], v[134:135] op_sel_hi:[1,0,1]
	v_pk_fma_f32 v[130:131], v[130:131], v[132:133], v[134:135] neg_lo:[0,0,1] neg_hi:[0,0,1]
	s_delay_alu instid0(VALU_DEP_2)
	v_mov_b32_e32 v131, v137
	scratch_store_b64 off, v[130:131], off offset:16
.LBB126_605:
	s_wait_xcnt 0x0
	s_or_b32 exec_lo, exec_lo, s8
	scratch_load_b64 v[130:131], off, off offset:8
	v_cmp_lt_u32_e64 s0, 1, v0
	s_wait_loadcnt 0x0
	ds_store_b64 v1, v[130:131]
	s_wait_storecnt_dscnt 0x0
	s_barrier_signal -1
	s_barrier_wait -1
	s_wait_xcnt 0x0
	s_and_saveexec_b32 s7, s0
	s_cbranch_execz .LBB126_615
; %bb.606:
	s_and_not1_b32 vcc_lo, exec_lo, s5
	s_cbranch_vccnz .LBB126_608
; %bb.607:
	scratch_load_b64 v[130:131], v59, off
	ds_load_b64 v[132:133], v1
	s_wait_loadcnt_dscnt 0x0
	v_pk_mul_f32 v[134:135], v[132:133], v[130:131] op_sel:[1,1] op_sel_hi:[0,1]
	s_delay_alu instid0(VALU_DEP_1) | instskip(SKIP_1) | instid1(VALU_DEP_2)
	v_pk_fma_f32 v[136:137], v[132:133], v[130:131], v[134:135] op_sel_hi:[1,0,1]
	v_pk_fma_f32 v[130:131], v[132:133], v[130:131], v[134:135] neg_lo:[0,0,1] neg_hi:[0,0,1]
	v_mov_b32_e32 v131, v137
	s_cbranch_execz .LBB126_609
	s_branch .LBB126_610
.LBB126_608:
                                        ; implicit-def: $vgpr130_vgpr131
.LBB126_609:
	ds_load_b64 v[130:131], v1
.LBB126_610:
	s_and_saveexec_b32 s8, s1
	s_cbranch_execz .LBB126_614
; %bb.611:
	v_add_nc_u32_e32 v132, -2, v0
	s_movk_i32 s9, 0x210
	s_mov_b32 s1, 0
.LBB126_612:                            ; =>This Inner Loop Header: Depth=1
	scratch_load_b64 v[134:135], off, s6
	v_dual_mov_b32 v133, s9 :: v_dual_add_nc_u32 v132, -1, v132
	s_add_co_i32 s9, s9, 8
	s_wait_xcnt 0x0
	s_add_co_i32 s6, s6, 8
	ds_load_b64 v[136:137], v133
	v_cmp_eq_u32_e32 vcc_lo, 0, v132
	s_or_b32 s1, vcc_lo, s1
	s_wait_loadcnt_dscnt 0x0
	v_pk_mul_f32 v[138:139], v[136:137], v[134:135] op_sel:[1,1] op_sel_hi:[0,1]
	s_delay_alu instid0(VALU_DEP_1) | instskip(SKIP_1) | instid1(VALU_DEP_2)
	v_pk_fma_f32 v[140:141], v[136:137], v[134:135], v[138:139] op_sel_hi:[1,0,1]
	v_pk_fma_f32 v[134:135], v[136:137], v[134:135], v[138:139] neg_lo:[0,0,1] neg_hi:[0,0,1]
	v_mov_b32_e32 v135, v141
	s_delay_alu instid0(VALU_DEP_1)
	v_pk_add_f32 v[130:131], v[130:131], v[134:135]
	s_and_not1_b32 exec_lo, exec_lo, s1
	s_cbranch_execnz .LBB126_612
; %bb.613:
	s_or_b32 exec_lo, exec_lo, s1
.LBB126_614:
	s_delay_alu instid0(SALU_CYCLE_1) | instskip(SKIP_4) | instid1(VALU_DEP_1)
	s_or_b32 exec_lo, exec_lo, s8
	v_mov_b32_e32 v132, 0
	ds_load_b64 v[132:133], v132 offset:8
	s_wait_dscnt 0x0
	v_pk_mul_f32 v[134:135], v[130:131], v[132:133] op_sel:[1,1] op_sel_hi:[0,1]
	v_pk_fma_f32 v[136:137], v[130:131], v[132:133], v[134:135] op_sel_hi:[1,0,1]
	v_pk_fma_f32 v[130:131], v[130:131], v[132:133], v[134:135] neg_lo:[0,0,1] neg_hi:[0,0,1]
	s_delay_alu instid0(VALU_DEP_2)
	v_mov_b32_e32 v131, v137
	scratch_store_b64 off, v[130:131], off offset:8
.LBB126_615:
	s_wait_xcnt 0x0
	s_or_b32 exec_lo, exec_lo, s7
	scratch_load_b64 v[130:131], off, off
	s_mov_b32 s6, 0
	s_mov_b32 s1, 0
	s_mov_b32 s8, exec_lo
                                        ; implicit-def: $vgpr188
                                        ; implicit-def: $sgpr7
	s_wait_loadcnt 0x0
	ds_store_b64 v1, v[130:131]
	s_wait_storecnt_dscnt 0x0
	s_barrier_signal -1
	s_barrier_wait -1
	s_wait_xcnt 0x0
	v_cmpx_ne_u32_e32 0, v0
	s_cbranch_execz .LBB126_625
; %bb.616:
	s_and_not1_b32 vcc_lo, exec_lo, s5
	s_cbranch_vccnz .LBB126_618
; %bb.617:
	scratch_load_b64 v[132:133], v59, off
	ds_load_b64 v[134:135], v1
	s_wait_loadcnt_dscnt 0x0
	v_dual_mul_f32 v130, v135, v133 :: v_dual_mul_f32 v131, v134, v133
	s_delay_alu instid0(VALU_DEP_1)
	v_dual_fma_f32 v130, v134, v132, -v130 :: v_dual_fmac_f32 v131, v135, v132
	s_and_not1_b32 vcc_lo, exec_lo, s1
	s_cbranch_vccz .LBB126_619
	s_branch .LBB126_620
.LBB126_618:
                                        ; implicit-def: $vgpr130
.LBB126_619:
	ds_load_b64 v[130:131], v1
.LBB126_620:
	s_and_saveexec_b32 s1, s0
	s_cbranch_execz .LBB126_624
; %bb.621:
	v_add_nc_u32_e32 v132, -1, v0
	s_movk_i32 s7, 0x208
	s_mov_b32 s0, 0
.LBB126_622:                            ; =>This Inner Loop Header: Depth=1
	scratch_load_b64 v[134:135], off, s4
	v_mov_b32_e32 v133, s7
	s_add_co_i32 s7, s7, 8
	s_wait_xcnt 0x0
	s_add_co_i32 s4, s4, 8
	v_add_nc_u32_e32 v132, -1, v132
	ds_load_b64 v[136:137], v133
	v_cmp_eq_u32_e32 vcc_lo, 0, v132
	s_or_b32 s0, vcc_lo, s0
	s_wait_loadcnt_dscnt 0x0
	v_dual_mul_f32 v133, v137, v135 :: v_dual_mul_f32 v135, v136, v135
	s_delay_alu instid0(VALU_DEP_1) | instskip(NEXT) | instid1(VALU_DEP_1)
	v_dual_fma_f32 v133, v136, v134, -v133 :: v_dual_fmac_f32 v135, v137, v134
	v_dual_add_f32 v130, v130, v133 :: v_dual_add_f32 v131, v131, v135
	s_and_not1_b32 exec_lo, exec_lo, s0
	s_cbranch_execnz .LBB126_622
; %bb.623:
	s_or_b32 exec_lo, exec_lo, s0
.LBB126_624:
	s_delay_alu instid0(SALU_CYCLE_1)
	s_or_b32 exec_lo, exec_lo, s1
	v_mov_b32_e32 v132, 0
	s_mov_b32 s1, exec_lo
	s_or_b32 s7, 0, 4
	ds_load_b64 v[132:133], v132
	s_wait_dscnt 0x0
	v_dual_mul_f32 v134, v131, v133 :: v_dual_mul_f32 v188, v130, v133
	s_delay_alu instid0(VALU_DEP_1)
	v_dual_fma_f32 v130, v130, v132, -v134 :: v_dual_fmac_f32 v188, v131, v132
	scratch_store_b32 off, v130, off
.LBB126_625:
	s_wait_xcnt 0x0
	s_or_b32 exec_lo, exec_lo, s8
	s_delay_alu instid0(SALU_CYCLE_1)
	s_and_b32 vcc_lo, exec_lo, s6
	s_cbranch_vccz .LBB126_1241
.LBB126_626:
	scratch_load_b64 v[130:131], off, off offset:8
	v_cmp_eq_u32_e64 s0, 0, v0
	s_wait_loadcnt 0x0
	ds_store_b64 v1, v[130:131]
	s_wait_storecnt_dscnt 0x0
	s_barrier_signal -1
	s_barrier_wait -1
	s_wait_xcnt 0x0
	s_and_saveexec_b32 s4, s0
	s_cbranch_execz .LBB126_632
; %bb.627:
	s_and_b32 vcc_lo, exec_lo, s5
	s_cbranch_vccz .LBB126_629
; %bb.628:
	scratch_load_b64 v[130:131], v59, off
	ds_load_b64 v[132:133], v1
	s_wait_loadcnt_dscnt 0x0
	v_pk_mul_f32 v[134:135], v[132:133], v[130:131] op_sel:[1,1] op_sel_hi:[0,1]
	v_pk_mul_f32 v[136:137], v[132:133], v[130:131] op_sel_hi:[1,0]
	s_delay_alu instid0(VALU_DEP_2) | instskip(NEXT) | instid1(VALU_DEP_2)
	v_pk_fma_f32 v[130:131], v[132:133], v[130:131], v[134:135] op_sel_hi:[1,0,1]
	v_sub_f32_e32 v130, v136, v134
	s_cbranch_execz .LBB126_630
	s_branch .LBB126_631
.LBB126_629:
                                        ; implicit-def: $vgpr131
.LBB126_630:
	ds_load_b64 v[130:131], v1
.LBB126_631:
	s_wait_dscnt 0x0
	v_dual_mov_b32 v132, 0 :: v_dual_mov_b32 v134, v131
	v_mov_b32_e32 v135, v130
	ds_load_b64 v[132:133], v132 offset:8
	s_wait_dscnt 0x0
	v_pk_mul_f32 v[134:135], v[134:135], v[132:133] op_sel:[0,1]
	s_delay_alu instid0(VALU_DEP_1) | instskip(SKIP_1) | instid1(VALU_DEP_2)
	v_pk_fma_f32 v[136:137], v[130:131], v[132:133], v[134:135] op_sel_hi:[1,0,1]
	v_pk_fma_f32 v[130:131], v[130:131], v[132:133], v[134:135] neg_lo:[0,0,1] neg_hi:[0,0,1]
	v_mov_b32_e32 v131, v137
	scratch_store_b64 off, v[130:131], off offset:8
.LBB126_632:
	s_wait_xcnt 0x0
	s_or_b32 exec_lo, exec_lo, s4
	scratch_load_b64 v[130:131], off, off offset:16
	v_cndmask_b32_e64 v132, 0, 1, s5
	s_mov_b32 s4, exec_lo
	s_wait_loadcnt 0x0
	ds_store_b64 v1, v[130:131]
	s_wait_storecnt_dscnt 0x0
	s_barrier_signal -1
	s_barrier_wait -1
	s_wait_xcnt 0x0
	v_cmpx_gt_u32_e32 2, v0
	s_cbranch_execz .LBB126_640
; %bb.633:
	s_and_not1_b32 vcc_lo, exec_lo, s5
	s_cbranch_vccnz .LBB126_635
; %bb.634:
	scratch_load_b64 v[130:131], v59, off
	ds_load_b64 v[134:135], v1
	s_wait_loadcnt_dscnt 0x0
	v_pk_mul_f32 v[136:137], v[134:135], v[130:131] op_sel:[1,1] op_sel_hi:[0,1]
	s_delay_alu instid0(VALU_DEP_1) | instskip(SKIP_1) | instid1(VALU_DEP_2)
	v_pk_fma_f32 v[138:139], v[134:135], v[130:131], v[136:137] op_sel_hi:[1,0,1]
	v_pk_fma_f32 v[130:131], v[134:135], v[130:131], v[136:137] neg_lo:[0,0,1] neg_hi:[0,0,1]
	v_mov_b32_e32 v131, v139
	s_cbranch_execz .LBB126_636
	s_branch .LBB126_637
.LBB126_635:
                                        ; implicit-def: $vgpr130_vgpr131
.LBB126_636:
	ds_load_b64 v[130:131], v1
.LBB126_637:
	s_and_saveexec_b32 s5, s0
	s_cbranch_execz .LBB126_639
; %bb.638:
	scratch_load_b64 v[134:135], off, off offset:8
	v_mov_b32_e32 v133, 0
	ds_load_b64 v[136:137], v133 offset:520
	s_wait_loadcnt_dscnt 0x0
	v_pk_mul_f32 v[138:139], v[136:137], v[134:135] op_sel:[1,1] op_sel_hi:[0,1]
	s_delay_alu instid0(VALU_DEP_1) | instskip(SKIP_1) | instid1(VALU_DEP_2)
	v_pk_fma_f32 v[140:141], v[136:137], v[134:135], v[138:139] op_sel_hi:[1,0,1]
	v_pk_fma_f32 v[134:135], v[136:137], v[134:135], v[138:139] neg_lo:[0,0,1] neg_hi:[0,0,1]
	v_mov_b32_e32 v135, v141
	s_delay_alu instid0(VALU_DEP_1)
	v_pk_add_f32 v[130:131], v[130:131], v[134:135]
.LBB126_639:
	s_or_b32 exec_lo, exec_lo, s5
	v_mov_b32_e32 v133, 0
	ds_load_b64 v[134:135], v133 offset:16
	s_wait_dscnt 0x0
	v_pk_mul_f32 v[136:137], v[130:131], v[134:135] op_sel:[1,1] op_sel_hi:[0,1]
	s_delay_alu instid0(VALU_DEP_1) | instskip(SKIP_1) | instid1(VALU_DEP_2)
	v_pk_fma_f32 v[138:139], v[130:131], v[134:135], v[136:137] op_sel_hi:[1,0,1]
	v_pk_fma_f32 v[130:131], v[130:131], v[134:135], v[136:137] neg_lo:[0,0,1] neg_hi:[0,0,1]
	v_mov_b32_e32 v131, v139
	scratch_store_b64 off, v[130:131], off offset:16
.LBB126_640:
	s_wait_xcnt 0x0
	s_or_b32 exec_lo, exec_lo, s4
	scratch_load_b64 v[130:131], off, off offset:24
	s_mov_b32 s4, exec_lo
	s_wait_loadcnt 0x0
	ds_store_b64 v1, v[130:131]
	s_wait_storecnt_dscnt 0x0
	s_barrier_signal -1
	s_barrier_wait -1
	s_wait_xcnt 0x0
	v_cmpx_gt_u32_e32 3, v0
	s_cbranch_execz .LBB126_650
; %bb.641:
	v_cmp_ne_u32_e32 vcc_lo, 1, v132
	s_cbranch_vccnz .LBB126_643
; %bb.642:
	scratch_load_b64 v[130:131], v59, off
	ds_load_b64 v[134:135], v1
	s_wait_loadcnt_dscnt 0x0
	v_pk_mul_f32 v[136:137], v[134:135], v[130:131] op_sel:[1,1] op_sel_hi:[0,1]
	s_delay_alu instid0(VALU_DEP_1) | instskip(SKIP_1) | instid1(VALU_DEP_2)
	v_pk_fma_f32 v[138:139], v[134:135], v[130:131], v[136:137] op_sel_hi:[1,0,1]
	v_pk_fma_f32 v[130:131], v[134:135], v[130:131], v[136:137] neg_lo:[0,0,1] neg_hi:[0,0,1]
	v_mov_b32_e32 v131, v139
	s_cbranch_execz .LBB126_644
	s_branch .LBB126_645
.LBB126_643:
                                        ; implicit-def: $vgpr130_vgpr131
.LBB126_644:
	ds_load_b64 v[130:131], v1
.LBB126_645:
	s_mov_b32 s5, exec_lo
	v_cmpx_ne_u32_e32 2, v0
	s_cbranch_execz .LBB126_649
; %bb.646:
	scratch_load_b64 v[134:135], v59, off offset:8
	ds_load_b64 v[136:137], v1 offset:8
	s_wait_loadcnt_dscnt 0x0
	v_pk_mul_f32 v[138:139], v[136:137], v[134:135] op_sel:[1,1] op_sel_hi:[0,1]
	s_delay_alu instid0(VALU_DEP_1) | instskip(SKIP_1) | instid1(VALU_DEP_2)
	v_pk_fma_f32 v[140:141], v[136:137], v[134:135], v[138:139] op_sel_hi:[1,0,1]
	v_pk_fma_f32 v[134:135], v[136:137], v[134:135], v[138:139] neg_lo:[0,0,1] neg_hi:[0,0,1]
	v_mov_b32_e32 v135, v141
	s_delay_alu instid0(VALU_DEP_1)
	v_pk_add_f32 v[130:131], v[130:131], v[134:135]
	s_and_saveexec_b32 s6, s0
	s_cbranch_execz .LBB126_648
; %bb.647:
	scratch_load_b64 v[134:135], off, off offset:16
	v_mov_b32_e32 v133, 0
	ds_load_b64 v[136:137], v133 offset:528
	s_wait_loadcnt_dscnt 0x0
	v_pk_mul_f32 v[138:139], v[136:137], v[134:135] op_sel:[1,1] op_sel_hi:[0,1]
	s_delay_alu instid0(VALU_DEP_1) | instskip(SKIP_1) | instid1(VALU_DEP_2)
	v_pk_fma_f32 v[140:141], v[136:137], v[134:135], v[138:139] op_sel_hi:[1,0,1]
	v_pk_fma_f32 v[134:135], v[136:137], v[134:135], v[138:139] neg_lo:[0,0,1] neg_hi:[0,0,1]
	v_mov_b32_e32 v135, v141
	s_delay_alu instid0(VALU_DEP_1)
	v_pk_add_f32 v[130:131], v[130:131], v[134:135]
.LBB126_648:
	s_or_b32 exec_lo, exec_lo, s6
.LBB126_649:
	s_delay_alu instid0(SALU_CYCLE_1) | instskip(SKIP_4) | instid1(VALU_DEP_1)
	s_or_b32 exec_lo, exec_lo, s5
	v_mov_b32_e32 v133, 0
	ds_load_b64 v[134:135], v133 offset:24
	s_wait_dscnt 0x0
	v_pk_mul_f32 v[136:137], v[130:131], v[134:135] op_sel:[1,1] op_sel_hi:[0,1]
	v_pk_fma_f32 v[138:139], v[130:131], v[134:135], v[136:137] op_sel_hi:[1,0,1]
	v_pk_fma_f32 v[130:131], v[130:131], v[134:135], v[136:137] neg_lo:[0,0,1] neg_hi:[0,0,1]
	s_delay_alu instid0(VALU_DEP_2)
	v_mov_b32_e32 v131, v139
	scratch_store_b64 off, v[130:131], off offset:24
.LBB126_650:
	s_wait_xcnt 0x0
	s_or_b32 exec_lo, exec_lo, s4
	scratch_load_b64 v[130:131], off, off offset:32
	s_mov_b32 s0, exec_lo
	s_wait_loadcnt 0x0
	ds_store_b64 v1, v[130:131]
	s_wait_storecnt_dscnt 0x0
	s_barrier_signal -1
	s_barrier_wait -1
	s_wait_xcnt 0x0
	v_cmpx_gt_u32_e32 4, v0
	s_cbranch_execz .LBB126_660
; %bb.651:
	v_cmp_ne_u32_e32 vcc_lo, 1, v132
	s_cbranch_vccnz .LBB126_653
; %bb.652:
	scratch_load_b64 v[130:131], v59, off
	ds_load_b64 v[134:135], v1
	s_wait_loadcnt_dscnt 0x0
	v_pk_mul_f32 v[136:137], v[134:135], v[130:131] op_sel:[1,1] op_sel_hi:[0,1]
	s_delay_alu instid0(VALU_DEP_1) | instskip(SKIP_1) | instid1(VALU_DEP_2)
	v_pk_fma_f32 v[138:139], v[134:135], v[130:131], v[136:137] op_sel_hi:[1,0,1]
	v_pk_fma_f32 v[130:131], v[134:135], v[130:131], v[136:137] neg_lo:[0,0,1] neg_hi:[0,0,1]
	v_mov_b32_e32 v131, v139
	s_cbranch_execz .LBB126_654
	s_branch .LBB126_655
.LBB126_653:
                                        ; implicit-def: $vgpr130_vgpr131
.LBB126_654:
	ds_load_b64 v[130:131], v1
.LBB126_655:
	s_mov_b32 s4, exec_lo
	v_cmpx_ne_u32_e32 3, v0
	s_cbranch_execz .LBB126_659
; %bb.656:
	v_add_nc_u32_e32 v133, 0x208, v58
	v_add3_u32 v134, 0, v58, 8
	v_mov_b32_e32 v135, v0
	s_mov_b32 s5, 0
.LBB126_657:                            ; =>This Inner Loop Header: Depth=1
	scratch_load_b64 v[136:137], v134, off
	ds_load_b64 v[138:139], v133
	s_wait_xcnt 0x0
	v_dual_add_nc_u32 v133, 8, v133 :: v_dual_add_nc_u32 v134, 8, v134
	s_wait_loadcnt_dscnt 0x0
	v_pk_mul_f32 v[140:141], v[138:139], v[136:137] op_sel:[1,1] op_sel_hi:[0,1]
	s_delay_alu instid0(VALU_DEP_1) | instskip(SKIP_2) | instid1(VALU_DEP_3)
	v_pk_fma_f32 v[142:143], v[138:139], v[136:137], v[140:141] op_sel_hi:[1,0,1]
	v_add_nc_u32_e32 v135, 1, v135
	v_pk_fma_f32 v[136:137], v[138:139], v[136:137], v[140:141] neg_lo:[0,0,1] neg_hi:[0,0,1]
	v_mov_b32_e32 v137, v143
	s_delay_alu instid0(VALU_DEP_3) | instskip(NEXT) | instid1(VALU_DEP_2)
	v_cmp_lt_u32_e32 vcc_lo, 2, v135
	v_pk_add_f32 v[130:131], v[130:131], v[136:137]
	s_or_b32 s5, vcc_lo, s5
	s_delay_alu instid0(SALU_CYCLE_1)
	s_and_not1_b32 exec_lo, exec_lo, s5
	s_cbranch_execnz .LBB126_657
; %bb.658:
	s_or_b32 exec_lo, exec_lo, s5
.LBB126_659:
	s_delay_alu instid0(SALU_CYCLE_1) | instskip(SKIP_4) | instid1(VALU_DEP_1)
	s_or_b32 exec_lo, exec_lo, s4
	v_mov_b32_e32 v133, 0
	ds_load_b64 v[134:135], v133 offset:32
	s_wait_dscnt 0x0
	v_pk_mul_f32 v[136:137], v[130:131], v[134:135] op_sel:[1,1] op_sel_hi:[0,1]
	v_pk_fma_f32 v[138:139], v[130:131], v[134:135], v[136:137] op_sel_hi:[1,0,1]
	v_pk_fma_f32 v[130:131], v[130:131], v[134:135], v[136:137] neg_lo:[0,0,1] neg_hi:[0,0,1]
	s_delay_alu instid0(VALU_DEP_2)
	v_mov_b32_e32 v131, v139
	scratch_store_b64 off, v[130:131], off offset:32
.LBB126_660:
	s_wait_xcnt 0x0
	s_or_b32 exec_lo, exec_lo, s0
	scratch_load_b64 v[130:131], off, off offset:40
	s_mov_b32 s0, exec_lo
	s_wait_loadcnt 0x0
	ds_store_b64 v1, v[130:131]
	s_wait_storecnt_dscnt 0x0
	s_barrier_signal -1
	s_barrier_wait -1
	s_wait_xcnt 0x0
	v_cmpx_gt_u32_e32 5, v0
	s_cbranch_execz .LBB126_670
; %bb.661:
	v_cmp_ne_u32_e32 vcc_lo, 1, v132
	s_cbranch_vccnz .LBB126_663
; %bb.662:
	scratch_load_b64 v[130:131], v59, off
	ds_load_b64 v[134:135], v1
	s_wait_loadcnt_dscnt 0x0
	v_pk_mul_f32 v[136:137], v[134:135], v[130:131] op_sel:[1,1] op_sel_hi:[0,1]
	s_delay_alu instid0(VALU_DEP_1) | instskip(SKIP_1) | instid1(VALU_DEP_2)
	v_pk_fma_f32 v[138:139], v[134:135], v[130:131], v[136:137] op_sel_hi:[1,0,1]
	v_pk_fma_f32 v[130:131], v[134:135], v[130:131], v[136:137] neg_lo:[0,0,1] neg_hi:[0,0,1]
	v_mov_b32_e32 v131, v139
	s_cbranch_execz .LBB126_664
	s_branch .LBB126_665
.LBB126_663:
                                        ; implicit-def: $vgpr130_vgpr131
.LBB126_664:
	ds_load_b64 v[130:131], v1
.LBB126_665:
	s_mov_b32 s4, exec_lo
	v_cmpx_ne_u32_e32 4, v0
	s_cbranch_execz .LBB126_669
; %bb.666:
	v_add_nc_u32_e32 v133, 0x208, v58
	v_add3_u32 v134, 0, v58, 8
	v_mov_b32_e32 v135, v0
	s_mov_b32 s5, 0
.LBB126_667:                            ; =>This Inner Loop Header: Depth=1
	scratch_load_b64 v[136:137], v134, off
	ds_load_b64 v[138:139], v133
	s_wait_xcnt 0x0
	v_dual_add_nc_u32 v133, 8, v133 :: v_dual_add_nc_u32 v134, 8, v134
	s_wait_loadcnt_dscnt 0x0
	v_pk_mul_f32 v[140:141], v[138:139], v[136:137] op_sel:[1,1] op_sel_hi:[0,1]
	s_delay_alu instid0(VALU_DEP_1) | instskip(SKIP_2) | instid1(VALU_DEP_3)
	v_pk_fma_f32 v[142:143], v[138:139], v[136:137], v[140:141] op_sel_hi:[1,0,1]
	v_add_nc_u32_e32 v135, 1, v135
	v_pk_fma_f32 v[136:137], v[138:139], v[136:137], v[140:141] neg_lo:[0,0,1] neg_hi:[0,0,1]
	v_mov_b32_e32 v137, v143
	s_delay_alu instid0(VALU_DEP_3) | instskip(NEXT) | instid1(VALU_DEP_2)
	v_cmp_lt_u32_e32 vcc_lo, 3, v135
	v_pk_add_f32 v[130:131], v[130:131], v[136:137]
	s_or_b32 s5, vcc_lo, s5
	s_delay_alu instid0(SALU_CYCLE_1)
	s_and_not1_b32 exec_lo, exec_lo, s5
	s_cbranch_execnz .LBB126_667
; %bb.668:
	s_or_b32 exec_lo, exec_lo, s5
.LBB126_669:
	s_delay_alu instid0(SALU_CYCLE_1) | instskip(SKIP_4) | instid1(VALU_DEP_1)
	s_or_b32 exec_lo, exec_lo, s4
	v_mov_b32_e32 v133, 0
	ds_load_b64 v[134:135], v133 offset:40
	s_wait_dscnt 0x0
	v_pk_mul_f32 v[136:137], v[130:131], v[134:135] op_sel:[1,1] op_sel_hi:[0,1]
	v_pk_fma_f32 v[138:139], v[130:131], v[134:135], v[136:137] op_sel_hi:[1,0,1]
	v_pk_fma_f32 v[130:131], v[130:131], v[134:135], v[136:137] neg_lo:[0,0,1] neg_hi:[0,0,1]
	s_delay_alu instid0(VALU_DEP_2)
	v_mov_b32_e32 v131, v139
	scratch_store_b64 off, v[130:131], off offset:40
.LBB126_670:
	s_wait_xcnt 0x0
	s_or_b32 exec_lo, exec_lo, s0
	scratch_load_b64 v[130:131], off, off offset:48
	s_mov_b32 s0, exec_lo
	s_wait_loadcnt 0x0
	ds_store_b64 v1, v[130:131]
	s_wait_storecnt_dscnt 0x0
	s_barrier_signal -1
	s_barrier_wait -1
	s_wait_xcnt 0x0
	v_cmpx_gt_u32_e32 6, v0
	s_cbranch_execz .LBB126_680
; %bb.671:
	v_cmp_ne_u32_e32 vcc_lo, 1, v132
	s_cbranch_vccnz .LBB126_673
; %bb.672:
	scratch_load_b64 v[130:131], v59, off
	ds_load_b64 v[134:135], v1
	s_wait_loadcnt_dscnt 0x0
	v_pk_mul_f32 v[136:137], v[134:135], v[130:131] op_sel:[1,1] op_sel_hi:[0,1]
	s_delay_alu instid0(VALU_DEP_1) | instskip(SKIP_1) | instid1(VALU_DEP_2)
	v_pk_fma_f32 v[138:139], v[134:135], v[130:131], v[136:137] op_sel_hi:[1,0,1]
	v_pk_fma_f32 v[130:131], v[134:135], v[130:131], v[136:137] neg_lo:[0,0,1] neg_hi:[0,0,1]
	v_mov_b32_e32 v131, v139
	s_cbranch_execz .LBB126_674
	s_branch .LBB126_675
.LBB126_673:
                                        ; implicit-def: $vgpr130_vgpr131
.LBB126_674:
	ds_load_b64 v[130:131], v1
.LBB126_675:
	s_mov_b32 s4, exec_lo
	v_cmpx_ne_u32_e32 5, v0
	s_cbranch_execz .LBB126_679
; %bb.676:
	v_add_nc_u32_e32 v133, 0x208, v58
	v_add3_u32 v134, 0, v58, 8
	v_mov_b32_e32 v135, v0
	s_mov_b32 s5, 0
.LBB126_677:                            ; =>This Inner Loop Header: Depth=1
	scratch_load_b64 v[136:137], v134, off
	ds_load_b64 v[138:139], v133
	s_wait_xcnt 0x0
	v_dual_add_nc_u32 v133, 8, v133 :: v_dual_add_nc_u32 v134, 8, v134
	s_wait_loadcnt_dscnt 0x0
	v_pk_mul_f32 v[140:141], v[138:139], v[136:137] op_sel:[1,1] op_sel_hi:[0,1]
	s_delay_alu instid0(VALU_DEP_1) | instskip(SKIP_2) | instid1(VALU_DEP_3)
	v_pk_fma_f32 v[142:143], v[138:139], v[136:137], v[140:141] op_sel_hi:[1,0,1]
	v_add_nc_u32_e32 v135, 1, v135
	v_pk_fma_f32 v[136:137], v[138:139], v[136:137], v[140:141] neg_lo:[0,0,1] neg_hi:[0,0,1]
	v_mov_b32_e32 v137, v143
	s_delay_alu instid0(VALU_DEP_3) | instskip(NEXT) | instid1(VALU_DEP_2)
	v_cmp_lt_u32_e32 vcc_lo, 4, v135
	v_pk_add_f32 v[130:131], v[130:131], v[136:137]
	s_or_b32 s5, vcc_lo, s5
	s_delay_alu instid0(SALU_CYCLE_1)
	s_and_not1_b32 exec_lo, exec_lo, s5
	s_cbranch_execnz .LBB126_677
; %bb.678:
	s_or_b32 exec_lo, exec_lo, s5
.LBB126_679:
	s_delay_alu instid0(SALU_CYCLE_1) | instskip(SKIP_4) | instid1(VALU_DEP_1)
	s_or_b32 exec_lo, exec_lo, s4
	v_mov_b32_e32 v133, 0
	ds_load_b64 v[134:135], v133 offset:48
	s_wait_dscnt 0x0
	v_pk_mul_f32 v[136:137], v[130:131], v[134:135] op_sel:[1,1] op_sel_hi:[0,1]
	v_pk_fma_f32 v[138:139], v[130:131], v[134:135], v[136:137] op_sel_hi:[1,0,1]
	v_pk_fma_f32 v[130:131], v[130:131], v[134:135], v[136:137] neg_lo:[0,0,1] neg_hi:[0,0,1]
	s_delay_alu instid0(VALU_DEP_2)
	v_mov_b32_e32 v131, v139
	scratch_store_b64 off, v[130:131], off offset:48
.LBB126_680:
	s_wait_xcnt 0x0
	s_or_b32 exec_lo, exec_lo, s0
	scratch_load_b64 v[130:131], off, off offset:56
	s_mov_b32 s0, exec_lo
	s_wait_loadcnt 0x0
	ds_store_b64 v1, v[130:131]
	s_wait_storecnt_dscnt 0x0
	s_barrier_signal -1
	s_barrier_wait -1
	s_wait_xcnt 0x0
	v_cmpx_gt_u32_e32 7, v0
	s_cbranch_execz .LBB126_690
; %bb.681:
	v_cmp_ne_u32_e32 vcc_lo, 1, v132
	s_cbranch_vccnz .LBB126_683
; %bb.682:
	scratch_load_b64 v[130:131], v59, off
	ds_load_b64 v[134:135], v1
	s_wait_loadcnt_dscnt 0x0
	v_pk_mul_f32 v[136:137], v[134:135], v[130:131] op_sel:[1,1] op_sel_hi:[0,1]
	s_delay_alu instid0(VALU_DEP_1) | instskip(SKIP_1) | instid1(VALU_DEP_2)
	v_pk_fma_f32 v[138:139], v[134:135], v[130:131], v[136:137] op_sel_hi:[1,0,1]
	v_pk_fma_f32 v[130:131], v[134:135], v[130:131], v[136:137] neg_lo:[0,0,1] neg_hi:[0,0,1]
	v_mov_b32_e32 v131, v139
	s_cbranch_execz .LBB126_684
	s_branch .LBB126_685
.LBB126_683:
                                        ; implicit-def: $vgpr130_vgpr131
.LBB126_684:
	ds_load_b64 v[130:131], v1
.LBB126_685:
	s_mov_b32 s4, exec_lo
	v_cmpx_ne_u32_e32 6, v0
	s_cbranch_execz .LBB126_689
; %bb.686:
	v_add_nc_u32_e32 v133, 0x208, v58
	v_add3_u32 v134, 0, v58, 8
	v_mov_b32_e32 v135, v0
	s_mov_b32 s5, 0
.LBB126_687:                            ; =>This Inner Loop Header: Depth=1
	scratch_load_b64 v[136:137], v134, off
	ds_load_b64 v[138:139], v133
	s_wait_xcnt 0x0
	v_dual_add_nc_u32 v133, 8, v133 :: v_dual_add_nc_u32 v134, 8, v134
	s_wait_loadcnt_dscnt 0x0
	v_pk_mul_f32 v[140:141], v[138:139], v[136:137] op_sel:[1,1] op_sel_hi:[0,1]
	s_delay_alu instid0(VALU_DEP_1) | instskip(SKIP_2) | instid1(VALU_DEP_3)
	v_pk_fma_f32 v[142:143], v[138:139], v[136:137], v[140:141] op_sel_hi:[1,0,1]
	v_add_nc_u32_e32 v135, 1, v135
	v_pk_fma_f32 v[136:137], v[138:139], v[136:137], v[140:141] neg_lo:[0,0,1] neg_hi:[0,0,1]
	v_mov_b32_e32 v137, v143
	s_delay_alu instid0(VALU_DEP_3) | instskip(NEXT) | instid1(VALU_DEP_2)
	v_cmp_lt_u32_e32 vcc_lo, 5, v135
	v_pk_add_f32 v[130:131], v[130:131], v[136:137]
	s_or_b32 s5, vcc_lo, s5
	s_delay_alu instid0(SALU_CYCLE_1)
	s_and_not1_b32 exec_lo, exec_lo, s5
	s_cbranch_execnz .LBB126_687
; %bb.688:
	s_or_b32 exec_lo, exec_lo, s5
.LBB126_689:
	s_delay_alu instid0(SALU_CYCLE_1) | instskip(SKIP_4) | instid1(VALU_DEP_1)
	s_or_b32 exec_lo, exec_lo, s4
	v_mov_b32_e32 v133, 0
	ds_load_b64 v[134:135], v133 offset:56
	s_wait_dscnt 0x0
	v_pk_mul_f32 v[136:137], v[130:131], v[134:135] op_sel:[1,1] op_sel_hi:[0,1]
	v_pk_fma_f32 v[138:139], v[130:131], v[134:135], v[136:137] op_sel_hi:[1,0,1]
	v_pk_fma_f32 v[130:131], v[130:131], v[134:135], v[136:137] neg_lo:[0,0,1] neg_hi:[0,0,1]
	s_delay_alu instid0(VALU_DEP_2)
	v_mov_b32_e32 v131, v139
	scratch_store_b64 off, v[130:131], off offset:56
.LBB126_690:
	s_wait_xcnt 0x0
	s_or_b32 exec_lo, exec_lo, s0
	scratch_load_b64 v[130:131], off, off offset:64
	s_mov_b32 s0, exec_lo
	s_wait_loadcnt 0x0
	ds_store_b64 v1, v[130:131]
	s_wait_storecnt_dscnt 0x0
	s_barrier_signal -1
	s_barrier_wait -1
	s_wait_xcnt 0x0
	v_cmpx_gt_u32_e32 8, v0
	s_cbranch_execz .LBB126_700
; %bb.691:
	v_cmp_ne_u32_e32 vcc_lo, 1, v132
	s_cbranch_vccnz .LBB126_693
; %bb.692:
	scratch_load_b64 v[130:131], v59, off
	ds_load_b64 v[134:135], v1
	s_wait_loadcnt_dscnt 0x0
	v_pk_mul_f32 v[136:137], v[134:135], v[130:131] op_sel:[1,1] op_sel_hi:[0,1]
	s_delay_alu instid0(VALU_DEP_1) | instskip(SKIP_1) | instid1(VALU_DEP_2)
	v_pk_fma_f32 v[138:139], v[134:135], v[130:131], v[136:137] op_sel_hi:[1,0,1]
	v_pk_fma_f32 v[130:131], v[134:135], v[130:131], v[136:137] neg_lo:[0,0,1] neg_hi:[0,0,1]
	v_mov_b32_e32 v131, v139
	s_cbranch_execz .LBB126_694
	s_branch .LBB126_695
.LBB126_693:
                                        ; implicit-def: $vgpr130_vgpr131
.LBB126_694:
	ds_load_b64 v[130:131], v1
.LBB126_695:
	s_mov_b32 s4, exec_lo
	v_cmpx_ne_u32_e32 7, v0
	s_cbranch_execz .LBB126_699
; %bb.696:
	v_add_nc_u32_e32 v133, 0x208, v58
	v_add3_u32 v134, 0, v58, 8
	v_mov_b32_e32 v135, v0
	s_mov_b32 s5, 0
.LBB126_697:                            ; =>This Inner Loop Header: Depth=1
	scratch_load_b64 v[136:137], v134, off
	ds_load_b64 v[138:139], v133
	s_wait_xcnt 0x0
	v_dual_add_nc_u32 v133, 8, v133 :: v_dual_add_nc_u32 v134, 8, v134
	s_wait_loadcnt_dscnt 0x0
	v_pk_mul_f32 v[140:141], v[138:139], v[136:137] op_sel:[1,1] op_sel_hi:[0,1]
	s_delay_alu instid0(VALU_DEP_1) | instskip(SKIP_2) | instid1(VALU_DEP_3)
	v_pk_fma_f32 v[142:143], v[138:139], v[136:137], v[140:141] op_sel_hi:[1,0,1]
	v_add_nc_u32_e32 v135, 1, v135
	v_pk_fma_f32 v[136:137], v[138:139], v[136:137], v[140:141] neg_lo:[0,0,1] neg_hi:[0,0,1]
	v_mov_b32_e32 v137, v143
	s_delay_alu instid0(VALU_DEP_3) | instskip(NEXT) | instid1(VALU_DEP_2)
	v_cmp_lt_u32_e32 vcc_lo, 6, v135
	v_pk_add_f32 v[130:131], v[130:131], v[136:137]
	s_or_b32 s5, vcc_lo, s5
	s_delay_alu instid0(SALU_CYCLE_1)
	s_and_not1_b32 exec_lo, exec_lo, s5
	s_cbranch_execnz .LBB126_697
; %bb.698:
	s_or_b32 exec_lo, exec_lo, s5
.LBB126_699:
	s_delay_alu instid0(SALU_CYCLE_1) | instskip(SKIP_4) | instid1(VALU_DEP_1)
	s_or_b32 exec_lo, exec_lo, s4
	v_mov_b32_e32 v133, 0
	ds_load_b64 v[134:135], v133 offset:64
	s_wait_dscnt 0x0
	v_pk_mul_f32 v[136:137], v[130:131], v[134:135] op_sel:[1,1] op_sel_hi:[0,1]
	v_pk_fma_f32 v[138:139], v[130:131], v[134:135], v[136:137] op_sel_hi:[1,0,1]
	v_pk_fma_f32 v[130:131], v[130:131], v[134:135], v[136:137] neg_lo:[0,0,1] neg_hi:[0,0,1]
	s_delay_alu instid0(VALU_DEP_2)
	v_mov_b32_e32 v131, v139
	scratch_store_b64 off, v[130:131], off offset:64
.LBB126_700:
	s_wait_xcnt 0x0
	s_or_b32 exec_lo, exec_lo, s0
	scratch_load_b64 v[130:131], off, off offset:72
	s_mov_b32 s0, exec_lo
	s_wait_loadcnt 0x0
	ds_store_b64 v1, v[130:131]
	s_wait_storecnt_dscnt 0x0
	s_barrier_signal -1
	s_barrier_wait -1
	s_wait_xcnt 0x0
	v_cmpx_gt_u32_e32 9, v0
	s_cbranch_execz .LBB126_710
; %bb.701:
	v_cmp_ne_u32_e32 vcc_lo, 1, v132
	s_cbranch_vccnz .LBB126_703
; %bb.702:
	scratch_load_b64 v[130:131], v59, off
	ds_load_b64 v[134:135], v1
	s_wait_loadcnt_dscnt 0x0
	v_pk_mul_f32 v[136:137], v[134:135], v[130:131] op_sel:[1,1] op_sel_hi:[0,1]
	s_delay_alu instid0(VALU_DEP_1) | instskip(SKIP_1) | instid1(VALU_DEP_2)
	v_pk_fma_f32 v[138:139], v[134:135], v[130:131], v[136:137] op_sel_hi:[1,0,1]
	v_pk_fma_f32 v[130:131], v[134:135], v[130:131], v[136:137] neg_lo:[0,0,1] neg_hi:[0,0,1]
	v_mov_b32_e32 v131, v139
	s_cbranch_execz .LBB126_704
	s_branch .LBB126_705
.LBB126_703:
                                        ; implicit-def: $vgpr130_vgpr131
.LBB126_704:
	ds_load_b64 v[130:131], v1
.LBB126_705:
	s_mov_b32 s4, exec_lo
	v_cmpx_ne_u32_e32 8, v0
	s_cbranch_execz .LBB126_709
; %bb.706:
	v_add_nc_u32_e32 v133, 0x208, v58
	v_add3_u32 v134, 0, v58, 8
	v_mov_b32_e32 v135, v0
	s_mov_b32 s5, 0
.LBB126_707:                            ; =>This Inner Loop Header: Depth=1
	scratch_load_b64 v[136:137], v134, off
	ds_load_b64 v[138:139], v133
	s_wait_xcnt 0x0
	v_dual_add_nc_u32 v133, 8, v133 :: v_dual_add_nc_u32 v134, 8, v134
	s_wait_loadcnt_dscnt 0x0
	v_pk_mul_f32 v[140:141], v[138:139], v[136:137] op_sel:[1,1] op_sel_hi:[0,1]
	s_delay_alu instid0(VALU_DEP_1) | instskip(SKIP_2) | instid1(VALU_DEP_3)
	v_pk_fma_f32 v[142:143], v[138:139], v[136:137], v[140:141] op_sel_hi:[1,0,1]
	v_add_nc_u32_e32 v135, 1, v135
	v_pk_fma_f32 v[136:137], v[138:139], v[136:137], v[140:141] neg_lo:[0,0,1] neg_hi:[0,0,1]
	v_mov_b32_e32 v137, v143
	s_delay_alu instid0(VALU_DEP_3) | instskip(NEXT) | instid1(VALU_DEP_2)
	v_cmp_lt_u32_e32 vcc_lo, 7, v135
	v_pk_add_f32 v[130:131], v[130:131], v[136:137]
	s_or_b32 s5, vcc_lo, s5
	s_delay_alu instid0(SALU_CYCLE_1)
	s_and_not1_b32 exec_lo, exec_lo, s5
	s_cbranch_execnz .LBB126_707
; %bb.708:
	s_or_b32 exec_lo, exec_lo, s5
.LBB126_709:
	s_delay_alu instid0(SALU_CYCLE_1) | instskip(SKIP_4) | instid1(VALU_DEP_1)
	s_or_b32 exec_lo, exec_lo, s4
	v_mov_b32_e32 v133, 0
	ds_load_b64 v[134:135], v133 offset:72
	s_wait_dscnt 0x0
	v_pk_mul_f32 v[136:137], v[130:131], v[134:135] op_sel:[1,1] op_sel_hi:[0,1]
	v_pk_fma_f32 v[138:139], v[130:131], v[134:135], v[136:137] op_sel_hi:[1,0,1]
	v_pk_fma_f32 v[130:131], v[130:131], v[134:135], v[136:137] neg_lo:[0,0,1] neg_hi:[0,0,1]
	s_delay_alu instid0(VALU_DEP_2)
	v_mov_b32_e32 v131, v139
	scratch_store_b64 off, v[130:131], off offset:72
.LBB126_710:
	s_wait_xcnt 0x0
	s_or_b32 exec_lo, exec_lo, s0
	scratch_load_b64 v[130:131], off, off offset:80
	s_mov_b32 s0, exec_lo
	s_wait_loadcnt 0x0
	ds_store_b64 v1, v[130:131]
	s_wait_storecnt_dscnt 0x0
	s_barrier_signal -1
	s_barrier_wait -1
	s_wait_xcnt 0x0
	v_cmpx_gt_u32_e32 10, v0
	s_cbranch_execz .LBB126_720
; %bb.711:
	v_cmp_ne_u32_e32 vcc_lo, 1, v132
	s_cbranch_vccnz .LBB126_713
; %bb.712:
	scratch_load_b64 v[130:131], v59, off
	ds_load_b64 v[134:135], v1
	s_wait_loadcnt_dscnt 0x0
	v_pk_mul_f32 v[136:137], v[134:135], v[130:131] op_sel:[1,1] op_sel_hi:[0,1]
	s_delay_alu instid0(VALU_DEP_1) | instskip(SKIP_1) | instid1(VALU_DEP_2)
	v_pk_fma_f32 v[138:139], v[134:135], v[130:131], v[136:137] op_sel_hi:[1,0,1]
	v_pk_fma_f32 v[130:131], v[134:135], v[130:131], v[136:137] neg_lo:[0,0,1] neg_hi:[0,0,1]
	v_mov_b32_e32 v131, v139
	s_cbranch_execz .LBB126_714
	s_branch .LBB126_715
.LBB126_713:
                                        ; implicit-def: $vgpr130_vgpr131
.LBB126_714:
	ds_load_b64 v[130:131], v1
.LBB126_715:
	s_mov_b32 s4, exec_lo
	v_cmpx_ne_u32_e32 9, v0
	s_cbranch_execz .LBB126_719
; %bb.716:
	v_add_nc_u32_e32 v133, 0x208, v58
	v_add3_u32 v134, 0, v58, 8
	v_mov_b32_e32 v135, v0
	s_mov_b32 s5, 0
.LBB126_717:                            ; =>This Inner Loop Header: Depth=1
	scratch_load_b64 v[136:137], v134, off
	ds_load_b64 v[138:139], v133
	s_wait_xcnt 0x0
	v_dual_add_nc_u32 v133, 8, v133 :: v_dual_add_nc_u32 v134, 8, v134
	s_wait_loadcnt_dscnt 0x0
	v_pk_mul_f32 v[140:141], v[138:139], v[136:137] op_sel:[1,1] op_sel_hi:[0,1]
	s_delay_alu instid0(VALU_DEP_1) | instskip(SKIP_2) | instid1(VALU_DEP_3)
	v_pk_fma_f32 v[142:143], v[138:139], v[136:137], v[140:141] op_sel_hi:[1,0,1]
	v_add_nc_u32_e32 v135, 1, v135
	v_pk_fma_f32 v[136:137], v[138:139], v[136:137], v[140:141] neg_lo:[0,0,1] neg_hi:[0,0,1]
	v_mov_b32_e32 v137, v143
	s_delay_alu instid0(VALU_DEP_3) | instskip(NEXT) | instid1(VALU_DEP_2)
	v_cmp_lt_u32_e32 vcc_lo, 8, v135
	v_pk_add_f32 v[130:131], v[130:131], v[136:137]
	s_or_b32 s5, vcc_lo, s5
	s_delay_alu instid0(SALU_CYCLE_1)
	s_and_not1_b32 exec_lo, exec_lo, s5
	s_cbranch_execnz .LBB126_717
; %bb.718:
	s_or_b32 exec_lo, exec_lo, s5
.LBB126_719:
	s_delay_alu instid0(SALU_CYCLE_1) | instskip(SKIP_4) | instid1(VALU_DEP_1)
	s_or_b32 exec_lo, exec_lo, s4
	v_mov_b32_e32 v133, 0
	ds_load_b64 v[134:135], v133 offset:80
	s_wait_dscnt 0x0
	v_pk_mul_f32 v[136:137], v[130:131], v[134:135] op_sel:[1,1] op_sel_hi:[0,1]
	v_pk_fma_f32 v[138:139], v[130:131], v[134:135], v[136:137] op_sel_hi:[1,0,1]
	v_pk_fma_f32 v[130:131], v[130:131], v[134:135], v[136:137] neg_lo:[0,0,1] neg_hi:[0,0,1]
	s_delay_alu instid0(VALU_DEP_2)
	v_mov_b32_e32 v131, v139
	scratch_store_b64 off, v[130:131], off offset:80
.LBB126_720:
	s_wait_xcnt 0x0
	s_or_b32 exec_lo, exec_lo, s0
	scratch_load_b64 v[130:131], off, off offset:88
	s_mov_b32 s0, exec_lo
	s_wait_loadcnt 0x0
	ds_store_b64 v1, v[130:131]
	s_wait_storecnt_dscnt 0x0
	s_barrier_signal -1
	s_barrier_wait -1
	s_wait_xcnt 0x0
	v_cmpx_gt_u32_e32 11, v0
	s_cbranch_execz .LBB126_730
; %bb.721:
	v_cmp_ne_u32_e32 vcc_lo, 1, v132
	s_cbranch_vccnz .LBB126_723
; %bb.722:
	scratch_load_b64 v[130:131], v59, off
	ds_load_b64 v[134:135], v1
	s_wait_loadcnt_dscnt 0x0
	v_pk_mul_f32 v[136:137], v[134:135], v[130:131] op_sel:[1,1] op_sel_hi:[0,1]
	s_delay_alu instid0(VALU_DEP_1) | instskip(SKIP_1) | instid1(VALU_DEP_2)
	v_pk_fma_f32 v[138:139], v[134:135], v[130:131], v[136:137] op_sel_hi:[1,0,1]
	v_pk_fma_f32 v[130:131], v[134:135], v[130:131], v[136:137] neg_lo:[0,0,1] neg_hi:[0,0,1]
	v_mov_b32_e32 v131, v139
	s_cbranch_execz .LBB126_724
	s_branch .LBB126_725
.LBB126_723:
                                        ; implicit-def: $vgpr130_vgpr131
.LBB126_724:
	ds_load_b64 v[130:131], v1
.LBB126_725:
	s_mov_b32 s4, exec_lo
	v_cmpx_ne_u32_e32 10, v0
	s_cbranch_execz .LBB126_729
; %bb.726:
	v_add_nc_u32_e32 v133, 0x208, v58
	v_add3_u32 v134, 0, v58, 8
	v_mov_b32_e32 v135, v0
	s_mov_b32 s5, 0
.LBB126_727:                            ; =>This Inner Loop Header: Depth=1
	scratch_load_b64 v[136:137], v134, off
	ds_load_b64 v[138:139], v133
	s_wait_xcnt 0x0
	v_dual_add_nc_u32 v133, 8, v133 :: v_dual_add_nc_u32 v134, 8, v134
	s_wait_loadcnt_dscnt 0x0
	v_pk_mul_f32 v[140:141], v[138:139], v[136:137] op_sel:[1,1] op_sel_hi:[0,1]
	s_delay_alu instid0(VALU_DEP_1) | instskip(SKIP_2) | instid1(VALU_DEP_3)
	v_pk_fma_f32 v[142:143], v[138:139], v[136:137], v[140:141] op_sel_hi:[1,0,1]
	v_add_nc_u32_e32 v135, 1, v135
	v_pk_fma_f32 v[136:137], v[138:139], v[136:137], v[140:141] neg_lo:[0,0,1] neg_hi:[0,0,1]
	v_mov_b32_e32 v137, v143
	s_delay_alu instid0(VALU_DEP_3) | instskip(NEXT) | instid1(VALU_DEP_2)
	v_cmp_lt_u32_e32 vcc_lo, 9, v135
	v_pk_add_f32 v[130:131], v[130:131], v[136:137]
	s_or_b32 s5, vcc_lo, s5
	s_delay_alu instid0(SALU_CYCLE_1)
	s_and_not1_b32 exec_lo, exec_lo, s5
	s_cbranch_execnz .LBB126_727
; %bb.728:
	s_or_b32 exec_lo, exec_lo, s5
.LBB126_729:
	s_delay_alu instid0(SALU_CYCLE_1) | instskip(SKIP_4) | instid1(VALU_DEP_1)
	s_or_b32 exec_lo, exec_lo, s4
	v_mov_b32_e32 v133, 0
	ds_load_b64 v[134:135], v133 offset:88
	s_wait_dscnt 0x0
	v_pk_mul_f32 v[136:137], v[130:131], v[134:135] op_sel:[1,1] op_sel_hi:[0,1]
	v_pk_fma_f32 v[138:139], v[130:131], v[134:135], v[136:137] op_sel_hi:[1,0,1]
	v_pk_fma_f32 v[130:131], v[130:131], v[134:135], v[136:137] neg_lo:[0,0,1] neg_hi:[0,0,1]
	s_delay_alu instid0(VALU_DEP_2)
	v_mov_b32_e32 v131, v139
	scratch_store_b64 off, v[130:131], off offset:88
.LBB126_730:
	s_wait_xcnt 0x0
	s_or_b32 exec_lo, exec_lo, s0
	scratch_load_b64 v[130:131], off, off offset:96
	s_mov_b32 s0, exec_lo
	s_wait_loadcnt 0x0
	ds_store_b64 v1, v[130:131]
	s_wait_storecnt_dscnt 0x0
	s_barrier_signal -1
	s_barrier_wait -1
	s_wait_xcnt 0x0
	v_cmpx_gt_u32_e32 12, v0
	s_cbranch_execz .LBB126_740
; %bb.731:
	v_cmp_ne_u32_e32 vcc_lo, 1, v132
	s_cbranch_vccnz .LBB126_733
; %bb.732:
	scratch_load_b64 v[130:131], v59, off
	ds_load_b64 v[134:135], v1
	s_wait_loadcnt_dscnt 0x0
	v_pk_mul_f32 v[136:137], v[134:135], v[130:131] op_sel:[1,1] op_sel_hi:[0,1]
	s_delay_alu instid0(VALU_DEP_1) | instskip(SKIP_1) | instid1(VALU_DEP_2)
	v_pk_fma_f32 v[138:139], v[134:135], v[130:131], v[136:137] op_sel_hi:[1,0,1]
	v_pk_fma_f32 v[130:131], v[134:135], v[130:131], v[136:137] neg_lo:[0,0,1] neg_hi:[0,0,1]
	v_mov_b32_e32 v131, v139
	s_cbranch_execz .LBB126_734
	s_branch .LBB126_735
.LBB126_733:
                                        ; implicit-def: $vgpr130_vgpr131
.LBB126_734:
	ds_load_b64 v[130:131], v1
.LBB126_735:
	s_mov_b32 s4, exec_lo
	v_cmpx_ne_u32_e32 11, v0
	s_cbranch_execz .LBB126_739
; %bb.736:
	v_add_nc_u32_e32 v133, 0x208, v58
	v_add3_u32 v134, 0, v58, 8
	v_mov_b32_e32 v135, v0
	s_mov_b32 s5, 0
.LBB126_737:                            ; =>This Inner Loop Header: Depth=1
	scratch_load_b64 v[136:137], v134, off
	ds_load_b64 v[138:139], v133
	s_wait_xcnt 0x0
	v_dual_add_nc_u32 v133, 8, v133 :: v_dual_add_nc_u32 v134, 8, v134
	s_wait_loadcnt_dscnt 0x0
	v_pk_mul_f32 v[140:141], v[138:139], v[136:137] op_sel:[1,1] op_sel_hi:[0,1]
	s_delay_alu instid0(VALU_DEP_1) | instskip(SKIP_2) | instid1(VALU_DEP_3)
	v_pk_fma_f32 v[142:143], v[138:139], v[136:137], v[140:141] op_sel_hi:[1,0,1]
	v_add_nc_u32_e32 v135, 1, v135
	v_pk_fma_f32 v[136:137], v[138:139], v[136:137], v[140:141] neg_lo:[0,0,1] neg_hi:[0,0,1]
	v_mov_b32_e32 v137, v143
	s_delay_alu instid0(VALU_DEP_3) | instskip(NEXT) | instid1(VALU_DEP_2)
	v_cmp_lt_u32_e32 vcc_lo, 10, v135
	v_pk_add_f32 v[130:131], v[130:131], v[136:137]
	s_or_b32 s5, vcc_lo, s5
	s_delay_alu instid0(SALU_CYCLE_1)
	s_and_not1_b32 exec_lo, exec_lo, s5
	s_cbranch_execnz .LBB126_737
; %bb.738:
	s_or_b32 exec_lo, exec_lo, s5
.LBB126_739:
	s_delay_alu instid0(SALU_CYCLE_1) | instskip(SKIP_4) | instid1(VALU_DEP_1)
	s_or_b32 exec_lo, exec_lo, s4
	v_mov_b32_e32 v133, 0
	ds_load_b64 v[134:135], v133 offset:96
	s_wait_dscnt 0x0
	v_pk_mul_f32 v[136:137], v[130:131], v[134:135] op_sel:[1,1] op_sel_hi:[0,1]
	v_pk_fma_f32 v[138:139], v[130:131], v[134:135], v[136:137] op_sel_hi:[1,0,1]
	v_pk_fma_f32 v[130:131], v[130:131], v[134:135], v[136:137] neg_lo:[0,0,1] neg_hi:[0,0,1]
	s_delay_alu instid0(VALU_DEP_2)
	v_mov_b32_e32 v131, v139
	scratch_store_b64 off, v[130:131], off offset:96
.LBB126_740:
	s_wait_xcnt 0x0
	s_or_b32 exec_lo, exec_lo, s0
	scratch_load_b64 v[130:131], off, off offset:104
	s_mov_b32 s0, exec_lo
	s_wait_loadcnt 0x0
	ds_store_b64 v1, v[130:131]
	s_wait_storecnt_dscnt 0x0
	s_barrier_signal -1
	s_barrier_wait -1
	s_wait_xcnt 0x0
	v_cmpx_gt_u32_e32 13, v0
	s_cbranch_execz .LBB126_750
; %bb.741:
	v_cmp_ne_u32_e32 vcc_lo, 1, v132
	s_cbranch_vccnz .LBB126_743
; %bb.742:
	scratch_load_b64 v[130:131], v59, off
	ds_load_b64 v[134:135], v1
	s_wait_loadcnt_dscnt 0x0
	v_pk_mul_f32 v[136:137], v[134:135], v[130:131] op_sel:[1,1] op_sel_hi:[0,1]
	s_delay_alu instid0(VALU_DEP_1) | instskip(SKIP_1) | instid1(VALU_DEP_2)
	v_pk_fma_f32 v[138:139], v[134:135], v[130:131], v[136:137] op_sel_hi:[1,0,1]
	v_pk_fma_f32 v[130:131], v[134:135], v[130:131], v[136:137] neg_lo:[0,0,1] neg_hi:[0,0,1]
	v_mov_b32_e32 v131, v139
	s_cbranch_execz .LBB126_744
	s_branch .LBB126_745
.LBB126_743:
                                        ; implicit-def: $vgpr130_vgpr131
.LBB126_744:
	ds_load_b64 v[130:131], v1
.LBB126_745:
	s_mov_b32 s4, exec_lo
	v_cmpx_ne_u32_e32 12, v0
	s_cbranch_execz .LBB126_749
; %bb.746:
	v_add_nc_u32_e32 v133, 0x208, v58
	v_add3_u32 v134, 0, v58, 8
	v_mov_b32_e32 v135, v0
	s_mov_b32 s5, 0
.LBB126_747:                            ; =>This Inner Loop Header: Depth=1
	scratch_load_b64 v[136:137], v134, off
	ds_load_b64 v[138:139], v133
	s_wait_xcnt 0x0
	v_dual_add_nc_u32 v133, 8, v133 :: v_dual_add_nc_u32 v134, 8, v134
	s_wait_loadcnt_dscnt 0x0
	v_pk_mul_f32 v[140:141], v[138:139], v[136:137] op_sel:[1,1] op_sel_hi:[0,1]
	s_delay_alu instid0(VALU_DEP_1) | instskip(SKIP_2) | instid1(VALU_DEP_3)
	v_pk_fma_f32 v[142:143], v[138:139], v[136:137], v[140:141] op_sel_hi:[1,0,1]
	v_add_nc_u32_e32 v135, 1, v135
	v_pk_fma_f32 v[136:137], v[138:139], v[136:137], v[140:141] neg_lo:[0,0,1] neg_hi:[0,0,1]
	v_mov_b32_e32 v137, v143
	s_delay_alu instid0(VALU_DEP_3) | instskip(NEXT) | instid1(VALU_DEP_2)
	v_cmp_lt_u32_e32 vcc_lo, 11, v135
	v_pk_add_f32 v[130:131], v[130:131], v[136:137]
	s_or_b32 s5, vcc_lo, s5
	s_delay_alu instid0(SALU_CYCLE_1)
	s_and_not1_b32 exec_lo, exec_lo, s5
	s_cbranch_execnz .LBB126_747
; %bb.748:
	s_or_b32 exec_lo, exec_lo, s5
.LBB126_749:
	s_delay_alu instid0(SALU_CYCLE_1) | instskip(SKIP_4) | instid1(VALU_DEP_1)
	s_or_b32 exec_lo, exec_lo, s4
	v_mov_b32_e32 v133, 0
	ds_load_b64 v[134:135], v133 offset:104
	s_wait_dscnt 0x0
	v_pk_mul_f32 v[136:137], v[130:131], v[134:135] op_sel:[1,1] op_sel_hi:[0,1]
	v_pk_fma_f32 v[138:139], v[130:131], v[134:135], v[136:137] op_sel_hi:[1,0,1]
	v_pk_fma_f32 v[130:131], v[130:131], v[134:135], v[136:137] neg_lo:[0,0,1] neg_hi:[0,0,1]
	s_delay_alu instid0(VALU_DEP_2)
	v_mov_b32_e32 v131, v139
	scratch_store_b64 off, v[130:131], off offset:104
.LBB126_750:
	s_wait_xcnt 0x0
	s_or_b32 exec_lo, exec_lo, s0
	scratch_load_b64 v[130:131], off, off offset:112
	s_mov_b32 s0, exec_lo
	s_wait_loadcnt 0x0
	ds_store_b64 v1, v[130:131]
	s_wait_storecnt_dscnt 0x0
	s_barrier_signal -1
	s_barrier_wait -1
	s_wait_xcnt 0x0
	v_cmpx_gt_u32_e32 14, v0
	s_cbranch_execz .LBB126_760
; %bb.751:
	v_cmp_ne_u32_e32 vcc_lo, 1, v132
	s_cbranch_vccnz .LBB126_753
; %bb.752:
	scratch_load_b64 v[130:131], v59, off
	ds_load_b64 v[134:135], v1
	s_wait_loadcnt_dscnt 0x0
	v_pk_mul_f32 v[136:137], v[134:135], v[130:131] op_sel:[1,1] op_sel_hi:[0,1]
	s_delay_alu instid0(VALU_DEP_1) | instskip(SKIP_1) | instid1(VALU_DEP_2)
	v_pk_fma_f32 v[138:139], v[134:135], v[130:131], v[136:137] op_sel_hi:[1,0,1]
	v_pk_fma_f32 v[130:131], v[134:135], v[130:131], v[136:137] neg_lo:[0,0,1] neg_hi:[0,0,1]
	v_mov_b32_e32 v131, v139
	s_cbranch_execz .LBB126_754
	s_branch .LBB126_755
.LBB126_753:
                                        ; implicit-def: $vgpr130_vgpr131
.LBB126_754:
	ds_load_b64 v[130:131], v1
.LBB126_755:
	s_mov_b32 s4, exec_lo
	v_cmpx_ne_u32_e32 13, v0
	s_cbranch_execz .LBB126_759
; %bb.756:
	v_add_nc_u32_e32 v133, 0x208, v58
	v_add3_u32 v134, 0, v58, 8
	v_mov_b32_e32 v135, v0
	s_mov_b32 s5, 0
.LBB126_757:                            ; =>This Inner Loop Header: Depth=1
	scratch_load_b64 v[136:137], v134, off
	ds_load_b64 v[138:139], v133
	s_wait_xcnt 0x0
	v_dual_add_nc_u32 v133, 8, v133 :: v_dual_add_nc_u32 v134, 8, v134
	s_wait_loadcnt_dscnt 0x0
	v_pk_mul_f32 v[140:141], v[138:139], v[136:137] op_sel:[1,1] op_sel_hi:[0,1]
	s_delay_alu instid0(VALU_DEP_1) | instskip(SKIP_2) | instid1(VALU_DEP_3)
	v_pk_fma_f32 v[142:143], v[138:139], v[136:137], v[140:141] op_sel_hi:[1,0,1]
	v_add_nc_u32_e32 v135, 1, v135
	v_pk_fma_f32 v[136:137], v[138:139], v[136:137], v[140:141] neg_lo:[0,0,1] neg_hi:[0,0,1]
	v_mov_b32_e32 v137, v143
	s_delay_alu instid0(VALU_DEP_3) | instskip(NEXT) | instid1(VALU_DEP_2)
	v_cmp_lt_u32_e32 vcc_lo, 12, v135
	v_pk_add_f32 v[130:131], v[130:131], v[136:137]
	s_or_b32 s5, vcc_lo, s5
	s_delay_alu instid0(SALU_CYCLE_1)
	s_and_not1_b32 exec_lo, exec_lo, s5
	s_cbranch_execnz .LBB126_757
; %bb.758:
	s_or_b32 exec_lo, exec_lo, s5
.LBB126_759:
	s_delay_alu instid0(SALU_CYCLE_1) | instskip(SKIP_4) | instid1(VALU_DEP_1)
	s_or_b32 exec_lo, exec_lo, s4
	v_mov_b32_e32 v133, 0
	ds_load_b64 v[134:135], v133 offset:112
	s_wait_dscnt 0x0
	v_pk_mul_f32 v[136:137], v[130:131], v[134:135] op_sel:[1,1] op_sel_hi:[0,1]
	v_pk_fma_f32 v[138:139], v[130:131], v[134:135], v[136:137] op_sel_hi:[1,0,1]
	v_pk_fma_f32 v[130:131], v[130:131], v[134:135], v[136:137] neg_lo:[0,0,1] neg_hi:[0,0,1]
	s_delay_alu instid0(VALU_DEP_2)
	v_mov_b32_e32 v131, v139
	scratch_store_b64 off, v[130:131], off offset:112
.LBB126_760:
	s_wait_xcnt 0x0
	s_or_b32 exec_lo, exec_lo, s0
	scratch_load_b64 v[130:131], off, off offset:120
	s_mov_b32 s0, exec_lo
	s_wait_loadcnt 0x0
	ds_store_b64 v1, v[130:131]
	s_wait_storecnt_dscnt 0x0
	s_barrier_signal -1
	s_barrier_wait -1
	s_wait_xcnt 0x0
	v_cmpx_gt_u32_e32 15, v0
	s_cbranch_execz .LBB126_770
; %bb.761:
	v_cmp_ne_u32_e32 vcc_lo, 1, v132
	s_cbranch_vccnz .LBB126_763
; %bb.762:
	scratch_load_b64 v[130:131], v59, off
	ds_load_b64 v[134:135], v1
	s_wait_loadcnt_dscnt 0x0
	v_pk_mul_f32 v[136:137], v[134:135], v[130:131] op_sel:[1,1] op_sel_hi:[0,1]
	s_delay_alu instid0(VALU_DEP_1) | instskip(SKIP_1) | instid1(VALU_DEP_2)
	v_pk_fma_f32 v[138:139], v[134:135], v[130:131], v[136:137] op_sel_hi:[1,0,1]
	v_pk_fma_f32 v[130:131], v[134:135], v[130:131], v[136:137] neg_lo:[0,0,1] neg_hi:[0,0,1]
	v_mov_b32_e32 v131, v139
	s_cbranch_execz .LBB126_764
	s_branch .LBB126_765
.LBB126_763:
                                        ; implicit-def: $vgpr130_vgpr131
.LBB126_764:
	ds_load_b64 v[130:131], v1
.LBB126_765:
	s_mov_b32 s4, exec_lo
	v_cmpx_ne_u32_e32 14, v0
	s_cbranch_execz .LBB126_769
; %bb.766:
	v_add_nc_u32_e32 v133, 0x208, v58
	v_add3_u32 v134, 0, v58, 8
	v_mov_b32_e32 v135, v0
	s_mov_b32 s5, 0
.LBB126_767:                            ; =>This Inner Loop Header: Depth=1
	scratch_load_b64 v[136:137], v134, off
	ds_load_b64 v[138:139], v133
	s_wait_xcnt 0x0
	v_dual_add_nc_u32 v133, 8, v133 :: v_dual_add_nc_u32 v134, 8, v134
	s_wait_loadcnt_dscnt 0x0
	v_pk_mul_f32 v[140:141], v[138:139], v[136:137] op_sel:[1,1] op_sel_hi:[0,1]
	s_delay_alu instid0(VALU_DEP_1) | instskip(SKIP_2) | instid1(VALU_DEP_3)
	v_pk_fma_f32 v[142:143], v[138:139], v[136:137], v[140:141] op_sel_hi:[1,0,1]
	v_add_nc_u32_e32 v135, 1, v135
	v_pk_fma_f32 v[136:137], v[138:139], v[136:137], v[140:141] neg_lo:[0,0,1] neg_hi:[0,0,1]
	v_mov_b32_e32 v137, v143
	s_delay_alu instid0(VALU_DEP_3) | instskip(NEXT) | instid1(VALU_DEP_2)
	v_cmp_lt_u32_e32 vcc_lo, 13, v135
	v_pk_add_f32 v[130:131], v[130:131], v[136:137]
	s_or_b32 s5, vcc_lo, s5
	s_delay_alu instid0(SALU_CYCLE_1)
	s_and_not1_b32 exec_lo, exec_lo, s5
	s_cbranch_execnz .LBB126_767
; %bb.768:
	s_or_b32 exec_lo, exec_lo, s5
.LBB126_769:
	s_delay_alu instid0(SALU_CYCLE_1) | instskip(SKIP_4) | instid1(VALU_DEP_1)
	s_or_b32 exec_lo, exec_lo, s4
	v_mov_b32_e32 v133, 0
	ds_load_b64 v[134:135], v133 offset:120
	s_wait_dscnt 0x0
	v_pk_mul_f32 v[136:137], v[130:131], v[134:135] op_sel:[1,1] op_sel_hi:[0,1]
	v_pk_fma_f32 v[138:139], v[130:131], v[134:135], v[136:137] op_sel_hi:[1,0,1]
	v_pk_fma_f32 v[130:131], v[130:131], v[134:135], v[136:137] neg_lo:[0,0,1] neg_hi:[0,0,1]
	s_delay_alu instid0(VALU_DEP_2)
	v_mov_b32_e32 v131, v139
	scratch_store_b64 off, v[130:131], off offset:120
.LBB126_770:
	s_wait_xcnt 0x0
	s_or_b32 exec_lo, exec_lo, s0
	scratch_load_b64 v[130:131], off, off offset:128
	s_mov_b32 s0, exec_lo
	s_wait_loadcnt 0x0
	ds_store_b64 v1, v[130:131]
	s_wait_storecnt_dscnt 0x0
	s_barrier_signal -1
	s_barrier_wait -1
	s_wait_xcnt 0x0
	v_cmpx_gt_u32_e32 16, v0
	s_cbranch_execz .LBB126_780
; %bb.771:
	v_cmp_ne_u32_e32 vcc_lo, 1, v132
	s_cbranch_vccnz .LBB126_773
; %bb.772:
	scratch_load_b64 v[130:131], v59, off
	ds_load_b64 v[134:135], v1
	s_wait_loadcnt_dscnt 0x0
	v_pk_mul_f32 v[136:137], v[134:135], v[130:131] op_sel:[1,1] op_sel_hi:[0,1]
	s_delay_alu instid0(VALU_DEP_1) | instskip(SKIP_1) | instid1(VALU_DEP_2)
	v_pk_fma_f32 v[138:139], v[134:135], v[130:131], v[136:137] op_sel_hi:[1,0,1]
	v_pk_fma_f32 v[130:131], v[134:135], v[130:131], v[136:137] neg_lo:[0,0,1] neg_hi:[0,0,1]
	v_mov_b32_e32 v131, v139
	s_cbranch_execz .LBB126_774
	s_branch .LBB126_775
.LBB126_773:
                                        ; implicit-def: $vgpr130_vgpr131
.LBB126_774:
	ds_load_b64 v[130:131], v1
.LBB126_775:
	s_mov_b32 s4, exec_lo
	v_cmpx_ne_u32_e32 15, v0
	s_cbranch_execz .LBB126_779
; %bb.776:
	v_add_nc_u32_e32 v133, 0x208, v58
	v_add3_u32 v134, 0, v58, 8
	v_mov_b32_e32 v135, v0
	s_mov_b32 s5, 0
.LBB126_777:                            ; =>This Inner Loop Header: Depth=1
	scratch_load_b64 v[136:137], v134, off
	ds_load_b64 v[138:139], v133
	s_wait_xcnt 0x0
	v_dual_add_nc_u32 v133, 8, v133 :: v_dual_add_nc_u32 v134, 8, v134
	s_wait_loadcnt_dscnt 0x0
	v_pk_mul_f32 v[140:141], v[138:139], v[136:137] op_sel:[1,1] op_sel_hi:[0,1]
	s_delay_alu instid0(VALU_DEP_1) | instskip(SKIP_2) | instid1(VALU_DEP_3)
	v_pk_fma_f32 v[142:143], v[138:139], v[136:137], v[140:141] op_sel_hi:[1,0,1]
	v_add_nc_u32_e32 v135, 1, v135
	v_pk_fma_f32 v[136:137], v[138:139], v[136:137], v[140:141] neg_lo:[0,0,1] neg_hi:[0,0,1]
	v_mov_b32_e32 v137, v143
	s_delay_alu instid0(VALU_DEP_3) | instskip(NEXT) | instid1(VALU_DEP_2)
	v_cmp_lt_u32_e32 vcc_lo, 14, v135
	v_pk_add_f32 v[130:131], v[130:131], v[136:137]
	s_or_b32 s5, vcc_lo, s5
	s_delay_alu instid0(SALU_CYCLE_1)
	s_and_not1_b32 exec_lo, exec_lo, s5
	s_cbranch_execnz .LBB126_777
; %bb.778:
	s_or_b32 exec_lo, exec_lo, s5
.LBB126_779:
	s_delay_alu instid0(SALU_CYCLE_1) | instskip(SKIP_4) | instid1(VALU_DEP_1)
	s_or_b32 exec_lo, exec_lo, s4
	v_mov_b32_e32 v133, 0
	ds_load_b64 v[134:135], v133 offset:128
	s_wait_dscnt 0x0
	v_pk_mul_f32 v[136:137], v[130:131], v[134:135] op_sel:[1,1] op_sel_hi:[0,1]
	v_pk_fma_f32 v[138:139], v[130:131], v[134:135], v[136:137] op_sel_hi:[1,0,1]
	v_pk_fma_f32 v[130:131], v[130:131], v[134:135], v[136:137] neg_lo:[0,0,1] neg_hi:[0,0,1]
	s_delay_alu instid0(VALU_DEP_2)
	v_mov_b32_e32 v131, v139
	scratch_store_b64 off, v[130:131], off offset:128
.LBB126_780:
	s_wait_xcnt 0x0
	s_or_b32 exec_lo, exec_lo, s0
	scratch_load_b64 v[130:131], off, off offset:136
	s_mov_b32 s0, exec_lo
	s_wait_loadcnt 0x0
	ds_store_b64 v1, v[130:131]
	s_wait_storecnt_dscnt 0x0
	s_barrier_signal -1
	s_barrier_wait -1
	s_wait_xcnt 0x0
	v_cmpx_gt_u32_e32 17, v0
	s_cbranch_execz .LBB126_790
; %bb.781:
	v_cmp_ne_u32_e32 vcc_lo, 1, v132
	s_cbranch_vccnz .LBB126_783
; %bb.782:
	scratch_load_b64 v[130:131], v59, off
	ds_load_b64 v[134:135], v1
	s_wait_loadcnt_dscnt 0x0
	v_pk_mul_f32 v[136:137], v[134:135], v[130:131] op_sel:[1,1] op_sel_hi:[0,1]
	s_delay_alu instid0(VALU_DEP_1) | instskip(SKIP_1) | instid1(VALU_DEP_2)
	v_pk_fma_f32 v[138:139], v[134:135], v[130:131], v[136:137] op_sel_hi:[1,0,1]
	v_pk_fma_f32 v[130:131], v[134:135], v[130:131], v[136:137] neg_lo:[0,0,1] neg_hi:[0,0,1]
	v_mov_b32_e32 v131, v139
	s_cbranch_execz .LBB126_784
	s_branch .LBB126_785
.LBB126_783:
                                        ; implicit-def: $vgpr130_vgpr131
.LBB126_784:
	ds_load_b64 v[130:131], v1
.LBB126_785:
	s_mov_b32 s4, exec_lo
	v_cmpx_ne_u32_e32 16, v0
	s_cbranch_execz .LBB126_789
; %bb.786:
	v_add_nc_u32_e32 v133, 0x208, v58
	v_add3_u32 v134, 0, v58, 8
	v_mov_b32_e32 v135, v0
	s_mov_b32 s5, 0
.LBB126_787:                            ; =>This Inner Loop Header: Depth=1
	scratch_load_b64 v[136:137], v134, off
	ds_load_b64 v[138:139], v133
	s_wait_xcnt 0x0
	v_dual_add_nc_u32 v133, 8, v133 :: v_dual_add_nc_u32 v134, 8, v134
	s_wait_loadcnt_dscnt 0x0
	v_pk_mul_f32 v[140:141], v[138:139], v[136:137] op_sel:[1,1] op_sel_hi:[0,1]
	s_delay_alu instid0(VALU_DEP_1) | instskip(SKIP_2) | instid1(VALU_DEP_3)
	v_pk_fma_f32 v[142:143], v[138:139], v[136:137], v[140:141] op_sel_hi:[1,0,1]
	v_add_nc_u32_e32 v135, 1, v135
	v_pk_fma_f32 v[136:137], v[138:139], v[136:137], v[140:141] neg_lo:[0,0,1] neg_hi:[0,0,1]
	v_mov_b32_e32 v137, v143
	s_delay_alu instid0(VALU_DEP_3) | instskip(NEXT) | instid1(VALU_DEP_2)
	v_cmp_lt_u32_e32 vcc_lo, 15, v135
	v_pk_add_f32 v[130:131], v[130:131], v[136:137]
	s_or_b32 s5, vcc_lo, s5
	s_delay_alu instid0(SALU_CYCLE_1)
	s_and_not1_b32 exec_lo, exec_lo, s5
	s_cbranch_execnz .LBB126_787
; %bb.788:
	s_or_b32 exec_lo, exec_lo, s5
.LBB126_789:
	s_delay_alu instid0(SALU_CYCLE_1) | instskip(SKIP_4) | instid1(VALU_DEP_1)
	s_or_b32 exec_lo, exec_lo, s4
	v_mov_b32_e32 v133, 0
	ds_load_b64 v[134:135], v133 offset:136
	s_wait_dscnt 0x0
	v_pk_mul_f32 v[136:137], v[130:131], v[134:135] op_sel:[1,1] op_sel_hi:[0,1]
	v_pk_fma_f32 v[138:139], v[130:131], v[134:135], v[136:137] op_sel_hi:[1,0,1]
	v_pk_fma_f32 v[130:131], v[130:131], v[134:135], v[136:137] neg_lo:[0,0,1] neg_hi:[0,0,1]
	s_delay_alu instid0(VALU_DEP_2)
	v_mov_b32_e32 v131, v139
	scratch_store_b64 off, v[130:131], off offset:136
.LBB126_790:
	s_wait_xcnt 0x0
	s_or_b32 exec_lo, exec_lo, s0
	scratch_load_b64 v[130:131], off, off offset:144
	s_mov_b32 s0, exec_lo
	s_wait_loadcnt 0x0
	ds_store_b64 v1, v[130:131]
	s_wait_storecnt_dscnt 0x0
	s_barrier_signal -1
	s_barrier_wait -1
	s_wait_xcnt 0x0
	v_cmpx_gt_u32_e32 18, v0
	s_cbranch_execz .LBB126_800
; %bb.791:
	v_cmp_ne_u32_e32 vcc_lo, 1, v132
	s_cbranch_vccnz .LBB126_793
; %bb.792:
	scratch_load_b64 v[130:131], v59, off
	ds_load_b64 v[134:135], v1
	s_wait_loadcnt_dscnt 0x0
	v_pk_mul_f32 v[136:137], v[134:135], v[130:131] op_sel:[1,1] op_sel_hi:[0,1]
	s_delay_alu instid0(VALU_DEP_1) | instskip(SKIP_1) | instid1(VALU_DEP_2)
	v_pk_fma_f32 v[138:139], v[134:135], v[130:131], v[136:137] op_sel_hi:[1,0,1]
	v_pk_fma_f32 v[130:131], v[134:135], v[130:131], v[136:137] neg_lo:[0,0,1] neg_hi:[0,0,1]
	v_mov_b32_e32 v131, v139
	s_cbranch_execz .LBB126_794
	s_branch .LBB126_795
.LBB126_793:
                                        ; implicit-def: $vgpr130_vgpr131
.LBB126_794:
	ds_load_b64 v[130:131], v1
.LBB126_795:
	s_mov_b32 s4, exec_lo
	v_cmpx_ne_u32_e32 17, v0
	s_cbranch_execz .LBB126_799
; %bb.796:
	v_add_nc_u32_e32 v133, 0x208, v58
	v_add3_u32 v134, 0, v58, 8
	v_mov_b32_e32 v135, v0
	s_mov_b32 s5, 0
.LBB126_797:                            ; =>This Inner Loop Header: Depth=1
	scratch_load_b64 v[136:137], v134, off
	ds_load_b64 v[138:139], v133
	s_wait_xcnt 0x0
	v_dual_add_nc_u32 v133, 8, v133 :: v_dual_add_nc_u32 v134, 8, v134
	s_wait_loadcnt_dscnt 0x0
	v_pk_mul_f32 v[140:141], v[138:139], v[136:137] op_sel:[1,1] op_sel_hi:[0,1]
	s_delay_alu instid0(VALU_DEP_1) | instskip(SKIP_2) | instid1(VALU_DEP_3)
	v_pk_fma_f32 v[142:143], v[138:139], v[136:137], v[140:141] op_sel_hi:[1,0,1]
	v_add_nc_u32_e32 v135, 1, v135
	v_pk_fma_f32 v[136:137], v[138:139], v[136:137], v[140:141] neg_lo:[0,0,1] neg_hi:[0,0,1]
	v_mov_b32_e32 v137, v143
	s_delay_alu instid0(VALU_DEP_3) | instskip(NEXT) | instid1(VALU_DEP_2)
	v_cmp_lt_u32_e32 vcc_lo, 16, v135
	v_pk_add_f32 v[130:131], v[130:131], v[136:137]
	s_or_b32 s5, vcc_lo, s5
	s_delay_alu instid0(SALU_CYCLE_1)
	s_and_not1_b32 exec_lo, exec_lo, s5
	s_cbranch_execnz .LBB126_797
; %bb.798:
	s_or_b32 exec_lo, exec_lo, s5
.LBB126_799:
	s_delay_alu instid0(SALU_CYCLE_1) | instskip(SKIP_4) | instid1(VALU_DEP_1)
	s_or_b32 exec_lo, exec_lo, s4
	v_mov_b32_e32 v133, 0
	ds_load_b64 v[134:135], v133 offset:144
	s_wait_dscnt 0x0
	v_pk_mul_f32 v[136:137], v[130:131], v[134:135] op_sel:[1,1] op_sel_hi:[0,1]
	v_pk_fma_f32 v[138:139], v[130:131], v[134:135], v[136:137] op_sel_hi:[1,0,1]
	v_pk_fma_f32 v[130:131], v[130:131], v[134:135], v[136:137] neg_lo:[0,0,1] neg_hi:[0,0,1]
	s_delay_alu instid0(VALU_DEP_2)
	v_mov_b32_e32 v131, v139
	scratch_store_b64 off, v[130:131], off offset:144
.LBB126_800:
	s_wait_xcnt 0x0
	s_or_b32 exec_lo, exec_lo, s0
	scratch_load_b64 v[130:131], off, off offset:152
	s_mov_b32 s0, exec_lo
	s_wait_loadcnt 0x0
	ds_store_b64 v1, v[130:131]
	s_wait_storecnt_dscnt 0x0
	s_barrier_signal -1
	s_barrier_wait -1
	s_wait_xcnt 0x0
	v_cmpx_gt_u32_e32 19, v0
	s_cbranch_execz .LBB126_810
; %bb.801:
	v_cmp_ne_u32_e32 vcc_lo, 1, v132
	s_cbranch_vccnz .LBB126_803
; %bb.802:
	scratch_load_b64 v[130:131], v59, off
	ds_load_b64 v[134:135], v1
	s_wait_loadcnt_dscnt 0x0
	v_pk_mul_f32 v[136:137], v[134:135], v[130:131] op_sel:[1,1] op_sel_hi:[0,1]
	s_delay_alu instid0(VALU_DEP_1) | instskip(SKIP_1) | instid1(VALU_DEP_2)
	v_pk_fma_f32 v[138:139], v[134:135], v[130:131], v[136:137] op_sel_hi:[1,0,1]
	v_pk_fma_f32 v[130:131], v[134:135], v[130:131], v[136:137] neg_lo:[0,0,1] neg_hi:[0,0,1]
	v_mov_b32_e32 v131, v139
	s_cbranch_execz .LBB126_804
	s_branch .LBB126_805
.LBB126_803:
                                        ; implicit-def: $vgpr130_vgpr131
.LBB126_804:
	ds_load_b64 v[130:131], v1
.LBB126_805:
	s_mov_b32 s4, exec_lo
	v_cmpx_ne_u32_e32 18, v0
	s_cbranch_execz .LBB126_809
; %bb.806:
	v_add_nc_u32_e32 v133, 0x208, v58
	v_add3_u32 v134, 0, v58, 8
	v_mov_b32_e32 v135, v0
	s_mov_b32 s5, 0
.LBB126_807:                            ; =>This Inner Loop Header: Depth=1
	scratch_load_b64 v[136:137], v134, off
	ds_load_b64 v[138:139], v133
	s_wait_xcnt 0x0
	v_dual_add_nc_u32 v133, 8, v133 :: v_dual_add_nc_u32 v134, 8, v134
	s_wait_loadcnt_dscnt 0x0
	v_pk_mul_f32 v[140:141], v[138:139], v[136:137] op_sel:[1,1] op_sel_hi:[0,1]
	s_delay_alu instid0(VALU_DEP_1) | instskip(SKIP_2) | instid1(VALU_DEP_3)
	v_pk_fma_f32 v[142:143], v[138:139], v[136:137], v[140:141] op_sel_hi:[1,0,1]
	v_add_nc_u32_e32 v135, 1, v135
	v_pk_fma_f32 v[136:137], v[138:139], v[136:137], v[140:141] neg_lo:[0,0,1] neg_hi:[0,0,1]
	v_mov_b32_e32 v137, v143
	s_delay_alu instid0(VALU_DEP_3) | instskip(NEXT) | instid1(VALU_DEP_2)
	v_cmp_lt_u32_e32 vcc_lo, 17, v135
	v_pk_add_f32 v[130:131], v[130:131], v[136:137]
	s_or_b32 s5, vcc_lo, s5
	s_delay_alu instid0(SALU_CYCLE_1)
	s_and_not1_b32 exec_lo, exec_lo, s5
	s_cbranch_execnz .LBB126_807
; %bb.808:
	s_or_b32 exec_lo, exec_lo, s5
.LBB126_809:
	s_delay_alu instid0(SALU_CYCLE_1) | instskip(SKIP_4) | instid1(VALU_DEP_1)
	s_or_b32 exec_lo, exec_lo, s4
	v_mov_b32_e32 v133, 0
	ds_load_b64 v[134:135], v133 offset:152
	s_wait_dscnt 0x0
	v_pk_mul_f32 v[136:137], v[130:131], v[134:135] op_sel:[1,1] op_sel_hi:[0,1]
	v_pk_fma_f32 v[138:139], v[130:131], v[134:135], v[136:137] op_sel_hi:[1,0,1]
	v_pk_fma_f32 v[130:131], v[130:131], v[134:135], v[136:137] neg_lo:[0,0,1] neg_hi:[0,0,1]
	s_delay_alu instid0(VALU_DEP_2)
	v_mov_b32_e32 v131, v139
	scratch_store_b64 off, v[130:131], off offset:152
.LBB126_810:
	s_wait_xcnt 0x0
	s_or_b32 exec_lo, exec_lo, s0
	scratch_load_b64 v[130:131], off, off offset:160
	s_mov_b32 s0, exec_lo
	s_wait_loadcnt 0x0
	ds_store_b64 v1, v[130:131]
	s_wait_storecnt_dscnt 0x0
	s_barrier_signal -1
	s_barrier_wait -1
	s_wait_xcnt 0x0
	v_cmpx_gt_u32_e32 20, v0
	s_cbranch_execz .LBB126_820
; %bb.811:
	v_cmp_ne_u32_e32 vcc_lo, 1, v132
	s_cbranch_vccnz .LBB126_813
; %bb.812:
	scratch_load_b64 v[130:131], v59, off
	ds_load_b64 v[134:135], v1
	s_wait_loadcnt_dscnt 0x0
	v_pk_mul_f32 v[136:137], v[134:135], v[130:131] op_sel:[1,1] op_sel_hi:[0,1]
	s_delay_alu instid0(VALU_DEP_1) | instskip(SKIP_1) | instid1(VALU_DEP_2)
	v_pk_fma_f32 v[138:139], v[134:135], v[130:131], v[136:137] op_sel_hi:[1,0,1]
	v_pk_fma_f32 v[130:131], v[134:135], v[130:131], v[136:137] neg_lo:[0,0,1] neg_hi:[0,0,1]
	v_mov_b32_e32 v131, v139
	s_cbranch_execz .LBB126_814
	s_branch .LBB126_815
.LBB126_813:
                                        ; implicit-def: $vgpr130_vgpr131
.LBB126_814:
	ds_load_b64 v[130:131], v1
.LBB126_815:
	s_mov_b32 s4, exec_lo
	v_cmpx_ne_u32_e32 19, v0
	s_cbranch_execz .LBB126_819
; %bb.816:
	v_add_nc_u32_e32 v133, 0x208, v58
	v_add3_u32 v134, 0, v58, 8
	v_mov_b32_e32 v135, v0
	s_mov_b32 s5, 0
.LBB126_817:                            ; =>This Inner Loop Header: Depth=1
	scratch_load_b64 v[136:137], v134, off
	ds_load_b64 v[138:139], v133
	s_wait_xcnt 0x0
	v_dual_add_nc_u32 v133, 8, v133 :: v_dual_add_nc_u32 v134, 8, v134
	s_wait_loadcnt_dscnt 0x0
	v_pk_mul_f32 v[140:141], v[138:139], v[136:137] op_sel:[1,1] op_sel_hi:[0,1]
	s_delay_alu instid0(VALU_DEP_1) | instskip(SKIP_2) | instid1(VALU_DEP_3)
	v_pk_fma_f32 v[142:143], v[138:139], v[136:137], v[140:141] op_sel_hi:[1,0,1]
	v_add_nc_u32_e32 v135, 1, v135
	v_pk_fma_f32 v[136:137], v[138:139], v[136:137], v[140:141] neg_lo:[0,0,1] neg_hi:[0,0,1]
	v_mov_b32_e32 v137, v143
	s_delay_alu instid0(VALU_DEP_3) | instskip(NEXT) | instid1(VALU_DEP_2)
	v_cmp_lt_u32_e32 vcc_lo, 18, v135
	v_pk_add_f32 v[130:131], v[130:131], v[136:137]
	s_or_b32 s5, vcc_lo, s5
	s_delay_alu instid0(SALU_CYCLE_1)
	s_and_not1_b32 exec_lo, exec_lo, s5
	s_cbranch_execnz .LBB126_817
; %bb.818:
	s_or_b32 exec_lo, exec_lo, s5
.LBB126_819:
	s_delay_alu instid0(SALU_CYCLE_1) | instskip(SKIP_4) | instid1(VALU_DEP_1)
	s_or_b32 exec_lo, exec_lo, s4
	v_mov_b32_e32 v133, 0
	ds_load_b64 v[134:135], v133 offset:160
	s_wait_dscnt 0x0
	v_pk_mul_f32 v[136:137], v[130:131], v[134:135] op_sel:[1,1] op_sel_hi:[0,1]
	v_pk_fma_f32 v[138:139], v[130:131], v[134:135], v[136:137] op_sel_hi:[1,0,1]
	v_pk_fma_f32 v[130:131], v[130:131], v[134:135], v[136:137] neg_lo:[0,0,1] neg_hi:[0,0,1]
	s_delay_alu instid0(VALU_DEP_2)
	v_mov_b32_e32 v131, v139
	scratch_store_b64 off, v[130:131], off offset:160
.LBB126_820:
	s_wait_xcnt 0x0
	s_or_b32 exec_lo, exec_lo, s0
	scratch_load_b64 v[130:131], off, off offset:168
	s_mov_b32 s0, exec_lo
	s_wait_loadcnt 0x0
	ds_store_b64 v1, v[130:131]
	s_wait_storecnt_dscnt 0x0
	s_barrier_signal -1
	s_barrier_wait -1
	s_wait_xcnt 0x0
	v_cmpx_gt_u32_e32 21, v0
	s_cbranch_execz .LBB126_830
; %bb.821:
	v_cmp_ne_u32_e32 vcc_lo, 1, v132
	s_cbranch_vccnz .LBB126_823
; %bb.822:
	scratch_load_b64 v[130:131], v59, off
	ds_load_b64 v[134:135], v1
	s_wait_loadcnt_dscnt 0x0
	v_pk_mul_f32 v[136:137], v[134:135], v[130:131] op_sel:[1,1] op_sel_hi:[0,1]
	s_delay_alu instid0(VALU_DEP_1) | instskip(SKIP_1) | instid1(VALU_DEP_2)
	v_pk_fma_f32 v[138:139], v[134:135], v[130:131], v[136:137] op_sel_hi:[1,0,1]
	v_pk_fma_f32 v[130:131], v[134:135], v[130:131], v[136:137] neg_lo:[0,0,1] neg_hi:[0,0,1]
	v_mov_b32_e32 v131, v139
	s_cbranch_execz .LBB126_824
	s_branch .LBB126_825
.LBB126_823:
                                        ; implicit-def: $vgpr130_vgpr131
.LBB126_824:
	ds_load_b64 v[130:131], v1
.LBB126_825:
	s_mov_b32 s4, exec_lo
	v_cmpx_ne_u32_e32 20, v0
	s_cbranch_execz .LBB126_829
; %bb.826:
	v_add_nc_u32_e32 v133, 0x208, v58
	v_add3_u32 v134, 0, v58, 8
	v_mov_b32_e32 v135, v0
	s_mov_b32 s5, 0
.LBB126_827:                            ; =>This Inner Loop Header: Depth=1
	scratch_load_b64 v[136:137], v134, off
	ds_load_b64 v[138:139], v133
	s_wait_xcnt 0x0
	v_dual_add_nc_u32 v133, 8, v133 :: v_dual_add_nc_u32 v134, 8, v134
	s_wait_loadcnt_dscnt 0x0
	v_pk_mul_f32 v[140:141], v[138:139], v[136:137] op_sel:[1,1] op_sel_hi:[0,1]
	s_delay_alu instid0(VALU_DEP_1) | instskip(SKIP_2) | instid1(VALU_DEP_3)
	v_pk_fma_f32 v[142:143], v[138:139], v[136:137], v[140:141] op_sel_hi:[1,0,1]
	v_add_nc_u32_e32 v135, 1, v135
	v_pk_fma_f32 v[136:137], v[138:139], v[136:137], v[140:141] neg_lo:[0,0,1] neg_hi:[0,0,1]
	v_mov_b32_e32 v137, v143
	s_delay_alu instid0(VALU_DEP_3) | instskip(NEXT) | instid1(VALU_DEP_2)
	v_cmp_lt_u32_e32 vcc_lo, 19, v135
	v_pk_add_f32 v[130:131], v[130:131], v[136:137]
	s_or_b32 s5, vcc_lo, s5
	s_delay_alu instid0(SALU_CYCLE_1)
	s_and_not1_b32 exec_lo, exec_lo, s5
	s_cbranch_execnz .LBB126_827
; %bb.828:
	s_or_b32 exec_lo, exec_lo, s5
.LBB126_829:
	s_delay_alu instid0(SALU_CYCLE_1) | instskip(SKIP_4) | instid1(VALU_DEP_1)
	s_or_b32 exec_lo, exec_lo, s4
	v_mov_b32_e32 v133, 0
	ds_load_b64 v[134:135], v133 offset:168
	s_wait_dscnt 0x0
	v_pk_mul_f32 v[136:137], v[130:131], v[134:135] op_sel:[1,1] op_sel_hi:[0,1]
	v_pk_fma_f32 v[138:139], v[130:131], v[134:135], v[136:137] op_sel_hi:[1,0,1]
	v_pk_fma_f32 v[130:131], v[130:131], v[134:135], v[136:137] neg_lo:[0,0,1] neg_hi:[0,0,1]
	s_delay_alu instid0(VALU_DEP_2)
	v_mov_b32_e32 v131, v139
	scratch_store_b64 off, v[130:131], off offset:168
.LBB126_830:
	s_wait_xcnt 0x0
	s_or_b32 exec_lo, exec_lo, s0
	scratch_load_b64 v[130:131], off, off offset:176
	s_mov_b32 s0, exec_lo
	s_wait_loadcnt 0x0
	ds_store_b64 v1, v[130:131]
	s_wait_storecnt_dscnt 0x0
	s_barrier_signal -1
	s_barrier_wait -1
	s_wait_xcnt 0x0
	v_cmpx_gt_u32_e32 22, v0
	s_cbranch_execz .LBB126_840
; %bb.831:
	v_cmp_ne_u32_e32 vcc_lo, 1, v132
	s_cbranch_vccnz .LBB126_833
; %bb.832:
	scratch_load_b64 v[130:131], v59, off
	ds_load_b64 v[134:135], v1
	s_wait_loadcnt_dscnt 0x0
	v_pk_mul_f32 v[136:137], v[134:135], v[130:131] op_sel:[1,1] op_sel_hi:[0,1]
	s_delay_alu instid0(VALU_DEP_1) | instskip(SKIP_1) | instid1(VALU_DEP_2)
	v_pk_fma_f32 v[138:139], v[134:135], v[130:131], v[136:137] op_sel_hi:[1,0,1]
	v_pk_fma_f32 v[130:131], v[134:135], v[130:131], v[136:137] neg_lo:[0,0,1] neg_hi:[0,0,1]
	v_mov_b32_e32 v131, v139
	s_cbranch_execz .LBB126_834
	s_branch .LBB126_835
.LBB126_833:
                                        ; implicit-def: $vgpr130_vgpr131
.LBB126_834:
	ds_load_b64 v[130:131], v1
.LBB126_835:
	s_mov_b32 s4, exec_lo
	v_cmpx_ne_u32_e32 21, v0
	s_cbranch_execz .LBB126_839
; %bb.836:
	v_add_nc_u32_e32 v133, 0x208, v58
	v_add3_u32 v134, 0, v58, 8
	v_mov_b32_e32 v135, v0
	s_mov_b32 s5, 0
.LBB126_837:                            ; =>This Inner Loop Header: Depth=1
	scratch_load_b64 v[136:137], v134, off
	ds_load_b64 v[138:139], v133
	s_wait_xcnt 0x0
	v_dual_add_nc_u32 v133, 8, v133 :: v_dual_add_nc_u32 v134, 8, v134
	s_wait_loadcnt_dscnt 0x0
	v_pk_mul_f32 v[140:141], v[138:139], v[136:137] op_sel:[1,1] op_sel_hi:[0,1]
	s_delay_alu instid0(VALU_DEP_1) | instskip(SKIP_2) | instid1(VALU_DEP_3)
	v_pk_fma_f32 v[142:143], v[138:139], v[136:137], v[140:141] op_sel_hi:[1,0,1]
	v_add_nc_u32_e32 v135, 1, v135
	v_pk_fma_f32 v[136:137], v[138:139], v[136:137], v[140:141] neg_lo:[0,0,1] neg_hi:[0,0,1]
	v_mov_b32_e32 v137, v143
	s_delay_alu instid0(VALU_DEP_3) | instskip(NEXT) | instid1(VALU_DEP_2)
	v_cmp_lt_u32_e32 vcc_lo, 20, v135
	v_pk_add_f32 v[130:131], v[130:131], v[136:137]
	s_or_b32 s5, vcc_lo, s5
	s_delay_alu instid0(SALU_CYCLE_1)
	s_and_not1_b32 exec_lo, exec_lo, s5
	s_cbranch_execnz .LBB126_837
; %bb.838:
	s_or_b32 exec_lo, exec_lo, s5
.LBB126_839:
	s_delay_alu instid0(SALU_CYCLE_1) | instskip(SKIP_4) | instid1(VALU_DEP_1)
	s_or_b32 exec_lo, exec_lo, s4
	v_mov_b32_e32 v133, 0
	ds_load_b64 v[134:135], v133 offset:176
	s_wait_dscnt 0x0
	v_pk_mul_f32 v[136:137], v[130:131], v[134:135] op_sel:[1,1] op_sel_hi:[0,1]
	v_pk_fma_f32 v[138:139], v[130:131], v[134:135], v[136:137] op_sel_hi:[1,0,1]
	v_pk_fma_f32 v[130:131], v[130:131], v[134:135], v[136:137] neg_lo:[0,0,1] neg_hi:[0,0,1]
	s_delay_alu instid0(VALU_DEP_2)
	v_mov_b32_e32 v131, v139
	scratch_store_b64 off, v[130:131], off offset:176
.LBB126_840:
	s_wait_xcnt 0x0
	s_or_b32 exec_lo, exec_lo, s0
	scratch_load_b64 v[130:131], off, off offset:184
	s_mov_b32 s0, exec_lo
	s_wait_loadcnt 0x0
	ds_store_b64 v1, v[130:131]
	s_wait_storecnt_dscnt 0x0
	s_barrier_signal -1
	s_barrier_wait -1
	s_wait_xcnt 0x0
	v_cmpx_gt_u32_e32 23, v0
	s_cbranch_execz .LBB126_850
; %bb.841:
	v_cmp_ne_u32_e32 vcc_lo, 1, v132
	s_cbranch_vccnz .LBB126_843
; %bb.842:
	scratch_load_b64 v[130:131], v59, off
	ds_load_b64 v[134:135], v1
	s_wait_loadcnt_dscnt 0x0
	v_pk_mul_f32 v[136:137], v[134:135], v[130:131] op_sel:[1,1] op_sel_hi:[0,1]
	s_delay_alu instid0(VALU_DEP_1) | instskip(SKIP_1) | instid1(VALU_DEP_2)
	v_pk_fma_f32 v[138:139], v[134:135], v[130:131], v[136:137] op_sel_hi:[1,0,1]
	v_pk_fma_f32 v[130:131], v[134:135], v[130:131], v[136:137] neg_lo:[0,0,1] neg_hi:[0,0,1]
	v_mov_b32_e32 v131, v139
	s_cbranch_execz .LBB126_844
	s_branch .LBB126_845
.LBB126_843:
                                        ; implicit-def: $vgpr130_vgpr131
.LBB126_844:
	ds_load_b64 v[130:131], v1
.LBB126_845:
	s_mov_b32 s4, exec_lo
	v_cmpx_ne_u32_e32 22, v0
	s_cbranch_execz .LBB126_849
; %bb.846:
	v_add_nc_u32_e32 v133, 0x208, v58
	v_add3_u32 v134, 0, v58, 8
	v_mov_b32_e32 v135, v0
	s_mov_b32 s5, 0
.LBB126_847:                            ; =>This Inner Loop Header: Depth=1
	scratch_load_b64 v[136:137], v134, off
	ds_load_b64 v[138:139], v133
	s_wait_xcnt 0x0
	v_dual_add_nc_u32 v133, 8, v133 :: v_dual_add_nc_u32 v134, 8, v134
	s_wait_loadcnt_dscnt 0x0
	v_pk_mul_f32 v[140:141], v[138:139], v[136:137] op_sel:[1,1] op_sel_hi:[0,1]
	s_delay_alu instid0(VALU_DEP_1) | instskip(SKIP_2) | instid1(VALU_DEP_3)
	v_pk_fma_f32 v[142:143], v[138:139], v[136:137], v[140:141] op_sel_hi:[1,0,1]
	v_add_nc_u32_e32 v135, 1, v135
	v_pk_fma_f32 v[136:137], v[138:139], v[136:137], v[140:141] neg_lo:[0,0,1] neg_hi:[0,0,1]
	v_mov_b32_e32 v137, v143
	s_delay_alu instid0(VALU_DEP_3) | instskip(NEXT) | instid1(VALU_DEP_2)
	v_cmp_lt_u32_e32 vcc_lo, 21, v135
	v_pk_add_f32 v[130:131], v[130:131], v[136:137]
	s_or_b32 s5, vcc_lo, s5
	s_delay_alu instid0(SALU_CYCLE_1)
	s_and_not1_b32 exec_lo, exec_lo, s5
	s_cbranch_execnz .LBB126_847
; %bb.848:
	s_or_b32 exec_lo, exec_lo, s5
.LBB126_849:
	s_delay_alu instid0(SALU_CYCLE_1) | instskip(SKIP_4) | instid1(VALU_DEP_1)
	s_or_b32 exec_lo, exec_lo, s4
	v_mov_b32_e32 v133, 0
	ds_load_b64 v[134:135], v133 offset:184
	s_wait_dscnt 0x0
	v_pk_mul_f32 v[136:137], v[130:131], v[134:135] op_sel:[1,1] op_sel_hi:[0,1]
	v_pk_fma_f32 v[138:139], v[130:131], v[134:135], v[136:137] op_sel_hi:[1,0,1]
	v_pk_fma_f32 v[130:131], v[130:131], v[134:135], v[136:137] neg_lo:[0,0,1] neg_hi:[0,0,1]
	s_delay_alu instid0(VALU_DEP_2)
	v_mov_b32_e32 v131, v139
	scratch_store_b64 off, v[130:131], off offset:184
.LBB126_850:
	s_wait_xcnt 0x0
	s_or_b32 exec_lo, exec_lo, s0
	scratch_load_b64 v[130:131], off, off offset:192
	s_mov_b32 s0, exec_lo
	s_wait_loadcnt 0x0
	ds_store_b64 v1, v[130:131]
	s_wait_storecnt_dscnt 0x0
	s_barrier_signal -1
	s_barrier_wait -1
	s_wait_xcnt 0x0
	v_cmpx_gt_u32_e32 24, v0
	s_cbranch_execz .LBB126_860
; %bb.851:
	v_cmp_ne_u32_e32 vcc_lo, 1, v132
	s_cbranch_vccnz .LBB126_853
; %bb.852:
	scratch_load_b64 v[130:131], v59, off
	ds_load_b64 v[134:135], v1
	s_wait_loadcnt_dscnt 0x0
	v_pk_mul_f32 v[136:137], v[134:135], v[130:131] op_sel:[1,1] op_sel_hi:[0,1]
	s_delay_alu instid0(VALU_DEP_1) | instskip(SKIP_1) | instid1(VALU_DEP_2)
	v_pk_fma_f32 v[138:139], v[134:135], v[130:131], v[136:137] op_sel_hi:[1,0,1]
	v_pk_fma_f32 v[130:131], v[134:135], v[130:131], v[136:137] neg_lo:[0,0,1] neg_hi:[0,0,1]
	v_mov_b32_e32 v131, v139
	s_cbranch_execz .LBB126_854
	s_branch .LBB126_855
.LBB126_853:
                                        ; implicit-def: $vgpr130_vgpr131
.LBB126_854:
	ds_load_b64 v[130:131], v1
.LBB126_855:
	s_mov_b32 s4, exec_lo
	v_cmpx_ne_u32_e32 23, v0
	s_cbranch_execz .LBB126_859
; %bb.856:
	v_add_nc_u32_e32 v133, 0x208, v58
	v_add3_u32 v134, 0, v58, 8
	v_mov_b32_e32 v135, v0
	s_mov_b32 s5, 0
.LBB126_857:                            ; =>This Inner Loop Header: Depth=1
	scratch_load_b64 v[136:137], v134, off
	ds_load_b64 v[138:139], v133
	s_wait_xcnt 0x0
	v_dual_add_nc_u32 v133, 8, v133 :: v_dual_add_nc_u32 v134, 8, v134
	s_wait_loadcnt_dscnt 0x0
	v_pk_mul_f32 v[140:141], v[138:139], v[136:137] op_sel:[1,1] op_sel_hi:[0,1]
	s_delay_alu instid0(VALU_DEP_1) | instskip(SKIP_2) | instid1(VALU_DEP_3)
	v_pk_fma_f32 v[142:143], v[138:139], v[136:137], v[140:141] op_sel_hi:[1,0,1]
	v_add_nc_u32_e32 v135, 1, v135
	v_pk_fma_f32 v[136:137], v[138:139], v[136:137], v[140:141] neg_lo:[0,0,1] neg_hi:[0,0,1]
	v_mov_b32_e32 v137, v143
	s_delay_alu instid0(VALU_DEP_3) | instskip(NEXT) | instid1(VALU_DEP_2)
	v_cmp_lt_u32_e32 vcc_lo, 22, v135
	v_pk_add_f32 v[130:131], v[130:131], v[136:137]
	s_or_b32 s5, vcc_lo, s5
	s_delay_alu instid0(SALU_CYCLE_1)
	s_and_not1_b32 exec_lo, exec_lo, s5
	s_cbranch_execnz .LBB126_857
; %bb.858:
	s_or_b32 exec_lo, exec_lo, s5
.LBB126_859:
	s_delay_alu instid0(SALU_CYCLE_1) | instskip(SKIP_4) | instid1(VALU_DEP_1)
	s_or_b32 exec_lo, exec_lo, s4
	v_mov_b32_e32 v133, 0
	ds_load_b64 v[134:135], v133 offset:192
	s_wait_dscnt 0x0
	v_pk_mul_f32 v[136:137], v[130:131], v[134:135] op_sel:[1,1] op_sel_hi:[0,1]
	v_pk_fma_f32 v[138:139], v[130:131], v[134:135], v[136:137] op_sel_hi:[1,0,1]
	v_pk_fma_f32 v[130:131], v[130:131], v[134:135], v[136:137] neg_lo:[0,0,1] neg_hi:[0,0,1]
	s_delay_alu instid0(VALU_DEP_2)
	v_mov_b32_e32 v131, v139
	scratch_store_b64 off, v[130:131], off offset:192
.LBB126_860:
	s_wait_xcnt 0x0
	s_or_b32 exec_lo, exec_lo, s0
	scratch_load_b64 v[130:131], off, off offset:200
	s_mov_b32 s0, exec_lo
	s_wait_loadcnt 0x0
	ds_store_b64 v1, v[130:131]
	s_wait_storecnt_dscnt 0x0
	s_barrier_signal -1
	s_barrier_wait -1
	s_wait_xcnt 0x0
	v_cmpx_gt_u32_e32 25, v0
	s_cbranch_execz .LBB126_870
; %bb.861:
	v_cmp_ne_u32_e32 vcc_lo, 1, v132
	s_cbranch_vccnz .LBB126_863
; %bb.862:
	scratch_load_b64 v[130:131], v59, off
	ds_load_b64 v[134:135], v1
	s_wait_loadcnt_dscnt 0x0
	v_pk_mul_f32 v[136:137], v[134:135], v[130:131] op_sel:[1,1] op_sel_hi:[0,1]
	s_delay_alu instid0(VALU_DEP_1) | instskip(SKIP_1) | instid1(VALU_DEP_2)
	v_pk_fma_f32 v[138:139], v[134:135], v[130:131], v[136:137] op_sel_hi:[1,0,1]
	v_pk_fma_f32 v[130:131], v[134:135], v[130:131], v[136:137] neg_lo:[0,0,1] neg_hi:[0,0,1]
	v_mov_b32_e32 v131, v139
	s_cbranch_execz .LBB126_864
	s_branch .LBB126_865
.LBB126_863:
                                        ; implicit-def: $vgpr130_vgpr131
.LBB126_864:
	ds_load_b64 v[130:131], v1
.LBB126_865:
	s_mov_b32 s4, exec_lo
	v_cmpx_ne_u32_e32 24, v0
	s_cbranch_execz .LBB126_869
; %bb.866:
	v_add_nc_u32_e32 v133, 0x208, v58
	v_add3_u32 v134, 0, v58, 8
	v_mov_b32_e32 v135, v0
	s_mov_b32 s5, 0
.LBB126_867:                            ; =>This Inner Loop Header: Depth=1
	scratch_load_b64 v[136:137], v134, off
	ds_load_b64 v[138:139], v133
	s_wait_xcnt 0x0
	v_dual_add_nc_u32 v133, 8, v133 :: v_dual_add_nc_u32 v134, 8, v134
	s_wait_loadcnt_dscnt 0x0
	v_pk_mul_f32 v[140:141], v[138:139], v[136:137] op_sel:[1,1] op_sel_hi:[0,1]
	s_delay_alu instid0(VALU_DEP_1) | instskip(SKIP_2) | instid1(VALU_DEP_3)
	v_pk_fma_f32 v[142:143], v[138:139], v[136:137], v[140:141] op_sel_hi:[1,0,1]
	v_add_nc_u32_e32 v135, 1, v135
	v_pk_fma_f32 v[136:137], v[138:139], v[136:137], v[140:141] neg_lo:[0,0,1] neg_hi:[0,0,1]
	v_mov_b32_e32 v137, v143
	s_delay_alu instid0(VALU_DEP_3) | instskip(NEXT) | instid1(VALU_DEP_2)
	v_cmp_lt_u32_e32 vcc_lo, 23, v135
	v_pk_add_f32 v[130:131], v[130:131], v[136:137]
	s_or_b32 s5, vcc_lo, s5
	s_delay_alu instid0(SALU_CYCLE_1)
	s_and_not1_b32 exec_lo, exec_lo, s5
	s_cbranch_execnz .LBB126_867
; %bb.868:
	s_or_b32 exec_lo, exec_lo, s5
.LBB126_869:
	s_delay_alu instid0(SALU_CYCLE_1) | instskip(SKIP_4) | instid1(VALU_DEP_1)
	s_or_b32 exec_lo, exec_lo, s4
	v_mov_b32_e32 v133, 0
	ds_load_b64 v[134:135], v133 offset:200
	s_wait_dscnt 0x0
	v_pk_mul_f32 v[136:137], v[130:131], v[134:135] op_sel:[1,1] op_sel_hi:[0,1]
	v_pk_fma_f32 v[138:139], v[130:131], v[134:135], v[136:137] op_sel_hi:[1,0,1]
	v_pk_fma_f32 v[130:131], v[130:131], v[134:135], v[136:137] neg_lo:[0,0,1] neg_hi:[0,0,1]
	s_delay_alu instid0(VALU_DEP_2)
	v_mov_b32_e32 v131, v139
	scratch_store_b64 off, v[130:131], off offset:200
.LBB126_870:
	s_wait_xcnt 0x0
	s_or_b32 exec_lo, exec_lo, s0
	scratch_load_b64 v[130:131], off, off offset:208
	s_mov_b32 s0, exec_lo
	s_wait_loadcnt 0x0
	ds_store_b64 v1, v[130:131]
	s_wait_storecnt_dscnt 0x0
	s_barrier_signal -1
	s_barrier_wait -1
	s_wait_xcnt 0x0
	v_cmpx_gt_u32_e32 26, v0
	s_cbranch_execz .LBB126_880
; %bb.871:
	v_cmp_ne_u32_e32 vcc_lo, 1, v132
	s_cbranch_vccnz .LBB126_873
; %bb.872:
	scratch_load_b64 v[130:131], v59, off
	ds_load_b64 v[134:135], v1
	s_wait_loadcnt_dscnt 0x0
	v_pk_mul_f32 v[136:137], v[134:135], v[130:131] op_sel:[1,1] op_sel_hi:[0,1]
	s_delay_alu instid0(VALU_DEP_1) | instskip(SKIP_1) | instid1(VALU_DEP_2)
	v_pk_fma_f32 v[138:139], v[134:135], v[130:131], v[136:137] op_sel_hi:[1,0,1]
	v_pk_fma_f32 v[130:131], v[134:135], v[130:131], v[136:137] neg_lo:[0,0,1] neg_hi:[0,0,1]
	v_mov_b32_e32 v131, v139
	s_cbranch_execz .LBB126_874
	s_branch .LBB126_875
.LBB126_873:
                                        ; implicit-def: $vgpr130_vgpr131
.LBB126_874:
	ds_load_b64 v[130:131], v1
.LBB126_875:
	s_mov_b32 s4, exec_lo
	v_cmpx_ne_u32_e32 25, v0
	s_cbranch_execz .LBB126_879
; %bb.876:
	v_add_nc_u32_e32 v133, 0x208, v58
	v_add3_u32 v134, 0, v58, 8
	v_mov_b32_e32 v135, v0
	s_mov_b32 s5, 0
.LBB126_877:                            ; =>This Inner Loop Header: Depth=1
	scratch_load_b64 v[136:137], v134, off
	ds_load_b64 v[138:139], v133
	s_wait_xcnt 0x0
	v_dual_add_nc_u32 v133, 8, v133 :: v_dual_add_nc_u32 v134, 8, v134
	s_wait_loadcnt_dscnt 0x0
	v_pk_mul_f32 v[140:141], v[138:139], v[136:137] op_sel:[1,1] op_sel_hi:[0,1]
	s_delay_alu instid0(VALU_DEP_1) | instskip(SKIP_2) | instid1(VALU_DEP_3)
	v_pk_fma_f32 v[142:143], v[138:139], v[136:137], v[140:141] op_sel_hi:[1,0,1]
	v_add_nc_u32_e32 v135, 1, v135
	v_pk_fma_f32 v[136:137], v[138:139], v[136:137], v[140:141] neg_lo:[0,0,1] neg_hi:[0,0,1]
	v_mov_b32_e32 v137, v143
	s_delay_alu instid0(VALU_DEP_3) | instskip(NEXT) | instid1(VALU_DEP_2)
	v_cmp_lt_u32_e32 vcc_lo, 24, v135
	v_pk_add_f32 v[130:131], v[130:131], v[136:137]
	s_or_b32 s5, vcc_lo, s5
	s_delay_alu instid0(SALU_CYCLE_1)
	s_and_not1_b32 exec_lo, exec_lo, s5
	s_cbranch_execnz .LBB126_877
; %bb.878:
	s_or_b32 exec_lo, exec_lo, s5
.LBB126_879:
	s_delay_alu instid0(SALU_CYCLE_1) | instskip(SKIP_4) | instid1(VALU_DEP_1)
	s_or_b32 exec_lo, exec_lo, s4
	v_mov_b32_e32 v133, 0
	ds_load_b64 v[134:135], v133 offset:208
	s_wait_dscnt 0x0
	v_pk_mul_f32 v[136:137], v[130:131], v[134:135] op_sel:[1,1] op_sel_hi:[0,1]
	v_pk_fma_f32 v[138:139], v[130:131], v[134:135], v[136:137] op_sel_hi:[1,0,1]
	v_pk_fma_f32 v[130:131], v[130:131], v[134:135], v[136:137] neg_lo:[0,0,1] neg_hi:[0,0,1]
	s_delay_alu instid0(VALU_DEP_2)
	v_mov_b32_e32 v131, v139
	scratch_store_b64 off, v[130:131], off offset:208
.LBB126_880:
	s_wait_xcnt 0x0
	s_or_b32 exec_lo, exec_lo, s0
	scratch_load_b64 v[130:131], off, off offset:216
	s_mov_b32 s0, exec_lo
	s_wait_loadcnt 0x0
	ds_store_b64 v1, v[130:131]
	s_wait_storecnt_dscnt 0x0
	s_barrier_signal -1
	s_barrier_wait -1
	s_wait_xcnt 0x0
	v_cmpx_gt_u32_e32 27, v0
	s_cbranch_execz .LBB126_890
; %bb.881:
	v_cmp_ne_u32_e32 vcc_lo, 1, v132
	s_cbranch_vccnz .LBB126_883
; %bb.882:
	scratch_load_b64 v[130:131], v59, off
	ds_load_b64 v[134:135], v1
	s_wait_loadcnt_dscnt 0x0
	v_pk_mul_f32 v[136:137], v[134:135], v[130:131] op_sel:[1,1] op_sel_hi:[0,1]
	s_delay_alu instid0(VALU_DEP_1) | instskip(SKIP_1) | instid1(VALU_DEP_2)
	v_pk_fma_f32 v[138:139], v[134:135], v[130:131], v[136:137] op_sel_hi:[1,0,1]
	v_pk_fma_f32 v[130:131], v[134:135], v[130:131], v[136:137] neg_lo:[0,0,1] neg_hi:[0,0,1]
	v_mov_b32_e32 v131, v139
	s_cbranch_execz .LBB126_884
	s_branch .LBB126_885
.LBB126_883:
                                        ; implicit-def: $vgpr130_vgpr131
.LBB126_884:
	ds_load_b64 v[130:131], v1
.LBB126_885:
	s_mov_b32 s4, exec_lo
	v_cmpx_ne_u32_e32 26, v0
	s_cbranch_execz .LBB126_889
; %bb.886:
	v_add_nc_u32_e32 v133, 0x208, v58
	v_add3_u32 v134, 0, v58, 8
	v_mov_b32_e32 v135, v0
	s_mov_b32 s5, 0
.LBB126_887:                            ; =>This Inner Loop Header: Depth=1
	scratch_load_b64 v[136:137], v134, off
	ds_load_b64 v[138:139], v133
	s_wait_xcnt 0x0
	v_dual_add_nc_u32 v133, 8, v133 :: v_dual_add_nc_u32 v134, 8, v134
	s_wait_loadcnt_dscnt 0x0
	v_pk_mul_f32 v[140:141], v[138:139], v[136:137] op_sel:[1,1] op_sel_hi:[0,1]
	s_delay_alu instid0(VALU_DEP_1) | instskip(SKIP_2) | instid1(VALU_DEP_3)
	v_pk_fma_f32 v[142:143], v[138:139], v[136:137], v[140:141] op_sel_hi:[1,0,1]
	v_add_nc_u32_e32 v135, 1, v135
	v_pk_fma_f32 v[136:137], v[138:139], v[136:137], v[140:141] neg_lo:[0,0,1] neg_hi:[0,0,1]
	v_mov_b32_e32 v137, v143
	s_delay_alu instid0(VALU_DEP_3) | instskip(NEXT) | instid1(VALU_DEP_2)
	v_cmp_lt_u32_e32 vcc_lo, 25, v135
	v_pk_add_f32 v[130:131], v[130:131], v[136:137]
	s_or_b32 s5, vcc_lo, s5
	s_delay_alu instid0(SALU_CYCLE_1)
	s_and_not1_b32 exec_lo, exec_lo, s5
	s_cbranch_execnz .LBB126_887
; %bb.888:
	s_or_b32 exec_lo, exec_lo, s5
.LBB126_889:
	s_delay_alu instid0(SALU_CYCLE_1) | instskip(SKIP_4) | instid1(VALU_DEP_1)
	s_or_b32 exec_lo, exec_lo, s4
	v_mov_b32_e32 v133, 0
	ds_load_b64 v[134:135], v133 offset:216
	s_wait_dscnt 0x0
	v_pk_mul_f32 v[136:137], v[130:131], v[134:135] op_sel:[1,1] op_sel_hi:[0,1]
	v_pk_fma_f32 v[138:139], v[130:131], v[134:135], v[136:137] op_sel_hi:[1,0,1]
	v_pk_fma_f32 v[130:131], v[130:131], v[134:135], v[136:137] neg_lo:[0,0,1] neg_hi:[0,0,1]
	s_delay_alu instid0(VALU_DEP_2)
	v_mov_b32_e32 v131, v139
	scratch_store_b64 off, v[130:131], off offset:216
.LBB126_890:
	s_wait_xcnt 0x0
	s_or_b32 exec_lo, exec_lo, s0
	scratch_load_b64 v[130:131], off, off offset:224
	s_mov_b32 s0, exec_lo
	s_wait_loadcnt 0x0
	ds_store_b64 v1, v[130:131]
	s_wait_storecnt_dscnt 0x0
	s_barrier_signal -1
	s_barrier_wait -1
	s_wait_xcnt 0x0
	v_cmpx_gt_u32_e32 28, v0
	s_cbranch_execz .LBB126_900
; %bb.891:
	v_cmp_ne_u32_e32 vcc_lo, 1, v132
	s_cbranch_vccnz .LBB126_893
; %bb.892:
	scratch_load_b64 v[130:131], v59, off
	ds_load_b64 v[134:135], v1
	s_wait_loadcnt_dscnt 0x0
	v_pk_mul_f32 v[136:137], v[134:135], v[130:131] op_sel:[1,1] op_sel_hi:[0,1]
	s_delay_alu instid0(VALU_DEP_1) | instskip(SKIP_1) | instid1(VALU_DEP_2)
	v_pk_fma_f32 v[138:139], v[134:135], v[130:131], v[136:137] op_sel_hi:[1,0,1]
	v_pk_fma_f32 v[130:131], v[134:135], v[130:131], v[136:137] neg_lo:[0,0,1] neg_hi:[0,0,1]
	v_mov_b32_e32 v131, v139
	s_cbranch_execz .LBB126_894
	s_branch .LBB126_895
.LBB126_893:
                                        ; implicit-def: $vgpr130_vgpr131
.LBB126_894:
	ds_load_b64 v[130:131], v1
.LBB126_895:
	s_mov_b32 s4, exec_lo
	v_cmpx_ne_u32_e32 27, v0
	s_cbranch_execz .LBB126_899
; %bb.896:
	v_add_nc_u32_e32 v133, 0x208, v58
	v_add3_u32 v134, 0, v58, 8
	v_mov_b32_e32 v135, v0
	s_mov_b32 s5, 0
.LBB126_897:                            ; =>This Inner Loop Header: Depth=1
	scratch_load_b64 v[136:137], v134, off
	ds_load_b64 v[138:139], v133
	s_wait_xcnt 0x0
	v_dual_add_nc_u32 v133, 8, v133 :: v_dual_add_nc_u32 v134, 8, v134
	s_wait_loadcnt_dscnt 0x0
	v_pk_mul_f32 v[140:141], v[138:139], v[136:137] op_sel:[1,1] op_sel_hi:[0,1]
	s_delay_alu instid0(VALU_DEP_1) | instskip(SKIP_2) | instid1(VALU_DEP_3)
	v_pk_fma_f32 v[142:143], v[138:139], v[136:137], v[140:141] op_sel_hi:[1,0,1]
	v_add_nc_u32_e32 v135, 1, v135
	v_pk_fma_f32 v[136:137], v[138:139], v[136:137], v[140:141] neg_lo:[0,0,1] neg_hi:[0,0,1]
	v_mov_b32_e32 v137, v143
	s_delay_alu instid0(VALU_DEP_3) | instskip(NEXT) | instid1(VALU_DEP_2)
	v_cmp_lt_u32_e32 vcc_lo, 26, v135
	v_pk_add_f32 v[130:131], v[130:131], v[136:137]
	s_or_b32 s5, vcc_lo, s5
	s_delay_alu instid0(SALU_CYCLE_1)
	s_and_not1_b32 exec_lo, exec_lo, s5
	s_cbranch_execnz .LBB126_897
; %bb.898:
	s_or_b32 exec_lo, exec_lo, s5
.LBB126_899:
	s_delay_alu instid0(SALU_CYCLE_1) | instskip(SKIP_4) | instid1(VALU_DEP_1)
	s_or_b32 exec_lo, exec_lo, s4
	v_mov_b32_e32 v133, 0
	ds_load_b64 v[134:135], v133 offset:224
	s_wait_dscnt 0x0
	v_pk_mul_f32 v[136:137], v[130:131], v[134:135] op_sel:[1,1] op_sel_hi:[0,1]
	v_pk_fma_f32 v[138:139], v[130:131], v[134:135], v[136:137] op_sel_hi:[1,0,1]
	v_pk_fma_f32 v[130:131], v[130:131], v[134:135], v[136:137] neg_lo:[0,0,1] neg_hi:[0,0,1]
	s_delay_alu instid0(VALU_DEP_2)
	v_mov_b32_e32 v131, v139
	scratch_store_b64 off, v[130:131], off offset:224
.LBB126_900:
	s_wait_xcnt 0x0
	s_or_b32 exec_lo, exec_lo, s0
	scratch_load_b64 v[130:131], off, off offset:232
	s_mov_b32 s0, exec_lo
	s_wait_loadcnt 0x0
	ds_store_b64 v1, v[130:131]
	s_wait_storecnt_dscnt 0x0
	s_barrier_signal -1
	s_barrier_wait -1
	s_wait_xcnt 0x0
	v_cmpx_gt_u32_e32 29, v0
	s_cbranch_execz .LBB126_910
; %bb.901:
	v_cmp_ne_u32_e32 vcc_lo, 1, v132
	s_cbranch_vccnz .LBB126_903
; %bb.902:
	scratch_load_b64 v[130:131], v59, off
	ds_load_b64 v[134:135], v1
	s_wait_loadcnt_dscnt 0x0
	v_pk_mul_f32 v[136:137], v[134:135], v[130:131] op_sel:[1,1] op_sel_hi:[0,1]
	s_delay_alu instid0(VALU_DEP_1) | instskip(SKIP_1) | instid1(VALU_DEP_2)
	v_pk_fma_f32 v[138:139], v[134:135], v[130:131], v[136:137] op_sel_hi:[1,0,1]
	v_pk_fma_f32 v[130:131], v[134:135], v[130:131], v[136:137] neg_lo:[0,0,1] neg_hi:[0,0,1]
	v_mov_b32_e32 v131, v139
	s_cbranch_execz .LBB126_904
	s_branch .LBB126_905
.LBB126_903:
                                        ; implicit-def: $vgpr130_vgpr131
.LBB126_904:
	ds_load_b64 v[130:131], v1
.LBB126_905:
	s_mov_b32 s4, exec_lo
	v_cmpx_ne_u32_e32 28, v0
	s_cbranch_execz .LBB126_909
; %bb.906:
	v_add_nc_u32_e32 v133, 0x208, v58
	v_add3_u32 v134, 0, v58, 8
	v_mov_b32_e32 v135, v0
	s_mov_b32 s5, 0
.LBB126_907:                            ; =>This Inner Loop Header: Depth=1
	scratch_load_b64 v[136:137], v134, off
	ds_load_b64 v[138:139], v133
	s_wait_xcnt 0x0
	v_dual_add_nc_u32 v133, 8, v133 :: v_dual_add_nc_u32 v134, 8, v134
	s_wait_loadcnt_dscnt 0x0
	v_pk_mul_f32 v[140:141], v[138:139], v[136:137] op_sel:[1,1] op_sel_hi:[0,1]
	s_delay_alu instid0(VALU_DEP_1) | instskip(SKIP_2) | instid1(VALU_DEP_3)
	v_pk_fma_f32 v[142:143], v[138:139], v[136:137], v[140:141] op_sel_hi:[1,0,1]
	v_add_nc_u32_e32 v135, 1, v135
	v_pk_fma_f32 v[136:137], v[138:139], v[136:137], v[140:141] neg_lo:[0,0,1] neg_hi:[0,0,1]
	v_mov_b32_e32 v137, v143
	s_delay_alu instid0(VALU_DEP_3) | instskip(NEXT) | instid1(VALU_DEP_2)
	v_cmp_lt_u32_e32 vcc_lo, 27, v135
	v_pk_add_f32 v[130:131], v[130:131], v[136:137]
	s_or_b32 s5, vcc_lo, s5
	s_delay_alu instid0(SALU_CYCLE_1)
	s_and_not1_b32 exec_lo, exec_lo, s5
	s_cbranch_execnz .LBB126_907
; %bb.908:
	s_or_b32 exec_lo, exec_lo, s5
.LBB126_909:
	s_delay_alu instid0(SALU_CYCLE_1) | instskip(SKIP_4) | instid1(VALU_DEP_1)
	s_or_b32 exec_lo, exec_lo, s4
	v_mov_b32_e32 v133, 0
	ds_load_b64 v[134:135], v133 offset:232
	s_wait_dscnt 0x0
	v_pk_mul_f32 v[136:137], v[130:131], v[134:135] op_sel:[1,1] op_sel_hi:[0,1]
	v_pk_fma_f32 v[138:139], v[130:131], v[134:135], v[136:137] op_sel_hi:[1,0,1]
	v_pk_fma_f32 v[130:131], v[130:131], v[134:135], v[136:137] neg_lo:[0,0,1] neg_hi:[0,0,1]
	s_delay_alu instid0(VALU_DEP_2)
	v_mov_b32_e32 v131, v139
	scratch_store_b64 off, v[130:131], off offset:232
.LBB126_910:
	s_wait_xcnt 0x0
	s_or_b32 exec_lo, exec_lo, s0
	scratch_load_b64 v[130:131], off, off offset:240
	s_mov_b32 s0, exec_lo
	s_wait_loadcnt 0x0
	ds_store_b64 v1, v[130:131]
	s_wait_storecnt_dscnt 0x0
	s_barrier_signal -1
	s_barrier_wait -1
	s_wait_xcnt 0x0
	v_cmpx_gt_u32_e32 30, v0
	s_cbranch_execz .LBB126_920
; %bb.911:
	v_cmp_ne_u32_e32 vcc_lo, 1, v132
	s_cbranch_vccnz .LBB126_913
; %bb.912:
	scratch_load_b64 v[130:131], v59, off
	ds_load_b64 v[134:135], v1
	s_wait_loadcnt_dscnt 0x0
	v_pk_mul_f32 v[136:137], v[134:135], v[130:131] op_sel:[1,1] op_sel_hi:[0,1]
	s_delay_alu instid0(VALU_DEP_1) | instskip(SKIP_1) | instid1(VALU_DEP_2)
	v_pk_fma_f32 v[138:139], v[134:135], v[130:131], v[136:137] op_sel_hi:[1,0,1]
	v_pk_fma_f32 v[130:131], v[134:135], v[130:131], v[136:137] neg_lo:[0,0,1] neg_hi:[0,0,1]
	v_mov_b32_e32 v131, v139
	s_cbranch_execz .LBB126_914
	s_branch .LBB126_915
.LBB126_913:
                                        ; implicit-def: $vgpr130_vgpr131
.LBB126_914:
	ds_load_b64 v[130:131], v1
.LBB126_915:
	s_mov_b32 s4, exec_lo
	v_cmpx_ne_u32_e32 29, v0
	s_cbranch_execz .LBB126_919
; %bb.916:
	v_add_nc_u32_e32 v133, 0x208, v58
	v_add3_u32 v134, 0, v58, 8
	v_mov_b32_e32 v135, v0
	s_mov_b32 s5, 0
.LBB126_917:                            ; =>This Inner Loop Header: Depth=1
	scratch_load_b64 v[136:137], v134, off
	ds_load_b64 v[138:139], v133
	s_wait_xcnt 0x0
	v_dual_add_nc_u32 v133, 8, v133 :: v_dual_add_nc_u32 v134, 8, v134
	s_wait_loadcnt_dscnt 0x0
	v_pk_mul_f32 v[140:141], v[138:139], v[136:137] op_sel:[1,1] op_sel_hi:[0,1]
	s_delay_alu instid0(VALU_DEP_1) | instskip(SKIP_2) | instid1(VALU_DEP_3)
	v_pk_fma_f32 v[142:143], v[138:139], v[136:137], v[140:141] op_sel_hi:[1,0,1]
	v_add_nc_u32_e32 v135, 1, v135
	v_pk_fma_f32 v[136:137], v[138:139], v[136:137], v[140:141] neg_lo:[0,0,1] neg_hi:[0,0,1]
	v_mov_b32_e32 v137, v143
	s_delay_alu instid0(VALU_DEP_3) | instskip(NEXT) | instid1(VALU_DEP_2)
	v_cmp_lt_u32_e32 vcc_lo, 28, v135
	v_pk_add_f32 v[130:131], v[130:131], v[136:137]
	s_or_b32 s5, vcc_lo, s5
	s_delay_alu instid0(SALU_CYCLE_1)
	s_and_not1_b32 exec_lo, exec_lo, s5
	s_cbranch_execnz .LBB126_917
; %bb.918:
	s_or_b32 exec_lo, exec_lo, s5
.LBB126_919:
	s_delay_alu instid0(SALU_CYCLE_1) | instskip(SKIP_4) | instid1(VALU_DEP_1)
	s_or_b32 exec_lo, exec_lo, s4
	v_mov_b32_e32 v133, 0
	ds_load_b64 v[134:135], v133 offset:240
	s_wait_dscnt 0x0
	v_pk_mul_f32 v[136:137], v[130:131], v[134:135] op_sel:[1,1] op_sel_hi:[0,1]
	v_pk_fma_f32 v[138:139], v[130:131], v[134:135], v[136:137] op_sel_hi:[1,0,1]
	v_pk_fma_f32 v[130:131], v[130:131], v[134:135], v[136:137] neg_lo:[0,0,1] neg_hi:[0,0,1]
	s_delay_alu instid0(VALU_DEP_2)
	v_mov_b32_e32 v131, v139
	scratch_store_b64 off, v[130:131], off offset:240
.LBB126_920:
	s_wait_xcnt 0x0
	s_or_b32 exec_lo, exec_lo, s0
	scratch_load_b64 v[130:131], off, off offset:248
	s_mov_b32 s0, exec_lo
	s_wait_loadcnt 0x0
	ds_store_b64 v1, v[130:131]
	s_wait_storecnt_dscnt 0x0
	s_barrier_signal -1
	s_barrier_wait -1
	s_wait_xcnt 0x0
	v_cmpx_gt_u32_e32 31, v0
	s_cbranch_execz .LBB126_930
; %bb.921:
	v_cmp_ne_u32_e32 vcc_lo, 1, v132
	s_cbranch_vccnz .LBB126_923
; %bb.922:
	scratch_load_b64 v[130:131], v59, off
	ds_load_b64 v[134:135], v1
	s_wait_loadcnt_dscnt 0x0
	v_pk_mul_f32 v[136:137], v[134:135], v[130:131] op_sel:[1,1] op_sel_hi:[0,1]
	s_delay_alu instid0(VALU_DEP_1) | instskip(SKIP_1) | instid1(VALU_DEP_2)
	v_pk_fma_f32 v[138:139], v[134:135], v[130:131], v[136:137] op_sel_hi:[1,0,1]
	v_pk_fma_f32 v[130:131], v[134:135], v[130:131], v[136:137] neg_lo:[0,0,1] neg_hi:[0,0,1]
	v_mov_b32_e32 v131, v139
	s_cbranch_execz .LBB126_924
	s_branch .LBB126_925
.LBB126_923:
                                        ; implicit-def: $vgpr130_vgpr131
.LBB126_924:
	ds_load_b64 v[130:131], v1
.LBB126_925:
	s_mov_b32 s4, exec_lo
	v_cmpx_ne_u32_e32 30, v0
	s_cbranch_execz .LBB126_929
; %bb.926:
	v_add_nc_u32_e32 v133, 0x208, v58
	v_add3_u32 v134, 0, v58, 8
	v_mov_b32_e32 v135, v0
	s_mov_b32 s5, 0
.LBB126_927:                            ; =>This Inner Loop Header: Depth=1
	scratch_load_b64 v[136:137], v134, off
	ds_load_b64 v[138:139], v133
	s_wait_xcnt 0x0
	v_dual_add_nc_u32 v133, 8, v133 :: v_dual_add_nc_u32 v134, 8, v134
	s_wait_loadcnt_dscnt 0x0
	v_pk_mul_f32 v[140:141], v[138:139], v[136:137] op_sel:[1,1] op_sel_hi:[0,1]
	s_delay_alu instid0(VALU_DEP_1) | instskip(SKIP_2) | instid1(VALU_DEP_3)
	v_pk_fma_f32 v[142:143], v[138:139], v[136:137], v[140:141] op_sel_hi:[1,0,1]
	v_add_nc_u32_e32 v135, 1, v135
	v_pk_fma_f32 v[136:137], v[138:139], v[136:137], v[140:141] neg_lo:[0,0,1] neg_hi:[0,0,1]
	v_mov_b32_e32 v137, v143
	s_delay_alu instid0(VALU_DEP_3) | instskip(NEXT) | instid1(VALU_DEP_2)
	v_cmp_lt_u32_e32 vcc_lo, 29, v135
	v_pk_add_f32 v[130:131], v[130:131], v[136:137]
	s_or_b32 s5, vcc_lo, s5
	s_delay_alu instid0(SALU_CYCLE_1)
	s_and_not1_b32 exec_lo, exec_lo, s5
	s_cbranch_execnz .LBB126_927
; %bb.928:
	s_or_b32 exec_lo, exec_lo, s5
.LBB126_929:
	s_delay_alu instid0(SALU_CYCLE_1) | instskip(SKIP_4) | instid1(VALU_DEP_1)
	s_or_b32 exec_lo, exec_lo, s4
	v_mov_b32_e32 v133, 0
	ds_load_b64 v[134:135], v133 offset:248
	s_wait_dscnt 0x0
	v_pk_mul_f32 v[136:137], v[130:131], v[134:135] op_sel:[1,1] op_sel_hi:[0,1]
	v_pk_fma_f32 v[138:139], v[130:131], v[134:135], v[136:137] op_sel_hi:[1,0,1]
	v_pk_fma_f32 v[130:131], v[130:131], v[134:135], v[136:137] neg_lo:[0,0,1] neg_hi:[0,0,1]
	s_delay_alu instid0(VALU_DEP_2)
	v_mov_b32_e32 v131, v139
	scratch_store_b64 off, v[130:131], off offset:248
.LBB126_930:
	s_wait_xcnt 0x0
	s_or_b32 exec_lo, exec_lo, s0
	scratch_load_b64 v[130:131], off, off offset:256
	s_mov_b32 s0, exec_lo
	s_wait_loadcnt 0x0
	ds_store_b64 v1, v[130:131]
	s_wait_storecnt_dscnt 0x0
	s_barrier_signal -1
	s_barrier_wait -1
	s_wait_xcnt 0x0
	v_cmpx_gt_u32_e32 32, v0
	s_cbranch_execz .LBB126_940
; %bb.931:
	v_cmp_ne_u32_e32 vcc_lo, 1, v132
	s_cbranch_vccnz .LBB126_933
; %bb.932:
	scratch_load_b64 v[130:131], v59, off
	ds_load_b64 v[134:135], v1
	s_wait_loadcnt_dscnt 0x0
	v_pk_mul_f32 v[136:137], v[134:135], v[130:131] op_sel:[1,1] op_sel_hi:[0,1]
	s_delay_alu instid0(VALU_DEP_1) | instskip(SKIP_1) | instid1(VALU_DEP_2)
	v_pk_fma_f32 v[138:139], v[134:135], v[130:131], v[136:137] op_sel_hi:[1,0,1]
	v_pk_fma_f32 v[130:131], v[134:135], v[130:131], v[136:137] neg_lo:[0,0,1] neg_hi:[0,0,1]
	v_mov_b32_e32 v131, v139
	s_cbranch_execz .LBB126_934
	s_branch .LBB126_935
.LBB126_933:
                                        ; implicit-def: $vgpr130_vgpr131
.LBB126_934:
	ds_load_b64 v[130:131], v1
.LBB126_935:
	s_mov_b32 s4, exec_lo
	v_cmpx_ne_u32_e32 31, v0
	s_cbranch_execz .LBB126_939
; %bb.936:
	v_add_nc_u32_e32 v133, 0x208, v58
	v_add3_u32 v134, 0, v58, 8
	v_mov_b32_e32 v135, v0
	s_mov_b32 s5, 0
.LBB126_937:                            ; =>This Inner Loop Header: Depth=1
	scratch_load_b64 v[136:137], v134, off
	ds_load_b64 v[138:139], v133
	s_wait_xcnt 0x0
	v_dual_add_nc_u32 v133, 8, v133 :: v_dual_add_nc_u32 v134, 8, v134
	s_wait_loadcnt_dscnt 0x0
	v_pk_mul_f32 v[140:141], v[138:139], v[136:137] op_sel:[1,1] op_sel_hi:[0,1]
	s_delay_alu instid0(VALU_DEP_1) | instskip(SKIP_2) | instid1(VALU_DEP_3)
	v_pk_fma_f32 v[142:143], v[138:139], v[136:137], v[140:141] op_sel_hi:[1,0,1]
	v_add_nc_u32_e32 v135, 1, v135
	v_pk_fma_f32 v[136:137], v[138:139], v[136:137], v[140:141] neg_lo:[0,0,1] neg_hi:[0,0,1]
	v_mov_b32_e32 v137, v143
	s_delay_alu instid0(VALU_DEP_3) | instskip(NEXT) | instid1(VALU_DEP_2)
	v_cmp_lt_u32_e32 vcc_lo, 30, v135
	v_pk_add_f32 v[130:131], v[130:131], v[136:137]
	s_or_b32 s5, vcc_lo, s5
	s_delay_alu instid0(SALU_CYCLE_1)
	s_and_not1_b32 exec_lo, exec_lo, s5
	s_cbranch_execnz .LBB126_937
; %bb.938:
	s_or_b32 exec_lo, exec_lo, s5
.LBB126_939:
	s_delay_alu instid0(SALU_CYCLE_1) | instskip(SKIP_4) | instid1(VALU_DEP_1)
	s_or_b32 exec_lo, exec_lo, s4
	v_mov_b32_e32 v133, 0
	ds_load_b64 v[134:135], v133 offset:256
	s_wait_dscnt 0x0
	v_pk_mul_f32 v[136:137], v[130:131], v[134:135] op_sel:[1,1] op_sel_hi:[0,1]
	v_pk_fma_f32 v[138:139], v[130:131], v[134:135], v[136:137] op_sel_hi:[1,0,1]
	v_pk_fma_f32 v[130:131], v[130:131], v[134:135], v[136:137] neg_lo:[0,0,1] neg_hi:[0,0,1]
	s_delay_alu instid0(VALU_DEP_2)
	v_mov_b32_e32 v131, v139
	scratch_store_b64 off, v[130:131], off offset:256
.LBB126_940:
	s_wait_xcnt 0x0
	s_or_b32 exec_lo, exec_lo, s0
	scratch_load_b64 v[130:131], off, off offset:264
	s_mov_b32 s0, exec_lo
	s_wait_loadcnt 0x0
	ds_store_b64 v1, v[130:131]
	s_wait_storecnt_dscnt 0x0
	s_barrier_signal -1
	s_barrier_wait -1
	s_wait_xcnt 0x0
	v_cmpx_gt_u32_e32 33, v0
	s_cbranch_execz .LBB126_950
; %bb.941:
	v_cmp_ne_u32_e32 vcc_lo, 1, v132
	s_cbranch_vccnz .LBB126_943
; %bb.942:
	scratch_load_b64 v[130:131], v59, off
	ds_load_b64 v[134:135], v1
	s_wait_loadcnt_dscnt 0x0
	v_pk_mul_f32 v[136:137], v[134:135], v[130:131] op_sel:[1,1] op_sel_hi:[0,1]
	s_delay_alu instid0(VALU_DEP_1) | instskip(SKIP_1) | instid1(VALU_DEP_2)
	v_pk_fma_f32 v[138:139], v[134:135], v[130:131], v[136:137] op_sel_hi:[1,0,1]
	v_pk_fma_f32 v[130:131], v[134:135], v[130:131], v[136:137] neg_lo:[0,0,1] neg_hi:[0,0,1]
	v_mov_b32_e32 v131, v139
	s_cbranch_execz .LBB126_944
	s_branch .LBB126_945
.LBB126_943:
                                        ; implicit-def: $vgpr130_vgpr131
.LBB126_944:
	ds_load_b64 v[130:131], v1
.LBB126_945:
	s_mov_b32 s4, exec_lo
	v_cmpx_ne_u32_e32 32, v0
	s_cbranch_execz .LBB126_949
; %bb.946:
	v_add_nc_u32_e32 v133, 0x208, v58
	v_add3_u32 v134, 0, v58, 8
	v_mov_b32_e32 v135, v0
	s_mov_b32 s5, 0
.LBB126_947:                            ; =>This Inner Loop Header: Depth=1
	scratch_load_b64 v[136:137], v134, off
	ds_load_b64 v[138:139], v133
	s_wait_xcnt 0x0
	v_dual_add_nc_u32 v133, 8, v133 :: v_dual_add_nc_u32 v134, 8, v134
	s_wait_loadcnt_dscnt 0x0
	v_pk_mul_f32 v[140:141], v[138:139], v[136:137] op_sel:[1,1] op_sel_hi:[0,1]
	s_delay_alu instid0(VALU_DEP_1) | instskip(SKIP_2) | instid1(VALU_DEP_3)
	v_pk_fma_f32 v[142:143], v[138:139], v[136:137], v[140:141] op_sel_hi:[1,0,1]
	v_add_nc_u32_e32 v135, 1, v135
	v_pk_fma_f32 v[136:137], v[138:139], v[136:137], v[140:141] neg_lo:[0,0,1] neg_hi:[0,0,1]
	v_mov_b32_e32 v137, v143
	s_delay_alu instid0(VALU_DEP_3) | instskip(NEXT) | instid1(VALU_DEP_2)
	v_cmp_lt_u32_e32 vcc_lo, 31, v135
	v_pk_add_f32 v[130:131], v[130:131], v[136:137]
	s_or_b32 s5, vcc_lo, s5
	s_delay_alu instid0(SALU_CYCLE_1)
	s_and_not1_b32 exec_lo, exec_lo, s5
	s_cbranch_execnz .LBB126_947
; %bb.948:
	s_or_b32 exec_lo, exec_lo, s5
.LBB126_949:
	s_delay_alu instid0(SALU_CYCLE_1) | instskip(SKIP_4) | instid1(VALU_DEP_1)
	s_or_b32 exec_lo, exec_lo, s4
	v_mov_b32_e32 v133, 0
	ds_load_b64 v[134:135], v133 offset:264
	s_wait_dscnt 0x0
	v_pk_mul_f32 v[136:137], v[130:131], v[134:135] op_sel:[1,1] op_sel_hi:[0,1]
	v_pk_fma_f32 v[138:139], v[130:131], v[134:135], v[136:137] op_sel_hi:[1,0,1]
	v_pk_fma_f32 v[130:131], v[130:131], v[134:135], v[136:137] neg_lo:[0,0,1] neg_hi:[0,0,1]
	s_delay_alu instid0(VALU_DEP_2)
	v_mov_b32_e32 v131, v139
	scratch_store_b64 off, v[130:131], off offset:264
.LBB126_950:
	s_wait_xcnt 0x0
	s_or_b32 exec_lo, exec_lo, s0
	scratch_load_b64 v[130:131], off, off offset:272
	s_mov_b32 s0, exec_lo
	s_wait_loadcnt 0x0
	ds_store_b64 v1, v[130:131]
	s_wait_storecnt_dscnt 0x0
	s_barrier_signal -1
	s_barrier_wait -1
	s_wait_xcnt 0x0
	v_cmpx_gt_u32_e32 34, v0
	s_cbranch_execz .LBB126_960
; %bb.951:
	v_cmp_ne_u32_e32 vcc_lo, 1, v132
	s_cbranch_vccnz .LBB126_953
; %bb.952:
	scratch_load_b64 v[130:131], v59, off
	ds_load_b64 v[134:135], v1
	s_wait_loadcnt_dscnt 0x0
	v_pk_mul_f32 v[136:137], v[134:135], v[130:131] op_sel:[1,1] op_sel_hi:[0,1]
	s_delay_alu instid0(VALU_DEP_1) | instskip(SKIP_1) | instid1(VALU_DEP_2)
	v_pk_fma_f32 v[138:139], v[134:135], v[130:131], v[136:137] op_sel_hi:[1,0,1]
	v_pk_fma_f32 v[130:131], v[134:135], v[130:131], v[136:137] neg_lo:[0,0,1] neg_hi:[0,0,1]
	v_mov_b32_e32 v131, v139
	s_cbranch_execz .LBB126_954
	s_branch .LBB126_955
.LBB126_953:
                                        ; implicit-def: $vgpr130_vgpr131
.LBB126_954:
	ds_load_b64 v[130:131], v1
.LBB126_955:
	s_mov_b32 s4, exec_lo
	v_cmpx_ne_u32_e32 33, v0
	s_cbranch_execz .LBB126_959
; %bb.956:
	v_add_nc_u32_e32 v133, 0x208, v58
	v_add3_u32 v134, 0, v58, 8
	v_mov_b32_e32 v135, v0
	s_mov_b32 s5, 0
.LBB126_957:                            ; =>This Inner Loop Header: Depth=1
	scratch_load_b64 v[136:137], v134, off
	ds_load_b64 v[138:139], v133
	s_wait_xcnt 0x0
	v_dual_add_nc_u32 v133, 8, v133 :: v_dual_add_nc_u32 v134, 8, v134
	s_wait_loadcnt_dscnt 0x0
	v_pk_mul_f32 v[140:141], v[138:139], v[136:137] op_sel:[1,1] op_sel_hi:[0,1]
	s_delay_alu instid0(VALU_DEP_1) | instskip(SKIP_2) | instid1(VALU_DEP_3)
	v_pk_fma_f32 v[142:143], v[138:139], v[136:137], v[140:141] op_sel_hi:[1,0,1]
	v_add_nc_u32_e32 v135, 1, v135
	v_pk_fma_f32 v[136:137], v[138:139], v[136:137], v[140:141] neg_lo:[0,0,1] neg_hi:[0,0,1]
	v_mov_b32_e32 v137, v143
	s_delay_alu instid0(VALU_DEP_3) | instskip(NEXT) | instid1(VALU_DEP_2)
	v_cmp_lt_u32_e32 vcc_lo, 32, v135
	v_pk_add_f32 v[130:131], v[130:131], v[136:137]
	s_or_b32 s5, vcc_lo, s5
	s_delay_alu instid0(SALU_CYCLE_1)
	s_and_not1_b32 exec_lo, exec_lo, s5
	s_cbranch_execnz .LBB126_957
; %bb.958:
	s_or_b32 exec_lo, exec_lo, s5
.LBB126_959:
	s_delay_alu instid0(SALU_CYCLE_1) | instskip(SKIP_4) | instid1(VALU_DEP_1)
	s_or_b32 exec_lo, exec_lo, s4
	v_mov_b32_e32 v133, 0
	ds_load_b64 v[134:135], v133 offset:272
	s_wait_dscnt 0x0
	v_pk_mul_f32 v[136:137], v[130:131], v[134:135] op_sel:[1,1] op_sel_hi:[0,1]
	v_pk_fma_f32 v[138:139], v[130:131], v[134:135], v[136:137] op_sel_hi:[1,0,1]
	v_pk_fma_f32 v[130:131], v[130:131], v[134:135], v[136:137] neg_lo:[0,0,1] neg_hi:[0,0,1]
	s_delay_alu instid0(VALU_DEP_2)
	v_mov_b32_e32 v131, v139
	scratch_store_b64 off, v[130:131], off offset:272
.LBB126_960:
	s_wait_xcnt 0x0
	s_or_b32 exec_lo, exec_lo, s0
	scratch_load_b64 v[130:131], off, off offset:280
	s_mov_b32 s0, exec_lo
	s_wait_loadcnt 0x0
	ds_store_b64 v1, v[130:131]
	s_wait_storecnt_dscnt 0x0
	s_barrier_signal -1
	s_barrier_wait -1
	s_wait_xcnt 0x0
	v_cmpx_gt_u32_e32 35, v0
	s_cbranch_execz .LBB126_970
; %bb.961:
	v_cmp_ne_u32_e32 vcc_lo, 1, v132
	s_cbranch_vccnz .LBB126_963
; %bb.962:
	scratch_load_b64 v[130:131], v59, off
	ds_load_b64 v[134:135], v1
	s_wait_loadcnt_dscnt 0x0
	v_pk_mul_f32 v[136:137], v[134:135], v[130:131] op_sel:[1,1] op_sel_hi:[0,1]
	s_delay_alu instid0(VALU_DEP_1) | instskip(SKIP_1) | instid1(VALU_DEP_2)
	v_pk_fma_f32 v[138:139], v[134:135], v[130:131], v[136:137] op_sel_hi:[1,0,1]
	v_pk_fma_f32 v[130:131], v[134:135], v[130:131], v[136:137] neg_lo:[0,0,1] neg_hi:[0,0,1]
	v_mov_b32_e32 v131, v139
	s_cbranch_execz .LBB126_964
	s_branch .LBB126_965
.LBB126_963:
                                        ; implicit-def: $vgpr130_vgpr131
.LBB126_964:
	ds_load_b64 v[130:131], v1
.LBB126_965:
	s_mov_b32 s4, exec_lo
	v_cmpx_ne_u32_e32 34, v0
	s_cbranch_execz .LBB126_969
; %bb.966:
	v_add_nc_u32_e32 v133, 0x208, v58
	v_add3_u32 v134, 0, v58, 8
	v_mov_b32_e32 v135, v0
	s_mov_b32 s5, 0
.LBB126_967:                            ; =>This Inner Loop Header: Depth=1
	scratch_load_b64 v[136:137], v134, off
	ds_load_b64 v[138:139], v133
	s_wait_xcnt 0x0
	v_dual_add_nc_u32 v133, 8, v133 :: v_dual_add_nc_u32 v134, 8, v134
	s_wait_loadcnt_dscnt 0x0
	v_pk_mul_f32 v[140:141], v[138:139], v[136:137] op_sel:[1,1] op_sel_hi:[0,1]
	s_delay_alu instid0(VALU_DEP_1) | instskip(SKIP_2) | instid1(VALU_DEP_3)
	v_pk_fma_f32 v[142:143], v[138:139], v[136:137], v[140:141] op_sel_hi:[1,0,1]
	v_add_nc_u32_e32 v135, 1, v135
	v_pk_fma_f32 v[136:137], v[138:139], v[136:137], v[140:141] neg_lo:[0,0,1] neg_hi:[0,0,1]
	v_mov_b32_e32 v137, v143
	s_delay_alu instid0(VALU_DEP_3) | instskip(NEXT) | instid1(VALU_DEP_2)
	v_cmp_lt_u32_e32 vcc_lo, 33, v135
	v_pk_add_f32 v[130:131], v[130:131], v[136:137]
	s_or_b32 s5, vcc_lo, s5
	s_delay_alu instid0(SALU_CYCLE_1)
	s_and_not1_b32 exec_lo, exec_lo, s5
	s_cbranch_execnz .LBB126_967
; %bb.968:
	s_or_b32 exec_lo, exec_lo, s5
.LBB126_969:
	s_delay_alu instid0(SALU_CYCLE_1) | instskip(SKIP_4) | instid1(VALU_DEP_1)
	s_or_b32 exec_lo, exec_lo, s4
	v_mov_b32_e32 v133, 0
	ds_load_b64 v[134:135], v133 offset:280
	s_wait_dscnt 0x0
	v_pk_mul_f32 v[136:137], v[130:131], v[134:135] op_sel:[1,1] op_sel_hi:[0,1]
	v_pk_fma_f32 v[138:139], v[130:131], v[134:135], v[136:137] op_sel_hi:[1,0,1]
	v_pk_fma_f32 v[130:131], v[130:131], v[134:135], v[136:137] neg_lo:[0,0,1] neg_hi:[0,0,1]
	s_delay_alu instid0(VALU_DEP_2)
	v_mov_b32_e32 v131, v139
	scratch_store_b64 off, v[130:131], off offset:280
.LBB126_970:
	s_wait_xcnt 0x0
	s_or_b32 exec_lo, exec_lo, s0
	scratch_load_b64 v[130:131], off, off offset:288
	s_mov_b32 s0, exec_lo
	s_wait_loadcnt 0x0
	ds_store_b64 v1, v[130:131]
	s_wait_storecnt_dscnt 0x0
	s_barrier_signal -1
	s_barrier_wait -1
	s_wait_xcnt 0x0
	v_cmpx_gt_u32_e32 36, v0
	s_cbranch_execz .LBB126_980
; %bb.971:
	v_cmp_ne_u32_e32 vcc_lo, 1, v132
	s_cbranch_vccnz .LBB126_973
; %bb.972:
	scratch_load_b64 v[130:131], v59, off
	ds_load_b64 v[134:135], v1
	s_wait_loadcnt_dscnt 0x0
	v_pk_mul_f32 v[136:137], v[134:135], v[130:131] op_sel:[1,1] op_sel_hi:[0,1]
	s_delay_alu instid0(VALU_DEP_1) | instskip(SKIP_1) | instid1(VALU_DEP_2)
	v_pk_fma_f32 v[138:139], v[134:135], v[130:131], v[136:137] op_sel_hi:[1,0,1]
	v_pk_fma_f32 v[130:131], v[134:135], v[130:131], v[136:137] neg_lo:[0,0,1] neg_hi:[0,0,1]
	v_mov_b32_e32 v131, v139
	s_cbranch_execz .LBB126_974
	s_branch .LBB126_975
.LBB126_973:
                                        ; implicit-def: $vgpr130_vgpr131
.LBB126_974:
	ds_load_b64 v[130:131], v1
.LBB126_975:
	s_mov_b32 s4, exec_lo
	v_cmpx_ne_u32_e32 35, v0
	s_cbranch_execz .LBB126_979
; %bb.976:
	v_add_nc_u32_e32 v133, 0x208, v58
	v_add3_u32 v134, 0, v58, 8
	v_mov_b32_e32 v135, v0
	s_mov_b32 s5, 0
.LBB126_977:                            ; =>This Inner Loop Header: Depth=1
	scratch_load_b64 v[136:137], v134, off
	ds_load_b64 v[138:139], v133
	s_wait_xcnt 0x0
	v_dual_add_nc_u32 v133, 8, v133 :: v_dual_add_nc_u32 v134, 8, v134
	s_wait_loadcnt_dscnt 0x0
	v_pk_mul_f32 v[140:141], v[138:139], v[136:137] op_sel:[1,1] op_sel_hi:[0,1]
	s_delay_alu instid0(VALU_DEP_1) | instskip(SKIP_2) | instid1(VALU_DEP_3)
	v_pk_fma_f32 v[142:143], v[138:139], v[136:137], v[140:141] op_sel_hi:[1,0,1]
	v_add_nc_u32_e32 v135, 1, v135
	v_pk_fma_f32 v[136:137], v[138:139], v[136:137], v[140:141] neg_lo:[0,0,1] neg_hi:[0,0,1]
	v_mov_b32_e32 v137, v143
	s_delay_alu instid0(VALU_DEP_3) | instskip(NEXT) | instid1(VALU_DEP_2)
	v_cmp_lt_u32_e32 vcc_lo, 34, v135
	v_pk_add_f32 v[130:131], v[130:131], v[136:137]
	s_or_b32 s5, vcc_lo, s5
	s_delay_alu instid0(SALU_CYCLE_1)
	s_and_not1_b32 exec_lo, exec_lo, s5
	s_cbranch_execnz .LBB126_977
; %bb.978:
	s_or_b32 exec_lo, exec_lo, s5
.LBB126_979:
	s_delay_alu instid0(SALU_CYCLE_1) | instskip(SKIP_4) | instid1(VALU_DEP_1)
	s_or_b32 exec_lo, exec_lo, s4
	v_mov_b32_e32 v133, 0
	ds_load_b64 v[134:135], v133 offset:288
	s_wait_dscnt 0x0
	v_pk_mul_f32 v[136:137], v[130:131], v[134:135] op_sel:[1,1] op_sel_hi:[0,1]
	v_pk_fma_f32 v[138:139], v[130:131], v[134:135], v[136:137] op_sel_hi:[1,0,1]
	v_pk_fma_f32 v[130:131], v[130:131], v[134:135], v[136:137] neg_lo:[0,0,1] neg_hi:[0,0,1]
	s_delay_alu instid0(VALU_DEP_2)
	v_mov_b32_e32 v131, v139
	scratch_store_b64 off, v[130:131], off offset:288
.LBB126_980:
	s_wait_xcnt 0x0
	s_or_b32 exec_lo, exec_lo, s0
	scratch_load_b64 v[130:131], off, off offset:296
	s_mov_b32 s0, exec_lo
	s_wait_loadcnt 0x0
	ds_store_b64 v1, v[130:131]
	s_wait_storecnt_dscnt 0x0
	s_barrier_signal -1
	s_barrier_wait -1
	s_wait_xcnt 0x0
	v_cmpx_gt_u32_e32 37, v0
	s_cbranch_execz .LBB126_990
; %bb.981:
	v_cmp_ne_u32_e32 vcc_lo, 1, v132
	s_cbranch_vccnz .LBB126_983
; %bb.982:
	scratch_load_b64 v[130:131], v59, off
	ds_load_b64 v[134:135], v1
	s_wait_loadcnt_dscnt 0x0
	v_pk_mul_f32 v[136:137], v[134:135], v[130:131] op_sel:[1,1] op_sel_hi:[0,1]
	s_delay_alu instid0(VALU_DEP_1) | instskip(SKIP_1) | instid1(VALU_DEP_2)
	v_pk_fma_f32 v[138:139], v[134:135], v[130:131], v[136:137] op_sel_hi:[1,0,1]
	v_pk_fma_f32 v[130:131], v[134:135], v[130:131], v[136:137] neg_lo:[0,0,1] neg_hi:[0,0,1]
	v_mov_b32_e32 v131, v139
	s_cbranch_execz .LBB126_984
	s_branch .LBB126_985
.LBB126_983:
                                        ; implicit-def: $vgpr130_vgpr131
.LBB126_984:
	ds_load_b64 v[130:131], v1
.LBB126_985:
	s_mov_b32 s4, exec_lo
	v_cmpx_ne_u32_e32 36, v0
	s_cbranch_execz .LBB126_989
; %bb.986:
	v_add_nc_u32_e32 v133, 0x208, v58
	v_add3_u32 v134, 0, v58, 8
	v_mov_b32_e32 v135, v0
	s_mov_b32 s5, 0
.LBB126_987:                            ; =>This Inner Loop Header: Depth=1
	scratch_load_b64 v[136:137], v134, off
	ds_load_b64 v[138:139], v133
	s_wait_xcnt 0x0
	v_dual_add_nc_u32 v133, 8, v133 :: v_dual_add_nc_u32 v134, 8, v134
	s_wait_loadcnt_dscnt 0x0
	v_pk_mul_f32 v[140:141], v[138:139], v[136:137] op_sel:[1,1] op_sel_hi:[0,1]
	s_delay_alu instid0(VALU_DEP_1) | instskip(SKIP_2) | instid1(VALU_DEP_3)
	v_pk_fma_f32 v[142:143], v[138:139], v[136:137], v[140:141] op_sel_hi:[1,0,1]
	v_add_nc_u32_e32 v135, 1, v135
	v_pk_fma_f32 v[136:137], v[138:139], v[136:137], v[140:141] neg_lo:[0,0,1] neg_hi:[0,0,1]
	v_mov_b32_e32 v137, v143
	s_delay_alu instid0(VALU_DEP_3) | instskip(NEXT) | instid1(VALU_DEP_2)
	v_cmp_lt_u32_e32 vcc_lo, 35, v135
	v_pk_add_f32 v[130:131], v[130:131], v[136:137]
	s_or_b32 s5, vcc_lo, s5
	s_delay_alu instid0(SALU_CYCLE_1)
	s_and_not1_b32 exec_lo, exec_lo, s5
	s_cbranch_execnz .LBB126_987
; %bb.988:
	s_or_b32 exec_lo, exec_lo, s5
.LBB126_989:
	s_delay_alu instid0(SALU_CYCLE_1) | instskip(SKIP_4) | instid1(VALU_DEP_1)
	s_or_b32 exec_lo, exec_lo, s4
	v_mov_b32_e32 v133, 0
	ds_load_b64 v[134:135], v133 offset:296
	s_wait_dscnt 0x0
	v_pk_mul_f32 v[136:137], v[130:131], v[134:135] op_sel:[1,1] op_sel_hi:[0,1]
	v_pk_fma_f32 v[138:139], v[130:131], v[134:135], v[136:137] op_sel_hi:[1,0,1]
	v_pk_fma_f32 v[130:131], v[130:131], v[134:135], v[136:137] neg_lo:[0,0,1] neg_hi:[0,0,1]
	s_delay_alu instid0(VALU_DEP_2)
	v_mov_b32_e32 v131, v139
	scratch_store_b64 off, v[130:131], off offset:296
.LBB126_990:
	s_wait_xcnt 0x0
	s_or_b32 exec_lo, exec_lo, s0
	scratch_load_b64 v[130:131], off, off offset:304
	s_mov_b32 s0, exec_lo
	s_wait_loadcnt 0x0
	ds_store_b64 v1, v[130:131]
	s_wait_storecnt_dscnt 0x0
	s_barrier_signal -1
	s_barrier_wait -1
	s_wait_xcnt 0x0
	v_cmpx_gt_u32_e32 38, v0
	s_cbranch_execz .LBB126_1000
; %bb.991:
	v_cmp_ne_u32_e32 vcc_lo, 1, v132
	s_cbranch_vccnz .LBB126_993
; %bb.992:
	scratch_load_b64 v[130:131], v59, off
	ds_load_b64 v[134:135], v1
	s_wait_loadcnt_dscnt 0x0
	v_pk_mul_f32 v[136:137], v[134:135], v[130:131] op_sel:[1,1] op_sel_hi:[0,1]
	s_delay_alu instid0(VALU_DEP_1) | instskip(SKIP_1) | instid1(VALU_DEP_2)
	v_pk_fma_f32 v[138:139], v[134:135], v[130:131], v[136:137] op_sel_hi:[1,0,1]
	v_pk_fma_f32 v[130:131], v[134:135], v[130:131], v[136:137] neg_lo:[0,0,1] neg_hi:[0,0,1]
	v_mov_b32_e32 v131, v139
	s_cbranch_execz .LBB126_994
	s_branch .LBB126_995
.LBB126_993:
                                        ; implicit-def: $vgpr130_vgpr131
.LBB126_994:
	ds_load_b64 v[130:131], v1
.LBB126_995:
	s_mov_b32 s4, exec_lo
	v_cmpx_ne_u32_e32 37, v0
	s_cbranch_execz .LBB126_999
; %bb.996:
	v_add_nc_u32_e32 v133, 0x208, v58
	v_add3_u32 v134, 0, v58, 8
	v_mov_b32_e32 v135, v0
	s_mov_b32 s5, 0
.LBB126_997:                            ; =>This Inner Loop Header: Depth=1
	scratch_load_b64 v[136:137], v134, off
	ds_load_b64 v[138:139], v133
	s_wait_xcnt 0x0
	v_dual_add_nc_u32 v133, 8, v133 :: v_dual_add_nc_u32 v134, 8, v134
	s_wait_loadcnt_dscnt 0x0
	v_pk_mul_f32 v[140:141], v[138:139], v[136:137] op_sel:[1,1] op_sel_hi:[0,1]
	s_delay_alu instid0(VALU_DEP_1) | instskip(SKIP_2) | instid1(VALU_DEP_3)
	v_pk_fma_f32 v[142:143], v[138:139], v[136:137], v[140:141] op_sel_hi:[1,0,1]
	v_add_nc_u32_e32 v135, 1, v135
	v_pk_fma_f32 v[136:137], v[138:139], v[136:137], v[140:141] neg_lo:[0,0,1] neg_hi:[0,0,1]
	v_mov_b32_e32 v137, v143
	s_delay_alu instid0(VALU_DEP_3) | instskip(NEXT) | instid1(VALU_DEP_2)
	v_cmp_lt_u32_e32 vcc_lo, 36, v135
	v_pk_add_f32 v[130:131], v[130:131], v[136:137]
	s_or_b32 s5, vcc_lo, s5
	s_delay_alu instid0(SALU_CYCLE_1)
	s_and_not1_b32 exec_lo, exec_lo, s5
	s_cbranch_execnz .LBB126_997
; %bb.998:
	s_or_b32 exec_lo, exec_lo, s5
.LBB126_999:
	s_delay_alu instid0(SALU_CYCLE_1) | instskip(SKIP_4) | instid1(VALU_DEP_1)
	s_or_b32 exec_lo, exec_lo, s4
	v_mov_b32_e32 v133, 0
	ds_load_b64 v[134:135], v133 offset:304
	s_wait_dscnt 0x0
	v_pk_mul_f32 v[136:137], v[130:131], v[134:135] op_sel:[1,1] op_sel_hi:[0,1]
	v_pk_fma_f32 v[138:139], v[130:131], v[134:135], v[136:137] op_sel_hi:[1,0,1]
	v_pk_fma_f32 v[130:131], v[130:131], v[134:135], v[136:137] neg_lo:[0,0,1] neg_hi:[0,0,1]
	s_delay_alu instid0(VALU_DEP_2)
	v_mov_b32_e32 v131, v139
	scratch_store_b64 off, v[130:131], off offset:304
.LBB126_1000:
	s_wait_xcnt 0x0
	s_or_b32 exec_lo, exec_lo, s0
	scratch_load_b64 v[130:131], off, off offset:312
	s_mov_b32 s0, exec_lo
	s_wait_loadcnt 0x0
	ds_store_b64 v1, v[130:131]
	s_wait_storecnt_dscnt 0x0
	s_barrier_signal -1
	s_barrier_wait -1
	s_wait_xcnt 0x0
	v_cmpx_gt_u32_e32 39, v0
	s_cbranch_execz .LBB126_1010
; %bb.1001:
	v_cmp_ne_u32_e32 vcc_lo, 1, v132
	s_cbranch_vccnz .LBB126_1003
; %bb.1002:
	scratch_load_b64 v[130:131], v59, off
	ds_load_b64 v[134:135], v1
	s_wait_loadcnt_dscnt 0x0
	v_pk_mul_f32 v[136:137], v[134:135], v[130:131] op_sel:[1,1] op_sel_hi:[0,1]
	s_delay_alu instid0(VALU_DEP_1) | instskip(SKIP_1) | instid1(VALU_DEP_2)
	v_pk_fma_f32 v[138:139], v[134:135], v[130:131], v[136:137] op_sel_hi:[1,0,1]
	v_pk_fma_f32 v[130:131], v[134:135], v[130:131], v[136:137] neg_lo:[0,0,1] neg_hi:[0,0,1]
	v_mov_b32_e32 v131, v139
	s_cbranch_execz .LBB126_1004
	s_branch .LBB126_1005
.LBB126_1003:
                                        ; implicit-def: $vgpr130_vgpr131
.LBB126_1004:
	ds_load_b64 v[130:131], v1
.LBB126_1005:
	s_mov_b32 s4, exec_lo
	v_cmpx_ne_u32_e32 38, v0
	s_cbranch_execz .LBB126_1009
; %bb.1006:
	v_add_nc_u32_e32 v133, 0x208, v58
	v_add3_u32 v134, 0, v58, 8
	v_mov_b32_e32 v135, v0
	s_mov_b32 s5, 0
.LBB126_1007:                           ; =>This Inner Loop Header: Depth=1
	scratch_load_b64 v[136:137], v134, off
	ds_load_b64 v[138:139], v133
	s_wait_xcnt 0x0
	v_dual_add_nc_u32 v133, 8, v133 :: v_dual_add_nc_u32 v134, 8, v134
	s_wait_loadcnt_dscnt 0x0
	v_pk_mul_f32 v[140:141], v[138:139], v[136:137] op_sel:[1,1] op_sel_hi:[0,1]
	s_delay_alu instid0(VALU_DEP_1) | instskip(SKIP_2) | instid1(VALU_DEP_3)
	v_pk_fma_f32 v[142:143], v[138:139], v[136:137], v[140:141] op_sel_hi:[1,0,1]
	v_add_nc_u32_e32 v135, 1, v135
	v_pk_fma_f32 v[136:137], v[138:139], v[136:137], v[140:141] neg_lo:[0,0,1] neg_hi:[0,0,1]
	v_mov_b32_e32 v137, v143
	s_delay_alu instid0(VALU_DEP_3) | instskip(NEXT) | instid1(VALU_DEP_2)
	v_cmp_lt_u32_e32 vcc_lo, 37, v135
	v_pk_add_f32 v[130:131], v[130:131], v[136:137]
	s_or_b32 s5, vcc_lo, s5
	s_delay_alu instid0(SALU_CYCLE_1)
	s_and_not1_b32 exec_lo, exec_lo, s5
	s_cbranch_execnz .LBB126_1007
; %bb.1008:
	s_or_b32 exec_lo, exec_lo, s5
.LBB126_1009:
	s_delay_alu instid0(SALU_CYCLE_1) | instskip(SKIP_4) | instid1(VALU_DEP_1)
	s_or_b32 exec_lo, exec_lo, s4
	v_mov_b32_e32 v133, 0
	ds_load_b64 v[134:135], v133 offset:312
	s_wait_dscnt 0x0
	v_pk_mul_f32 v[136:137], v[130:131], v[134:135] op_sel:[1,1] op_sel_hi:[0,1]
	v_pk_fma_f32 v[138:139], v[130:131], v[134:135], v[136:137] op_sel_hi:[1,0,1]
	v_pk_fma_f32 v[130:131], v[130:131], v[134:135], v[136:137] neg_lo:[0,0,1] neg_hi:[0,0,1]
	s_delay_alu instid0(VALU_DEP_2)
	v_mov_b32_e32 v131, v139
	scratch_store_b64 off, v[130:131], off offset:312
.LBB126_1010:
	s_wait_xcnt 0x0
	s_or_b32 exec_lo, exec_lo, s0
	scratch_load_b64 v[130:131], off, off offset:320
	s_mov_b32 s0, exec_lo
	s_wait_loadcnt 0x0
	ds_store_b64 v1, v[130:131]
	s_wait_storecnt_dscnt 0x0
	s_barrier_signal -1
	s_barrier_wait -1
	s_wait_xcnt 0x0
	v_cmpx_gt_u32_e32 40, v0
	s_cbranch_execz .LBB126_1020
; %bb.1011:
	v_cmp_ne_u32_e32 vcc_lo, 1, v132
	s_cbranch_vccnz .LBB126_1013
; %bb.1012:
	scratch_load_b64 v[130:131], v59, off
	ds_load_b64 v[134:135], v1
	s_wait_loadcnt_dscnt 0x0
	v_pk_mul_f32 v[136:137], v[134:135], v[130:131] op_sel:[1,1] op_sel_hi:[0,1]
	s_delay_alu instid0(VALU_DEP_1) | instskip(SKIP_1) | instid1(VALU_DEP_2)
	v_pk_fma_f32 v[138:139], v[134:135], v[130:131], v[136:137] op_sel_hi:[1,0,1]
	v_pk_fma_f32 v[130:131], v[134:135], v[130:131], v[136:137] neg_lo:[0,0,1] neg_hi:[0,0,1]
	v_mov_b32_e32 v131, v139
	s_cbranch_execz .LBB126_1014
	s_branch .LBB126_1015
.LBB126_1013:
                                        ; implicit-def: $vgpr130_vgpr131
.LBB126_1014:
	ds_load_b64 v[130:131], v1
.LBB126_1015:
	s_mov_b32 s4, exec_lo
	v_cmpx_ne_u32_e32 39, v0
	s_cbranch_execz .LBB126_1019
; %bb.1016:
	v_add_nc_u32_e32 v133, 0x208, v58
	v_add3_u32 v134, 0, v58, 8
	v_mov_b32_e32 v135, v0
	s_mov_b32 s5, 0
.LBB126_1017:                           ; =>This Inner Loop Header: Depth=1
	scratch_load_b64 v[136:137], v134, off
	ds_load_b64 v[138:139], v133
	s_wait_xcnt 0x0
	v_dual_add_nc_u32 v133, 8, v133 :: v_dual_add_nc_u32 v134, 8, v134
	s_wait_loadcnt_dscnt 0x0
	v_pk_mul_f32 v[140:141], v[138:139], v[136:137] op_sel:[1,1] op_sel_hi:[0,1]
	s_delay_alu instid0(VALU_DEP_1) | instskip(SKIP_2) | instid1(VALU_DEP_3)
	v_pk_fma_f32 v[142:143], v[138:139], v[136:137], v[140:141] op_sel_hi:[1,0,1]
	v_add_nc_u32_e32 v135, 1, v135
	v_pk_fma_f32 v[136:137], v[138:139], v[136:137], v[140:141] neg_lo:[0,0,1] neg_hi:[0,0,1]
	v_mov_b32_e32 v137, v143
	s_delay_alu instid0(VALU_DEP_3) | instskip(NEXT) | instid1(VALU_DEP_2)
	v_cmp_lt_u32_e32 vcc_lo, 38, v135
	v_pk_add_f32 v[130:131], v[130:131], v[136:137]
	s_or_b32 s5, vcc_lo, s5
	s_delay_alu instid0(SALU_CYCLE_1)
	s_and_not1_b32 exec_lo, exec_lo, s5
	s_cbranch_execnz .LBB126_1017
; %bb.1018:
	s_or_b32 exec_lo, exec_lo, s5
.LBB126_1019:
	s_delay_alu instid0(SALU_CYCLE_1) | instskip(SKIP_4) | instid1(VALU_DEP_1)
	s_or_b32 exec_lo, exec_lo, s4
	v_mov_b32_e32 v133, 0
	ds_load_b64 v[134:135], v133 offset:320
	s_wait_dscnt 0x0
	v_pk_mul_f32 v[136:137], v[130:131], v[134:135] op_sel:[1,1] op_sel_hi:[0,1]
	v_pk_fma_f32 v[138:139], v[130:131], v[134:135], v[136:137] op_sel_hi:[1,0,1]
	v_pk_fma_f32 v[130:131], v[130:131], v[134:135], v[136:137] neg_lo:[0,0,1] neg_hi:[0,0,1]
	s_delay_alu instid0(VALU_DEP_2)
	v_mov_b32_e32 v131, v139
	scratch_store_b64 off, v[130:131], off offset:320
.LBB126_1020:
	s_wait_xcnt 0x0
	s_or_b32 exec_lo, exec_lo, s0
	scratch_load_b64 v[130:131], off, off offset:328
	s_mov_b32 s0, exec_lo
	s_wait_loadcnt 0x0
	ds_store_b64 v1, v[130:131]
	s_wait_storecnt_dscnt 0x0
	s_barrier_signal -1
	s_barrier_wait -1
	s_wait_xcnt 0x0
	v_cmpx_gt_u32_e32 41, v0
	s_cbranch_execz .LBB126_1030
; %bb.1021:
	v_cmp_ne_u32_e32 vcc_lo, 1, v132
	s_cbranch_vccnz .LBB126_1023
; %bb.1022:
	scratch_load_b64 v[130:131], v59, off
	ds_load_b64 v[134:135], v1
	s_wait_loadcnt_dscnt 0x0
	v_pk_mul_f32 v[136:137], v[134:135], v[130:131] op_sel:[1,1] op_sel_hi:[0,1]
	s_delay_alu instid0(VALU_DEP_1) | instskip(SKIP_1) | instid1(VALU_DEP_2)
	v_pk_fma_f32 v[138:139], v[134:135], v[130:131], v[136:137] op_sel_hi:[1,0,1]
	v_pk_fma_f32 v[130:131], v[134:135], v[130:131], v[136:137] neg_lo:[0,0,1] neg_hi:[0,0,1]
	v_mov_b32_e32 v131, v139
	s_cbranch_execz .LBB126_1024
	s_branch .LBB126_1025
.LBB126_1023:
                                        ; implicit-def: $vgpr130_vgpr131
.LBB126_1024:
	ds_load_b64 v[130:131], v1
.LBB126_1025:
	s_mov_b32 s4, exec_lo
	v_cmpx_ne_u32_e32 40, v0
	s_cbranch_execz .LBB126_1029
; %bb.1026:
	v_add_nc_u32_e32 v133, 0x208, v58
	v_add3_u32 v134, 0, v58, 8
	v_mov_b32_e32 v135, v0
	s_mov_b32 s5, 0
.LBB126_1027:                           ; =>This Inner Loop Header: Depth=1
	scratch_load_b64 v[136:137], v134, off
	ds_load_b64 v[138:139], v133
	s_wait_xcnt 0x0
	v_dual_add_nc_u32 v133, 8, v133 :: v_dual_add_nc_u32 v134, 8, v134
	s_wait_loadcnt_dscnt 0x0
	v_pk_mul_f32 v[140:141], v[138:139], v[136:137] op_sel:[1,1] op_sel_hi:[0,1]
	s_delay_alu instid0(VALU_DEP_1) | instskip(SKIP_2) | instid1(VALU_DEP_3)
	v_pk_fma_f32 v[142:143], v[138:139], v[136:137], v[140:141] op_sel_hi:[1,0,1]
	v_add_nc_u32_e32 v135, 1, v135
	v_pk_fma_f32 v[136:137], v[138:139], v[136:137], v[140:141] neg_lo:[0,0,1] neg_hi:[0,0,1]
	v_mov_b32_e32 v137, v143
	s_delay_alu instid0(VALU_DEP_3) | instskip(NEXT) | instid1(VALU_DEP_2)
	v_cmp_lt_u32_e32 vcc_lo, 39, v135
	v_pk_add_f32 v[130:131], v[130:131], v[136:137]
	s_or_b32 s5, vcc_lo, s5
	s_delay_alu instid0(SALU_CYCLE_1)
	s_and_not1_b32 exec_lo, exec_lo, s5
	s_cbranch_execnz .LBB126_1027
; %bb.1028:
	s_or_b32 exec_lo, exec_lo, s5
.LBB126_1029:
	s_delay_alu instid0(SALU_CYCLE_1) | instskip(SKIP_4) | instid1(VALU_DEP_1)
	s_or_b32 exec_lo, exec_lo, s4
	v_mov_b32_e32 v133, 0
	ds_load_b64 v[134:135], v133 offset:328
	s_wait_dscnt 0x0
	v_pk_mul_f32 v[136:137], v[130:131], v[134:135] op_sel:[1,1] op_sel_hi:[0,1]
	v_pk_fma_f32 v[138:139], v[130:131], v[134:135], v[136:137] op_sel_hi:[1,0,1]
	v_pk_fma_f32 v[130:131], v[130:131], v[134:135], v[136:137] neg_lo:[0,0,1] neg_hi:[0,0,1]
	s_delay_alu instid0(VALU_DEP_2)
	v_mov_b32_e32 v131, v139
	scratch_store_b64 off, v[130:131], off offset:328
.LBB126_1030:
	s_wait_xcnt 0x0
	s_or_b32 exec_lo, exec_lo, s0
	scratch_load_b64 v[130:131], off, off offset:336
	s_mov_b32 s0, exec_lo
	s_wait_loadcnt 0x0
	ds_store_b64 v1, v[130:131]
	s_wait_storecnt_dscnt 0x0
	s_barrier_signal -1
	s_barrier_wait -1
	s_wait_xcnt 0x0
	v_cmpx_gt_u32_e32 42, v0
	s_cbranch_execz .LBB126_1040
; %bb.1031:
	v_cmp_ne_u32_e32 vcc_lo, 1, v132
	s_cbranch_vccnz .LBB126_1033
; %bb.1032:
	scratch_load_b64 v[130:131], v59, off
	ds_load_b64 v[134:135], v1
	s_wait_loadcnt_dscnt 0x0
	v_pk_mul_f32 v[136:137], v[134:135], v[130:131] op_sel:[1,1] op_sel_hi:[0,1]
	s_delay_alu instid0(VALU_DEP_1) | instskip(SKIP_1) | instid1(VALU_DEP_2)
	v_pk_fma_f32 v[138:139], v[134:135], v[130:131], v[136:137] op_sel_hi:[1,0,1]
	v_pk_fma_f32 v[130:131], v[134:135], v[130:131], v[136:137] neg_lo:[0,0,1] neg_hi:[0,0,1]
	v_mov_b32_e32 v131, v139
	s_cbranch_execz .LBB126_1034
	s_branch .LBB126_1035
.LBB126_1033:
                                        ; implicit-def: $vgpr130_vgpr131
.LBB126_1034:
	ds_load_b64 v[130:131], v1
.LBB126_1035:
	s_mov_b32 s4, exec_lo
	v_cmpx_ne_u32_e32 41, v0
	s_cbranch_execz .LBB126_1039
; %bb.1036:
	v_add_nc_u32_e32 v133, 0x208, v58
	v_add3_u32 v134, 0, v58, 8
	v_mov_b32_e32 v135, v0
	s_mov_b32 s5, 0
.LBB126_1037:                           ; =>This Inner Loop Header: Depth=1
	scratch_load_b64 v[136:137], v134, off
	ds_load_b64 v[138:139], v133
	s_wait_xcnt 0x0
	v_dual_add_nc_u32 v133, 8, v133 :: v_dual_add_nc_u32 v134, 8, v134
	s_wait_loadcnt_dscnt 0x0
	v_pk_mul_f32 v[140:141], v[138:139], v[136:137] op_sel:[1,1] op_sel_hi:[0,1]
	s_delay_alu instid0(VALU_DEP_1) | instskip(SKIP_2) | instid1(VALU_DEP_3)
	v_pk_fma_f32 v[142:143], v[138:139], v[136:137], v[140:141] op_sel_hi:[1,0,1]
	v_add_nc_u32_e32 v135, 1, v135
	v_pk_fma_f32 v[136:137], v[138:139], v[136:137], v[140:141] neg_lo:[0,0,1] neg_hi:[0,0,1]
	v_mov_b32_e32 v137, v143
	s_delay_alu instid0(VALU_DEP_3) | instskip(NEXT) | instid1(VALU_DEP_2)
	v_cmp_lt_u32_e32 vcc_lo, 40, v135
	v_pk_add_f32 v[130:131], v[130:131], v[136:137]
	s_or_b32 s5, vcc_lo, s5
	s_delay_alu instid0(SALU_CYCLE_1)
	s_and_not1_b32 exec_lo, exec_lo, s5
	s_cbranch_execnz .LBB126_1037
; %bb.1038:
	s_or_b32 exec_lo, exec_lo, s5
.LBB126_1039:
	s_delay_alu instid0(SALU_CYCLE_1) | instskip(SKIP_4) | instid1(VALU_DEP_1)
	s_or_b32 exec_lo, exec_lo, s4
	v_mov_b32_e32 v133, 0
	ds_load_b64 v[134:135], v133 offset:336
	s_wait_dscnt 0x0
	v_pk_mul_f32 v[136:137], v[130:131], v[134:135] op_sel:[1,1] op_sel_hi:[0,1]
	v_pk_fma_f32 v[138:139], v[130:131], v[134:135], v[136:137] op_sel_hi:[1,0,1]
	v_pk_fma_f32 v[130:131], v[130:131], v[134:135], v[136:137] neg_lo:[0,0,1] neg_hi:[0,0,1]
	s_delay_alu instid0(VALU_DEP_2)
	v_mov_b32_e32 v131, v139
	scratch_store_b64 off, v[130:131], off offset:336
.LBB126_1040:
	s_wait_xcnt 0x0
	s_or_b32 exec_lo, exec_lo, s0
	scratch_load_b64 v[130:131], off, off offset:344
	s_mov_b32 s0, exec_lo
	s_wait_loadcnt 0x0
	ds_store_b64 v1, v[130:131]
	s_wait_storecnt_dscnt 0x0
	s_barrier_signal -1
	s_barrier_wait -1
	s_wait_xcnt 0x0
	v_cmpx_gt_u32_e32 43, v0
	s_cbranch_execz .LBB126_1050
; %bb.1041:
	v_cmp_ne_u32_e32 vcc_lo, 1, v132
	s_cbranch_vccnz .LBB126_1043
; %bb.1042:
	scratch_load_b64 v[130:131], v59, off
	ds_load_b64 v[134:135], v1
	s_wait_loadcnt_dscnt 0x0
	v_pk_mul_f32 v[136:137], v[134:135], v[130:131] op_sel:[1,1] op_sel_hi:[0,1]
	s_delay_alu instid0(VALU_DEP_1) | instskip(SKIP_1) | instid1(VALU_DEP_2)
	v_pk_fma_f32 v[138:139], v[134:135], v[130:131], v[136:137] op_sel_hi:[1,0,1]
	v_pk_fma_f32 v[130:131], v[134:135], v[130:131], v[136:137] neg_lo:[0,0,1] neg_hi:[0,0,1]
	v_mov_b32_e32 v131, v139
	s_cbranch_execz .LBB126_1044
	s_branch .LBB126_1045
.LBB126_1043:
                                        ; implicit-def: $vgpr130_vgpr131
.LBB126_1044:
	ds_load_b64 v[130:131], v1
.LBB126_1045:
	s_mov_b32 s4, exec_lo
	v_cmpx_ne_u32_e32 42, v0
	s_cbranch_execz .LBB126_1049
; %bb.1046:
	v_add_nc_u32_e32 v133, 0x208, v58
	v_add3_u32 v134, 0, v58, 8
	v_mov_b32_e32 v135, v0
	s_mov_b32 s5, 0
.LBB126_1047:                           ; =>This Inner Loop Header: Depth=1
	scratch_load_b64 v[136:137], v134, off
	ds_load_b64 v[138:139], v133
	s_wait_xcnt 0x0
	v_dual_add_nc_u32 v133, 8, v133 :: v_dual_add_nc_u32 v134, 8, v134
	s_wait_loadcnt_dscnt 0x0
	v_pk_mul_f32 v[140:141], v[138:139], v[136:137] op_sel:[1,1] op_sel_hi:[0,1]
	s_delay_alu instid0(VALU_DEP_1) | instskip(SKIP_2) | instid1(VALU_DEP_3)
	v_pk_fma_f32 v[142:143], v[138:139], v[136:137], v[140:141] op_sel_hi:[1,0,1]
	v_add_nc_u32_e32 v135, 1, v135
	v_pk_fma_f32 v[136:137], v[138:139], v[136:137], v[140:141] neg_lo:[0,0,1] neg_hi:[0,0,1]
	v_mov_b32_e32 v137, v143
	s_delay_alu instid0(VALU_DEP_3) | instskip(NEXT) | instid1(VALU_DEP_2)
	v_cmp_lt_u32_e32 vcc_lo, 41, v135
	v_pk_add_f32 v[130:131], v[130:131], v[136:137]
	s_or_b32 s5, vcc_lo, s5
	s_delay_alu instid0(SALU_CYCLE_1)
	s_and_not1_b32 exec_lo, exec_lo, s5
	s_cbranch_execnz .LBB126_1047
; %bb.1048:
	s_or_b32 exec_lo, exec_lo, s5
.LBB126_1049:
	s_delay_alu instid0(SALU_CYCLE_1) | instskip(SKIP_4) | instid1(VALU_DEP_1)
	s_or_b32 exec_lo, exec_lo, s4
	v_mov_b32_e32 v133, 0
	ds_load_b64 v[134:135], v133 offset:344
	s_wait_dscnt 0x0
	v_pk_mul_f32 v[136:137], v[130:131], v[134:135] op_sel:[1,1] op_sel_hi:[0,1]
	v_pk_fma_f32 v[138:139], v[130:131], v[134:135], v[136:137] op_sel_hi:[1,0,1]
	v_pk_fma_f32 v[130:131], v[130:131], v[134:135], v[136:137] neg_lo:[0,0,1] neg_hi:[0,0,1]
	s_delay_alu instid0(VALU_DEP_2)
	v_mov_b32_e32 v131, v139
	scratch_store_b64 off, v[130:131], off offset:344
.LBB126_1050:
	s_wait_xcnt 0x0
	s_or_b32 exec_lo, exec_lo, s0
	scratch_load_b64 v[130:131], off, off offset:352
	s_mov_b32 s0, exec_lo
	s_wait_loadcnt 0x0
	ds_store_b64 v1, v[130:131]
	s_wait_storecnt_dscnt 0x0
	s_barrier_signal -1
	s_barrier_wait -1
	s_wait_xcnt 0x0
	v_cmpx_gt_u32_e32 44, v0
	s_cbranch_execz .LBB126_1060
; %bb.1051:
	v_cmp_ne_u32_e32 vcc_lo, 1, v132
	s_cbranch_vccnz .LBB126_1053
; %bb.1052:
	scratch_load_b64 v[130:131], v59, off
	ds_load_b64 v[134:135], v1
	s_wait_loadcnt_dscnt 0x0
	v_pk_mul_f32 v[136:137], v[134:135], v[130:131] op_sel:[1,1] op_sel_hi:[0,1]
	s_delay_alu instid0(VALU_DEP_1) | instskip(SKIP_1) | instid1(VALU_DEP_2)
	v_pk_fma_f32 v[138:139], v[134:135], v[130:131], v[136:137] op_sel_hi:[1,0,1]
	v_pk_fma_f32 v[130:131], v[134:135], v[130:131], v[136:137] neg_lo:[0,0,1] neg_hi:[0,0,1]
	v_mov_b32_e32 v131, v139
	s_cbranch_execz .LBB126_1054
	s_branch .LBB126_1055
.LBB126_1053:
                                        ; implicit-def: $vgpr130_vgpr131
.LBB126_1054:
	ds_load_b64 v[130:131], v1
.LBB126_1055:
	s_mov_b32 s4, exec_lo
	v_cmpx_ne_u32_e32 43, v0
	s_cbranch_execz .LBB126_1059
; %bb.1056:
	v_add_nc_u32_e32 v133, 0x208, v58
	v_add3_u32 v134, 0, v58, 8
	v_mov_b32_e32 v135, v0
	s_mov_b32 s5, 0
.LBB126_1057:                           ; =>This Inner Loop Header: Depth=1
	scratch_load_b64 v[136:137], v134, off
	ds_load_b64 v[138:139], v133
	s_wait_xcnt 0x0
	v_dual_add_nc_u32 v133, 8, v133 :: v_dual_add_nc_u32 v134, 8, v134
	s_wait_loadcnt_dscnt 0x0
	v_pk_mul_f32 v[140:141], v[138:139], v[136:137] op_sel:[1,1] op_sel_hi:[0,1]
	s_delay_alu instid0(VALU_DEP_1) | instskip(SKIP_2) | instid1(VALU_DEP_3)
	v_pk_fma_f32 v[142:143], v[138:139], v[136:137], v[140:141] op_sel_hi:[1,0,1]
	v_add_nc_u32_e32 v135, 1, v135
	v_pk_fma_f32 v[136:137], v[138:139], v[136:137], v[140:141] neg_lo:[0,0,1] neg_hi:[0,0,1]
	v_mov_b32_e32 v137, v143
	s_delay_alu instid0(VALU_DEP_3) | instskip(NEXT) | instid1(VALU_DEP_2)
	v_cmp_lt_u32_e32 vcc_lo, 42, v135
	v_pk_add_f32 v[130:131], v[130:131], v[136:137]
	s_or_b32 s5, vcc_lo, s5
	s_delay_alu instid0(SALU_CYCLE_1)
	s_and_not1_b32 exec_lo, exec_lo, s5
	s_cbranch_execnz .LBB126_1057
; %bb.1058:
	s_or_b32 exec_lo, exec_lo, s5
.LBB126_1059:
	s_delay_alu instid0(SALU_CYCLE_1) | instskip(SKIP_4) | instid1(VALU_DEP_1)
	s_or_b32 exec_lo, exec_lo, s4
	v_mov_b32_e32 v133, 0
	ds_load_b64 v[134:135], v133 offset:352
	s_wait_dscnt 0x0
	v_pk_mul_f32 v[136:137], v[130:131], v[134:135] op_sel:[1,1] op_sel_hi:[0,1]
	v_pk_fma_f32 v[138:139], v[130:131], v[134:135], v[136:137] op_sel_hi:[1,0,1]
	v_pk_fma_f32 v[130:131], v[130:131], v[134:135], v[136:137] neg_lo:[0,0,1] neg_hi:[0,0,1]
	s_delay_alu instid0(VALU_DEP_2)
	v_mov_b32_e32 v131, v139
	scratch_store_b64 off, v[130:131], off offset:352
.LBB126_1060:
	s_wait_xcnt 0x0
	s_or_b32 exec_lo, exec_lo, s0
	scratch_load_b64 v[130:131], off, off offset:360
	s_mov_b32 s0, exec_lo
	s_wait_loadcnt 0x0
	ds_store_b64 v1, v[130:131]
	s_wait_storecnt_dscnt 0x0
	s_barrier_signal -1
	s_barrier_wait -1
	s_wait_xcnt 0x0
	v_cmpx_gt_u32_e32 45, v0
	s_cbranch_execz .LBB126_1070
; %bb.1061:
	v_cmp_ne_u32_e32 vcc_lo, 1, v132
	s_cbranch_vccnz .LBB126_1063
; %bb.1062:
	scratch_load_b64 v[130:131], v59, off
	ds_load_b64 v[134:135], v1
	s_wait_loadcnt_dscnt 0x0
	v_pk_mul_f32 v[136:137], v[134:135], v[130:131] op_sel:[1,1] op_sel_hi:[0,1]
	s_delay_alu instid0(VALU_DEP_1) | instskip(SKIP_1) | instid1(VALU_DEP_2)
	v_pk_fma_f32 v[138:139], v[134:135], v[130:131], v[136:137] op_sel_hi:[1,0,1]
	v_pk_fma_f32 v[130:131], v[134:135], v[130:131], v[136:137] neg_lo:[0,0,1] neg_hi:[0,0,1]
	v_mov_b32_e32 v131, v139
	s_cbranch_execz .LBB126_1064
	s_branch .LBB126_1065
.LBB126_1063:
                                        ; implicit-def: $vgpr130_vgpr131
.LBB126_1064:
	ds_load_b64 v[130:131], v1
.LBB126_1065:
	s_mov_b32 s4, exec_lo
	v_cmpx_ne_u32_e32 44, v0
	s_cbranch_execz .LBB126_1069
; %bb.1066:
	v_add_nc_u32_e32 v133, 0x208, v58
	v_add3_u32 v134, 0, v58, 8
	v_mov_b32_e32 v135, v0
	s_mov_b32 s5, 0
.LBB126_1067:                           ; =>This Inner Loop Header: Depth=1
	scratch_load_b64 v[136:137], v134, off
	ds_load_b64 v[138:139], v133
	s_wait_xcnt 0x0
	v_dual_add_nc_u32 v133, 8, v133 :: v_dual_add_nc_u32 v134, 8, v134
	s_wait_loadcnt_dscnt 0x0
	v_pk_mul_f32 v[140:141], v[138:139], v[136:137] op_sel:[1,1] op_sel_hi:[0,1]
	s_delay_alu instid0(VALU_DEP_1) | instskip(SKIP_2) | instid1(VALU_DEP_3)
	v_pk_fma_f32 v[142:143], v[138:139], v[136:137], v[140:141] op_sel_hi:[1,0,1]
	v_add_nc_u32_e32 v135, 1, v135
	v_pk_fma_f32 v[136:137], v[138:139], v[136:137], v[140:141] neg_lo:[0,0,1] neg_hi:[0,0,1]
	v_mov_b32_e32 v137, v143
	s_delay_alu instid0(VALU_DEP_3) | instskip(NEXT) | instid1(VALU_DEP_2)
	v_cmp_lt_u32_e32 vcc_lo, 43, v135
	v_pk_add_f32 v[130:131], v[130:131], v[136:137]
	s_or_b32 s5, vcc_lo, s5
	s_delay_alu instid0(SALU_CYCLE_1)
	s_and_not1_b32 exec_lo, exec_lo, s5
	s_cbranch_execnz .LBB126_1067
; %bb.1068:
	s_or_b32 exec_lo, exec_lo, s5
.LBB126_1069:
	s_delay_alu instid0(SALU_CYCLE_1) | instskip(SKIP_4) | instid1(VALU_DEP_1)
	s_or_b32 exec_lo, exec_lo, s4
	v_mov_b32_e32 v133, 0
	ds_load_b64 v[134:135], v133 offset:360
	s_wait_dscnt 0x0
	v_pk_mul_f32 v[136:137], v[130:131], v[134:135] op_sel:[1,1] op_sel_hi:[0,1]
	v_pk_fma_f32 v[138:139], v[130:131], v[134:135], v[136:137] op_sel_hi:[1,0,1]
	v_pk_fma_f32 v[130:131], v[130:131], v[134:135], v[136:137] neg_lo:[0,0,1] neg_hi:[0,0,1]
	s_delay_alu instid0(VALU_DEP_2)
	v_mov_b32_e32 v131, v139
	scratch_store_b64 off, v[130:131], off offset:360
.LBB126_1070:
	s_wait_xcnt 0x0
	s_or_b32 exec_lo, exec_lo, s0
	scratch_load_b64 v[130:131], off, off offset:368
	s_mov_b32 s0, exec_lo
	s_wait_loadcnt 0x0
	ds_store_b64 v1, v[130:131]
	s_wait_storecnt_dscnt 0x0
	s_barrier_signal -1
	s_barrier_wait -1
	s_wait_xcnt 0x0
	v_cmpx_gt_u32_e32 46, v0
	s_cbranch_execz .LBB126_1080
; %bb.1071:
	v_cmp_ne_u32_e32 vcc_lo, 1, v132
	s_cbranch_vccnz .LBB126_1073
; %bb.1072:
	scratch_load_b64 v[130:131], v59, off
	ds_load_b64 v[134:135], v1
	s_wait_loadcnt_dscnt 0x0
	v_pk_mul_f32 v[136:137], v[134:135], v[130:131] op_sel:[1,1] op_sel_hi:[0,1]
	s_delay_alu instid0(VALU_DEP_1) | instskip(SKIP_1) | instid1(VALU_DEP_2)
	v_pk_fma_f32 v[138:139], v[134:135], v[130:131], v[136:137] op_sel_hi:[1,0,1]
	v_pk_fma_f32 v[130:131], v[134:135], v[130:131], v[136:137] neg_lo:[0,0,1] neg_hi:[0,0,1]
	v_mov_b32_e32 v131, v139
	s_cbranch_execz .LBB126_1074
	s_branch .LBB126_1075
.LBB126_1073:
                                        ; implicit-def: $vgpr130_vgpr131
.LBB126_1074:
	ds_load_b64 v[130:131], v1
.LBB126_1075:
	s_mov_b32 s4, exec_lo
	v_cmpx_ne_u32_e32 45, v0
	s_cbranch_execz .LBB126_1079
; %bb.1076:
	v_add_nc_u32_e32 v133, 0x208, v58
	v_add3_u32 v134, 0, v58, 8
	v_mov_b32_e32 v135, v0
	s_mov_b32 s5, 0
.LBB126_1077:                           ; =>This Inner Loop Header: Depth=1
	scratch_load_b64 v[136:137], v134, off
	ds_load_b64 v[138:139], v133
	s_wait_xcnt 0x0
	v_dual_add_nc_u32 v133, 8, v133 :: v_dual_add_nc_u32 v134, 8, v134
	s_wait_loadcnt_dscnt 0x0
	v_pk_mul_f32 v[140:141], v[138:139], v[136:137] op_sel:[1,1] op_sel_hi:[0,1]
	s_delay_alu instid0(VALU_DEP_1) | instskip(SKIP_2) | instid1(VALU_DEP_3)
	v_pk_fma_f32 v[142:143], v[138:139], v[136:137], v[140:141] op_sel_hi:[1,0,1]
	v_add_nc_u32_e32 v135, 1, v135
	v_pk_fma_f32 v[136:137], v[138:139], v[136:137], v[140:141] neg_lo:[0,0,1] neg_hi:[0,0,1]
	v_mov_b32_e32 v137, v143
	s_delay_alu instid0(VALU_DEP_3) | instskip(NEXT) | instid1(VALU_DEP_2)
	v_cmp_lt_u32_e32 vcc_lo, 44, v135
	v_pk_add_f32 v[130:131], v[130:131], v[136:137]
	s_or_b32 s5, vcc_lo, s5
	s_delay_alu instid0(SALU_CYCLE_1)
	s_and_not1_b32 exec_lo, exec_lo, s5
	s_cbranch_execnz .LBB126_1077
; %bb.1078:
	s_or_b32 exec_lo, exec_lo, s5
.LBB126_1079:
	s_delay_alu instid0(SALU_CYCLE_1) | instskip(SKIP_4) | instid1(VALU_DEP_1)
	s_or_b32 exec_lo, exec_lo, s4
	v_mov_b32_e32 v133, 0
	ds_load_b64 v[134:135], v133 offset:368
	s_wait_dscnt 0x0
	v_pk_mul_f32 v[136:137], v[130:131], v[134:135] op_sel:[1,1] op_sel_hi:[0,1]
	v_pk_fma_f32 v[138:139], v[130:131], v[134:135], v[136:137] op_sel_hi:[1,0,1]
	v_pk_fma_f32 v[130:131], v[130:131], v[134:135], v[136:137] neg_lo:[0,0,1] neg_hi:[0,0,1]
	s_delay_alu instid0(VALU_DEP_2)
	v_mov_b32_e32 v131, v139
	scratch_store_b64 off, v[130:131], off offset:368
.LBB126_1080:
	s_wait_xcnt 0x0
	s_or_b32 exec_lo, exec_lo, s0
	scratch_load_b64 v[130:131], off, off offset:376
	s_mov_b32 s0, exec_lo
	s_wait_loadcnt 0x0
	ds_store_b64 v1, v[130:131]
	s_wait_storecnt_dscnt 0x0
	s_barrier_signal -1
	s_barrier_wait -1
	s_wait_xcnt 0x0
	v_cmpx_gt_u32_e32 47, v0
	s_cbranch_execz .LBB126_1090
; %bb.1081:
	v_cmp_ne_u32_e32 vcc_lo, 1, v132
	s_cbranch_vccnz .LBB126_1083
; %bb.1082:
	scratch_load_b64 v[130:131], v59, off
	ds_load_b64 v[134:135], v1
	s_wait_loadcnt_dscnt 0x0
	v_pk_mul_f32 v[136:137], v[134:135], v[130:131] op_sel:[1,1] op_sel_hi:[0,1]
	s_delay_alu instid0(VALU_DEP_1) | instskip(SKIP_1) | instid1(VALU_DEP_2)
	v_pk_fma_f32 v[138:139], v[134:135], v[130:131], v[136:137] op_sel_hi:[1,0,1]
	v_pk_fma_f32 v[130:131], v[134:135], v[130:131], v[136:137] neg_lo:[0,0,1] neg_hi:[0,0,1]
	v_mov_b32_e32 v131, v139
	s_cbranch_execz .LBB126_1084
	s_branch .LBB126_1085
.LBB126_1083:
                                        ; implicit-def: $vgpr130_vgpr131
.LBB126_1084:
	ds_load_b64 v[130:131], v1
.LBB126_1085:
	s_mov_b32 s4, exec_lo
	v_cmpx_ne_u32_e32 46, v0
	s_cbranch_execz .LBB126_1089
; %bb.1086:
	v_add_nc_u32_e32 v133, 0x208, v58
	v_add3_u32 v134, 0, v58, 8
	v_mov_b32_e32 v135, v0
	s_mov_b32 s5, 0
.LBB126_1087:                           ; =>This Inner Loop Header: Depth=1
	scratch_load_b64 v[136:137], v134, off
	ds_load_b64 v[138:139], v133
	s_wait_xcnt 0x0
	v_dual_add_nc_u32 v133, 8, v133 :: v_dual_add_nc_u32 v134, 8, v134
	s_wait_loadcnt_dscnt 0x0
	v_pk_mul_f32 v[140:141], v[138:139], v[136:137] op_sel:[1,1] op_sel_hi:[0,1]
	s_delay_alu instid0(VALU_DEP_1) | instskip(SKIP_2) | instid1(VALU_DEP_3)
	v_pk_fma_f32 v[142:143], v[138:139], v[136:137], v[140:141] op_sel_hi:[1,0,1]
	v_add_nc_u32_e32 v135, 1, v135
	v_pk_fma_f32 v[136:137], v[138:139], v[136:137], v[140:141] neg_lo:[0,0,1] neg_hi:[0,0,1]
	v_mov_b32_e32 v137, v143
	s_delay_alu instid0(VALU_DEP_3) | instskip(NEXT) | instid1(VALU_DEP_2)
	v_cmp_lt_u32_e32 vcc_lo, 45, v135
	v_pk_add_f32 v[130:131], v[130:131], v[136:137]
	s_or_b32 s5, vcc_lo, s5
	s_delay_alu instid0(SALU_CYCLE_1)
	s_and_not1_b32 exec_lo, exec_lo, s5
	s_cbranch_execnz .LBB126_1087
; %bb.1088:
	s_or_b32 exec_lo, exec_lo, s5
.LBB126_1089:
	s_delay_alu instid0(SALU_CYCLE_1) | instskip(SKIP_4) | instid1(VALU_DEP_1)
	s_or_b32 exec_lo, exec_lo, s4
	v_mov_b32_e32 v133, 0
	ds_load_b64 v[134:135], v133 offset:376
	s_wait_dscnt 0x0
	v_pk_mul_f32 v[136:137], v[130:131], v[134:135] op_sel:[1,1] op_sel_hi:[0,1]
	v_pk_fma_f32 v[138:139], v[130:131], v[134:135], v[136:137] op_sel_hi:[1,0,1]
	v_pk_fma_f32 v[130:131], v[130:131], v[134:135], v[136:137] neg_lo:[0,0,1] neg_hi:[0,0,1]
	s_delay_alu instid0(VALU_DEP_2)
	v_mov_b32_e32 v131, v139
	scratch_store_b64 off, v[130:131], off offset:376
.LBB126_1090:
	s_wait_xcnt 0x0
	s_or_b32 exec_lo, exec_lo, s0
	scratch_load_b64 v[130:131], off, off offset:384
	s_mov_b32 s0, exec_lo
	s_wait_loadcnt 0x0
	ds_store_b64 v1, v[130:131]
	s_wait_storecnt_dscnt 0x0
	s_barrier_signal -1
	s_barrier_wait -1
	s_wait_xcnt 0x0
	v_cmpx_gt_u32_e32 48, v0
	s_cbranch_execz .LBB126_1100
; %bb.1091:
	v_cmp_ne_u32_e32 vcc_lo, 1, v132
	s_cbranch_vccnz .LBB126_1093
; %bb.1092:
	scratch_load_b64 v[130:131], v59, off
	ds_load_b64 v[134:135], v1
	s_wait_loadcnt_dscnt 0x0
	v_pk_mul_f32 v[136:137], v[134:135], v[130:131] op_sel:[1,1] op_sel_hi:[0,1]
	s_delay_alu instid0(VALU_DEP_1) | instskip(SKIP_1) | instid1(VALU_DEP_2)
	v_pk_fma_f32 v[138:139], v[134:135], v[130:131], v[136:137] op_sel_hi:[1,0,1]
	v_pk_fma_f32 v[130:131], v[134:135], v[130:131], v[136:137] neg_lo:[0,0,1] neg_hi:[0,0,1]
	v_mov_b32_e32 v131, v139
	s_cbranch_execz .LBB126_1094
	s_branch .LBB126_1095
.LBB126_1093:
                                        ; implicit-def: $vgpr130_vgpr131
.LBB126_1094:
	ds_load_b64 v[130:131], v1
.LBB126_1095:
	s_mov_b32 s4, exec_lo
	v_cmpx_ne_u32_e32 47, v0
	s_cbranch_execz .LBB126_1099
; %bb.1096:
	v_add_nc_u32_e32 v133, 0x208, v58
	v_add3_u32 v134, 0, v58, 8
	v_mov_b32_e32 v135, v0
	s_mov_b32 s5, 0
.LBB126_1097:                           ; =>This Inner Loop Header: Depth=1
	scratch_load_b64 v[136:137], v134, off
	ds_load_b64 v[138:139], v133
	s_wait_xcnt 0x0
	v_dual_add_nc_u32 v133, 8, v133 :: v_dual_add_nc_u32 v134, 8, v134
	s_wait_loadcnt_dscnt 0x0
	v_pk_mul_f32 v[140:141], v[138:139], v[136:137] op_sel:[1,1] op_sel_hi:[0,1]
	s_delay_alu instid0(VALU_DEP_1) | instskip(SKIP_2) | instid1(VALU_DEP_3)
	v_pk_fma_f32 v[142:143], v[138:139], v[136:137], v[140:141] op_sel_hi:[1,0,1]
	v_add_nc_u32_e32 v135, 1, v135
	v_pk_fma_f32 v[136:137], v[138:139], v[136:137], v[140:141] neg_lo:[0,0,1] neg_hi:[0,0,1]
	v_mov_b32_e32 v137, v143
	s_delay_alu instid0(VALU_DEP_3) | instskip(NEXT) | instid1(VALU_DEP_2)
	v_cmp_lt_u32_e32 vcc_lo, 46, v135
	v_pk_add_f32 v[130:131], v[130:131], v[136:137]
	s_or_b32 s5, vcc_lo, s5
	s_delay_alu instid0(SALU_CYCLE_1)
	s_and_not1_b32 exec_lo, exec_lo, s5
	s_cbranch_execnz .LBB126_1097
; %bb.1098:
	s_or_b32 exec_lo, exec_lo, s5
.LBB126_1099:
	s_delay_alu instid0(SALU_CYCLE_1) | instskip(SKIP_4) | instid1(VALU_DEP_1)
	s_or_b32 exec_lo, exec_lo, s4
	v_mov_b32_e32 v133, 0
	ds_load_b64 v[134:135], v133 offset:384
	s_wait_dscnt 0x0
	v_pk_mul_f32 v[136:137], v[130:131], v[134:135] op_sel:[1,1] op_sel_hi:[0,1]
	v_pk_fma_f32 v[138:139], v[130:131], v[134:135], v[136:137] op_sel_hi:[1,0,1]
	v_pk_fma_f32 v[130:131], v[130:131], v[134:135], v[136:137] neg_lo:[0,0,1] neg_hi:[0,0,1]
	s_delay_alu instid0(VALU_DEP_2)
	v_mov_b32_e32 v131, v139
	scratch_store_b64 off, v[130:131], off offset:384
.LBB126_1100:
	s_wait_xcnt 0x0
	s_or_b32 exec_lo, exec_lo, s0
	scratch_load_b64 v[130:131], off, off offset:392
	s_mov_b32 s0, exec_lo
	s_wait_loadcnt 0x0
	ds_store_b64 v1, v[130:131]
	s_wait_storecnt_dscnt 0x0
	s_barrier_signal -1
	s_barrier_wait -1
	s_wait_xcnt 0x0
	v_cmpx_gt_u32_e32 49, v0
	s_cbranch_execz .LBB126_1110
; %bb.1101:
	v_cmp_ne_u32_e32 vcc_lo, 1, v132
	s_cbranch_vccnz .LBB126_1103
; %bb.1102:
	scratch_load_b64 v[130:131], v59, off
	ds_load_b64 v[134:135], v1
	s_wait_loadcnt_dscnt 0x0
	v_pk_mul_f32 v[136:137], v[134:135], v[130:131] op_sel:[1,1] op_sel_hi:[0,1]
	s_delay_alu instid0(VALU_DEP_1) | instskip(SKIP_1) | instid1(VALU_DEP_2)
	v_pk_fma_f32 v[138:139], v[134:135], v[130:131], v[136:137] op_sel_hi:[1,0,1]
	v_pk_fma_f32 v[130:131], v[134:135], v[130:131], v[136:137] neg_lo:[0,0,1] neg_hi:[0,0,1]
	v_mov_b32_e32 v131, v139
	s_cbranch_execz .LBB126_1104
	s_branch .LBB126_1105
.LBB126_1103:
                                        ; implicit-def: $vgpr130_vgpr131
.LBB126_1104:
	ds_load_b64 v[130:131], v1
.LBB126_1105:
	s_mov_b32 s4, exec_lo
	v_cmpx_ne_u32_e32 48, v0
	s_cbranch_execz .LBB126_1109
; %bb.1106:
	v_add_nc_u32_e32 v133, 0x208, v58
	v_add3_u32 v134, 0, v58, 8
	v_mov_b32_e32 v135, v0
	s_mov_b32 s5, 0
.LBB126_1107:                           ; =>This Inner Loop Header: Depth=1
	scratch_load_b64 v[136:137], v134, off
	ds_load_b64 v[138:139], v133
	s_wait_xcnt 0x0
	v_dual_add_nc_u32 v133, 8, v133 :: v_dual_add_nc_u32 v134, 8, v134
	s_wait_loadcnt_dscnt 0x0
	v_pk_mul_f32 v[140:141], v[138:139], v[136:137] op_sel:[1,1] op_sel_hi:[0,1]
	s_delay_alu instid0(VALU_DEP_1) | instskip(SKIP_2) | instid1(VALU_DEP_3)
	v_pk_fma_f32 v[142:143], v[138:139], v[136:137], v[140:141] op_sel_hi:[1,0,1]
	v_add_nc_u32_e32 v135, 1, v135
	v_pk_fma_f32 v[136:137], v[138:139], v[136:137], v[140:141] neg_lo:[0,0,1] neg_hi:[0,0,1]
	v_mov_b32_e32 v137, v143
	s_delay_alu instid0(VALU_DEP_3) | instskip(NEXT) | instid1(VALU_DEP_2)
	v_cmp_lt_u32_e32 vcc_lo, 47, v135
	v_pk_add_f32 v[130:131], v[130:131], v[136:137]
	s_or_b32 s5, vcc_lo, s5
	s_delay_alu instid0(SALU_CYCLE_1)
	s_and_not1_b32 exec_lo, exec_lo, s5
	s_cbranch_execnz .LBB126_1107
; %bb.1108:
	s_or_b32 exec_lo, exec_lo, s5
.LBB126_1109:
	s_delay_alu instid0(SALU_CYCLE_1) | instskip(SKIP_4) | instid1(VALU_DEP_1)
	s_or_b32 exec_lo, exec_lo, s4
	v_mov_b32_e32 v133, 0
	ds_load_b64 v[134:135], v133 offset:392
	s_wait_dscnt 0x0
	v_pk_mul_f32 v[136:137], v[130:131], v[134:135] op_sel:[1,1] op_sel_hi:[0,1]
	v_pk_fma_f32 v[138:139], v[130:131], v[134:135], v[136:137] op_sel_hi:[1,0,1]
	v_pk_fma_f32 v[130:131], v[130:131], v[134:135], v[136:137] neg_lo:[0,0,1] neg_hi:[0,0,1]
	s_delay_alu instid0(VALU_DEP_2)
	v_mov_b32_e32 v131, v139
	scratch_store_b64 off, v[130:131], off offset:392
.LBB126_1110:
	s_wait_xcnt 0x0
	s_or_b32 exec_lo, exec_lo, s0
	scratch_load_b64 v[130:131], off, off offset:400
	s_mov_b32 s0, exec_lo
	s_wait_loadcnt 0x0
	ds_store_b64 v1, v[130:131]
	s_wait_storecnt_dscnt 0x0
	s_barrier_signal -1
	s_barrier_wait -1
	s_wait_xcnt 0x0
	v_cmpx_gt_u32_e32 50, v0
	s_cbranch_execz .LBB126_1120
; %bb.1111:
	v_cmp_ne_u32_e32 vcc_lo, 1, v132
	s_cbranch_vccnz .LBB126_1113
; %bb.1112:
	scratch_load_b64 v[130:131], v59, off
	ds_load_b64 v[134:135], v1
	s_wait_loadcnt_dscnt 0x0
	v_pk_mul_f32 v[136:137], v[134:135], v[130:131] op_sel:[1,1] op_sel_hi:[0,1]
	s_delay_alu instid0(VALU_DEP_1) | instskip(SKIP_1) | instid1(VALU_DEP_2)
	v_pk_fma_f32 v[138:139], v[134:135], v[130:131], v[136:137] op_sel_hi:[1,0,1]
	v_pk_fma_f32 v[130:131], v[134:135], v[130:131], v[136:137] neg_lo:[0,0,1] neg_hi:[0,0,1]
	v_mov_b32_e32 v131, v139
	s_cbranch_execz .LBB126_1114
	s_branch .LBB126_1115
.LBB126_1113:
                                        ; implicit-def: $vgpr130_vgpr131
.LBB126_1114:
	ds_load_b64 v[130:131], v1
.LBB126_1115:
	s_mov_b32 s4, exec_lo
	v_cmpx_ne_u32_e32 49, v0
	s_cbranch_execz .LBB126_1119
; %bb.1116:
	v_add_nc_u32_e32 v133, 0x208, v58
	v_add3_u32 v134, 0, v58, 8
	v_mov_b32_e32 v135, v0
	s_mov_b32 s5, 0
.LBB126_1117:                           ; =>This Inner Loop Header: Depth=1
	scratch_load_b64 v[136:137], v134, off
	ds_load_b64 v[138:139], v133
	s_wait_xcnt 0x0
	v_dual_add_nc_u32 v133, 8, v133 :: v_dual_add_nc_u32 v134, 8, v134
	s_wait_loadcnt_dscnt 0x0
	v_pk_mul_f32 v[140:141], v[138:139], v[136:137] op_sel:[1,1] op_sel_hi:[0,1]
	s_delay_alu instid0(VALU_DEP_1) | instskip(SKIP_2) | instid1(VALU_DEP_3)
	v_pk_fma_f32 v[142:143], v[138:139], v[136:137], v[140:141] op_sel_hi:[1,0,1]
	v_add_nc_u32_e32 v135, 1, v135
	v_pk_fma_f32 v[136:137], v[138:139], v[136:137], v[140:141] neg_lo:[0,0,1] neg_hi:[0,0,1]
	v_mov_b32_e32 v137, v143
	s_delay_alu instid0(VALU_DEP_3) | instskip(NEXT) | instid1(VALU_DEP_2)
	v_cmp_lt_u32_e32 vcc_lo, 48, v135
	v_pk_add_f32 v[130:131], v[130:131], v[136:137]
	s_or_b32 s5, vcc_lo, s5
	s_delay_alu instid0(SALU_CYCLE_1)
	s_and_not1_b32 exec_lo, exec_lo, s5
	s_cbranch_execnz .LBB126_1117
; %bb.1118:
	s_or_b32 exec_lo, exec_lo, s5
.LBB126_1119:
	s_delay_alu instid0(SALU_CYCLE_1) | instskip(SKIP_4) | instid1(VALU_DEP_1)
	s_or_b32 exec_lo, exec_lo, s4
	v_mov_b32_e32 v133, 0
	ds_load_b64 v[134:135], v133 offset:400
	s_wait_dscnt 0x0
	v_pk_mul_f32 v[136:137], v[130:131], v[134:135] op_sel:[1,1] op_sel_hi:[0,1]
	v_pk_fma_f32 v[138:139], v[130:131], v[134:135], v[136:137] op_sel_hi:[1,0,1]
	v_pk_fma_f32 v[130:131], v[130:131], v[134:135], v[136:137] neg_lo:[0,0,1] neg_hi:[0,0,1]
	s_delay_alu instid0(VALU_DEP_2)
	v_mov_b32_e32 v131, v139
	scratch_store_b64 off, v[130:131], off offset:400
.LBB126_1120:
	s_wait_xcnt 0x0
	s_or_b32 exec_lo, exec_lo, s0
	scratch_load_b64 v[130:131], off, off offset:408
	s_mov_b32 s0, exec_lo
	s_wait_loadcnt 0x0
	ds_store_b64 v1, v[130:131]
	s_wait_storecnt_dscnt 0x0
	s_barrier_signal -1
	s_barrier_wait -1
	s_wait_xcnt 0x0
	v_cmpx_gt_u32_e32 51, v0
	s_cbranch_execz .LBB126_1130
; %bb.1121:
	v_cmp_ne_u32_e32 vcc_lo, 1, v132
	s_cbranch_vccnz .LBB126_1123
; %bb.1122:
	scratch_load_b64 v[130:131], v59, off
	ds_load_b64 v[134:135], v1
	s_wait_loadcnt_dscnt 0x0
	v_pk_mul_f32 v[136:137], v[134:135], v[130:131] op_sel:[1,1] op_sel_hi:[0,1]
	s_delay_alu instid0(VALU_DEP_1) | instskip(SKIP_1) | instid1(VALU_DEP_2)
	v_pk_fma_f32 v[138:139], v[134:135], v[130:131], v[136:137] op_sel_hi:[1,0,1]
	v_pk_fma_f32 v[130:131], v[134:135], v[130:131], v[136:137] neg_lo:[0,0,1] neg_hi:[0,0,1]
	v_mov_b32_e32 v131, v139
	s_cbranch_execz .LBB126_1124
	s_branch .LBB126_1125
.LBB126_1123:
                                        ; implicit-def: $vgpr130_vgpr131
.LBB126_1124:
	ds_load_b64 v[130:131], v1
.LBB126_1125:
	s_mov_b32 s4, exec_lo
	v_cmpx_ne_u32_e32 50, v0
	s_cbranch_execz .LBB126_1129
; %bb.1126:
	v_add_nc_u32_e32 v133, 0x208, v58
	v_add3_u32 v134, 0, v58, 8
	v_mov_b32_e32 v135, v0
	s_mov_b32 s5, 0
.LBB126_1127:                           ; =>This Inner Loop Header: Depth=1
	scratch_load_b64 v[136:137], v134, off
	ds_load_b64 v[138:139], v133
	s_wait_xcnt 0x0
	v_dual_add_nc_u32 v133, 8, v133 :: v_dual_add_nc_u32 v134, 8, v134
	s_wait_loadcnt_dscnt 0x0
	v_pk_mul_f32 v[140:141], v[138:139], v[136:137] op_sel:[1,1] op_sel_hi:[0,1]
	s_delay_alu instid0(VALU_DEP_1) | instskip(SKIP_2) | instid1(VALU_DEP_3)
	v_pk_fma_f32 v[142:143], v[138:139], v[136:137], v[140:141] op_sel_hi:[1,0,1]
	v_add_nc_u32_e32 v135, 1, v135
	v_pk_fma_f32 v[136:137], v[138:139], v[136:137], v[140:141] neg_lo:[0,0,1] neg_hi:[0,0,1]
	v_mov_b32_e32 v137, v143
	s_delay_alu instid0(VALU_DEP_3) | instskip(NEXT) | instid1(VALU_DEP_2)
	v_cmp_lt_u32_e32 vcc_lo, 49, v135
	v_pk_add_f32 v[130:131], v[130:131], v[136:137]
	s_or_b32 s5, vcc_lo, s5
	s_delay_alu instid0(SALU_CYCLE_1)
	s_and_not1_b32 exec_lo, exec_lo, s5
	s_cbranch_execnz .LBB126_1127
; %bb.1128:
	s_or_b32 exec_lo, exec_lo, s5
.LBB126_1129:
	s_delay_alu instid0(SALU_CYCLE_1) | instskip(SKIP_4) | instid1(VALU_DEP_1)
	s_or_b32 exec_lo, exec_lo, s4
	v_mov_b32_e32 v133, 0
	ds_load_b64 v[134:135], v133 offset:408
	s_wait_dscnt 0x0
	v_pk_mul_f32 v[136:137], v[130:131], v[134:135] op_sel:[1,1] op_sel_hi:[0,1]
	v_pk_fma_f32 v[138:139], v[130:131], v[134:135], v[136:137] op_sel_hi:[1,0,1]
	v_pk_fma_f32 v[130:131], v[130:131], v[134:135], v[136:137] neg_lo:[0,0,1] neg_hi:[0,0,1]
	s_delay_alu instid0(VALU_DEP_2)
	v_mov_b32_e32 v131, v139
	scratch_store_b64 off, v[130:131], off offset:408
.LBB126_1130:
	s_wait_xcnt 0x0
	s_or_b32 exec_lo, exec_lo, s0
	scratch_load_b64 v[130:131], off, off offset:416
	s_mov_b32 s0, exec_lo
	s_wait_loadcnt 0x0
	ds_store_b64 v1, v[130:131]
	s_wait_storecnt_dscnt 0x0
	s_barrier_signal -1
	s_barrier_wait -1
	s_wait_xcnt 0x0
	v_cmpx_gt_u32_e32 52, v0
	s_cbranch_execz .LBB126_1140
; %bb.1131:
	v_cmp_ne_u32_e32 vcc_lo, 1, v132
	s_cbranch_vccnz .LBB126_1133
; %bb.1132:
	scratch_load_b64 v[130:131], v59, off
	ds_load_b64 v[134:135], v1
	s_wait_loadcnt_dscnt 0x0
	v_pk_mul_f32 v[136:137], v[134:135], v[130:131] op_sel:[1,1] op_sel_hi:[0,1]
	s_delay_alu instid0(VALU_DEP_1) | instskip(SKIP_1) | instid1(VALU_DEP_2)
	v_pk_fma_f32 v[138:139], v[134:135], v[130:131], v[136:137] op_sel_hi:[1,0,1]
	v_pk_fma_f32 v[130:131], v[134:135], v[130:131], v[136:137] neg_lo:[0,0,1] neg_hi:[0,0,1]
	v_mov_b32_e32 v131, v139
	s_cbranch_execz .LBB126_1134
	s_branch .LBB126_1135
.LBB126_1133:
                                        ; implicit-def: $vgpr130_vgpr131
.LBB126_1134:
	ds_load_b64 v[130:131], v1
.LBB126_1135:
	s_mov_b32 s4, exec_lo
	v_cmpx_ne_u32_e32 51, v0
	s_cbranch_execz .LBB126_1139
; %bb.1136:
	v_add_nc_u32_e32 v133, 0x208, v58
	v_add3_u32 v134, 0, v58, 8
	v_mov_b32_e32 v135, v0
	s_mov_b32 s5, 0
.LBB126_1137:                           ; =>This Inner Loop Header: Depth=1
	scratch_load_b64 v[136:137], v134, off
	ds_load_b64 v[138:139], v133
	s_wait_xcnt 0x0
	v_dual_add_nc_u32 v133, 8, v133 :: v_dual_add_nc_u32 v134, 8, v134
	s_wait_loadcnt_dscnt 0x0
	v_pk_mul_f32 v[140:141], v[138:139], v[136:137] op_sel:[1,1] op_sel_hi:[0,1]
	s_delay_alu instid0(VALU_DEP_1) | instskip(SKIP_2) | instid1(VALU_DEP_3)
	v_pk_fma_f32 v[142:143], v[138:139], v[136:137], v[140:141] op_sel_hi:[1,0,1]
	v_add_nc_u32_e32 v135, 1, v135
	v_pk_fma_f32 v[136:137], v[138:139], v[136:137], v[140:141] neg_lo:[0,0,1] neg_hi:[0,0,1]
	v_mov_b32_e32 v137, v143
	s_delay_alu instid0(VALU_DEP_3) | instskip(NEXT) | instid1(VALU_DEP_2)
	v_cmp_lt_u32_e32 vcc_lo, 50, v135
	v_pk_add_f32 v[130:131], v[130:131], v[136:137]
	s_or_b32 s5, vcc_lo, s5
	s_delay_alu instid0(SALU_CYCLE_1)
	s_and_not1_b32 exec_lo, exec_lo, s5
	s_cbranch_execnz .LBB126_1137
; %bb.1138:
	s_or_b32 exec_lo, exec_lo, s5
.LBB126_1139:
	s_delay_alu instid0(SALU_CYCLE_1) | instskip(SKIP_4) | instid1(VALU_DEP_1)
	s_or_b32 exec_lo, exec_lo, s4
	v_mov_b32_e32 v133, 0
	ds_load_b64 v[134:135], v133 offset:416
	s_wait_dscnt 0x0
	v_pk_mul_f32 v[136:137], v[130:131], v[134:135] op_sel:[1,1] op_sel_hi:[0,1]
	v_pk_fma_f32 v[138:139], v[130:131], v[134:135], v[136:137] op_sel_hi:[1,0,1]
	v_pk_fma_f32 v[130:131], v[130:131], v[134:135], v[136:137] neg_lo:[0,0,1] neg_hi:[0,0,1]
	s_delay_alu instid0(VALU_DEP_2)
	v_mov_b32_e32 v131, v139
	scratch_store_b64 off, v[130:131], off offset:416
.LBB126_1140:
	s_wait_xcnt 0x0
	s_or_b32 exec_lo, exec_lo, s0
	scratch_load_b64 v[130:131], off, off offset:424
	s_mov_b32 s0, exec_lo
	s_wait_loadcnt 0x0
	ds_store_b64 v1, v[130:131]
	s_wait_storecnt_dscnt 0x0
	s_barrier_signal -1
	s_barrier_wait -1
	s_wait_xcnt 0x0
	v_cmpx_gt_u32_e32 53, v0
	s_cbranch_execz .LBB126_1150
; %bb.1141:
	v_cmp_ne_u32_e32 vcc_lo, 1, v132
	s_cbranch_vccnz .LBB126_1143
; %bb.1142:
	scratch_load_b64 v[130:131], v59, off
	ds_load_b64 v[134:135], v1
	s_wait_loadcnt_dscnt 0x0
	v_pk_mul_f32 v[136:137], v[134:135], v[130:131] op_sel:[1,1] op_sel_hi:[0,1]
	s_delay_alu instid0(VALU_DEP_1) | instskip(SKIP_1) | instid1(VALU_DEP_2)
	v_pk_fma_f32 v[138:139], v[134:135], v[130:131], v[136:137] op_sel_hi:[1,0,1]
	v_pk_fma_f32 v[130:131], v[134:135], v[130:131], v[136:137] neg_lo:[0,0,1] neg_hi:[0,0,1]
	v_mov_b32_e32 v131, v139
	s_cbranch_execz .LBB126_1144
	s_branch .LBB126_1145
.LBB126_1143:
                                        ; implicit-def: $vgpr130_vgpr131
.LBB126_1144:
	ds_load_b64 v[130:131], v1
.LBB126_1145:
	s_mov_b32 s4, exec_lo
	v_cmpx_ne_u32_e32 52, v0
	s_cbranch_execz .LBB126_1149
; %bb.1146:
	v_add_nc_u32_e32 v133, 0x208, v58
	v_add3_u32 v134, 0, v58, 8
	v_mov_b32_e32 v135, v0
	s_mov_b32 s5, 0
.LBB126_1147:                           ; =>This Inner Loop Header: Depth=1
	scratch_load_b64 v[136:137], v134, off
	ds_load_b64 v[138:139], v133
	s_wait_xcnt 0x0
	v_dual_add_nc_u32 v133, 8, v133 :: v_dual_add_nc_u32 v134, 8, v134
	s_wait_loadcnt_dscnt 0x0
	v_pk_mul_f32 v[140:141], v[138:139], v[136:137] op_sel:[1,1] op_sel_hi:[0,1]
	s_delay_alu instid0(VALU_DEP_1) | instskip(SKIP_2) | instid1(VALU_DEP_3)
	v_pk_fma_f32 v[142:143], v[138:139], v[136:137], v[140:141] op_sel_hi:[1,0,1]
	v_add_nc_u32_e32 v135, 1, v135
	v_pk_fma_f32 v[136:137], v[138:139], v[136:137], v[140:141] neg_lo:[0,0,1] neg_hi:[0,0,1]
	v_mov_b32_e32 v137, v143
	s_delay_alu instid0(VALU_DEP_3) | instskip(NEXT) | instid1(VALU_DEP_2)
	v_cmp_lt_u32_e32 vcc_lo, 51, v135
	v_pk_add_f32 v[130:131], v[130:131], v[136:137]
	s_or_b32 s5, vcc_lo, s5
	s_delay_alu instid0(SALU_CYCLE_1)
	s_and_not1_b32 exec_lo, exec_lo, s5
	s_cbranch_execnz .LBB126_1147
; %bb.1148:
	s_or_b32 exec_lo, exec_lo, s5
.LBB126_1149:
	s_delay_alu instid0(SALU_CYCLE_1) | instskip(SKIP_4) | instid1(VALU_DEP_1)
	s_or_b32 exec_lo, exec_lo, s4
	v_mov_b32_e32 v133, 0
	ds_load_b64 v[134:135], v133 offset:424
	s_wait_dscnt 0x0
	v_pk_mul_f32 v[136:137], v[130:131], v[134:135] op_sel:[1,1] op_sel_hi:[0,1]
	v_pk_fma_f32 v[138:139], v[130:131], v[134:135], v[136:137] op_sel_hi:[1,0,1]
	v_pk_fma_f32 v[130:131], v[130:131], v[134:135], v[136:137] neg_lo:[0,0,1] neg_hi:[0,0,1]
	s_delay_alu instid0(VALU_DEP_2)
	v_mov_b32_e32 v131, v139
	scratch_store_b64 off, v[130:131], off offset:424
.LBB126_1150:
	s_wait_xcnt 0x0
	s_or_b32 exec_lo, exec_lo, s0
	scratch_load_b64 v[130:131], off, off offset:432
	s_mov_b32 s0, exec_lo
	s_wait_loadcnt 0x0
	ds_store_b64 v1, v[130:131]
	s_wait_storecnt_dscnt 0x0
	s_barrier_signal -1
	s_barrier_wait -1
	s_wait_xcnt 0x0
	v_cmpx_gt_u32_e32 54, v0
	s_cbranch_execz .LBB126_1160
; %bb.1151:
	v_cmp_ne_u32_e32 vcc_lo, 1, v132
	s_cbranch_vccnz .LBB126_1153
; %bb.1152:
	scratch_load_b64 v[130:131], v59, off
	ds_load_b64 v[134:135], v1
	s_wait_loadcnt_dscnt 0x0
	v_pk_mul_f32 v[136:137], v[134:135], v[130:131] op_sel:[1,1] op_sel_hi:[0,1]
	s_delay_alu instid0(VALU_DEP_1) | instskip(SKIP_1) | instid1(VALU_DEP_2)
	v_pk_fma_f32 v[138:139], v[134:135], v[130:131], v[136:137] op_sel_hi:[1,0,1]
	v_pk_fma_f32 v[130:131], v[134:135], v[130:131], v[136:137] neg_lo:[0,0,1] neg_hi:[0,0,1]
	v_mov_b32_e32 v131, v139
	s_cbranch_execz .LBB126_1154
	s_branch .LBB126_1155
.LBB126_1153:
                                        ; implicit-def: $vgpr130_vgpr131
.LBB126_1154:
	ds_load_b64 v[130:131], v1
.LBB126_1155:
	s_mov_b32 s4, exec_lo
	v_cmpx_ne_u32_e32 53, v0
	s_cbranch_execz .LBB126_1159
; %bb.1156:
	v_add_nc_u32_e32 v133, 0x208, v58
	v_add3_u32 v134, 0, v58, 8
	v_mov_b32_e32 v135, v0
	s_mov_b32 s5, 0
.LBB126_1157:                           ; =>This Inner Loop Header: Depth=1
	scratch_load_b64 v[136:137], v134, off
	ds_load_b64 v[138:139], v133
	s_wait_xcnt 0x0
	v_dual_add_nc_u32 v133, 8, v133 :: v_dual_add_nc_u32 v134, 8, v134
	s_wait_loadcnt_dscnt 0x0
	v_pk_mul_f32 v[140:141], v[138:139], v[136:137] op_sel:[1,1] op_sel_hi:[0,1]
	s_delay_alu instid0(VALU_DEP_1) | instskip(SKIP_2) | instid1(VALU_DEP_3)
	v_pk_fma_f32 v[142:143], v[138:139], v[136:137], v[140:141] op_sel_hi:[1,0,1]
	v_add_nc_u32_e32 v135, 1, v135
	v_pk_fma_f32 v[136:137], v[138:139], v[136:137], v[140:141] neg_lo:[0,0,1] neg_hi:[0,0,1]
	v_mov_b32_e32 v137, v143
	s_delay_alu instid0(VALU_DEP_3) | instskip(NEXT) | instid1(VALU_DEP_2)
	v_cmp_lt_u32_e32 vcc_lo, 52, v135
	v_pk_add_f32 v[130:131], v[130:131], v[136:137]
	s_or_b32 s5, vcc_lo, s5
	s_delay_alu instid0(SALU_CYCLE_1)
	s_and_not1_b32 exec_lo, exec_lo, s5
	s_cbranch_execnz .LBB126_1157
; %bb.1158:
	s_or_b32 exec_lo, exec_lo, s5
.LBB126_1159:
	s_delay_alu instid0(SALU_CYCLE_1) | instskip(SKIP_4) | instid1(VALU_DEP_1)
	s_or_b32 exec_lo, exec_lo, s4
	v_mov_b32_e32 v133, 0
	ds_load_b64 v[134:135], v133 offset:432
	s_wait_dscnt 0x0
	v_pk_mul_f32 v[136:137], v[130:131], v[134:135] op_sel:[1,1] op_sel_hi:[0,1]
	v_pk_fma_f32 v[138:139], v[130:131], v[134:135], v[136:137] op_sel_hi:[1,0,1]
	v_pk_fma_f32 v[130:131], v[130:131], v[134:135], v[136:137] neg_lo:[0,0,1] neg_hi:[0,0,1]
	s_delay_alu instid0(VALU_DEP_2)
	v_mov_b32_e32 v131, v139
	scratch_store_b64 off, v[130:131], off offset:432
.LBB126_1160:
	s_wait_xcnt 0x0
	s_or_b32 exec_lo, exec_lo, s0
	scratch_load_b64 v[130:131], off, off offset:440
	s_mov_b32 s0, exec_lo
	s_wait_loadcnt 0x0
	ds_store_b64 v1, v[130:131]
	s_wait_storecnt_dscnt 0x0
	s_barrier_signal -1
	s_barrier_wait -1
	s_wait_xcnt 0x0
	v_cmpx_gt_u32_e32 55, v0
	s_cbranch_execz .LBB126_1170
; %bb.1161:
	v_cmp_ne_u32_e32 vcc_lo, 1, v132
	s_cbranch_vccnz .LBB126_1163
; %bb.1162:
	scratch_load_b64 v[130:131], v59, off
	ds_load_b64 v[134:135], v1
	s_wait_loadcnt_dscnt 0x0
	v_pk_mul_f32 v[136:137], v[134:135], v[130:131] op_sel:[1,1] op_sel_hi:[0,1]
	s_delay_alu instid0(VALU_DEP_1) | instskip(SKIP_1) | instid1(VALU_DEP_2)
	v_pk_fma_f32 v[138:139], v[134:135], v[130:131], v[136:137] op_sel_hi:[1,0,1]
	v_pk_fma_f32 v[130:131], v[134:135], v[130:131], v[136:137] neg_lo:[0,0,1] neg_hi:[0,0,1]
	v_mov_b32_e32 v131, v139
	s_cbranch_execz .LBB126_1164
	s_branch .LBB126_1165
.LBB126_1163:
                                        ; implicit-def: $vgpr130_vgpr131
.LBB126_1164:
	ds_load_b64 v[130:131], v1
.LBB126_1165:
	s_mov_b32 s4, exec_lo
	v_cmpx_ne_u32_e32 54, v0
	s_cbranch_execz .LBB126_1169
; %bb.1166:
	v_add_nc_u32_e32 v133, 0x208, v58
	v_add3_u32 v134, 0, v58, 8
	v_mov_b32_e32 v135, v0
	s_mov_b32 s5, 0
.LBB126_1167:                           ; =>This Inner Loop Header: Depth=1
	scratch_load_b64 v[136:137], v134, off
	ds_load_b64 v[138:139], v133
	s_wait_xcnt 0x0
	v_dual_add_nc_u32 v133, 8, v133 :: v_dual_add_nc_u32 v134, 8, v134
	s_wait_loadcnt_dscnt 0x0
	v_pk_mul_f32 v[140:141], v[138:139], v[136:137] op_sel:[1,1] op_sel_hi:[0,1]
	s_delay_alu instid0(VALU_DEP_1) | instskip(SKIP_2) | instid1(VALU_DEP_3)
	v_pk_fma_f32 v[142:143], v[138:139], v[136:137], v[140:141] op_sel_hi:[1,0,1]
	v_add_nc_u32_e32 v135, 1, v135
	v_pk_fma_f32 v[136:137], v[138:139], v[136:137], v[140:141] neg_lo:[0,0,1] neg_hi:[0,0,1]
	v_mov_b32_e32 v137, v143
	s_delay_alu instid0(VALU_DEP_3) | instskip(NEXT) | instid1(VALU_DEP_2)
	v_cmp_lt_u32_e32 vcc_lo, 53, v135
	v_pk_add_f32 v[130:131], v[130:131], v[136:137]
	s_or_b32 s5, vcc_lo, s5
	s_delay_alu instid0(SALU_CYCLE_1)
	s_and_not1_b32 exec_lo, exec_lo, s5
	s_cbranch_execnz .LBB126_1167
; %bb.1168:
	s_or_b32 exec_lo, exec_lo, s5
.LBB126_1169:
	s_delay_alu instid0(SALU_CYCLE_1) | instskip(SKIP_4) | instid1(VALU_DEP_1)
	s_or_b32 exec_lo, exec_lo, s4
	v_mov_b32_e32 v133, 0
	ds_load_b64 v[134:135], v133 offset:440
	s_wait_dscnt 0x0
	v_pk_mul_f32 v[136:137], v[130:131], v[134:135] op_sel:[1,1] op_sel_hi:[0,1]
	v_pk_fma_f32 v[138:139], v[130:131], v[134:135], v[136:137] op_sel_hi:[1,0,1]
	v_pk_fma_f32 v[130:131], v[130:131], v[134:135], v[136:137] neg_lo:[0,0,1] neg_hi:[0,0,1]
	s_delay_alu instid0(VALU_DEP_2)
	v_mov_b32_e32 v131, v139
	scratch_store_b64 off, v[130:131], off offset:440
.LBB126_1170:
	s_wait_xcnt 0x0
	s_or_b32 exec_lo, exec_lo, s0
	scratch_load_b64 v[130:131], off, off offset:448
	s_mov_b32 s0, exec_lo
	s_wait_loadcnt 0x0
	ds_store_b64 v1, v[130:131]
	s_wait_storecnt_dscnt 0x0
	s_barrier_signal -1
	s_barrier_wait -1
	s_wait_xcnt 0x0
	v_cmpx_gt_u32_e32 56, v0
	s_cbranch_execz .LBB126_1180
; %bb.1171:
	v_cmp_ne_u32_e32 vcc_lo, 1, v132
	s_cbranch_vccnz .LBB126_1173
; %bb.1172:
	scratch_load_b64 v[130:131], v59, off
	ds_load_b64 v[134:135], v1
	s_wait_loadcnt_dscnt 0x0
	v_pk_mul_f32 v[136:137], v[134:135], v[130:131] op_sel:[1,1] op_sel_hi:[0,1]
	s_delay_alu instid0(VALU_DEP_1) | instskip(SKIP_1) | instid1(VALU_DEP_2)
	v_pk_fma_f32 v[138:139], v[134:135], v[130:131], v[136:137] op_sel_hi:[1,0,1]
	v_pk_fma_f32 v[130:131], v[134:135], v[130:131], v[136:137] neg_lo:[0,0,1] neg_hi:[0,0,1]
	v_mov_b32_e32 v131, v139
	s_cbranch_execz .LBB126_1174
	s_branch .LBB126_1175
.LBB126_1173:
                                        ; implicit-def: $vgpr130_vgpr131
.LBB126_1174:
	ds_load_b64 v[130:131], v1
.LBB126_1175:
	s_mov_b32 s4, exec_lo
	v_cmpx_ne_u32_e32 55, v0
	s_cbranch_execz .LBB126_1179
; %bb.1176:
	v_add_nc_u32_e32 v133, 0x208, v58
	v_add3_u32 v134, 0, v58, 8
	v_mov_b32_e32 v135, v0
	s_mov_b32 s5, 0
.LBB126_1177:                           ; =>This Inner Loop Header: Depth=1
	scratch_load_b64 v[136:137], v134, off
	ds_load_b64 v[138:139], v133
	s_wait_xcnt 0x0
	v_dual_add_nc_u32 v133, 8, v133 :: v_dual_add_nc_u32 v134, 8, v134
	s_wait_loadcnt_dscnt 0x0
	v_pk_mul_f32 v[140:141], v[138:139], v[136:137] op_sel:[1,1] op_sel_hi:[0,1]
	s_delay_alu instid0(VALU_DEP_1) | instskip(SKIP_2) | instid1(VALU_DEP_3)
	v_pk_fma_f32 v[142:143], v[138:139], v[136:137], v[140:141] op_sel_hi:[1,0,1]
	v_add_nc_u32_e32 v135, 1, v135
	v_pk_fma_f32 v[136:137], v[138:139], v[136:137], v[140:141] neg_lo:[0,0,1] neg_hi:[0,0,1]
	v_mov_b32_e32 v137, v143
	s_delay_alu instid0(VALU_DEP_3) | instskip(NEXT) | instid1(VALU_DEP_2)
	v_cmp_lt_u32_e32 vcc_lo, 54, v135
	v_pk_add_f32 v[130:131], v[130:131], v[136:137]
	s_or_b32 s5, vcc_lo, s5
	s_delay_alu instid0(SALU_CYCLE_1)
	s_and_not1_b32 exec_lo, exec_lo, s5
	s_cbranch_execnz .LBB126_1177
; %bb.1178:
	s_or_b32 exec_lo, exec_lo, s5
.LBB126_1179:
	s_delay_alu instid0(SALU_CYCLE_1) | instskip(SKIP_4) | instid1(VALU_DEP_1)
	s_or_b32 exec_lo, exec_lo, s4
	v_mov_b32_e32 v133, 0
	ds_load_b64 v[134:135], v133 offset:448
	s_wait_dscnt 0x0
	v_pk_mul_f32 v[136:137], v[130:131], v[134:135] op_sel:[1,1] op_sel_hi:[0,1]
	v_pk_fma_f32 v[138:139], v[130:131], v[134:135], v[136:137] op_sel_hi:[1,0,1]
	v_pk_fma_f32 v[130:131], v[130:131], v[134:135], v[136:137] neg_lo:[0,0,1] neg_hi:[0,0,1]
	s_delay_alu instid0(VALU_DEP_2)
	v_mov_b32_e32 v131, v139
	scratch_store_b64 off, v[130:131], off offset:448
.LBB126_1180:
	s_wait_xcnt 0x0
	s_or_b32 exec_lo, exec_lo, s0
	scratch_load_b64 v[130:131], off, off offset:456
	s_mov_b32 s0, exec_lo
	s_wait_loadcnt 0x0
	ds_store_b64 v1, v[130:131]
	s_wait_storecnt_dscnt 0x0
	s_barrier_signal -1
	s_barrier_wait -1
	s_wait_xcnt 0x0
	v_cmpx_gt_u32_e32 57, v0
	s_cbranch_execz .LBB126_1190
; %bb.1181:
	v_cmp_ne_u32_e32 vcc_lo, 1, v132
	s_cbranch_vccnz .LBB126_1183
; %bb.1182:
	scratch_load_b64 v[130:131], v59, off
	ds_load_b64 v[134:135], v1
	s_wait_loadcnt_dscnt 0x0
	v_pk_mul_f32 v[136:137], v[134:135], v[130:131] op_sel:[1,1] op_sel_hi:[0,1]
	s_delay_alu instid0(VALU_DEP_1) | instskip(SKIP_1) | instid1(VALU_DEP_2)
	v_pk_fma_f32 v[138:139], v[134:135], v[130:131], v[136:137] op_sel_hi:[1,0,1]
	v_pk_fma_f32 v[130:131], v[134:135], v[130:131], v[136:137] neg_lo:[0,0,1] neg_hi:[0,0,1]
	v_mov_b32_e32 v131, v139
	s_cbranch_execz .LBB126_1184
	s_branch .LBB126_1185
.LBB126_1183:
                                        ; implicit-def: $vgpr130_vgpr131
.LBB126_1184:
	ds_load_b64 v[130:131], v1
.LBB126_1185:
	s_mov_b32 s4, exec_lo
	v_cmpx_ne_u32_e32 56, v0
	s_cbranch_execz .LBB126_1189
; %bb.1186:
	v_add_nc_u32_e32 v133, 0x208, v58
	v_add3_u32 v134, 0, v58, 8
	v_mov_b32_e32 v135, v0
	s_mov_b32 s5, 0
.LBB126_1187:                           ; =>This Inner Loop Header: Depth=1
	scratch_load_b64 v[136:137], v134, off
	ds_load_b64 v[138:139], v133
	s_wait_xcnt 0x0
	v_dual_add_nc_u32 v133, 8, v133 :: v_dual_add_nc_u32 v134, 8, v134
	s_wait_loadcnt_dscnt 0x0
	v_pk_mul_f32 v[140:141], v[138:139], v[136:137] op_sel:[1,1] op_sel_hi:[0,1]
	s_delay_alu instid0(VALU_DEP_1) | instskip(SKIP_2) | instid1(VALU_DEP_3)
	v_pk_fma_f32 v[142:143], v[138:139], v[136:137], v[140:141] op_sel_hi:[1,0,1]
	v_add_nc_u32_e32 v135, 1, v135
	v_pk_fma_f32 v[136:137], v[138:139], v[136:137], v[140:141] neg_lo:[0,0,1] neg_hi:[0,0,1]
	v_mov_b32_e32 v137, v143
	s_delay_alu instid0(VALU_DEP_3) | instskip(NEXT) | instid1(VALU_DEP_2)
	v_cmp_lt_u32_e32 vcc_lo, 55, v135
	v_pk_add_f32 v[130:131], v[130:131], v[136:137]
	s_or_b32 s5, vcc_lo, s5
	s_delay_alu instid0(SALU_CYCLE_1)
	s_and_not1_b32 exec_lo, exec_lo, s5
	s_cbranch_execnz .LBB126_1187
; %bb.1188:
	s_or_b32 exec_lo, exec_lo, s5
.LBB126_1189:
	s_delay_alu instid0(SALU_CYCLE_1) | instskip(SKIP_4) | instid1(VALU_DEP_1)
	s_or_b32 exec_lo, exec_lo, s4
	v_mov_b32_e32 v133, 0
	ds_load_b64 v[134:135], v133 offset:456
	s_wait_dscnt 0x0
	v_pk_mul_f32 v[136:137], v[130:131], v[134:135] op_sel:[1,1] op_sel_hi:[0,1]
	v_pk_fma_f32 v[138:139], v[130:131], v[134:135], v[136:137] op_sel_hi:[1,0,1]
	v_pk_fma_f32 v[130:131], v[130:131], v[134:135], v[136:137] neg_lo:[0,0,1] neg_hi:[0,0,1]
	s_delay_alu instid0(VALU_DEP_2)
	v_mov_b32_e32 v131, v139
	scratch_store_b64 off, v[130:131], off offset:456
.LBB126_1190:
	s_wait_xcnt 0x0
	s_or_b32 exec_lo, exec_lo, s0
	scratch_load_b64 v[130:131], off, off offset:464
	s_mov_b32 s0, exec_lo
	s_wait_loadcnt 0x0
	ds_store_b64 v1, v[130:131]
	s_wait_storecnt_dscnt 0x0
	s_barrier_signal -1
	s_barrier_wait -1
	s_wait_xcnt 0x0
	v_cmpx_gt_u32_e32 58, v0
	s_cbranch_execz .LBB126_1200
; %bb.1191:
	v_cmp_ne_u32_e32 vcc_lo, 1, v132
	s_cbranch_vccnz .LBB126_1193
; %bb.1192:
	scratch_load_b64 v[130:131], v59, off
	ds_load_b64 v[134:135], v1
	s_wait_loadcnt_dscnt 0x0
	v_pk_mul_f32 v[136:137], v[134:135], v[130:131] op_sel:[1,1] op_sel_hi:[0,1]
	s_delay_alu instid0(VALU_DEP_1) | instskip(SKIP_1) | instid1(VALU_DEP_2)
	v_pk_fma_f32 v[138:139], v[134:135], v[130:131], v[136:137] op_sel_hi:[1,0,1]
	v_pk_fma_f32 v[130:131], v[134:135], v[130:131], v[136:137] neg_lo:[0,0,1] neg_hi:[0,0,1]
	v_mov_b32_e32 v131, v139
	s_cbranch_execz .LBB126_1194
	s_branch .LBB126_1195
.LBB126_1193:
                                        ; implicit-def: $vgpr130_vgpr131
.LBB126_1194:
	ds_load_b64 v[130:131], v1
.LBB126_1195:
	s_mov_b32 s4, exec_lo
	v_cmpx_ne_u32_e32 57, v0
	s_cbranch_execz .LBB126_1199
; %bb.1196:
	v_add_nc_u32_e32 v133, 0x208, v58
	v_add3_u32 v134, 0, v58, 8
	v_mov_b32_e32 v135, v0
	s_mov_b32 s5, 0
.LBB126_1197:                           ; =>This Inner Loop Header: Depth=1
	scratch_load_b64 v[136:137], v134, off
	ds_load_b64 v[138:139], v133
	s_wait_xcnt 0x0
	v_dual_add_nc_u32 v133, 8, v133 :: v_dual_add_nc_u32 v134, 8, v134
	s_wait_loadcnt_dscnt 0x0
	v_pk_mul_f32 v[140:141], v[138:139], v[136:137] op_sel:[1,1] op_sel_hi:[0,1]
	s_delay_alu instid0(VALU_DEP_1) | instskip(SKIP_2) | instid1(VALU_DEP_3)
	v_pk_fma_f32 v[142:143], v[138:139], v[136:137], v[140:141] op_sel_hi:[1,0,1]
	v_add_nc_u32_e32 v135, 1, v135
	v_pk_fma_f32 v[136:137], v[138:139], v[136:137], v[140:141] neg_lo:[0,0,1] neg_hi:[0,0,1]
	v_mov_b32_e32 v137, v143
	s_delay_alu instid0(VALU_DEP_3) | instskip(NEXT) | instid1(VALU_DEP_2)
	v_cmp_lt_u32_e32 vcc_lo, 56, v135
	v_pk_add_f32 v[130:131], v[130:131], v[136:137]
	s_or_b32 s5, vcc_lo, s5
	s_delay_alu instid0(SALU_CYCLE_1)
	s_and_not1_b32 exec_lo, exec_lo, s5
	s_cbranch_execnz .LBB126_1197
; %bb.1198:
	s_or_b32 exec_lo, exec_lo, s5
.LBB126_1199:
	s_delay_alu instid0(SALU_CYCLE_1) | instskip(SKIP_4) | instid1(VALU_DEP_1)
	s_or_b32 exec_lo, exec_lo, s4
	v_mov_b32_e32 v133, 0
	ds_load_b64 v[134:135], v133 offset:464
	s_wait_dscnt 0x0
	v_pk_mul_f32 v[136:137], v[130:131], v[134:135] op_sel:[1,1] op_sel_hi:[0,1]
	v_pk_fma_f32 v[138:139], v[130:131], v[134:135], v[136:137] op_sel_hi:[1,0,1]
	v_pk_fma_f32 v[130:131], v[130:131], v[134:135], v[136:137] neg_lo:[0,0,1] neg_hi:[0,0,1]
	s_delay_alu instid0(VALU_DEP_2)
	v_mov_b32_e32 v131, v139
	scratch_store_b64 off, v[130:131], off offset:464
.LBB126_1200:
	s_wait_xcnt 0x0
	s_or_b32 exec_lo, exec_lo, s0
	scratch_load_b64 v[130:131], off, off offset:472
	s_mov_b32 s0, exec_lo
	s_wait_loadcnt 0x0
	ds_store_b64 v1, v[130:131]
	s_wait_storecnt_dscnt 0x0
	s_barrier_signal -1
	s_barrier_wait -1
	s_wait_xcnt 0x0
	v_cmpx_gt_u32_e32 59, v0
	s_cbranch_execz .LBB126_1210
; %bb.1201:
	v_cmp_ne_u32_e32 vcc_lo, 1, v132
	s_cbranch_vccnz .LBB126_1203
; %bb.1202:
	scratch_load_b64 v[130:131], v59, off
	ds_load_b64 v[134:135], v1
	s_wait_loadcnt_dscnt 0x0
	v_pk_mul_f32 v[136:137], v[134:135], v[130:131] op_sel:[1,1] op_sel_hi:[0,1]
	s_delay_alu instid0(VALU_DEP_1) | instskip(SKIP_1) | instid1(VALU_DEP_2)
	v_pk_fma_f32 v[138:139], v[134:135], v[130:131], v[136:137] op_sel_hi:[1,0,1]
	v_pk_fma_f32 v[130:131], v[134:135], v[130:131], v[136:137] neg_lo:[0,0,1] neg_hi:[0,0,1]
	v_mov_b32_e32 v131, v139
	s_cbranch_execz .LBB126_1204
	s_branch .LBB126_1205
.LBB126_1203:
                                        ; implicit-def: $vgpr130_vgpr131
.LBB126_1204:
	ds_load_b64 v[130:131], v1
.LBB126_1205:
	s_mov_b32 s4, exec_lo
	v_cmpx_ne_u32_e32 58, v0
	s_cbranch_execz .LBB126_1209
; %bb.1206:
	v_add_nc_u32_e32 v133, 0x208, v58
	v_add3_u32 v134, 0, v58, 8
	v_mov_b32_e32 v135, v0
	s_mov_b32 s5, 0
.LBB126_1207:                           ; =>This Inner Loop Header: Depth=1
	scratch_load_b64 v[136:137], v134, off
	ds_load_b64 v[138:139], v133
	s_wait_xcnt 0x0
	v_dual_add_nc_u32 v133, 8, v133 :: v_dual_add_nc_u32 v134, 8, v134
	s_wait_loadcnt_dscnt 0x0
	v_pk_mul_f32 v[140:141], v[138:139], v[136:137] op_sel:[1,1] op_sel_hi:[0,1]
	s_delay_alu instid0(VALU_DEP_1) | instskip(SKIP_2) | instid1(VALU_DEP_3)
	v_pk_fma_f32 v[142:143], v[138:139], v[136:137], v[140:141] op_sel_hi:[1,0,1]
	v_add_nc_u32_e32 v135, 1, v135
	v_pk_fma_f32 v[136:137], v[138:139], v[136:137], v[140:141] neg_lo:[0,0,1] neg_hi:[0,0,1]
	v_mov_b32_e32 v137, v143
	s_delay_alu instid0(VALU_DEP_3) | instskip(NEXT) | instid1(VALU_DEP_2)
	v_cmp_lt_u32_e32 vcc_lo, 57, v135
	v_pk_add_f32 v[130:131], v[130:131], v[136:137]
	s_or_b32 s5, vcc_lo, s5
	s_delay_alu instid0(SALU_CYCLE_1)
	s_and_not1_b32 exec_lo, exec_lo, s5
	s_cbranch_execnz .LBB126_1207
; %bb.1208:
	s_or_b32 exec_lo, exec_lo, s5
.LBB126_1209:
	s_delay_alu instid0(SALU_CYCLE_1) | instskip(SKIP_4) | instid1(VALU_DEP_1)
	s_or_b32 exec_lo, exec_lo, s4
	v_mov_b32_e32 v133, 0
	ds_load_b64 v[134:135], v133 offset:472
	s_wait_dscnt 0x0
	v_pk_mul_f32 v[136:137], v[130:131], v[134:135] op_sel:[1,1] op_sel_hi:[0,1]
	v_pk_fma_f32 v[138:139], v[130:131], v[134:135], v[136:137] op_sel_hi:[1,0,1]
	v_pk_fma_f32 v[130:131], v[130:131], v[134:135], v[136:137] neg_lo:[0,0,1] neg_hi:[0,0,1]
	s_delay_alu instid0(VALU_DEP_2)
	v_mov_b32_e32 v131, v139
	scratch_store_b64 off, v[130:131], off offset:472
.LBB126_1210:
	s_wait_xcnt 0x0
	s_or_b32 exec_lo, exec_lo, s0
	scratch_load_b64 v[130:131], off, off offset:480
	s_mov_b32 s0, exec_lo
	s_wait_loadcnt 0x0
	ds_store_b64 v1, v[130:131]
	s_wait_storecnt_dscnt 0x0
	s_barrier_signal -1
	s_barrier_wait -1
	s_wait_xcnt 0x0
	v_cmpx_gt_u32_e32 60, v0
	s_cbranch_execz .LBB126_1220
; %bb.1211:
	v_cmp_ne_u32_e32 vcc_lo, 1, v132
	s_cbranch_vccnz .LBB126_1213
; %bb.1212:
	scratch_load_b64 v[130:131], v59, off
	ds_load_b64 v[134:135], v1
	s_wait_loadcnt_dscnt 0x0
	v_pk_mul_f32 v[136:137], v[134:135], v[130:131] op_sel:[1,1] op_sel_hi:[0,1]
	s_delay_alu instid0(VALU_DEP_1) | instskip(SKIP_1) | instid1(VALU_DEP_2)
	v_pk_fma_f32 v[138:139], v[134:135], v[130:131], v[136:137] op_sel_hi:[1,0,1]
	v_pk_fma_f32 v[130:131], v[134:135], v[130:131], v[136:137] neg_lo:[0,0,1] neg_hi:[0,0,1]
	v_mov_b32_e32 v131, v139
	s_cbranch_execz .LBB126_1214
	s_branch .LBB126_1215
.LBB126_1213:
                                        ; implicit-def: $vgpr130_vgpr131
.LBB126_1214:
	ds_load_b64 v[130:131], v1
.LBB126_1215:
	s_mov_b32 s4, exec_lo
	v_cmpx_ne_u32_e32 59, v0
	s_cbranch_execz .LBB126_1219
; %bb.1216:
	v_add_nc_u32_e32 v133, 0x208, v58
	v_add3_u32 v134, 0, v58, 8
	v_mov_b32_e32 v135, v0
	s_mov_b32 s5, 0
.LBB126_1217:                           ; =>This Inner Loop Header: Depth=1
	scratch_load_b64 v[136:137], v134, off
	ds_load_b64 v[138:139], v133
	s_wait_xcnt 0x0
	v_dual_add_nc_u32 v133, 8, v133 :: v_dual_add_nc_u32 v134, 8, v134
	s_wait_loadcnt_dscnt 0x0
	v_pk_mul_f32 v[140:141], v[138:139], v[136:137] op_sel:[1,1] op_sel_hi:[0,1]
	s_delay_alu instid0(VALU_DEP_1) | instskip(SKIP_2) | instid1(VALU_DEP_3)
	v_pk_fma_f32 v[142:143], v[138:139], v[136:137], v[140:141] op_sel_hi:[1,0,1]
	v_add_nc_u32_e32 v135, 1, v135
	v_pk_fma_f32 v[136:137], v[138:139], v[136:137], v[140:141] neg_lo:[0,0,1] neg_hi:[0,0,1]
	v_mov_b32_e32 v137, v143
	s_delay_alu instid0(VALU_DEP_3) | instskip(NEXT) | instid1(VALU_DEP_2)
	v_cmp_lt_u32_e32 vcc_lo, 58, v135
	v_pk_add_f32 v[130:131], v[130:131], v[136:137]
	s_or_b32 s5, vcc_lo, s5
	s_delay_alu instid0(SALU_CYCLE_1)
	s_and_not1_b32 exec_lo, exec_lo, s5
	s_cbranch_execnz .LBB126_1217
; %bb.1218:
	s_or_b32 exec_lo, exec_lo, s5
.LBB126_1219:
	s_delay_alu instid0(SALU_CYCLE_1) | instskip(SKIP_4) | instid1(VALU_DEP_1)
	s_or_b32 exec_lo, exec_lo, s4
	v_mov_b32_e32 v133, 0
	ds_load_b64 v[134:135], v133 offset:480
	s_wait_dscnt 0x0
	v_pk_mul_f32 v[136:137], v[130:131], v[134:135] op_sel:[1,1] op_sel_hi:[0,1]
	v_pk_fma_f32 v[138:139], v[130:131], v[134:135], v[136:137] op_sel_hi:[1,0,1]
	v_pk_fma_f32 v[130:131], v[130:131], v[134:135], v[136:137] neg_lo:[0,0,1] neg_hi:[0,0,1]
	s_delay_alu instid0(VALU_DEP_2)
	v_mov_b32_e32 v131, v139
	scratch_store_b64 off, v[130:131], off offset:480
.LBB126_1220:
	s_wait_xcnt 0x0
	s_or_b32 exec_lo, exec_lo, s0
	scratch_load_b64 v[130:131], off, off offset:488
	v_cmp_gt_u32_e64 s0, 61, v0
	s_wait_loadcnt 0x0
	ds_store_b64 v1, v[130:131]
	s_wait_storecnt_dscnt 0x0
	s_barrier_signal -1
	s_barrier_wait -1
	s_wait_xcnt 0x0
	s_and_saveexec_b32 s4, s0
	s_cbranch_execz .LBB126_1230
; %bb.1221:
	v_cmp_ne_u32_e32 vcc_lo, 1, v132
	s_cbranch_vccnz .LBB126_1223
; %bb.1222:
	scratch_load_b64 v[130:131], v59, off
	ds_load_b64 v[134:135], v1
	s_wait_loadcnt_dscnt 0x0
	v_pk_mul_f32 v[136:137], v[134:135], v[130:131] op_sel:[1,1] op_sel_hi:[0,1]
	s_delay_alu instid0(VALU_DEP_1) | instskip(SKIP_1) | instid1(VALU_DEP_2)
	v_pk_fma_f32 v[138:139], v[134:135], v[130:131], v[136:137] op_sel_hi:[1,0,1]
	v_pk_fma_f32 v[130:131], v[134:135], v[130:131], v[136:137] neg_lo:[0,0,1] neg_hi:[0,0,1]
	v_mov_b32_e32 v131, v139
	s_cbranch_execz .LBB126_1224
	s_branch .LBB126_1225
.LBB126_1223:
                                        ; implicit-def: $vgpr130_vgpr131
.LBB126_1224:
	ds_load_b64 v[130:131], v1
.LBB126_1225:
	s_mov_b32 s5, exec_lo
	v_cmpx_ne_u32_e32 60, v0
	s_cbranch_execz .LBB126_1229
; %bb.1226:
	v_add_nc_u32_e32 v133, 0x208, v58
	v_add3_u32 v134, 0, v58, 8
	v_mov_b32_e32 v135, v0
	s_mov_b32 s6, 0
.LBB126_1227:                           ; =>This Inner Loop Header: Depth=1
	scratch_load_b64 v[136:137], v134, off
	ds_load_b64 v[138:139], v133
	s_wait_xcnt 0x0
	v_dual_add_nc_u32 v133, 8, v133 :: v_dual_add_nc_u32 v134, 8, v134
	s_wait_loadcnt_dscnt 0x0
	v_pk_mul_f32 v[140:141], v[138:139], v[136:137] op_sel:[1,1] op_sel_hi:[0,1]
	s_delay_alu instid0(VALU_DEP_1) | instskip(SKIP_2) | instid1(VALU_DEP_3)
	v_pk_fma_f32 v[142:143], v[138:139], v[136:137], v[140:141] op_sel_hi:[1,0,1]
	v_add_nc_u32_e32 v135, 1, v135
	v_pk_fma_f32 v[136:137], v[138:139], v[136:137], v[140:141] neg_lo:[0,0,1] neg_hi:[0,0,1]
	v_mov_b32_e32 v137, v143
	s_delay_alu instid0(VALU_DEP_3) | instskip(NEXT) | instid1(VALU_DEP_2)
	v_cmp_lt_u32_e32 vcc_lo, 59, v135
	v_pk_add_f32 v[130:131], v[130:131], v[136:137]
	s_or_b32 s6, vcc_lo, s6
	s_delay_alu instid0(SALU_CYCLE_1)
	s_and_not1_b32 exec_lo, exec_lo, s6
	s_cbranch_execnz .LBB126_1227
; %bb.1228:
	s_or_b32 exec_lo, exec_lo, s6
.LBB126_1229:
	s_delay_alu instid0(SALU_CYCLE_1) | instskip(SKIP_4) | instid1(VALU_DEP_1)
	s_or_b32 exec_lo, exec_lo, s5
	v_mov_b32_e32 v133, 0
	ds_load_b64 v[134:135], v133 offset:488
	s_wait_dscnt 0x0
	v_pk_mul_f32 v[136:137], v[130:131], v[134:135] op_sel:[1,1] op_sel_hi:[0,1]
	v_pk_fma_f32 v[138:139], v[130:131], v[134:135], v[136:137] op_sel_hi:[1,0,1]
	v_pk_fma_f32 v[130:131], v[130:131], v[134:135], v[136:137] neg_lo:[0,0,1] neg_hi:[0,0,1]
	s_delay_alu instid0(VALU_DEP_2)
	v_mov_b32_e32 v131, v139
	scratch_store_b64 off, v[130:131], off offset:488
.LBB126_1230:
	s_wait_xcnt 0x0
	s_or_b32 exec_lo, exec_lo, s4
	scratch_load_b64 v[130:131], off, off offset:496
	s_mov_b32 s4, exec_lo
                                        ; implicit-def: $vgpr188
                                        ; implicit-def: $sgpr7
	s_wait_loadcnt 0x0
	ds_store_b64 v1, v[130:131]
	s_wait_storecnt_dscnt 0x0
	s_barrier_signal -1
	s_barrier_wait -1
	s_wait_xcnt 0x0
	v_cmpx_ne_u32_e32 62, v0
	s_cbranch_execz .LBB126_1240
; %bb.1231:
	v_cmp_ne_u32_e32 vcc_lo, 1, v132
	s_cbranch_vccnz .LBB126_1233
; %bb.1232:
	scratch_load_b64 v[132:133], v59, off
	ds_load_b64 v[134:135], v1
	s_wait_loadcnt_dscnt 0x0
	v_dual_mul_f32 v59, v135, v133 :: v_dual_mul_f32 v131, v134, v133
	s_delay_alu instid0(VALU_DEP_1) | instskip(NEXT) | instid1(VALU_DEP_2)
	v_fma_f32 v130, v134, v132, -v59
	v_fmac_f32_e32 v131, v135, v132
	s_cbranch_execz .LBB126_1234
	s_branch .LBB126_1235
.LBB126_1233:
                                        ; implicit-def: $vgpr131
.LBB126_1234:
	ds_load_b64 v[130:131], v1
.LBB126_1235:
	s_and_saveexec_b32 s5, s0
	s_cbranch_execz .LBB126_1239
; %bb.1236:
	v_add_nc_u32_e32 v1, 0x208, v58
	v_add3_u32 v58, 0, v58, 8
	s_mov_b32 s0, 0
.LBB126_1237:                           ; =>This Inner Loop Header: Depth=1
	scratch_load_b64 v[132:133], v58, off
	ds_load_b64 v[134:135], v1
	v_dual_add_nc_u32 v0, 1, v0 :: v_dual_add_nc_u32 v1, 8, v1
	s_delay_alu instid0(VALU_DEP_1) | instskip(SKIP_3) | instid1(VALU_DEP_1)
	v_cmp_lt_u32_e32 vcc_lo, 60, v0
	s_or_b32 s0, vcc_lo, s0
	s_wait_loadcnt_dscnt 0x0
	v_dual_mul_f32 v59, v135, v133 :: v_dual_mul_f32 v133, v134, v133
	v_dual_fma_f32 v59, v134, v132, -v59 :: v_dual_fmac_f32 v133, v135, v132
	s_delay_alu instid0(VALU_DEP_1) | instskip(NEXT) | instid1(VALU_DEP_2)
	v_dual_add_nc_u32 v58, 8, v58 :: v_dual_add_f32 v130, v130, v59
	v_add_f32_e32 v131, v131, v133
	s_and_not1_b32 exec_lo, exec_lo, s0
	s_cbranch_execnz .LBB126_1237
; %bb.1238:
	s_or_b32 exec_lo, exec_lo, s0
.LBB126_1239:
	s_delay_alu instid0(SALU_CYCLE_1)
	s_or_b32 exec_lo, exec_lo, s5
	v_mov_b32_e32 v0, 0
	s_movk_i32 s7, 0x1f4
	s_or_b32 s1, s1, exec_lo
	ds_load_b64 v[0:1], v0 offset:496
	s_wait_dscnt 0x0
	v_dual_mul_f32 v58, v131, v1 :: v_dual_mul_f32 v188, v130, v1
	s_delay_alu instid0(VALU_DEP_1)
	v_dual_fma_f32 v1, v130, v0, -v58 :: v_dual_fmac_f32 v188, v131, v0
	scratch_store_b32 off, v1, off offset:496
.LBB126_1240:
	s_wait_xcnt 0x0
	s_or_b32 exec_lo, exec_lo, s4
.LBB126_1241:
	v_lshl_add_u64 v[186:187], v[6:7], 3, s[2:3]
	v_lshl_add_u64 v[184:185], v[8:9], 3, s[2:3]
	;; [unrolled: 1-line block ×61, first 2 shown]
	s_and_saveexec_b32 s0, s1
	s_cbranch_execz .LBB126_1243
; %bb.1242:
	scratch_store_b32 off, v188, s7
.LBB126_1243:
	s_wait_xcnt 0x0
	s_or_b32 exec_lo, exec_lo, s0
	scratch_load_b64 v[68:69], off, off
	s_wait_loadcnt 0x0
	flat_store_b64 v[2:3], v[68:69]
	scratch_load_b64 v[2:3], off, off offset:8
	s_wait_loadcnt 0x0
	flat_store_b64 v[4:5], v[2:3]
	scratch_load_b64 v[2:3], off, off offset:16
	;; [unrolled: 3-line block ×62, first 2 shown]
	s_wait_loadcnt 0x0
	flat_store_b64 v[0:1], v[2:3]
.LBB126_1244:
	s_sendmsg sendmsg(MSG_DEALLOC_VGPRS)
	s_endpgm
	.section	.rodata,"a",@progbits
	.p2align	6, 0x0
	.amdhsa_kernel _ZN9rocsolver6v33100L18trti2_kernel_smallILi63E19rocblas_complex_numIfEPKPS3_EEv13rocblas_fill_17rocblas_diagonal_T1_iil
		.amdhsa_group_segment_fixed_size 1016
		.amdhsa_private_segment_fixed_size 512
		.amdhsa_kernarg_size 32
		.amdhsa_user_sgpr_count 2
		.amdhsa_user_sgpr_dispatch_ptr 0
		.amdhsa_user_sgpr_queue_ptr 0
		.amdhsa_user_sgpr_kernarg_segment_ptr 1
		.amdhsa_user_sgpr_dispatch_id 0
		.amdhsa_user_sgpr_kernarg_preload_length 0
		.amdhsa_user_sgpr_kernarg_preload_offset 0
		.amdhsa_user_sgpr_private_segment_size 0
		.amdhsa_wavefront_size32 1
		.amdhsa_uses_dynamic_stack 0
		.amdhsa_enable_private_segment 1
		.amdhsa_system_sgpr_workgroup_id_x 1
		.amdhsa_system_sgpr_workgroup_id_y 0
		.amdhsa_system_sgpr_workgroup_id_z 0
		.amdhsa_system_sgpr_workgroup_info 0
		.amdhsa_system_vgpr_workitem_id 0
		.amdhsa_next_free_vgpr 189
		.amdhsa_next_free_sgpr 69
		.amdhsa_named_barrier_count 0
		.amdhsa_reserve_vcc 1
		.amdhsa_float_round_mode_32 0
		.amdhsa_float_round_mode_16_64 0
		.amdhsa_float_denorm_mode_32 3
		.amdhsa_float_denorm_mode_16_64 3
		.amdhsa_fp16_overflow 0
		.amdhsa_memory_ordered 1
		.amdhsa_forward_progress 1
		.amdhsa_inst_pref_size 255
		.amdhsa_round_robin_scheduling 0
		.amdhsa_exception_fp_ieee_invalid_op 0
		.amdhsa_exception_fp_denorm_src 0
		.amdhsa_exception_fp_ieee_div_zero 0
		.amdhsa_exception_fp_ieee_overflow 0
		.amdhsa_exception_fp_ieee_underflow 0
		.amdhsa_exception_fp_ieee_inexact 0
		.amdhsa_exception_int_div_zero 0
	.end_amdhsa_kernel
	.section	.text._ZN9rocsolver6v33100L18trti2_kernel_smallILi63E19rocblas_complex_numIfEPKPS3_EEv13rocblas_fill_17rocblas_diagonal_T1_iil,"axG",@progbits,_ZN9rocsolver6v33100L18trti2_kernel_smallILi63E19rocblas_complex_numIfEPKPS3_EEv13rocblas_fill_17rocblas_diagonal_T1_iil,comdat
.Lfunc_end126:
	.size	_ZN9rocsolver6v33100L18trti2_kernel_smallILi63E19rocblas_complex_numIfEPKPS3_EEv13rocblas_fill_17rocblas_diagonal_T1_iil, .Lfunc_end126-_ZN9rocsolver6v33100L18trti2_kernel_smallILi63E19rocblas_complex_numIfEPKPS3_EEv13rocblas_fill_17rocblas_diagonal_T1_iil
                                        ; -- End function
	.set _ZN9rocsolver6v33100L18trti2_kernel_smallILi63E19rocblas_complex_numIfEPKPS3_EEv13rocblas_fill_17rocblas_diagonal_T1_iil.num_vgpr, 189
	.set _ZN9rocsolver6v33100L18trti2_kernel_smallILi63E19rocblas_complex_numIfEPKPS3_EEv13rocblas_fill_17rocblas_diagonal_T1_iil.num_agpr, 0
	.set _ZN9rocsolver6v33100L18trti2_kernel_smallILi63E19rocblas_complex_numIfEPKPS3_EEv13rocblas_fill_17rocblas_diagonal_T1_iil.numbered_sgpr, 69
	.set _ZN9rocsolver6v33100L18trti2_kernel_smallILi63E19rocblas_complex_numIfEPKPS3_EEv13rocblas_fill_17rocblas_diagonal_T1_iil.num_named_barrier, 0
	.set _ZN9rocsolver6v33100L18trti2_kernel_smallILi63E19rocblas_complex_numIfEPKPS3_EEv13rocblas_fill_17rocblas_diagonal_T1_iil.private_seg_size, 512
	.set _ZN9rocsolver6v33100L18trti2_kernel_smallILi63E19rocblas_complex_numIfEPKPS3_EEv13rocblas_fill_17rocblas_diagonal_T1_iil.uses_vcc, 1
	.set _ZN9rocsolver6v33100L18trti2_kernel_smallILi63E19rocblas_complex_numIfEPKPS3_EEv13rocblas_fill_17rocblas_diagonal_T1_iil.uses_flat_scratch, 0
	.set _ZN9rocsolver6v33100L18trti2_kernel_smallILi63E19rocblas_complex_numIfEPKPS3_EEv13rocblas_fill_17rocblas_diagonal_T1_iil.has_dyn_sized_stack, 0
	.set _ZN9rocsolver6v33100L18trti2_kernel_smallILi63E19rocblas_complex_numIfEPKPS3_EEv13rocblas_fill_17rocblas_diagonal_T1_iil.has_recursion, 0
	.set _ZN9rocsolver6v33100L18trti2_kernel_smallILi63E19rocblas_complex_numIfEPKPS3_EEv13rocblas_fill_17rocblas_diagonal_T1_iil.has_indirect_call, 0
	.section	.AMDGPU.csdata,"",@progbits
; Kernel info:
; codeLenInByte = 48728
; TotalNumSgprs: 71
; NumVgprs: 189
; ScratchSize: 512
; MemoryBound: 0
; FloatMode: 240
; IeeeMode: 1
; LDSByteSize: 1016 bytes/workgroup (compile time only)
; SGPRBlocks: 0
; VGPRBlocks: 11
; NumSGPRsForWavesPerEU: 71
; NumVGPRsForWavesPerEU: 189
; NamedBarCnt: 0
; Occupancy: 5
; WaveLimiterHint : 1
; COMPUTE_PGM_RSRC2:SCRATCH_EN: 1
; COMPUTE_PGM_RSRC2:USER_SGPR: 2
; COMPUTE_PGM_RSRC2:TRAP_HANDLER: 0
; COMPUTE_PGM_RSRC2:TGID_X_EN: 1
; COMPUTE_PGM_RSRC2:TGID_Y_EN: 0
; COMPUTE_PGM_RSRC2:TGID_Z_EN: 0
; COMPUTE_PGM_RSRC2:TIDIG_COMP_CNT: 0
	.section	.text._ZN9rocsolver6v33100L18trti2_kernel_smallILi64E19rocblas_complex_numIfEPKPS3_EEv13rocblas_fill_17rocblas_diagonal_T1_iil,"axG",@progbits,_ZN9rocsolver6v33100L18trti2_kernel_smallILi64E19rocblas_complex_numIfEPKPS3_EEv13rocblas_fill_17rocblas_diagonal_T1_iil,comdat
	.globl	_ZN9rocsolver6v33100L18trti2_kernel_smallILi64E19rocblas_complex_numIfEPKPS3_EEv13rocblas_fill_17rocblas_diagonal_T1_iil ; -- Begin function _ZN9rocsolver6v33100L18trti2_kernel_smallILi64E19rocblas_complex_numIfEPKPS3_EEv13rocblas_fill_17rocblas_diagonal_T1_iil
	.p2align	8
	.type	_ZN9rocsolver6v33100L18trti2_kernel_smallILi64E19rocblas_complex_numIfEPKPS3_EEv13rocblas_fill_17rocblas_diagonal_T1_iil,@function
_ZN9rocsolver6v33100L18trti2_kernel_smallILi64E19rocblas_complex_numIfEPKPS3_EEv13rocblas_fill_17rocblas_diagonal_T1_iil: ; @_ZN9rocsolver6v33100L18trti2_kernel_smallILi64E19rocblas_complex_numIfEPKPS3_EEv13rocblas_fill_17rocblas_diagonal_T1_iil
; %bb.0:
	s_mov_b32 s2, exec_lo
	v_cmpx_gt_u32_e32 64, v0
	s_cbranch_execz .LBB127_1264
; %bb.1:
	s_clause 0x1
	s_load_b64 s[2:3], s[0:1], 0x10
	s_load_b128 s[4:7], s[0:1], 0x0
	s_wait_xcnt 0x0
	s_bfe_u32 s0, ttmp6, 0x4000c
	s_and_b32 s1, ttmp6, 15
	s_add_co_i32 s0, s0, 1
	s_getreg_b32 s8, hwreg(HW_REG_IB_STS2, 6, 4)
	s_mul_i32 s0, ttmp9, s0
	v_dual_mov_b32 v59, 0 :: v_dual_lshlrev_b32 v58, 3, v0
	s_add_co_i32 s0, s1, s0
	s_wait_kmcnt 0x0
	s_ashr_i32 s1, s2, 31
	s_cmp_eq_u32 s8, 0
	s_cselect_b32 s8, ttmp9, s0
	s_mov_b32 s0, s2
	s_ashr_i32 s9, s8, 31
	s_lshl_b64 s[0:1], s[0:1], 3
	s_lshl_b64 s[8:9], s[8:9], 3
	s_delay_alu instid0(SALU_CYCLE_1)
	s_add_nc_u64 s[6:7], s[6:7], s[8:9]
	s_load_b64 s[6:7], s[6:7], 0x0
	s_wait_kmcnt 0x0
	s_add_nc_u64 s[6:7], s[6:7], s[0:1]
	s_mov_b32 s0, s3
	flat_load_b64 v[6:7], v0, s[6:7] scale_offset
	v_add_nc_u64_e32 v[2:3], s[6:7], v[58:59]
	s_ashr_i32 s1, s3, 31
	s_cmp_lg_u32 s5, 0x84
	s_delay_alu instid0(VALU_DEP_1)
	v_lshl_add_u64 v[4:5], s[0:1], 3, v[2:3]
	s_mov_b32 s0, -1
	s_wait_loadcnt_dscnt 0x0
	scratch_store_b64 off, v[6:7], off
	flat_load_b64 v[8:9], v[4:5]
	s_wait_xcnt 0x1
	v_add3_u32 v6, s3, s3, v0
	s_wait_loadcnt_dscnt 0x0
	scratch_store_b64 off, v[8:9], off offset:8
	flat_load_b64 v[10:11], v6, s[6:7] scale_offset
	s_wait_xcnt 0x1
	v_add_nc_u32_e32 v8, s3, v6
	s_wait_loadcnt_dscnt 0x0
	scratch_store_b64 off, v[10:11], off offset:16
	flat_load_b64 v[12:13], v8, s[6:7] scale_offset
	s_wait_xcnt 0x1
	v_add_nc_u32_e32 v10, s3, v8
	;; [unrolled: 5-line block ×61, first 2 shown]
	s_cselect_b32 s3, -1, 0
	s_delay_alu instid0(SALU_CYCLE_1)
	s_and_b32 vcc_lo, exec_lo, s3
	s_wait_loadcnt_dscnt 0x0
	scratch_store_b64 off, v[132:133], off offset:496
	flat_load_b64 v[132:133], v130, s[6:7] scale_offset
	s_wait_loadcnt_dscnt 0x0
	scratch_store_b64 off, v[132:133], off offset:504
	s_cbranch_vccz .LBB127_7
; %bb.2:
	scratch_load_b64 v[132:133], v0, off scale_offset
                                        ; implicit-def: $vgpr137
                                        ; implicit-def: $vgpr134
	s_wait_loadcnt 0x0
	v_cmp_ngt_f32_e64 s0, |v132|, |v133|
	s_wait_xcnt 0x0
	s_and_saveexec_b32 s1, s0
	s_delay_alu instid0(SALU_CYCLE_1)
	s_xor_b32 s0, exec_lo, s1
	s_cbranch_execz .LBB127_4
; %bb.3:
	v_div_scale_f32 v1, null, v133, v133, v132
	v_div_scale_f32 v11, vcc_lo, v132, v133, v132
	s_delay_alu instid0(VALU_DEP_2) | instskip(SKIP_1) | instid1(TRANS32_DEP_1)
	v_rcp_f32_e32 v7, v1
	v_nop
	v_fma_f32 v9, -v1, v7, 1.0
	s_delay_alu instid0(VALU_DEP_1) | instskip(NEXT) | instid1(VALU_DEP_1)
	v_fmac_f32_e32 v7, v9, v7
	v_mul_f32_e32 v9, v11, v7
	s_delay_alu instid0(VALU_DEP_1) | instskip(NEXT) | instid1(VALU_DEP_1)
	v_fma_f32 v13, -v1, v9, v11
	v_fmac_f32_e32 v9, v13, v7
	s_delay_alu instid0(VALU_DEP_1) | instskip(NEXT) | instid1(VALU_DEP_1)
	v_fma_f32 v1, -v1, v9, v11
	v_div_fmas_f32 v1, v1, v7, v9
	s_delay_alu instid0(VALU_DEP_1) | instskip(NEXT) | instid1(VALU_DEP_1)
	v_div_fixup_f32 v1, v1, v133, v132
	v_fmac_f32_e32 v133, v132, v1
	s_delay_alu instid0(VALU_DEP_1) | instskip(NEXT) | instid1(VALU_DEP_1)
	v_div_scale_f32 v7, null, v133, v133, -1.0
	v_rcp_f32_e32 v9, v7
	v_nop
	s_delay_alu instid0(TRANS32_DEP_1) | instskip(NEXT) | instid1(VALU_DEP_1)
	v_fma_f32 v11, -v7, v9, 1.0
	v_fmac_f32_e32 v9, v11, v9
	v_div_scale_f32 v11, vcc_lo, -1.0, v133, -1.0
	s_delay_alu instid0(VALU_DEP_1) | instskip(NEXT) | instid1(VALU_DEP_1)
	v_mul_f32_e32 v13, v11, v9
	v_fma_f32 v15, -v7, v13, v11
	s_delay_alu instid0(VALU_DEP_1) | instskip(NEXT) | instid1(VALU_DEP_1)
	v_fmac_f32_e32 v13, v15, v9
	v_fma_f32 v7, -v7, v13, v11
	s_delay_alu instid0(VALU_DEP_1) | instskip(NEXT) | instid1(VALU_DEP_1)
	v_div_fmas_f32 v7, v7, v9, v13
	v_div_fixup_f32 v137, v7, v133, -1.0
                                        ; implicit-def: $vgpr132_vgpr133
	s_delay_alu instid0(VALU_DEP_1) | instskip(NEXT) | instid1(VALU_DEP_1)
	v_mul_f32_e32 v134, v1, v137
	v_xor_b32_e32 v136, 0x80000000, v134
.LBB127_4:
	s_or_saveexec_b32 s0, s0
	v_lshl_add_u32 v1, v0, 3, 0
	s_xor_b32 exec_lo, exec_lo, s0
	s_cbranch_execz .LBB127_6
; %bb.5:
	v_div_scale_f32 v7, null, v132, v132, v133
	v_div_scale_f32 v13, vcc_lo, v133, v132, v133
	s_delay_alu instid0(VALU_DEP_2) | instskip(SKIP_1) | instid1(TRANS32_DEP_1)
	v_rcp_f32_e32 v9, v7
	v_nop
	v_fma_f32 v11, -v7, v9, 1.0
	s_delay_alu instid0(VALU_DEP_1) | instskip(NEXT) | instid1(VALU_DEP_1)
	v_fmac_f32_e32 v9, v11, v9
	v_mul_f32_e32 v11, v13, v9
	s_delay_alu instid0(VALU_DEP_1) | instskip(NEXT) | instid1(VALU_DEP_1)
	v_fma_f32 v15, -v7, v11, v13
	v_fmac_f32_e32 v11, v15, v9
	s_delay_alu instid0(VALU_DEP_1) | instskip(NEXT) | instid1(VALU_DEP_1)
	v_fma_f32 v7, -v7, v11, v13
	v_div_fmas_f32 v7, v7, v9, v11
	s_delay_alu instid0(VALU_DEP_1) | instskip(NEXT) | instid1(VALU_DEP_1)
	v_div_fixup_f32 v7, v7, v132, v133
	v_fmac_f32_e32 v132, v133, v7
	s_delay_alu instid0(VALU_DEP_1) | instskip(SKIP_1) | instid1(VALU_DEP_2)
	v_div_scale_f32 v9, null, v132, v132, 1.0
	v_div_scale_f32 v15, vcc_lo, 1.0, v132, 1.0
	v_rcp_f32_e32 v11, v9
	v_nop
	s_delay_alu instid0(TRANS32_DEP_1) | instskip(NEXT) | instid1(VALU_DEP_1)
	v_fma_f32 v13, -v9, v11, 1.0
	v_fmac_f32_e32 v11, v13, v11
	s_delay_alu instid0(VALU_DEP_1) | instskip(NEXT) | instid1(VALU_DEP_1)
	v_mul_f32_e32 v13, v15, v11
	v_fma_f32 v17, -v9, v13, v15
	s_delay_alu instid0(VALU_DEP_1) | instskip(NEXT) | instid1(VALU_DEP_1)
	v_fmac_f32_e32 v13, v17, v11
	v_fma_f32 v9, -v9, v13, v15
	s_delay_alu instid0(VALU_DEP_1) | instskip(NEXT) | instid1(VALU_DEP_1)
	v_div_fmas_f32 v9, v9, v11, v13
	v_div_fixup_f32 v136, v9, v132, 1.0
	s_delay_alu instid0(VALU_DEP_1)
	v_xor_b32_e32 v134, 0x80000000, v136
	v_mul_f32_e64 v137, v7, -v136
.LBB127_6:
	s_or_b32 exec_lo, exec_lo, s0
	s_delay_alu instid0(VALU_DEP_1)
	v_xor_b32_e32 v135, 0x80000000, v137
	s_mov_b32 s0, 0
	scratch_store_b64 v1, v[136:137], off
	ds_store_b64 v58, v[134:135]
.LBB127_7:
	s_and_b32 vcc_lo, exec_lo, s0
	s_cbranch_vccz .LBB127_9
; %bb.8:
	s_mov_b64 s[0:1], 0xbf800000
	s_wait_xcnt 0x0
	v_mov_b64_e32 v[132:133], s[0:1]
	ds_store_b64 v58, v[132:133]
.LBB127_9:
	v_dual_ashrrev_i32 v7, 31, v6 :: v_dual_ashrrev_i32 v9, 31, v8
	v_dual_ashrrev_i32 v11, 31, v10 :: v_dual_ashrrev_i32 v13, 31, v12
	;; [unrolled: 1-line block ×31, first 2 shown]
	s_wait_xcnt 0x0
	v_or_b32_e32 v1, 0x200, v58
	v_mov_b32_e32 v59, v58
	s_cmp_eq_u32 s4, 0x79
	s_cbranch_scc1 .LBB127_13
; %bb.10:
	scratch_load_b64 v[132:133], off, off offset:496
	v_cmp_eq_u32_e64 s0, 63, v0
	s_movk_i32 s1, 0x48
	s_movk_i32 s14, 0x50
	;; [unrolled: 1-line block ×53, first 2 shown]
	s_wait_loadcnt 0x0
	ds_store_b64 v1, v[132:133]
	s_wait_storecnt_dscnt 0x0
	s_barrier_signal -1
	s_barrier_wait -1
	s_wait_xcnt 0x0
	s_and_saveexec_b32 s2, s0
	s_cbranch_execz .LBB127_17
; %bb.11:
	s_and_b32 vcc_lo, exec_lo, s3
	s_cbranch_vccz .LBB127_14
; %bb.12:
	scratch_load_b64 v[132:133], v59, off
	ds_load_b64 v[134:135], v1
	s_wait_loadcnt_dscnt 0x0
	v_pk_mul_f32 v[136:137], v[134:135], v[132:133] op_sel:[1,1] op_sel_hi:[0,1]
	v_pk_mul_f32 v[138:139], v[134:135], v[132:133] op_sel_hi:[1,0]
	s_delay_alu instid0(VALU_DEP_2) | instskip(NEXT) | instid1(VALU_DEP_2)
	v_pk_fma_f32 v[132:133], v[134:135], v[132:133], v[136:137] op_sel_hi:[1,0,1]
	v_sub_f32_e32 v132, v138, v136
	s_cbranch_execz .LBB127_15
	s_branch .LBB127_16
.LBB127_13:
	s_mov_b32 s1, 0
                                        ; implicit-def: $vgpr192
                                        ; implicit-def: $sgpr5
	s_cbranch_execnz .LBB127_636
	s_branch .LBB127_1261
.LBB127_14:
                                        ; implicit-def: $vgpr133
.LBB127_15:
	ds_load_b64 v[132:133], v1
.LBB127_16:
	s_wait_dscnt 0x0
	v_dual_mov_b32 v134, 0 :: v_dual_mov_b32 v136, v133
	v_mov_b32_e32 v137, v132
	ds_load_b64 v[134:135], v134 offset:496
	s_wait_dscnt 0x0
	v_pk_mul_f32 v[136:137], v[136:137], v[134:135] op_sel:[0,1]
	s_delay_alu instid0(VALU_DEP_1) | instskip(SKIP_1) | instid1(VALU_DEP_2)
	v_pk_fma_f32 v[138:139], v[132:133], v[134:135], v[136:137] op_sel_hi:[1,0,1]
	v_pk_fma_f32 v[132:133], v[132:133], v[134:135], v[136:137] neg_lo:[0,0,1] neg_hi:[0,0,1]
	v_mov_b32_e32 v133, v139
	scratch_store_b64 off, v[132:133], off offset:496
.LBB127_17:
	s_wait_xcnt 0x0
	s_or_b32 exec_lo, exec_lo, s2
	scratch_load_b64 v[132:133], off, off offset:488
	s_mov_b32 s13, s1
	v_cmp_lt_u32_e64 s1, 61, v0
	s_or_b32 s4, 0, 8
	s_mov_b32 s5, 16
	s_mov_b32 s8, 24
	;; [unrolled: 1-line block ×7, first 2 shown]
	s_wait_loadcnt 0x0
	ds_store_b64 v1, v[132:133]
	s_wait_storecnt_dscnt 0x0
	s_barrier_signal -1
	s_barrier_wait -1
	s_wait_xcnt 0x0
	s_and_saveexec_b32 s67, s1
	s_cbranch_execz .LBB127_25
; %bb.18:
	s_and_not1_b32 vcc_lo, exec_lo, s3
	s_cbranch_vccnz .LBB127_20
; %bb.19:
	scratch_load_b64 v[132:133], v59, off
	ds_load_b64 v[134:135], v1
	s_wait_loadcnt_dscnt 0x0
	v_pk_mul_f32 v[136:137], v[134:135], v[132:133] op_sel:[1,1] op_sel_hi:[0,1]
	s_delay_alu instid0(VALU_DEP_1) | instskip(SKIP_1) | instid1(VALU_DEP_2)
	v_pk_fma_f32 v[138:139], v[134:135], v[132:133], v[136:137] op_sel_hi:[1,0,1]
	v_pk_fma_f32 v[132:133], v[134:135], v[132:133], v[136:137] neg_lo:[0,0,1] neg_hi:[0,0,1]
	v_mov_b32_e32 v133, v139
	s_cbranch_execz .LBB127_21
	s_branch .LBB127_22
.LBB127_20:
                                        ; implicit-def: $vgpr132_vgpr133
.LBB127_21:
	ds_load_b64 v[132:133], v1
.LBB127_22:
	s_and_saveexec_b32 s68, s0
	s_cbranch_execz .LBB127_24
; %bb.23:
	scratch_load_b64 v[134:135], off, off offset:496
	v_mov_b32_e32 v136, 0
	ds_load_b64 v[136:137], v136 offset:1008
	s_wait_loadcnt_dscnt 0x0
	v_pk_mul_f32 v[138:139], v[136:137], v[134:135] op_sel:[1,1] op_sel_hi:[0,1]
	s_delay_alu instid0(VALU_DEP_1) | instskip(SKIP_1) | instid1(VALU_DEP_2)
	v_pk_fma_f32 v[140:141], v[136:137], v[134:135], v[138:139] op_sel_hi:[1,0,1]
	v_pk_fma_f32 v[134:135], v[136:137], v[134:135], v[138:139] neg_lo:[0,0,1] neg_hi:[0,0,1]
	v_mov_b32_e32 v135, v141
	s_delay_alu instid0(VALU_DEP_1)
	v_pk_add_f32 v[132:133], v[132:133], v[134:135]
.LBB127_24:
	s_or_b32 exec_lo, exec_lo, s68
	v_mov_b32_e32 v134, 0
	ds_load_b64 v[134:135], v134 offset:488
	s_wait_dscnt 0x0
	v_pk_mul_f32 v[136:137], v[132:133], v[134:135] op_sel:[1,1] op_sel_hi:[0,1]
	s_delay_alu instid0(VALU_DEP_1) | instskip(SKIP_1) | instid1(VALU_DEP_2)
	v_pk_fma_f32 v[138:139], v[132:133], v[134:135], v[136:137] op_sel_hi:[1,0,1]
	v_pk_fma_f32 v[132:133], v[132:133], v[134:135], v[136:137] neg_lo:[0,0,1] neg_hi:[0,0,1]
	v_mov_b32_e32 v133, v139
	scratch_store_b64 off, v[132:133], off offset:488
.LBB127_25:
	s_wait_xcnt 0x0
	s_or_b32 exec_lo, exec_lo, s67
	scratch_load_b64 v[132:133], off, off offset:480
	v_cmp_lt_u32_e64 s0, 60, v0
	s_wait_loadcnt 0x0
	ds_store_b64 v1, v[132:133]
	s_wait_storecnt_dscnt 0x0
	s_barrier_signal -1
	s_barrier_wait -1
	s_wait_xcnt 0x0
	s_and_saveexec_b32 s67, s0
	s_cbranch_execz .LBB127_35
; %bb.26:
	s_and_not1_b32 vcc_lo, exec_lo, s3
	s_cbranch_vccnz .LBB127_28
; %bb.27:
	scratch_load_b64 v[132:133], v59, off
	ds_load_b64 v[134:135], v1
	s_wait_loadcnt_dscnt 0x0
	v_pk_mul_f32 v[136:137], v[134:135], v[132:133] op_sel:[1,1] op_sel_hi:[0,1]
	s_delay_alu instid0(VALU_DEP_1) | instskip(SKIP_1) | instid1(VALU_DEP_2)
	v_pk_fma_f32 v[138:139], v[134:135], v[132:133], v[136:137] op_sel_hi:[1,0,1]
	v_pk_fma_f32 v[132:133], v[134:135], v[132:133], v[136:137] neg_lo:[0,0,1] neg_hi:[0,0,1]
	v_mov_b32_e32 v133, v139
	s_cbranch_execz .LBB127_29
	s_branch .LBB127_30
.LBB127_28:
                                        ; implicit-def: $vgpr132_vgpr133
.LBB127_29:
	ds_load_b64 v[132:133], v1
.LBB127_30:
	s_and_saveexec_b32 s68, s1
	s_cbranch_execz .LBB127_34
; %bb.31:
	v_subrev_nc_u32_e32 v134, 61, v0
	s_movk_i32 s69, 0x3e8
	s_mov_b32 s1, 0
.LBB127_32:                             ; =>This Inner Loop Header: Depth=1
	scratch_load_b64 v[136:137], off, s66
	v_dual_mov_b32 v135, s69 :: v_dual_add_nc_u32 v134, -1, v134
	s_add_co_i32 s69, s69, 8
	s_wait_xcnt 0x0
	s_add_co_i32 s66, s66, 8
	ds_load_b64 v[138:139], v135
	v_cmp_eq_u32_e32 vcc_lo, 0, v134
	s_or_b32 s1, vcc_lo, s1
	s_wait_loadcnt_dscnt 0x0
	v_pk_mul_f32 v[140:141], v[138:139], v[136:137] op_sel:[1,1] op_sel_hi:[0,1]
	s_delay_alu instid0(VALU_DEP_1) | instskip(SKIP_1) | instid1(VALU_DEP_2)
	v_pk_fma_f32 v[142:143], v[138:139], v[136:137], v[140:141] op_sel_hi:[1,0,1]
	v_pk_fma_f32 v[136:137], v[138:139], v[136:137], v[140:141] neg_lo:[0,0,1] neg_hi:[0,0,1]
	v_mov_b32_e32 v137, v143
	s_delay_alu instid0(VALU_DEP_1)
	v_pk_add_f32 v[132:133], v[132:133], v[136:137]
	s_and_not1_b32 exec_lo, exec_lo, s1
	s_cbranch_execnz .LBB127_32
; %bb.33:
	s_or_b32 exec_lo, exec_lo, s1
.LBB127_34:
	s_delay_alu instid0(SALU_CYCLE_1) | instskip(SKIP_4) | instid1(VALU_DEP_1)
	s_or_b32 exec_lo, exec_lo, s68
	v_mov_b32_e32 v134, 0
	ds_load_b64 v[134:135], v134 offset:480
	s_wait_dscnt 0x0
	v_pk_mul_f32 v[136:137], v[132:133], v[134:135] op_sel:[1,1] op_sel_hi:[0,1]
	v_pk_fma_f32 v[138:139], v[132:133], v[134:135], v[136:137] op_sel_hi:[1,0,1]
	v_pk_fma_f32 v[132:133], v[132:133], v[134:135], v[136:137] neg_lo:[0,0,1] neg_hi:[0,0,1]
	s_delay_alu instid0(VALU_DEP_2)
	v_mov_b32_e32 v133, v139
	scratch_store_b64 off, v[132:133], off offset:480
.LBB127_35:
	s_wait_xcnt 0x0
	s_or_b32 exec_lo, exec_lo, s67
	scratch_load_b64 v[132:133], off, off offset:472
	v_cmp_lt_u32_e64 s1, 59, v0
	s_wait_loadcnt 0x0
	ds_store_b64 v1, v[132:133]
	s_wait_storecnt_dscnt 0x0
	s_barrier_signal -1
	s_barrier_wait -1
	s_wait_xcnt 0x0
	s_and_saveexec_b32 s66, s1
	s_cbranch_execz .LBB127_45
; %bb.36:
	s_and_not1_b32 vcc_lo, exec_lo, s3
	s_cbranch_vccnz .LBB127_38
; %bb.37:
	scratch_load_b64 v[132:133], v59, off
	ds_load_b64 v[134:135], v1
	s_wait_loadcnt_dscnt 0x0
	v_pk_mul_f32 v[136:137], v[134:135], v[132:133] op_sel:[1,1] op_sel_hi:[0,1]
	s_delay_alu instid0(VALU_DEP_1) | instskip(SKIP_1) | instid1(VALU_DEP_2)
	v_pk_fma_f32 v[138:139], v[134:135], v[132:133], v[136:137] op_sel_hi:[1,0,1]
	v_pk_fma_f32 v[132:133], v[134:135], v[132:133], v[136:137] neg_lo:[0,0,1] neg_hi:[0,0,1]
	v_mov_b32_e32 v133, v139
	s_cbranch_execz .LBB127_39
	s_branch .LBB127_40
.LBB127_38:
                                        ; implicit-def: $vgpr132_vgpr133
.LBB127_39:
	ds_load_b64 v[132:133], v1
.LBB127_40:
	s_and_saveexec_b32 s67, s0
	s_cbranch_execz .LBB127_44
; %bb.41:
	v_subrev_nc_u32_e32 v134, 60, v0
	s_movk_i32 s68, 0x3e0
	s_mov_b32 s0, 0
.LBB127_42:                             ; =>This Inner Loop Header: Depth=1
	scratch_load_b64 v[136:137], off, s65
	v_dual_mov_b32 v135, s68 :: v_dual_add_nc_u32 v134, -1, v134
	s_add_co_i32 s68, s68, 8
	s_wait_xcnt 0x0
	s_add_co_i32 s65, s65, 8
	ds_load_b64 v[138:139], v135
	v_cmp_eq_u32_e32 vcc_lo, 0, v134
	s_or_b32 s0, vcc_lo, s0
	s_wait_loadcnt_dscnt 0x0
	v_pk_mul_f32 v[140:141], v[138:139], v[136:137] op_sel:[1,1] op_sel_hi:[0,1]
	s_delay_alu instid0(VALU_DEP_1) | instskip(SKIP_1) | instid1(VALU_DEP_2)
	v_pk_fma_f32 v[142:143], v[138:139], v[136:137], v[140:141] op_sel_hi:[1,0,1]
	v_pk_fma_f32 v[136:137], v[138:139], v[136:137], v[140:141] neg_lo:[0,0,1] neg_hi:[0,0,1]
	v_mov_b32_e32 v137, v143
	s_delay_alu instid0(VALU_DEP_1)
	v_pk_add_f32 v[132:133], v[132:133], v[136:137]
	s_and_not1_b32 exec_lo, exec_lo, s0
	s_cbranch_execnz .LBB127_42
; %bb.43:
	s_or_b32 exec_lo, exec_lo, s0
.LBB127_44:
	s_delay_alu instid0(SALU_CYCLE_1) | instskip(SKIP_4) | instid1(VALU_DEP_1)
	s_or_b32 exec_lo, exec_lo, s67
	v_mov_b32_e32 v134, 0
	ds_load_b64 v[134:135], v134 offset:472
	s_wait_dscnt 0x0
	v_pk_mul_f32 v[136:137], v[132:133], v[134:135] op_sel:[1,1] op_sel_hi:[0,1]
	v_pk_fma_f32 v[138:139], v[132:133], v[134:135], v[136:137] op_sel_hi:[1,0,1]
	v_pk_fma_f32 v[132:133], v[132:133], v[134:135], v[136:137] neg_lo:[0,0,1] neg_hi:[0,0,1]
	s_delay_alu instid0(VALU_DEP_2)
	v_mov_b32_e32 v133, v139
	scratch_store_b64 off, v[132:133], off offset:472
.LBB127_45:
	s_wait_xcnt 0x0
	s_or_b32 exec_lo, exec_lo, s66
	scratch_load_b64 v[132:133], off, off offset:464
	v_cmp_lt_u32_e64 s0, 58, v0
	s_wait_loadcnt 0x0
	ds_store_b64 v1, v[132:133]
	s_wait_storecnt_dscnt 0x0
	s_barrier_signal -1
	s_barrier_wait -1
	s_wait_xcnt 0x0
	s_and_saveexec_b32 s65, s0
	s_cbranch_execz .LBB127_55
; %bb.46:
	s_and_not1_b32 vcc_lo, exec_lo, s3
	s_cbranch_vccnz .LBB127_48
; %bb.47:
	scratch_load_b64 v[132:133], v59, off
	ds_load_b64 v[134:135], v1
	s_wait_loadcnt_dscnt 0x0
	v_pk_mul_f32 v[136:137], v[134:135], v[132:133] op_sel:[1,1] op_sel_hi:[0,1]
	s_delay_alu instid0(VALU_DEP_1) | instskip(SKIP_1) | instid1(VALU_DEP_2)
	v_pk_fma_f32 v[138:139], v[134:135], v[132:133], v[136:137] op_sel_hi:[1,0,1]
	v_pk_fma_f32 v[132:133], v[134:135], v[132:133], v[136:137] neg_lo:[0,0,1] neg_hi:[0,0,1]
	v_mov_b32_e32 v133, v139
	s_cbranch_execz .LBB127_49
	s_branch .LBB127_50
.LBB127_48:
                                        ; implicit-def: $vgpr132_vgpr133
.LBB127_49:
	ds_load_b64 v[132:133], v1
.LBB127_50:
	s_and_saveexec_b32 s66, s1
	s_cbranch_execz .LBB127_54
; %bb.51:
	v_subrev_nc_u32_e32 v134, 59, v0
	s_movk_i32 s67, 0x3d8
	s_mov_b32 s1, 0
.LBB127_52:                             ; =>This Inner Loop Header: Depth=1
	scratch_load_b64 v[136:137], off, s64
	v_dual_mov_b32 v135, s67 :: v_dual_add_nc_u32 v134, -1, v134
	s_add_co_i32 s67, s67, 8
	s_wait_xcnt 0x0
	s_add_co_i32 s64, s64, 8
	ds_load_b64 v[138:139], v135
	v_cmp_eq_u32_e32 vcc_lo, 0, v134
	s_or_b32 s1, vcc_lo, s1
	s_wait_loadcnt_dscnt 0x0
	v_pk_mul_f32 v[140:141], v[138:139], v[136:137] op_sel:[1,1] op_sel_hi:[0,1]
	s_delay_alu instid0(VALU_DEP_1) | instskip(SKIP_1) | instid1(VALU_DEP_2)
	v_pk_fma_f32 v[142:143], v[138:139], v[136:137], v[140:141] op_sel_hi:[1,0,1]
	v_pk_fma_f32 v[136:137], v[138:139], v[136:137], v[140:141] neg_lo:[0,0,1] neg_hi:[0,0,1]
	v_mov_b32_e32 v137, v143
	s_delay_alu instid0(VALU_DEP_1)
	v_pk_add_f32 v[132:133], v[132:133], v[136:137]
	s_and_not1_b32 exec_lo, exec_lo, s1
	s_cbranch_execnz .LBB127_52
; %bb.53:
	s_or_b32 exec_lo, exec_lo, s1
.LBB127_54:
	s_delay_alu instid0(SALU_CYCLE_1) | instskip(SKIP_4) | instid1(VALU_DEP_1)
	s_or_b32 exec_lo, exec_lo, s66
	v_mov_b32_e32 v134, 0
	ds_load_b64 v[134:135], v134 offset:464
	s_wait_dscnt 0x0
	v_pk_mul_f32 v[136:137], v[132:133], v[134:135] op_sel:[1,1] op_sel_hi:[0,1]
	v_pk_fma_f32 v[138:139], v[132:133], v[134:135], v[136:137] op_sel_hi:[1,0,1]
	v_pk_fma_f32 v[132:133], v[132:133], v[134:135], v[136:137] neg_lo:[0,0,1] neg_hi:[0,0,1]
	s_delay_alu instid0(VALU_DEP_2)
	v_mov_b32_e32 v133, v139
	scratch_store_b64 off, v[132:133], off offset:464
.LBB127_55:
	s_wait_xcnt 0x0
	s_or_b32 exec_lo, exec_lo, s65
	scratch_load_b64 v[132:133], off, off offset:456
	v_cmp_lt_u32_e64 s1, 57, v0
	s_wait_loadcnt 0x0
	ds_store_b64 v1, v[132:133]
	s_wait_storecnt_dscnt 0x0
	s_barrier_signal -1
	s_barrier_wait -1
	s_wait_xcnt 0x0
	s_and_saveexec_b32 s64, s1
	s_cbranch_execz .LBB127_65
; %bb.56:
	s_and_not1_b32 vcc_lo, exec_lo, s3
	s_cbranch_vccnz .LBB127_58
; %bb.57:
	scratch_load_b64 v[132:133], v59, off
	ds_load_b64 v[134:135], v1
	s_wait_loadcnt_dscnt 0x0
	v_pk_mul_f32 v[136:137], v[134:135], v[132:133] op_sel:[1,1] op_sel_hi:[0,1]
	s_delay_alu instid0(VALU_DEP_1) | instskip(SKIP_1) | instid1(VALU_DEP_2)
	v_pk_fma_f32 v[138:139], v[134:135], v[132:133], v[136:137] op_sel_hi:[1,0,1]
	v_pk_fma_f32 v[132:133], v[134:135], v[132:133], v[136:137] neg_lo:[0,0,1] neg_hi:[0,0,1]
	v_mov_b32_e32 v133, v139
	s_cbranch_execz .LBB127_59
	s_branch .LBB127_60
.LBB127_58:
                                        ; implicit-def: $vgpr132_vgpr133
.LBB127_59:
	ds_load_b64 v[132:133], v1
.LBB127_60:
	s_and_saveexec_b32 s65, s0
	s_cbranch_execz .LBB127_64
; %bb.61:
	v_subrev_nc_u32_e32 v134, 58, v0
	s_movk_i32 s66, 0x3d0
	s_mov_b32 s0, 0
.LBB127_62:                             ; =>This Inner Loop Header: Depth=1
	scratch_load_b64 v[136:137], off, s63
	v_dual_mov_b32 v135, s66 :: v_dual_add_nc_u32 v134, -1, v134
	s_add_co_i32 s66, s66, 8
	s_wait_xcnt 0x0
	s_add_co_i32 s63, s63, 8
	ds_load_b64 v[138:139], v135
	v_cmp_eq_u32_e32 vcc_lo, 0, v134
	s_or_b32 s0, vcc_lo, s0
	s_wait_loadcnt_dscnt 0x0
	v_pk_mul_f32 v[140:141], v[138:139], v[136:137] op_sel:[1,1] op_sel_hi:[0,1]
	s_delay_alu instid0(VALU_DEP_1) | instskip(SKIP_1) | instid1(VALU_DEP_2)
	v_pk_fma_f32 v[142:143], v[138:139], v[136:137], v[140:141] op_sel_hi:[1,0,1]
	v_pk_fma_f32 v[136:137], v[138:139], v[136:137], v[140:141] neg_lo:[0,0,1] neg_hi:[0,0,1]
	v_mov_b32_e32 v137, v143
	s_delay_alu instid0(VALU_DEP_1)
	v_pk_add_f32 v[132:133], v[132:133], v[136:137]
	s_and_not1_b32 exec_lo, exec_lo, s0
	s_cbranch_execnz .LBB127_62
; %bb.63:
	s_or_b32 exec_lo, exec_lo, s0
.LBB127_64:
	s_delay_alu instid0(SALU_CYCLE_1) | instskip(SKIP_4) | instid1(VALU_DEP_1)
	s_or_b32 exec_lo, exec_lo, s65
	v_mov_b32_e32 v134, 0
	ds_load_b64 v[134:135], v134 offset:456
	s_wait_dscnt 0x0
	v_pk_mul_f32 v[136:137], v[132:133], v[134:135] op_sel:[1,1] op_sel_hi:[0,1]
	v_pk_fma_f32 v[138:139], v[132:133], v[134:135], v[136:137] op_sel_hi:[1,0,1]
	v_pk_fma_f32 v[132:133], v[132:133], v[134:135], v[136:137] neg_lo:[0,0,1] neg_hi:[0,0,1]
	s_delay_alu instid0(VALU_DEP_2)
	v_mov_b32_e32 v133, v139
	scratch_store_b64 off, v[132:133], off offset:456
.LBB127_65:
	s_wait_xcnt 0x0
	s_or_b32 exec_lo, exec_lo, s64
	scratch_load_b64 v[132:133], off, off offset:448
	v_cmp_lt_u32_e64 s0, 56, v0
	s_wait_loadcnt 0x0
	ds_store_b64 v1, v[132:133]
	s_wait_storecnt_dscnt 0x0
	s_barrier_signal -1
	s_barrier_wait -1
	s_wait_xcnt 0x0
	s_and_saveexec_b32 s63, s0
	s_cbranch_execz .LBB127_75
; %bb.66:
	s_and_not1_b32 vcc_lo, exec_lo, s3
	s_cbranch_vccnz .LBB127_68
; %bb.67:
	scratch_load_b64 v[132:133], v59, off
	ds_load_b64 v[134:135], v1
	s_wait_loadcnt_dscnt 0x0
	v_pk_mul_f32 v[136:137], v[134:135], v[132:133] op_sel:[1,1] op_sel_hi:[0,1]
	s_delay_alu instid0(VALU_DEP_1) | instskip(SKIP_1) | instid1(VALU_DEP_2)
	v_pk_fma_f32 v[138:139], v[134:135], v[132:133], v[136:137] op_sel_hi:[1,0,1]
	v_pk_fma_f32 v[132:133], v[134:135], v[132:133], v[136:137] neg_lo:[0,0,1] neg_hi:[0,0,1]
	v_mov_b32_e32 v133, v139
	s_cbranch_execz .LBB127_69
	s_branch .LBB127_70
.LBB127_68:
                                        ; implicit-def: $vgpr132_vgpr133
.LBB127_69:
	ds_load_b64 v[132:133], v1
.LBB127_70:
	s_and_saveexec_b32 s64, s1
	s_cbranch_execz .LBB127_74
; %bb.71:
	v_subrev_nc_u32_e32 v134, 57, v0
	s_movk_i32 s65, 0x3c8
	s_mov_b32 s1, 0
.LBB127_72:                             ; =>This Inner Loop Header: Depth=1
	scratch_load_b64 v[136:137], off, s62
	v_dual_mov_b32 v135, s65 :: v_dual_add_nc_u32 v134, -1, v134
	s_add_co_i32 s65, s65, 8
	s_wait_xcnt 0x0
	s_add_co_i32 s62, s62, 8
	ds_load_b64 v[138:139], v135
	v_cmp_eq_u32_e32 vcc_lo, 0, v134
	s_or_b32 s1, vcc_lo, s1
	s_wait_loadcnt_dscnt 0x0
	v_pk_mul_f32 v[140:141], v[138:139], v[136:137] op_sel:[1,1] op_sel_hi:[0,1]
	s_delay_alu instid0(VALU_DEP_1) | instskip(SKIP_1) | instid1(VALU_DEP_2)
	v_pk_fma_f32 v[142:143], v[138:139], v[136:137], v[140:141] op_sel_hi:[1,0,1]
	v_pk_fma_f32 v[136:137], v[138:139], v[136:137], v[140:141] neg_lo:[0,0,1] neg_hi:[0,0,1]
	v_mov_b32_e32 v137, v143
	s_delay_alu instid0(VALU_DEP_1)
	v_pk_add_f32 v[132:133], v[132:133], v[136:137]
	s_and_not1_b32 exec_lo, exec_lo, s1
	s_cbranch_execnz .LBB127_72
; %bb.73:
	s_or_b32 exec_lo, exec_lo, s1
.LBB127_74:
	s_delay_alu instid0(SALU_CYCLE_1) | instskip(SKIP_4) | instid1(VALU_DEP_1)
	s_or_b32 exec_lo, exec_lo, s64
	v_mov_b32_e32 v134, 0
	ds_load_b64 v[134:135], v134 offset:448
	s_wait_dscnt 0x0
	v_pk_mul_f32 v[136:137], v[132:133], v[134:135] op_sel:[1,1] op_sel_hi:[0,1]
	v_pk_fma_f32 v[138:139], v[132:133], v[134:135], v[136:137] op_sel_hi:[1,0,1]
	v_pk_fma_f32 v[132:133], v[132:133], v[134:135], v[136:137] neg_lo:[0,0,1] neg_hi:[0,0,1]
	s_delay_alu instid0(VALU_DEP_2)
	v_mov_b32_e32 v133, v139
	scratch_store_b64 off, v[132:133], off offset:448
.LBB127_75:
	s_wait_xcnt 0x0
	s_or_b32 exec_lo, exec_lo, s63
	scratch_load_b64 v[132:133], off, off offset:440
	v_cmp_lt_u32_e64 s1, 55, v0
	s_wait_loadcnt 0x0
	ds_store_b64 v1, v[132:133]
	s_wait_storecnt_dscnt 0x0
	s_barrier_signal -1
	s_barrier_wait -1
	s_wait_xcnt 0x0
	s_and_saveexec_b32 s62, s1
	s_cbranch_execz .LBB127_85
; %bb.76:
	s_and_not1_b32 vcc_lo, exec_lo, s3
	s_cbranch_vccnz .LBB127_78
; %bb.77:
	scratch_load_b64 v[132:133], v59, off
	ds_load_b64 v[134:135], v1
	s_wait_loadcnt_dscnt 0x0
	v_pk_mul_f32 v[136:137], v[134:135], v[132:133] op_sel:[1,1] op_sel_hi:[0,1]
	s_delay_alu instid0(VALU_DEP_1) | instskip(SKIP_1) | instid1(VALU_DEP_2)
	v_pk_fma_f32 v[138:139], v[134:135], v[132:133], v[136:137] op_sel_hi:[1,0,1]
	v_pk_fma_f32 v[132:133], v[134:135], v[132:133], v[136:137] neg_lo:[0,0,1] neg_hi:[0,0,1]
	v_mov_b32_e32 v133, v139
	s_cbranch_execz .LBB127_79
	s_branch .LBB127_80
.LBB127_78:
                                        ; implicit-def: $vgpr132_vgpr133
.LBB127_79:
	ds_load_b64 v[132:133], v1
.LBB127_80:
	s_and_saveexec_b32 s63, s0
	s_cbranch_execz .LBB127_84
; %bb.81:
	v_subrev_nc_u32_e32 v134, 56, v0
	s_movk_i32 s64, 0x3c0
	s_mov_b32 s0, 0
.LBB127_82:                             ; =>This Inner Loop Header: Depth=1
	scratch_load_b64 v[136:137], off, s61
	v_dual_mov_b32 v135, s64 :: v_dual_add_nc_u32 v134, -1, v134
	s_add_co_i32 s64, s64, 8
	s_wait_xcnt 0x0
	s_add_co_i32 s61, s61, 8
	ds_load_b64 v[138:139], v135
	v_cmp_eq_u32_e32 vcc_lo, 0, v134
	s_or_b32 s0, vcc_lo, s0
	s_wait_loadcnt_dscnt 0x0
	v_pk_mul_f32 v[140:141], v[138:139], v[136:137] op_sel:[1,1] op_sel_hi:[0,1]
	s_delay_alu instid0(VALU_DEP_1) | instskip(SKIP_1) | instid1(VALU_DEP_2)
	v_pk_fma_f32 v[142:143], v[138:139], v[136:137], v[140:141] op_sel_hi:[1,0,1]
	v_pk_fma_f32 v[136:137], v[138:139], v[136:137], v[140:141] neg_lo:[0,0,1] neg_hi:[0,0,1]
	v_mov_b32_e32 v137, v143
	s_delay_alu instid0(VALU_DEP_1)
	v_pk_add_f32 v[132:133], v[132:133], v[136:137]
	s_and_not1_b32 exec_lo, exec_lo, s0
	s_cbranch_execnz .LBB127_82
; %bb.83:
	s_or_b32 exec_lo, exec_lo, s0
.LBB127_84:
	s_delay_alu instid0(SALU_CYCLE_1) | instskip(SKIP_4) | instid1(VALU_DEP_1)
	s_or_b32 exec_lo, exec_lo, s63
	v_mov_b32_e32 v134, 0
	ds_load_b64 v[134:135], v134 offset:440
	s_wait_dscnt 0x0
	v_pk_mul_f32 v[136:137], v[132:133], v[134:135] op_sel:[1,1] op_sel_hi:[0,1]
	v_pk_fma_f32 v[138:139], v[132:133], v[134:135], v[136:137] op_sel_hi:[1,0,1]
	v_pk_fma_f32 v[132:133], v[132:133], v[134:135], v[136:137] neg_lo:[0,0,1] neg_hi:[0,0,1]
	s_delay_alu instid0(VALU_DEP_2)
	v_mov_b32_e32 v133, v139
	scratch_store_b64 off, v[132:133], off offset:440
.LBB127_85:
	s_wait_xcnt 0x0
	s_or_b32 exec_lo, exec_lo, s62
	scratch_load_b64 v[132:133], off, off offset:432
	v_cmp_lt_u32_e64 s0, 54, v0
	s_wait_loadcnt 0x0
	ds_store_b64 v1, v[132:133]
	s_wait_storecnt_dscnt 0x0
	s_barrier_signal -1
	s_barrier_wait -1
	s_wait_xcnt 0x0
	s_and_saveexec_b32 s61, s0
	s_cbranch_execz .LBB127_95
; %bb.86:
	s_and_not1_b32 vcc_lo, exec_lo, s3
	s_cbranch_vccnz .LBB127_88
; %bb.87:
	scratch_load_b64 v[132:133], v59, off
	ds_load_b64 v[134:135], v1
	s_wait_loadcnt_dscnt 0x0
	v_pk_mul_f32 v[136:137], v[134:135], v[132:133] op_sel:[1,1] op_sel_hi:[0,1]
	s_delay_alu instid0(VALU_DEP_1) | instskip(SKIP_1) | instid1(VALU_DEP_2)
	v_pk_fma_f32 v[138:139], v[134:135], v[132:133], v[136:137] op_sel_hi:[1,0,1]
	v_pk_fma_f32 v[132:133], v[134:135], v[132:133], v[136:137] neg_lo:[0,0,1] neg_hi:[0,0,1]
	v_mov_b32_e32 v133, v139
	s_cbranch_execz .LBB127_89
	s_branch .LBB127_90
.LBB127_88:
                                        ; implicit-def: $vgpr132_vgpr133
.LBB127_89:
	ds_load_b64 v[132:133], v1
.LBB127_90:
	s_and_saveexec_b32 s62, s1
	s_cbranch_execz .LBB127_94
; %bb.91:
	v_subrev_nc_u32_e32 v134, 55, v0
	s_movk_i32 s63, 0x3b8
	s_mov_b32 s1, 0
.LBB127_92:                             ; =>This Inner Loop Header: Depth=1
	scratch_load_b64 v[136:137], off, s60
	v_dual_mov_b32 v135, s63 :: v_dual_add_nc_u32 v134, -1, v134
	s_add_co_i32 s63, s63, 8
	s_wait_xcnt 0x0
	s_add_co_i32 s60, s60, 8
	ds_load_b64 v[138:139], v135
	v_cmp_eq_u32_e32 vcc_lo, 0, v134
	s_or_b32 s1, vcc_lo, s1
	s_wait_loadcnt_dscnt 0x0
	v_pk_mul_f32 v[140:141], v[138:139], v[136:137] op_sel:[1,1] op_sel_hi:[0,1]
	s_delay_alu instid0(VALU_DEP_1) | instskip(SKIP_1) | instid1(VALU_DEP_2)
	v_pk_fma_f32 v[142:143], v[138:139], v[136:137], v[140:141] op_sel_hi:[1,0,1]
	v_pk_fma_f32 v[136:137], v[138:139], v[136:137], v[140:141] neg_lo:[0,0,1] neg_hi:[0,0,1]
	v_mov_b32_e32 v137, v143
	s_delay_alu instid0(VALU_DEP_1)
	v_pk_add_f32 v[132:133], v[132:133], v[136:137]
	s_and_not1_b32 exec_lo, exec_lo, s1
	s_cbranch_execnz .LBB127_92
; %bb.93:
	s_or_b32 exec_lo, exec_lo, s1
.LBB127_94:
	s_delay_alu instid0(SALU_CYCLE_1) | instskip(SKIP_4) | instid1(VALU_DEP_1)
	s_or_b32 exec_lo, exec_lo, s62
	v_mov_b32_e32 v134, 0
	ds_load_b64 v[134:135], v134 offset:432
	s_wait_dscnt 0x0
	v_pk_mul_f32 v[136:137], v[132:133], v[134:135] op_sel:[1,1] op_sel_hi:[0,1]
	v_pk_fma_f32 v[138:139], v[132:133], v[134:135], v[136:137] op_sel_hi:[1,0,1]
	v_pk_fma_f32 v[132:133], v[132:133], v[134:135], v[136:137] neg_lo:[0,0,1] neg_hi:[0,0,1]
	s_delay_alu instid0(VALU_DEP_2)
	v_mov_b32_e32 v133, v139
	scratch_store_b64 off, v[132:133], off offset:432
.LBB127_95:
	s_wait_xcnt 0x0
	s_or_b32 exec_lo, exec_lo, s61
	scratch_load_b64 v[132:133], off, off offset:424
	v_cmp_lt_u32_e64 s1, 53, v0
	s_wait_loadcnt 0x0
	ds_store_b64 v1, v[132:133]
	s_wait_storecnt_dscnt 0x0
	s_barrier_signal -1
	s_barrier_wait -1
	s_wait_xcnt 0x0
	s_and_saveexec_b32 s60, s1
	s_cbranch_execz .LBB127_105
; %bb.96:
	s_and_not1_b32 vcc_lo, exec_lo, s3
	s_cbranch_vccnz .LBB127_98
; %bb.97:
	scratch_load_b64 v[132:133], v59, off
	ds_load_b64 v[134:135], v1
	s_wait_loadcnt_dscnt 0x0
	v_pk_mul_f32 v[136:137], v[134:135], v[132:133] op_sel:[1,1] op_sel_hi:[0,1]
	s_delay_alu instid0(VALU_DEP_1) | instskip(SKIP_1) | instid1(VALU_DEP_2)
	v_pk_fma_f32 v[138:139], v[134:135], v[132:133], v[136:137] op_sel_hi:[1,0,1]
	v_pk_fma_f32 v[132:133], v[134:135], v[132:133], v[136:137] neg_lo:[0,0,1] neg_hi:[0,0,1]
	v_mov_b32_e32 v133, v139
	s_cbranch_execz .LBB127_99
	s_branch .LBB127_100
.LBB127_98:
                                        ; implicit-def: $vgpr132_vgpr133
.LBB127_99:
	ds_load_b64 v[132:133], v1
.LBB127_100:
	s_and_saveexec_b32 s61, s0
	s_cbranch_execz .LBB127_104
; %bb.101:
	v_subrev_nc_u32_e32 v134, 54, v0
	s_movk_i32 s62, 0x3b0
	s_mov_b32 s0, 0
.LBB127_102:                            ; =>This Inner Loop Header: Depth=1
	scratch_load_b64 v[136:137], off, s59
	v_dual_mov_b32 v135, s62 :: v_dual_add_nc_u32 v134, -1, v134
	s_add_co_i32 s62, s62, 8
	s_wait_xcnt 0x0
	s_add_co_i32 s59, s59, 8
	ds_load_b64 v[138:139], v135
	v_cmp_eq_u32_e32 vcc_lo, 0, v134
	s_or_b32 s0, vcc_lo, s0
	s_wait_loadcnt_dscnt 0x0
	v_pk_mul_f32 v[140:141], v[138:139], v[136:137] op_sel:[1,1] op_sel_hi:[0,1]
	s_delay_alu instid0(VALU_DEP_1) | instskip(SKIP_1) | instid1(VALU_DEP_2)
	v_pk_fma_f32 v[142:143], v[138:139], v[136:137], v[140:141] op_sel_hi:[1,0,1]
	v_pk_fma_f32 v[136:137], v[138:139], v[136:137], v[140:141] neg_lo:[0,0,1] neg_hi:[0,0,1]
	v_mov_b32_e32 v137, v143
	s_delay_alu instid0(VALU_DEP_1)
	v_pk_add_f32 v[132:133], v[132:133], v[136:137]
	s_and_not1_b32 exec_lo, exec_lo, s0
	s_cbranch_execnz .LBB127_102
; %bb.103:
	s_or_b32 exec_lo, exec_lo, s0
.LBB127_104:
	s_delay_alu instid0(SALU_CYCLE_1) | instskip(SKIP_4) | instid1(VALU_DEP_1)
	s_or_b32 exec_lo, exec_lo, s61
	v_mov_b32_e32 v134, 0
	ds_load_b64 v[134:135], v134 offset:424
	s_wait_dscnt 0x0
	v_pk_mul_f32 v[136:137], v[132:133], v[134:135] op_sel:[1,1] op_sel_hi:[0,1]
	v_pk_fma_f32 v[138:139], v[132:133], v[134:135], v[136:137] op_sel_hi:[1,0,1]
	v_pk_fma_f32 v[132:133], v[132:133], v[134:135], v[136:137] neg_lo:[0,0,1] neg_hi:[0,0,1]
	s_delay_alu instid0(VALU_DEP_2)
	v_mov_b32_e32 v133, v139
	scratch_store_b64 off, v[132:133], off offset:424
.LBB127_105:
	s_wait_xcnt 0x0
	s_or_b32 exec_lo, exec_lo, s60
	scratch_load_b64 v[132:133], off, off offset:416
	v_cmp_lt_u32_e64 s0, 52, v0
	s_wait_loadcnt 0x0
	ds_store_b64 v1, v[132:133]
	s_wait_storecnt_dscnt 0x0
	s_barrier_signal -1
	s_barrier_wait -1
	s_wait_xcnt 0x0
	s_and_saveexec_b32 s59, s0
	s_cbranch_execz .LBB127_115
; %bb.106:
	s_and_not1_b32 vcc_lo, exec_lo, s3
	s_cbranch_vccnz .LBB127_108
; %bb.107:
	scratch_load_b64 v[132:133], v59, off
	ds_load_b64 v[134:135], v1
	s_wait_loadcnt_dscnt 0x0
	v_pk_mul_f32 v[136:137], v[134:135], v[132:133] op_sel:[1,1] op_sel_hi:[0,1]
	s_delay_alu instid0(VALU_DEP_1) | instskip(SKIP_1) | instid1(VALU_DEP_2)
	v_pk_fma_f32 v[138:139], v[134:135], v[132:133], v[136:137] op_sel_hi:[1,0,1]
	v_pk_fma_f32 v[132:133], v[134:135], v[132:133], v[136:137] neg_lo:[0,0,1] neg_hi:[0,0,1]
	v_mov_b32_e32 v133, v139
	s_cbranch_execz .LBB127_109
	s_branch .LBB127_110
.LBB127_108:
                                        ; implicit-def: $vgpr132_vgpr133
.LBB127_109:
	ds_load_b64 v[132:133], v1
.LBB127_110:
	s_and_saveexec_b32 s60, s1
	s_cbranch_execz .LBB127_114
; %bb.111:
	v_subrev_nc_u32_e32 v134, 53, v0
	s_movk_i32 s61, 0x3a8
	s_mov_b32 s1, 0
.LBB127_112:                            ; =>This Inner Loop Header: Depth=1
	scratch_load_b64 v[136:137], off, s58
	v_dual_mov_b32 v135, s61 :: v_dual_add_nc_u32 v134, -1, v134
	s_add_co_i32 s61, s61, 8
	s_wait_xcnt 0x0
	s_add_co_i32 s58, s58, 8
	ds_load_b64 v[138:139], v135
	v_cmp_eq_u32_e32 vcc_lo, 0, v134
	s_or_b32 s1, vcc_lo, s1
	s_wait_loadcnt_dscnt 0x0
	v_pk_mul_f32 v[140:141], v[138:139], v[136:137] op_sel:[1,1] op_sel_hi:[0,1]
	s_delay_alu instid0(VALU_DEP_1) | instskip(SKIP_1) | instid1(VALU_DEP_2)
	v_pk_fma_f32 v[142:143], v[138:139], v[136:137], v[140:141] op_sel_hi:[1,0,1]
	v_pk_fma_f32 v[136:137], v[138:139], v[136:137], v[140:141] neg_lo:[0,0,1] neg_hi:[0,0,1]
	v_mov_b32_e32 v137, v143
	s_delay_alu instid0(VALU_DEP_1)
	v_pk_add_f32 v[132:133], v[132:133], v[136:137]
	s_and_not1_b32 exec_lo, exec_lo, s1
	s_cbranch_execnz .LBB127_112
; %bb.113:
	s_or_b32 exec_lo, exec_lo, s1
.LBB127_114:
	s_delay_alu instid0(SALU_CYCLE_1) | instskip(SKIP_4) | instid1(VALU_DEP_1)
	s_or_b32 exec_lo, exec_lo, s60
	v_mov_b32_e32 v134, 0
	ds_load_b64 v[134:135], v134 offset:416
	s_wait_dscnt 0x0
	v_pk_mul_f32 v[136:137], v[132:133], v[134:135] op_sel:[1,1] op_sel_hi:[0,1]
	v_pk_fma_f32 v[138:139], v[132:133], v[134:135], v[136:137] op_sel_hi:[1,0,1]
	v_pk_fma_f32 v[132:133], v[132:133], v[134:135], v[136:137] neg_lo:[0,0,1] neg_hi:[0,0,1]
	s_delay_alu instid0(VALU_DEP_2)
	v_mov_b32_e32 v133, v139
	scratch_store_b64 off, v[132:133], off offset:416
.LBB127_115:
	s_wait_xcnt 0x0
	s_or_b32 exec_lo, exec_lo, s59
	scratch_load_b64 v[132:133], off, off offset:408
	v_cmp_lt_u32_e64 s1, 51, v0
	s_wait_loadcnt 0x0
	ds_store_b64 v1, v[132:133]
	s_wait_storecnt_dscnt 0x0
	s_barrier_signal -1
	s_barrier_wait -1
	s_wait_xcnt 0x0
	s_and_saveexec_b32 s58, s1
	s_cbranch_execz .LBB127_125
; %bb.116:
	s_and_not1_b32 vcc_lo, exec_lo, s3
	s_cbranch_vccnz .LBB127_118
; %bb.117:
	scratch_load_b64 v[132:133], v59, off
	ds_load_b64 v[134:135], v1
	s_wait_loadcnt_dscnt 0x0
	v_pk_mul_f32 v[136:137], v[134:135], v[132:133] op_sel:[1,1] op_sel_hi:[0,1]
	s_delay_alu instid0(VALU_DEP_1) | instskip(SKIP_1) | instid1(VALU_DEP_2)
	v_pk_fma_f32 v[138:139], v[134:135], v[132:133], v[136:137] op_sel_hi:[1,0,1]
	v_pk_fma_f32 v[132:133], v[134:135], v[132:133], v[136:137] neg_lo:[0,0,1] neg_hi:[0,0,1]
	v_mov_b32_e32 v133, v139
	s_cbranch_execz .LBB127_119
	s_branch .LBB127_120
.LBB127_118:
                                        ; implicit-def: $vgpr132_vgpr133
.LBB127_119:
	ds_load_b64 v[132:133], v1
.LBB127_120:
	s_and_saveexec_b32 s59, s0
	s_cbranch_execz .LBB127_124
; %bb.121:
	v_subrev_nc_u32_e32 v134, 52, v0
	s_movk_i32 s60, 0x3a0
	s_mov_b32 s0, 0
.LBB127_122:                            ; =>This Inner Loop Header: Depth=1
	scratch_load_b64 v[136:137], off, s57
	v_dual_mov_b32 v135, s60 :: v_dual_add_nc_u32 v134, -1, v134
	s_add_co_i32 s60, s60, 8
	s_wait_xcnt 0x0
	s_add_co_i32 s57, s57, 8
	ds_load_b64 v[138:139], v135
	v_cmp_eq_u32_e32 vcc_lo, 0, v134
	s_or_b32 s0, vcc_lo, s0
	s_wait_loadcnt_dscnt 0x0
	v_pk_mul_f32 v[140:141], v[138:139], v[136:137] op_sel:[1,1] op_sel_hi:[0,1]
	s_delay_alu instid0(VALU_DEP_1) | instskip(SKIP_1) | instid1(VALU_DEP_2)
	v_pk_fma_f32 v[142:143], v[138:139], v[136:137], v[140:141] op_sel_hi:[1,0,1]
	v_pk_fma_f32 v[136:137], v[138:139], v[136:137], v[140:141] neg_lo:[0,0,1] neg_hi:[0,0,1]
	v_mov_b32_e32 v137, v143
	s_delay_alu instid0(VALU_DEP_1)
	v_pk_add_f32 v[132:133], v[132:133], v[136:137]
	s_and_not1_b32 exec_lo, exec_lo, s0
	s_cbranch_execnz .LBB127_122
; %bb.123:
	s_or_b32 exec_lo, exec_lo, s0
.LBB127_124:
	s_delay_alu instid0(SALU_CYCLE_1) | instskip(SKIP_4) | instid1(VALU_DEP_1)
	s_or_b32 exec_lo, exec_lo, s59
	v_mov_b32_e32 v134, 0
	ds_load_b64 v[134:135], v134 offset:408
	s_wait_dscnt 0x0
	v_pk_mul_f32 v[136:137], v[132:133], v[134:135] op_sel:[1,1] op_sel_hi:[0,1]
	v_pk_fma_f32 v[138:139], v[132:133], v[134:135], v[136:137] op_sel_hi:[1,0,1]
	v_pk_fma_f32 v[132:133], v[132:133], v[134:135], v[136:137] neg_lo:[0,0,1] neg_hi:[0,0,1]
	s_delay_alu instid0(VALU_DEP_2)
	v_mov_b32_e32 v133, v139
	scratch_store_b64 off, v[132:133], off offset:408
.LBB127_125:
	s_wait_xcnt 0x0
	s_or_b32 exec_lo, exec_lo, s58
	scratch_load_b64 v[132:133], off, off offset:400
	v_cmp_lt_u32_e64 s0, 50, v0
	s_wait_loadcnt 0x0
	ds_store_b64 v1, v[132:133]
	s_wait_storecnt_dscnt 0x0
	s_barrier_signal -1
	s_barrier_wait -1
	s_wait_xcnt 0x0
	s_and_saveexec_b32 s57, s0
	s_cbranch_execz .LBB127_135
; %bb.126:
	s_and_not1_b32 vcc_lo, exec_lo, s3
	s_cbranch_vccnz .LBB127_128
; %bb.127:
	scratch_load_b64 v[132:133], v59, off
	ds_load_b64 v[134:135], v1
	s_wait_loadcnt_dscnt 0x0
	v_pk_mul_f32 v[136:137], v[134:135], v[132:133] op_sel:[1,1] op_sel_hi:[0,1]
	s_delay_alu instid0(VALU_DEP_1) | instskip(SKIP_1) | instid1(VALU_DEP_2)
	v_pk_fma_f32 v[138:139], v[134:135], v[132:133], v[136:137] op_sel_hi:[1,0,1]
	v_pk_fma_f32 v[132:133], v[134:135], v[132:133], v[136:137] neg_lo:[0,0,1] neg_hi:[0,0,1]
	v_mov_b32_e32 v133, v139
	s_cbranch_execz .LBB127_129
	s_branch .LBB127_130
.LBB127_128:
                                        ; implicit-def: $vgpr132_vgpr133
.LBB127_129:
	ds_load_b64 v[132:133], v1
.LBB127_130:
	s_and_saveexec_b32 s58, s1
	s_cbranch_execz .LBB127_134
; %bb.131:
	v_subrev_nc_u32_e32 v134, 51, v0
	s_movk_i32 s59, 0x398
	s_mov_b32 s1, 0
.LBB127_132:                            ; =>This Inner Loop Header: Depth=1
	scratch_load_b64 v[136:137], off, s56
	v_dual_mov_b32 v135, s59 :: v_dual_add_nc_u32 v134, -1, v134
	s_add_co_i32 s59, s59, 8
	s_wait_xcnt 0x0
	s_add_co_i32 s56, s56, 8
	ds_load_b64 v[138:139], v135
	v_cmp_eq_u32_e32 vcc_lo, 0, v134
	s_or_b32 s1, vcc_lo, s1
	s_wait_loadcnt_dscnt 0x0
	v_pk_mul_f32 v[140:141], v[138:139], v[136:137] op_sel:[1,1] op_sel_hi:[0,1]
	s_delay_alu instid0(VALU_DEP_1) | instskip(SKIP_1) | instid1(VALU_DEP_2)
	v_pk_fma_f32 v[142:143], v[138:139], v[136:137], v[140:141] op_sel_hi:[1,0,1]
	v_pk_fma_f32 v[136:137], v[138:139], v[136:137], v[140:141] neg_lo:[0,0,1] neg_hi:[0,0,1]
	v_mov_b32_e32 v137, v143
	s_delay_alu instid0(VALU_DEP_1)
	v_pk_add_f32 v[132:133], v[132:133], v[136:137]
	s_and_not1_b32 exec_lo, exec_lo, s1
	s_cbranch_execnz .LBB127_132
; %bb.133:
	s_or_b32 exec_lo, exec_lo, s1
.LBB127_134:
	s_delay_alu instid0(SALU_CYCLE_1) | instskip(SKIP_4) | instid1(VALU_DEP_1)
	s_or_b32 exec_lo, exec_lo, s58
	v_mov_b32_e32 v134, 0
	ds_load_b64 v[134:135], v134 offset:400
	s_wait_dscnt 0x0
	v_pk_mul_f32 v[136:137], v[132:133], v[134:135] op_sel:[1,1] op_sel_hi:[0,1]
	v_pk_fma_f32 v[138:139], v[132:133], v[134:135], v[136:137] op_sel_hi:[1,0,1]
	v_pk_fma_f32 v[132:133], v[132:133], v[134:135], v[136:137] neg_lo:[0,0,1] neg_hi:[0,0,1]
	s_delay_alu instid0(VALU_DEP_2)
	v_mov_b32_e32 v133, v139
	scratch_store_b64 off, v[132:133], off offset:400
.LBB127_135:
	s_wait_xcnt 0x0
	s_or_b32 exec_lo, exec_lo, s57
	scratch_load_b64 v[132:133], off, off offset:392
	v_cmp_lt_u32_e64 s1, 49, v0
	s_wait_loadcnt 0x0
	ds_store_b64 v1, v[132:133]
	s_wait_storecnt_dscnt 0x0
	s_barrier_signal -1
	s_barrier_wait -1
	s_wait_xcnt 0x0
	s_and_saveexec_b32 s56, s1
	s_cbranch_execz .LBB127_145
; %bb.136:
	s_and_not1_b32 vcc_lo, exec_lo, s3
	s_cbranch_vccnz .LBB127_138
; %bb.137:
	scratch_load_b64 v[132:133], v59, off
	ds_load_b64 v[134:135], v1
	s_wait_loadcnt_dscnt 0x0
	v_pk_mul_f32 v[136:137], v[134:135], v[132:133] op_sel:[1,1] op_sel_hi:[0,1]
	s_delay_alu instid0(VALU_DEP_1) | instskip(SKIP_1) | instid1(VALU_DEP_2)
	v_pk_fma_f32 v[138:139], v[134:135], v[132:133], v[136:137] op_sel_hi:[1,0,1]
	v_pk_fma_f32 v[132:133], v[134:135], v[132:133], v[136:137] neg_lo:[0,0,1] neg_hi:[0,0,1]
	v_mov_b32_e32 v133, v139
	s_cbranch_execz .LBB127_139
	s_branch .LBB127_140
.LBB127_138:
                                        ; implicit-def: $vgpr132_vgpr133
.LBB127_139:
	ds_load_b64 v[132:133], v1
.LBB127_140:
	s_and_saveexec_b32 s57, s0
	s_cbranch_execz .LBB127_144
; %bb.141:
	v_subrev_nc_u32_e32 v134, 50, v0
	s_movk_i32 s58, 0x390
	s_mov_b32 s0, 0
.LBB127_142:                            ; =>This Inner Loop Header: Depth=1
	scratch_load_b64 v[136:137], off, s55
	v_dual_mov_b32 v135, s58 :: v_dual_add_nc_u32 v134, -1, v134
	s_add_co_i32 s58, s58, 8
	s_wait_xcnt 0x0
	s_add_co_i32 s55, s55, 8
	ds_load_b64 v[138:139], v135
	v_cmp_eq_u32_e32 vcc_lo, 0, v134
	s_or_b32 s0, vcc_lo, s0
	s_wait_loadcnt_dscnt 0x0
	v_pk_mul_f32 v[140:141], v[138:139], v[136:137] op_sel:[1,1] op_sel_hi:[0,1]
	s_delay_alu instid0(VALU_DEP_1) | instskip(SKIP_1) | instid1(VALU_DEP_2)
	v_pk_fma_f32 v[142:143], v[138:139], v[136:137], v[140:141] op_sel_hi:[1,0,1]
	v_pk_fma_f32 v[136:137], v[138:139], v[136:137], v[140:141] neg_lo:[0,0,1] neg_hi:[0,0,1]
	v_mov_b32_e32 v137, v143
	s_delay_alu instid0(VALU_DEP_1)
	v_pk_add_f32 v[132:133], v[132:133], v[136:137]
	s_and_not1_b32 exec_lo, exec_lo, s0
	s_cbranch_execnz .LBB127_142
; %bb.143:
	s_or_b32 exec_lo, exec_lo, s0
.LBB127_144:
	s_delay_alu instid0(SALU_CYCLE_1) | instskip(SKIP_4) | instid1(VALU_DEP_1)
	s_or_b32 exec_lo, exec_lo, s57
	v_mov_b32_e32 v134, 0
	ds_load_b64 v[134:135], v134 offset:392
	s_wait_dscnt 0x0
	v_pk_mul_f32 v[136:137], v[132:133], v[134:135] op_sel:[1,1] op_sel_hi:[0,1]
	v_pk_fma_f32 v[138:139], v[132:133], v[134:135], v[136:137] op_sel_hi:[1,0,1]
	v_pk_fma_f32 v[132:133], v[132:133], v[134:135], v[136:137] neg_lo:[0,0,1] neg_hi:[0,0,1]
	s_delay_alu instid0(VALU_DEP_2)
	v_mov_b32_e32 v133, v139
	scratch_store_b64 off, v[132:133], off offset:392
.LBB127_145:
	s_wait_xcnt 0x0
	s_or_b32 exec_lo, exec_lo, s56
	scratch_load_b64 v[132:133], off, off offset:384
	v_cmp_lt_u32_e64 s0, 48, v0
	s_wait_loadcnt 0x0
	ds_store_b64 v1, v[132:133]
	s_wait_storecnt_dscnt 0x0
	s_barrier_signal -1
	s_barrier_wait -1
	s_wait_xcnt 0x0
	s_and_saveexec_b32 s55, s0
	s_cbranch_execz .LBB127_155
; %bb.146:
	s_and_not1_b32 vcc_lo, exec_lo, s3
	s_cbranch_vccnz .LBB127_148
; %bb.147:
	scratch_load_b64 v[132:133], v59, off
	ds_load_b64 v[134:135], v1
	s_wait_loadcnt_dscnt 0x0
	v_pk_mul_f32 v[136:137], v[134:135], v[132:133] op_sel:[1,1] op_sel_hi:[0,1]
	s_delay_alu instid0(VALU_DEP_1) | instskip(SKIP_1) | instid1(VALU_DEP_2)
	v_pk_fma_f32 v[138:139], v[134:135], v[132:133], v[136:137] op_sel_hi:[1,0,1]
	v_pk_fma_f32 v[132:133], v[134:135], v[132:133], v[136:137] neg_lo:[0,0,1] neg_hi:[0,0,1]
	v_mov_b32_e32 v133, v139
	s_cbranch_execz .LBB127_149
	s_branch .LBB127_150
.LBB127_148:
                                        ; implicit-def: $vgpr132_vgpr133
.LBB127_149:
	ds_load_b64 v[132:133], v1
.LBB127_150:
	s_and_saveexec_b32 s56, s1
	s_cbranch_execz .LBB127_154
; %bb.151:
	v_subrev_nc_u32_e32 v134, 49, v0
	s_movk_i32 s57, 0x388
	s_mov_b32 s1, 0
.LBB127_152:                            ; =>This Inner Loop Header: Depth=1
	scratch_load_b64 v[136:137], off, s54
	v_dual_mov_b32 v135, s57 :: v_dual_add_nc_u32 v134, -1, v134
	s_add_co_i32 s57, s57, 8
	s_wait_xcnt 0x0
	s_add_co_i32 s54, s54, 8
	ds_load_b64 v[138:139], v135
	v_cmp_eq_u32_e32 vcc_lo, 0, v134
	s_or_b32 s1, vcc_lo, s1
	s_wait_loadcnt_dscnt 0x0
	v_pk_mul_f32 v[140:141], v[138:139], v[136:137] op_sel:[1,1] op_sel_hi:[0,1]
	s_delay_alu instid0(VALU_DEP_1) | instskip(SKIP_1) | instid1(VALU_DEP_2)
	v_pk_fma_f32 v[142:143], v[138:139], v[136:137], v[140:141] op_sel_hi:[1,0,1]
	v_pk_fma_f32 v[136:137], v[138:139], v[136:137], v[140:141] neg_lo:[0,0,1] neg_hi:[0,0,1]
	v_mov_b32_e32 v137, v143
	s_delay_alu instid0(VALU_DEP_1)
	v_pk_add_f32 v[132:133], v[132:133], v[136:137]
	s_and_not1_b32 exec_lo, exec_lo, s1
	s_cbranch_execnz .LBB127_152
; %bb.153:
	s_or_b32 exec_lo, exec_lo, s1
.LBB127_154:
	s_delay_alu instid0(SALU_CYCLE_1) | instskip(SKIP_4) | instid1(VALU_DEP_1)
	s_or_b32 exec_lo, exec_lo, s56
	v_mov_b32_e32 v134, 0
	ds_load_b64 v[134:135], v134 offset:384
	s_wait_dscnt 0x0
	v_pk_mul_f32 v[136:137], v[132:133], v[134:135] op_sel:[1,1] op_sel_hi:[0,1]
	v_pk_fma_f32 v[138:139], v[132:133], v[134:135], v[136:137] op_sel_hi:[1,0,1]
	v_pk_fma_f32 v[132:133], v[132:133], v[134:135], v[136:137] neg_lo:[0,0,1] neg_hi:[0,0,1]
	s_delay_alu instid0(VALU_DEP_2)
	v_mov_b32_e32 v133, v139
	scratch_store_b64 off, v[132:133], off offset:384
.LBB127_155:
	s_wait_xcnt 0x0
	s_or_b32 exec_lo, exec_lo, s55
	scratch_load_b64 v[132:133], off, off offset:376
	v_cmp_lt_u32_e64 s1, 47, v0
	s_wait_loadcnt 0x0
	ds_store_b64 v1, v[132:133]
	s_wait_storecnt_dscnt 0x0
	s_barrier_signal -1
	s_barrier_wait -1
	s_wait_xcnt 0x0
	s_and_saveexec_b32 s54, s1
	s_cbranch_execz .LBB127_165
; %bb.156:
	s_and_not1_b32 vcc_lo, exec_lo, s3
	s_cbranch_vccnz .LBB127_158
; %bb.157:
	scratch_load_b64 v[132:133], v59, off
	ds_load_b64 v[134:135], v1
	s_wait_loadcnt_dscnt 0x0
	v_pk_mul_f32 v[136:137], v[134:135], v[132:133] op_sel:[1,1] op_sel_hi:[0,1]
	s_delay_alu instid0(VALU_DEP_1) | instskip(SKIP_1) | instid1(VALU_DEP_2)
	v_pk_fma_f32 v[138:139], v[134:135], v[132:133], v[136:137] op_sel_hi:[1,0,1]
	v_pk_fma_f32 v[132:133], v[134:135], v[132:133], v[136:137] neg_lo:[0,0,1] neg_hi:[0,0,1]
	v_mov_b32_e32 v133, v139
	s_cbranch_execz .LBB127_159
	s_branch .LBB127_160
.LBB127_158:
                                        ; implicit-def: $vgpr132_vgpr133
.LBB127_159:
	ds_load_b64 v[132:133], v1
.LBB127_160:
	s_and_saveexec_b32 s55, s0
	s_cbranch_execz .LBB127_164
; %bb.161:
	v_subrev_nc_u32_e32 v134, 48, v0
	s_movk_i32 s56, 0x380
	s_mov_b32 s0, 0
.LBB127_162:                            ; =>This Inner Loop Header: Depth=1
	scratch_load_b64 v[136:137], off, s53
	v_dual_mov_b32 v135, s56 :: v_dual_add_nc_u32 v134, -1, v134
	s_add_co_i32 s56, s56, 8
	s_wait_xcnt 0x0
	s_add_co_i32 s53, s53, 8
	ds_load_b64 v[138:139], v135
	v_cmp_eq_u32_e32 vcc_lo, 0, v134
	s_or_b32 s0, vcc_lo, s0
	s_wait_loadcnt_dscnt 0x0
	v_pk_mul_f32 v[140:141], v[138:139], v[136:137] op_sel:[1,1] op_sel_hi:[0,1]
	s_delay_alu instid0(VALU_DEP_1) | instskip(SKIP_1) | instid1(VALU_DEP_2)
	v_pk_fma_f32 v[142:143], v[138:139], v[136:137], v[140:141] op_sel_hi:[1,0,1]
	v_pk_fma_f32 v[136:137], v[138:139], v[136:137], v[140:141] neg_lo:[0,0,1] neg_hi:[0,0,1]
	v_mov_b32_e32 v137, v143
	s_delay_alu instid0(VALU_DEP_1)
	v_pk_add_f32 v[132:133], v[132:133], v[136:137]
	s_and_not1_b32 exec_lo, exec_lo, s0
	s_cbranch_execnz .LBB127_162
; %bb.163:
	s_or_b32 exec_lo, exec_lo, s0
.LBB127_164:
	s_delay_alu instid0(SALU_CYCLE_1) | instskip(SKIP_4) | instid1(VALU_DEP_1)
	s_or_b32 exec_lo, exec_lo, s55
	v_mov_b32_e32 v134, 0
	ds_load_b64 v[134:135], v134 offset:376
	s_wait_dscnt 0x0
	v_pk_mul_f32 v[136:137], v[132:133], v[134:135] op_sel:[1,1] op_sel_hi:[0,1]
	v_pk_fma_f32 v[138:139], v[132:133], v[134:135], v[136:137] op_sel_hi:[1,0,1]
	v_pk_fma_f32 v[132:133], v[132:133], v[134:135], v[136:137] neg_lo:[0,0,1] neg_hi:[0,0,1]
	s_delay_alu instid0(VALU_DEP_2)
	v_mov_b32_e32 v133, v139
	scratch_store_b64 off, v[132:133], off offset:376
.LBB127_165:
	s_wait_xcnt 0x0
	s_or_b32 exec_lo, exec_lo, s54
	scratch_load_b64 v[132:133], off, off offset:368
	v_cmp_lt_u32_e64 s0, 46, v0
	s_wait_loadcnt 0x0
	ds_store_b64 v1, v[132:133]
	s_wait_storecnt_dscnt 0x0
	s_barrier_signal -1
	s_barrier_wait -1
	s_wait_xcnt 0x0
	s_and_saveexec_b32 s53, s0
	s_cbranch_execz .LBB127_175
; %bb.166:
	s_and_not1_b32 vcc_lo, exec_lo, s3
	s_cbranch_vccnz .LBB127_168
; %bb.167:
	scratch_load_b64 v[132:133], v59, off
	ds_load_b64 v[134:135], v1
	s_wait_loadcnt_dscnt 0x0
	v_pk_mul_f32 v[136:137], v[134:135], v[132:133] op_sel:[1,1] op_sel_hi:[0,1]
	s_delay_alu instid0(VALU_DEP_1) | instskip(SKIP_1) | instid1(VALU_DEP_2)
	v_pk_fma_f32 v[138:139], v[134:135], v[132:133], v[136:137] op_sel_hi:[1,0,1]
	v_pk_fma_f32 v[132:133], v[134:135], v[132:133], v[136:137] neg_lo:[0,0,1] neg_hi:[0,0,1]
	v_mov_b32_e32 v133, v139
	s_cbranch_execz .LBB127_169
	s_branch .LBB127_170
.LBB127_168:
                                        ; implicit-def: $vgpr132_vgpr133
.LBB127_169:
	ds_load_b64 v[132:133], v1
.LBB127_170:
	s_and_saveexec_b32 s54, s1
	s_cbranch_execz .LBB127_174
; %bb.171:
	v_subrev_nc_u32_e32 v134, 47, v0
	s_movk_i32 s55, 0x378
	s_mov_b32 s1, 0
.LBB127_172:                            ; =>This Inner Loop Header: Depth=1
	scratch_load_b64 v[136:137], off, s52
	v_dual_mov_b32 v135, s55 :: v_dual_add_nc_u32 v134, -1, v134
	s_add_co_i32 s55, s55, 8
	s_wait_xcnt 0x0
	s_add_co_i32 s52, s52, 8
	ds_load_b64 v[138:139], v135
	v_cmp_eq_u32_e32 vcc_lo, 0, v134
	s_or_b32 s1, vcc_lo, s1
	s_wait_loadcnt_dscnt 0x0
	v_pk_mul_f32 v[140:141], v[138:139], v[136:137] op_sel:[1,1] op_sel_hi:[0,1]
	s_delay_alu instid0(VALU_DEP_1) | instskip(SKIP_1) | instid1(VALU_DEP_2)
	v_pk_fma_f32 v[142:143], v[138:139], v[136:137], v[140:141] op_sel_hi:[1,0,1]
	v_pk_fma_f32 v[136:137], v[138:139], v[136:137], v[140:141] neg_lo:[0,0,1] neg_hi:[0,0,1]
	v_mov_b32_e32 v137, v143
	s_delay_alu instid0(VALU_DEP_1)
	v_pk_add_f32 v[132:133], v[132:133], v[136:137]
	s_and_not1_b32 exec_lo, exec_lo, s1
	s_cbranch_execnz .LBB127_172
; %bb.173:
	s_or_b32 exec_lo, exec_lo, s1
.LBB127_174:
	s_delay_alu instid0(SALU_CYCLE_1) | instskip(SKIP_4) | instid1(VALU_DEP_1)
	s_or_b32 exec_lo, exec_lo, s54
	v_mov_b32_e32 v134, 0
	ds_load_b64 v[134:135], v134 offset:368
	s_wait_dscnt 0x0
	v_pk_mul_f32 v[136:137], v[132:133], v[134:135] op_sel:[1,1] op_sel_hi:[0,1]
	v_pk_fma_f32 v[138:139], v[132:133], v[134:135], v[136:137] op_sel_hi:[1,0,1]
	v_pk_fma_f32 v[132:133], v[132:133], v[134:135], v[136:137] neg_lo:[0,0,1] neg_hi:[0,0,1]
	s_delay_alu instid0(VALU_DEP_2)
	v_mov_b32_e32 v133, v139
	scratch_store_b64 off, v[132:133], off offset:368
.LBB127_175:
	s_wait_xcnt 0x0
	s_or_b32 exec_lo, exec_lo, s53
	scratch_load_b64 v[132:133], off, off offset:360
	v_cmp_lt_u32_e64 s1, 45, v0
	s_wait_loadcnt 0x0
	ds_store_b64 v1, v[132:133]
	s_wait_storecnt_dscnt 0x0
	s_barrier_signal -1
	s_barrier_wait -1
	s_wait_xcnt 0x0
	s_and_saveexec_b32 s52, s1
	s_cbranch_execz .LBB127_185
; %bb.176:
	s_and_not1_b32 vcc_lo, exec_lo, s3
	s_cbranch_vccnz .LBB127_178
; %bb.177:
	scratch_load_b64 v[132:133], v59, off
	ds_load_b64 v[134:135], v1
	s_wait_loadcnt_dscnt 0x0
	v_pk_mul_f32 v[136:137], v[134:135], v[132:133] op_sel:[1,1] op_sel_hi:[0,1]
	s_delay_alu instid0(VALU_DEP_1) | instskip(SKIP_1) | instid1(VALU_DEP_2)
	v_pk_fma_f32 v[138:139], v[134:135], v[132:133], v[136:137] op_sel_hi:[1,0,1]
	v_pk_fma_f32 v[132:133], v[134:135], v[132:133], v[136:137] neg_lo:[0,0,1] neg_hi:[0,0,1]
	v_mov_b32_e32 v133, v139
	s_cbranch_execz .LBB127_179
	s_branch .LBB127_180
.LBB127_178:
                                        ; implicit-def: $vgpr132_vgpr133
.LBB127_179:
	ds_load_b64 v[132:133], v1
.LBB127_180:
	s_and_saveexec_b32 s53, s0
	s_cbranch_execz .LBB127_184
; %bb.181:
	v_subrev_nc_u32_e32 v134, 46, v0
	s_movk_i32 s54, 0x370
	s_mov_b32 s0, 0
.LBB127_182:                            ; =>This Inner Loop Header: Depth=1
	scratch_load_b64 v[136:137], off, s51
	v_dual_mov_b32 v135, s54 :: v_dual_add_nc_u32 v134, -1, v134
	s_add_co_i32 s54, s54, 8
	s_wait_xcnt 0x0
	s_add_co_i32 s51, s51, 8
	ds_load_b64 v[138:139], v135
	v_cmp_eq_u32_e32 vcc_lo, 0, v134
	s_or_b32 s0, vcc_lo, s0
	s_wait_loadcnt_dscnt 0x0
	v_pk_mul_f32 v[140:141], v[138:139], v[136:137] op_sel:[1,1] op_sel_hi:[0,1]
	s_delay_alu instid0(VALU_DEP_1) | instskip(SKIP_1) | instid1(VALU_DEP_2)
	v_pk_fma_f32 v[142:143], v[138:139], v[136:137], v[140:141] op_sel_hi:[1,0,1]
	v_pk_fma_f32 v[136:137], v[138:139], v[136:137], v[140:141] neg_lo:[0,0,1] neg_hi:[0,0,1]
	v_mov_b32_e32 v137, v143
	s_delay_alu instid0(VALU_DEP_1)
	v_pk_add_f32 v[132:133], v[132:133], v[136:137]
	s_and_not1_b32 exec_lo, exec_lo, s0
	s_cbranch_execnz .LBB127_182
; %bb.183:
	s_or_b32 exec_lo, exec_lo, s0
.LBB127_184:
	s_delay_alu instid0(SALU_CYCLE_1) | instskip(SKIP_4) | instid1(VALU_DEP_1)
	s_or_b32 exec_lo, exec_lo, s53
	v_mov_b32_e32 v134, 0
	ds_load_b64 v[134:135], v134 offset:360
	s_wait_dscnt 0x0
	v_pk_mul_f32 v[136:137], v[132:133], v[134:135] op_sel:[1,1] op_sel_hi:[0,1]
	v_pk_fma_f32 v[138:139], v[132:133], v[134:135], v[136:137] op_sel_hi:[1,0,1]
	v_pk_fma_f32 v[132:133], v[132:133], v[134:135], v[136:137] neg_lo:[0,0,1] neg_hi:[0,0,1]
	s_delay_alu instid0(VALU_DEP_2)
	v_mov_b32_e32 v133, v139
	scratch_store_b64 off, v[132:133], off offset:360
.LBB127_185:
	s_wait_xcnt 0x0
	s_or_b32 exec_lo, exec_lo, s52
	scratch_load_b64 v[132:133], off, off offset:352
	v_cmp_lt_u32_e64 s0, 44, v0
	s_wait_loadcnt 0x0
	ds_store_b64 v1, v[132:133]
	s_wait_storecnt_dscnt 0x0
	s_barrier_signal -1
	s_barrier_wait -1
	s_wait_xcnt 0x0
	s_and_saveexec_b32 s51, s0
	s_cbranch_execz .LBB127_195
; %bb.186:
	s_and_not1_b32 vcc_lo, exec_lo, s3
	s_cbranch_vccnz .LBB127_188
; %bb.187:
	scratch_load_b64 v[132:133], v59, off
	ds_load_b64 v[134:135], v1
	s_wait_loadcnt_dscnt 0x0
	v_pk_mul_f32 v[136:137], v[134:135], v[132:133] op_sel:[1,1] op_sel_hi:[0,1]
	s_delay_alu instid0(VALU_DEP_1) | instskip(SKIP_1) | instid1(VALU_DEP_2)
	v_pk_fma_f32 v[138:139], v[134:135], v[132:133], v[136:137] op_sel_hi:[1,0,1]
	v_pk_fma_f32 v[132:133], v[134:135], v[132:133], v[136:137] neg_lo:[0,0,1] neg_hi:[0,0,1]
	v_mov_b32_e32 v133, v139
	s_cbranch_execz .LBB127_189
	s_branch .LBB127_190
.LBB127_188:
                                        ; implicit-def: $vgpr132_vgpr133
.LBB127_189:
	ds_load_b64 v[132:133], v1
.LBB127_190:
	s_and_saveexec_b32 s52, s1
	s_cbranch_execz .LBB127_194
; %bb.191:
	v_subrev_nc_u32_e32 v134, 45, v0
	s_movk_i32 s53, 0x368
	s_mov_b32 s1, 0
.LBB127_192:                            ; =>This Inner Loop Header: Depth=1
	scratch_load_b64 v[136:137], off, s50
	v_dual_mov_b32 v135, s53 :: v_dual_add_nc_u32 v134, -1, v134
	s_add_co_i32 s53, s53, 8
	s_wait_xcnt 0x0
	s_add_co_i32 s50, s50, 8
	ds_load_b64 v[138:139], v135
	v_cmp_eq_u32_e32 vcc_lo, 0, v134
	s_or_b32 s1, vcc_lo, s1
	s_wait_loadcnt_dscnt 0x0
	v_pk_mul_f32 v[140:141], v[138:139], v[136:137] op_sel:[1,1] op_sel_hi:[0,1]
	s_delay_alu instid0(VALU_DEP_1) | instskip(SKIP_1) | instid1(VALU_DEP_2)
	v_pk_fma_f32 v[142:143], v[138:139], v[136:137], v[140:141] op_sel_hi:[1,0,1]
	v_pk_fma_f32 v[136:137], v[138:139], v[136:137], v[140:141] neg_lo:[0,0,1] neg_hi:[0,0,1]
	v_mov_b32_e32 v137, v143
	s_delay_alu instid0(VALU_DEP_1)
	v_pk_add_f32 v[132:133], v[132:133], v[136:137]
	s_and_not1_b32 exec_lo, exec_lo, s1
	s_cbranch_execnz .LBB127_192
; %bb.193:
	s_or_b32 exec_lo, exec_lo, s1
.LBB127_194:
	s_delay_alu instid0(SALU_CYCLE_1) | instskip(SKIP_4) | instid1(VALU_DEP_1)
	s_or_b32 exec_lo, exec_lo, s52
	v_mov_b32_e32 v134, 0
	ds_load_b64 v[134:135], v134 offset:352
	s_wait_dscnt 0x0
	v_pk_mul_f32 v[136:137], v[132:133], v[134:135] op_sel:[1,1] op_sel_hi:[0,1]
	v_pk_fma_f32 v[138:139], v[132:133], v[134:135], v[136:137] op_sel_hi:[1,0,1]
	v_pk_fma_f32 v[132:133], v[132:133], v[134:135], v[136:137] neg_lo:[0,0,1] neg_hi:[0,0,1]
	s_delay_alu instid0(VALU_DEP_2)
	v_mov_b32_e32 v133, v139
	scratch_store_b64 off, v[132:133], off offset:352
.LBB127_195:
	s_wait_xcnt 0x0
	s_or_b32 exec_lo, exec_lo, s51
	scratch_load_b64 v[132:133], off, off offset:344
	v_cmp_lt_u32_e64 s1, 43, v0
	s_wait_loadcnt 0x0
	ds_store_b64 v1, v[132:133]
	s_wait_storecnt_dscnt 0x0
	s_barrier_signal -1
	s_barrier_wait -1
	s_wait_xcnt 0x0
	s_and_saveexec_b32 s50, s1
	s_cbranch_execz .LBB127_205
; %bb.196:
	s_and_not1_b32 vcc_lo, exec_lo, s3
	s_cbranch_vccnz .LBB127_198
; %bb.197:
	scratch_load_b64 v[132:133], v59, off
	ds_load_b64 v[134:135], v1
	s_wait_loadcnt_dscnt 0x0
	v_pk_mul_f32 v[136:137], v[134:135], v[132:133] op_sel:[1,1] op_sel_hi:[0,1]
	s_delay_alu instid0(VALU_DEP_1) | instskip(SKIP_1) | instid1(VALU_DEP_2)
	v_pk_fma_f32 v[138:139], v[134:135], v[132:133], v[136:137] op_sel_hi:[1,0,1]
	v_pk_fma_f32 v[132:133], v[134:135], v[132:133], v[136:137] neg_lo:[0,0,1] neg_hi:[0,0,1]
	v_mov_b32_e32 v133, v139
	s_cbranch_execz .LBB127_199
	s_branch .LBB127_200
.LBB127_198:
                                        ; implicit-def: $vgpr132_vgpr133
.LBB127_199:
	ds_load_b64 v[132:133], v1
.LBB127_200:
	s_and_saveexec_b32 s51, s0
	s_cbranch_execz .LBB127_204
; %bb.201:
	v_subrev_nc_u32_e32 v134, 44, v0
	s_movk_i32 s52, 0x360
	s_mov_b32 s0, 0
.LBB127_202:                            ; =>This Inner Loop Header: Depth=1
	scratch_load_b64 v[136:137], off, s49
	v_dual_mov_b32 v135, s52 :: v_dual_add_nc_u32 v134, -1, v134
	s_add_co_i32 s52, s52, 8
	s_wait_xcnt 0x0
	s_add_co_i32 s49, s49, 8
	ds_load_b64 v[138:139], v135
	v_cmp_eq_u32_e32 vcc_lo, 0, v134
	s_or_b32 s0, vcc_lo, s0
	s_wait_loadcnt_dscnt 0x0
	v_pk_mul_f32 v[140:141], v[138:139], v[136:137] op_sel:[1,1] op_sel_hi:[0,1]
	s_delay_alu instid0(VALU_DEP_1) | instskip(SKIP_1) | instid1(VALU_DEP_2)
	v_pk_fma_f32 v[142:143], v[138:139], v[136:137], v[140:141] op_sel_hi:[1,0,1]
	v_pk_fma_f32 v[136:137], v[138:139], v[136:137], v[140:141] neg_lo:[0,0,1] neg_hi:[0,0,1]
	v_mov_b32_e32 v137, v143
	s_delay_alu instid0(VALU_DEP_1)
	v_pk_add_f32 v[132:133], v[132:133], v[136:137]
	s_and_not1_b32 exec_lo, exec_lo, s0
	s_cbranch_execnz .LBB127_202
; %bb.203:
	s_or_b32 exec_lo, exec_lo, s0
.LBB127_204:
	s_delay_alu instid0(SALU_CYCLE_1) | instskip(SKIP_4) | instid1(VALU_DEP_1)
	s_or_b32 exec_lo, exec_lo, s51
	v_mov_b32_e32 v134, 0
	ds_load_b64 v[134:135], v134 offset:344
	s_wait_dscnt 0x0
	v_pk_mul_f32 v[136:137], v[132:133], v[134:135] op_sel:[1,1] op_sel_hi:[0,1]
	v_pk_fma_f32 v[138:139], v[132:133], v[134:135], v[136:137] op_sel_hi:[1,0,1]
	v_pk_fma_f32 v[132:133], v[132:133], v[134:135], v[136:137] neg_lo:[0,0,1] neg_hi:[0,0,1]
	s_delay_alu instid0(VALU_DEP_2)
	v_mov_b32_e32 v133, v139
	scratch_store_b64 off, v[132:133], off offset:344
.LBB127_205:
	s_wait_xcnt 0x0
	s_or_b32 exec_lo, exec_lo, s50
	scratch_load_b64 v[132:133], off, off offset:336
	v_cmp_lt_u32_e64 s0, 42, v0
	s_wait_loadcnt 0x0
	ds_store_b64 v1, v[132:133]
	s_wait_storecnt_dscnt 0x0
	s_barrier_signal -1
	s_barrier_wait -1
	s_wait_xcnt 0x0
	s_and_saveexec_b32 s49, s0
	s_cbranch_execz .LBB127_215
; %bb.206:
	s_and_not1_b32 vcc_lo, exec_lo, s3
	s_cbranch_vccnz .LBB127_208
; %bb.207:
	scratch_load_b64 v[132:133], v59, off
	ds_load_b64 v[134:135], v1
	s_wait_loadcnt_dscnt 0x0
	v_pk_mul_f32 v[136:137], v[134:135], v[132:133] op_sel:[1,1] op_sel_hi:[0,1]
	s_delay_alu instid0(VALU_DEP_1) | instskip(SKIP_1) | instid1(VALU_DEP_2)
	v_pk_fma_f32 v[138:139], v[134:135], v[132:133], v[136:137] op_sel_hi:[1,0,1]
	v_pk_fma_f32 v[132:133], v[134:135], v[132:133], v[136:137] neg_lo:[0,0,1] neg_hi:[0,0,1]
	v_mov_b32_e32 v133, v139
	s_cbranch_execz .LBB127_209
	s_branch .LBB127_210
.LBB127_208:
                                        ; implicit-def: $vgpr132_vgpr133
.LBB127_209:
	ds_load_b64 v[132:133], v1
.LBB127_210:
	s_and_saveexec_b32 s50, s1
	s_cbranch_execz .LBB127_214
; %bb.211:
	v_subrev_nc_u32_e32 v134, 43, v0
	s_movk_i32 s51, 0x358
	s_mov_b32 s1, 0
.LBB127_212:                            ; =>This Inner Loop Header: Depth=1
	scratch_load_b64 v[136:137], off, s48
	v_dual_mov_b32 v135, s51 :: v_dual_add_nc_u32 v134, -1, v134
	s_add_co_i32 s51, s51, 8
	s_wait_xcnt 0x0
	s_add_co_i32 s48, s48, 8
	ds_load_b64 v[138:139], v135
	v_cmp_eq_u32_e32 vcc_lo, 0, v134
	s_or_b32 s1, vcc_lo, s1
	s_wait_loadcnt_dscnt 0x0
	v_pk_mul_f32 v[140:141], v[138:139], v[136:137] op_sel:[1,1] op_sel_hi:[0,1]
	s_delay_alu instid0(VALU_DEP_1) | instskip(SKIP_1) | instid1(VALU_DEP_2)
	v_pk_fma_f32 v[142:143], v[138:139], v[136:137], v[140:141] op_sel_hi:[1,0,1]
	v_pk_fma_f32 v[136:137], v[138:139], v[136:137], v[140:141] neg_lo:[0,0,1] neg_hi:[0,0,1]
	v_mov_b32_e32 v137, v143
	s_delay_alu instid0(VALU_DEP_1)
	v_pk_add_f32 v[132:133], v[132:133], v[136:137]
	s_and_not1_b32 exec_lo, exec_lo, s1
	s_cbranch_execnz .LBB127_212
; %bb.213:
	s_or_b32 exec_lo, exec_lo, s1
.LBB127_214:
	s_delay_alu instid0(SALU_CYCLE_1) | instskip(SKIP_4) | instid1(VALU_DEP_1)
	s_or_b32 exec_lo, exec_lo, s50
	v_mov_b32_e32 v134, 0
	ds_load_b64 v[134:135], v134 offset:336
	s_wait_dscnt 0x0
	v_pk_mul_f32 v[136:137], v[132:133], v[134:135] op_sel:[1,1] op_sel_hi:[0,1]
	v_pk_fma_f32 v[138:139], v[132:133], v[134:135], v[136:137] op_sel_hi:[1,0,1]
	v_pk_fma_f32 v[132:133], v[132:133], v[134:135], v[136:137] neg_lo:[0,0,1] neg_hi:[0,0,1]
	s_delay_alu instid0(VALU_DEP_2)
	v_mov_b32_e32 v133, v139
	scratch_store_b64 off, v[132:133], off offset:336
.LBB127_215:
	s_wait_xcnt 0x0
	s_or_b32 exec_lo, exec_lo, s49
	scratch_load_b64 v[132:133], off, off offset:328
	v_cmp_lt_u32_e64 s1, 41, v0
	s_wait_loadcnt 0x0
	ds_store_b64 v1, v[132:133]
	s_wait_storecnt_dscnt 0x0
	s_barrier_signal -1
	s_barrier_wait -1
	s_wait_xcnt 0x0
	s_and_saveexec_b32 s48, s1
	s_cbranch_execz .LBB127_225
; %bb.216:
	s_and_not1_b32 vcc_lo, exec_lo, s3
	s_cbranch_vccnz .LBB127_218
; %bb.217:
	scratch_load_b64 v[132:133], v59, off
	ds_load_b64 v[134:135], v1
	s_wait_loadcnt_dscnt 0x0
	v_pk_mul_f32 v[136:137], v[134:135], v[132:133] op_sel:[1,1] op_sel_hi:[0,1]
	s_delay_alu instid0(VALU_DEP_1) | instskip(SKIP_1) | instid1(VALU_DEP_2)
	v_pk_fma_f32 v[138:139], v[134:135], v[132:133], v[136:137] op_sel_hi:[1,0,1]
	v_pk_fma_f32 v[132:133], v[134:135], v[132:133], v[136:137] neg_lo:[0,0,1] neg_hi:[0,0,1]
	v_mov_b32_e32 v133, v139
	s_cbranch_execz .LBB127_219
	s_branch .LBB127_220
.LBB127_218:
                                        ; implicit-def: $vgpr132_vgpr133
.LBB127_219:
	ds_load_b64 v[132:133], v1
.LBB127_220:
	s_and_saveexec_b32 s49, s0
	s_cbranch_execz .LBB127_224
; %bb.221:
	v_subrev_nc_u32_e32 v134, 42, v0
	s_movk_i32 s50, 0x350
	s_mov_b32 s0, 0
.LBB127_222:                            ; =>This Inner Loop Header: Depth=1
	scratch_load_b64 v[136:137], off, s47
	v_dual_mov_b32 v135, s50 :: v_dual_add_nc_u32 v134, -1, v134
	s_add_co_i32 s50, s50, 8
	s_wait_xcnt 0x0
	s_add_co_i32 s47, s47, 8
	ds_load_b64 v[138:139], v135
	v_cmp_eq_u32_e32 vcc_lo, 0, v134
	s_or_b32 s0, vcc_lo, s0
	s_wait_loadcnt_dscnt 0x0
	v_pk_mul_f32 v[140:141], v[138:139], v[136:137] op_sel:[1,1] op_sel_hi:[0,1]
	s_delay_alu instid0(VALU_DEP_1) | instskip(SKIP_1) | instid1(VALU_DEP_2)
	v_pk_fma_f32 v[142:143], v[138:139], v[136:137], v[140:141] op_sel_hi:[1,0,1]
	v_pk_fma_f32 v[136:137], v[138:139], v[136:137], v[140:141] neg_lo:[0,0,1] neg_hi:[0,0,1]
	v_mov_b32_e32 v137, v143
	s_delay_alu instid0(VALU_DEP_1)
	v_pk_add_f32 v[132:133], v[132:133], v[136:137]
	s_and_not1_b32 exec_lo, exec_lo, s0
	s_cbranch_execnz .LBB127_222
; %bb.223:
	s_or_b32 exec_lo, exec_lo, s0
.LBB127_224:
	s_delay_alu instid0(SALU_CYCLE_1) | instskip(SKIP_4) | instid1(VALU_DEP_1)
	s_or_b32 exec_lo, exec_lo, s49
	v_mov_b32_e32 v134, 0
	ds_load_b64 v[134:135], v134 offset:328
	s_wait_dscnt 0x0
	v_pk_mul_f32 v[136:137], v[132:133], v[134:135] op_sel:[1,1] op_sel_hi:[0,1]
	v_pk_fma_f32 v[138:139], v[132:133], v[134:135], v[136:137] op_sel_hi:[1,0,1]
	v_pk_fma_f32 v[132:133], v[132:133], v[134:135], v[136:137] neg_lo:[0,0,1] neg_hi:[0,0,1]
	s_delay_alu instid0(VALU_DEP_2)
	v_mov_b32_e32 v133, v139
	scratch_store_b64 off, v[132:133], off offset:328
.LBB127_225:
	s_wait_xcnt 0x0
	s_or_b32 exec_lo, exec_lo, s48
	scratch_load_b64 v[132:133], off, off offset:320
	v_cmp_lt_u32_e64 s0, 40, v0
	s_wait_loadcnt 0x0
	ds_store_b64 v1, v[132:133]
	s_wait_storecnt_dscnt 0x0
	s_barrier_signal -1
	s_barrier_wait -1
	s_wait_xcnt 0x0
	s_and_saveexec_b32 s47, s0
	s_cbranch_execz .LBB127_235
; %bb.226:
	s_and_not1_b32 vcc_lo, exec_lo, s3
	s_cbranch_vccnz .LBB127_228
; %bb.227:
	scratch_load_b64 v[132:133], v59, off
	ds_load_b64 v[134:135], v1
	s_wait_loadcnt_dscnt 0x0
	v_pk_mul_f32 v[136:137], v[134:135], v[132:133] op_sel:[1,1] op_sel_hi:[0,1]
	s_delay_alu instid0(VALU_DEP_1) | instskip(SKIP_1) | instid1(VALU_DEP_2)
	v_pk_fma_f32 v[138:139], v[134:135], v[132:133], v[136:137] op_sel_hi:[1,0,1]
	v_pk_fma_f32 v[132:133], v[134:135], v[132:133], v[136:137] neg_lo:[0,0,1] neg_hi:[0,0,1]
	v_mov_b32_e32 v133, v139
	s_cbranch_execz .LBB127_229
	s_branch .LBB127_230
.LBB127_228:
                                        ; implicit-def: $vgpr132_vgpr133
.LBB127_229:
	ds_load_b64 v[132:133], v1
.LBB127_230:
	s_and_saveexec_b32 s48, s1
	s_cbranch_execz .LBB127_234
; %bb.231:
	v_subrev_nc_u32_e32 v134, 41, v0
	s_movk_i32 s49, 0x348
	s_mov_b32 s1, 0
.LBB127_232:                            ; =>This Inner Loop Header: Depth=1
	scratch_load_b64 v[136:137], off, s46
	v_dual_mov_b32 v135, s49 :: v_dual_add_nc_u32 v134, -1, v134
	s_add_co_i32 s49, s49, 8
	s_wait_xcnt 0x0
	s_add_co_i32 s46, s46, 8
	ds_load_b64 v[138:139], v135
	v_cmp_eq_u32_e32 vcc_lo, 0, v134
	s_or_b32 s1, vcc_lo, s1
	s_wait_loadcnt_dscnt 0x0
	v_pk_mul_f32 v[140:141], v[138:139], v[136:137] op_sel:[1,1] op_sel_hi:[0,1]
	s_delay_alu instid0(VALU_DEP_1) | instskip(SKIP_1) | instid1(VALU_DEP_2)
	v_pk_fma_f32 v[142:143], v[138:139], v[136:137], v[140:141] op_sel_hi:[1,0,1]
	v_pk_fma_f32 v[136:137], v[138:139], v[136:137], v[140:141] neg_lo:[0,0,1] neg_hi:[0,0,1]
	v_mov_b32_e32 v137, v143
	s_delay_alu instid0(VALU_DEP_1)
	v_pk_add_f32 v[132:133], v[132:133], v[136:137]
	s_and_not1_b32 exec_lo, exec_lo, s1
	s_cbranch_execnz .LBB127_232
; %bb.233:
	s_or_b32 exec_lo, exec_lo, s1
.LBB127_234:
	s_delay_alu instid0(SALU_CYCLE_1) | instskip(SKIP_4) | instid1(VALU_DEP_1)
	s_or_b32 exec_lo, exec_lo, s48
	v_mov_b32_e32 v134, 0
	ds_load_b64 v[134:135], v134 offset:320
	s_wait_dscnt 0x0
	v_pk_mul_f32 v[136:137], v[132:133], v[134:135] op_sel:[1,1] op_sel_hi:[0,1]
	v_pk_fma_f32 v[138:139], v[132:133], v[134:135], v[136:137] op_sel_hi:[1,0,1]
	v_pk_fma_f32 v[132:133], v[132:133], v[134:135], v[136:137] neg_lo:[0,0,1] neg_hi:[0,0,1]
	s_delay_alu instid0(VALU_DEP_2)
	v_mov_b32_e32 v133, v139
	scratch_store_b64 off, v[132:133], off offset:320
.LBB127_235:
	s_wait_xcnt 0x0
	s_or_b32 exec_lo, exec_lo, s47
	scratch_load_b64 v[132:133], off, off offset:312
	v_cmp_lt_u32_e64 s1, 39, v0
	s_wait_loadcnt 0x0
	ds_store_b64 v1, v[132:133]
	s_wait_storecnt_dscnt 0x0
	s_barrier_signal -1
	s_barrier_wait -1
	s_wait_xcnt 0x0
	s_and_saveexec_b32 s46, s1
	s_cbranch_execz .LBB127_245
; %bb.236:
	s_and_not1_b32 vcc_lo, exec_lo, s3
	s_cbranch_vccnz .LBB127_238
; %bb.237:
	scratch_load_b64 v[132:133], v59, off
	ds_load_b64 v[134:135], v1
	s_wait_loadcnt_dscnt 0x0
	v_pk_mul_f32 v[136:137], v[134:135], v[132:133] op_sel:[1,1] op_sel_hi:[0,1]
	s_delay_alu instid0(VALU_DEP_1) | instskip(SKIP_1) | instid1(VALU_DEP_2)
	v_pk_fma_f32 v[138:139], v[134:135], v[132:133], v[136:137] op_sel_hi:[1,0,1]
	v_pk_fma_f32 v[132:133], v[134:135], v[132:133], v[136:137] neg_lo:[0,0,1] neg_hi:[0,0,1]
	v_mov_b32_e32 v133, v139
	s_cbranch_execz .LBB127_239
	s_branch .LBB127_240
.LBB127_238:
                                        ; implicit-def: $vgpr132_vgpr133
.LBB127_239:
	ds_load_b64 v[132:133], v1
.LBB127_240:
	s_and_saveexec_b32 s47, s0
	s_cbranch_execz .LBB127_244
; %bb.241:
	v_subrev_nc_u32_e32 v134, 40, v0
	s_movk_i32 s48, 0x340
	s_mov_b32 s0, 0
.LBB127_242:                            ; =>This Inner Loop Header: Depth=1
	scratch_load_b64 v[136:137], off, s45
	v_dual_mov_b32 v135, s48 :: v_dual_add_nc_u32 v134, -1, v134
	s_add_co_i32 s48, s48, 8
	s_wait_xcnt 0x0
	s_add_co_i32 s45, s45, 8
	ds_load_b64 v[138:139], v135
	v_cmp_eq_u32_e32 vcc_lo, 0, v134
	s_or_b32 s0, vcc_lo, s0
	s_wait_loadcnt_dscnt 0x0
	v_pk_mul_f32 v[140:141], v[138:139], v[136:137] op_sel:[1,1] op_sel_hi:[0,1]
	s_delay_alu instid0(VALU_DEP_1) | instskip(SKIP_1) | instid1(VALU_DEP_2)
	v_pk_fma_f32 v[142:143], v[138:139], v[136:137], v[140:141] op_sel_hi:[1,0,1]
	v_pk_fma_f32 v[136:137], v[138:139], v[136:137], v[140:141] neg_lo:[0,0,1] neg_hi:[0,0,1]
	v_mov_b32_e32 v137, v143
	s_delay_alu instid0(VALU_DEP_1)
	v_pk_add_f32 v[132:133], v[132:133], v[136:137]
	s_and_not1_b32 exec_lo, exec_lo, s0
	s_cbranch_execnz .LBB127_242
; %bb.243:
	s_or_b32 exec_lo, exec_lo, s0
.LBB127_244:
	s_delay_alu instid0(SALU_CYCLE_1) | instskip(SKIP_4) | instid1(VALU_DEP_1)
	s_or_b32 exec_lo, exec_lo, s47
	v_mov_b32_e32 v134, 0
	ds_load_b64 v[134:135], v134 offset:312
	s_wait_dscnt 0x0
	v_pk_mul_f32 v[136:137], v[132:133], v[134:135] op_sel:[1,1] op_sel_hi:[0,1]
	v_pk_fma_f32 v[138:139], v[132:133], v[134:135], v[136:137] op_sel_hi:[1,0,1]
	v_pk_fma_f32 v[132:133], v[132:133], v[134:135], v[136:137] neg_lo:[0,0,1] neg_hi:[0,0,1]
	s_delay_alu instid0(VALU_DEP_2)
	v_mov_b32_e32 v133, v139
	scratch_store_b64 off, v[132:133], off offset:312
.LBB127_245:
	s_wait_xcnt 0x0
	s_or_b32 exec_lo, exec_lo, s46
	scratch_load_b64 v[132:133], off, off offset:304
	v_cmp_lt_u32_e64 s0, 38, v0
	s_wait_loadcnt 0x0
	ds_store_b64 v1, v[132:133]
	s_wait_storecnt_dscnt 0x0
	s_barrier_signal -1
	s_barrier_wait -1
	s_wait_xcnt 0x0
	s_and_saveexec_b32 s45, s0
	s_cbranch_execz .LBB127_255
; %bb.246:
	s_and_not1_b32 vcc_lo, exec_lo, s3
	s_cbranch_vccnz .LBB127_248
; %bb.247:
	scratch_load_b64 v[132:133], v59, off
	ds_load_b64 v[134:135], v1
	s_wait_loadcnt_dscnt 0x0
	v_pk_mul_f32 v[136:137], v[134:135], v[132:133] op_sel:[1,1] op_sel_hi:[0,1]
	s_delay_alu instid0(VALU_DEP_1) | instskip(SKIP_1) | instid1(VALU_DEP_2)
	v_pk_fma_f32 v[138:139], v[134:135], v[132:133], v[136:137] op_sel_hi:[1,0,1]
	v_pk_fma_f32 v[132:133], v[134:135], v[132:133], v[136:137] neg_lo:[0,0,1] neg_hi:[0,0,1]
	v_mov_b32_e32 v133, v139
	s_cbranch_execz .LBB127_249
	s_branch .LBB127_250
.LBB127_248:
                                        ; implicit-def: $vgpr132_vgpr133
.LBB127_249:
	ds_load_b64 v[132:133], v1
.LBB127_250:
	s_and_saveexec_b32 s46, s1
	s_cbranch_execz .LBB127_254
; %bb.251:
	v_subrev_nc_u32_e32 v134, 39, v0
	s_movk_i32 s47, 0x338
	s_mov_b32 s1, 0
.LBB127_252:                            ; =>This Inner Loop Header: Depth=1
	scratch_load_b64 v[136:137], off, s44
	v_dual_mov_b32 v135, s47 :: v_dual_add_nc_u32 v134, -1, v134
	s_add_co_i32 s47, s47, 8
	s_wait_xcnt 0x0
	s_add_co_i32 s44, s44, 8
	ds_load_b64 v[138:139], v135
	v_cmp_eq_u32_e32 vcc_lo, 0, v134
	s_or_b32 s1, vcc_lo, s1
	s_wait_loadcnt_dscnt 0x0
	v_pk_mul_f32 v[140:141], v[138:139], v[136:137] op_sel:[1,1] op_sel_hi:[0,1]
	s_delay_alu instid0(VALU_DEP_1) | instskip(SKIP_1) | instid1(VALU_DEP_2)
	v_pk_fma_f32 v[142:143], v[138:139], v[136:137], v[140:141] op_sel_hi:[1,0,1]
	v_pk_fma_f32 v[136:137], v[138:139], v[136:137], v[140:141] neg_lo:[0,0,1] neg_hi:[0,0,1]
	v_mov_b32_e32 v137, v143
	s_delay_alu instid0(VALU_DEP_1)
	v_pk_add_f32 v[132:133], v[132:133], v[136:137]
	s_and_not1_b32 exec_lo, exec_lo, s1
	s_cbranch_execnz .LBB127_252
; %bb.253:
	s_or_b32 exec_lo, exec_lo, s1
.LBB127_254:
	s_delay_alu instid0(SALU_CYCLE_1) | instskip(SKIP_4) | instid1(VALU_DEP_1)
	s_or_b32 exec_lo, exec_lo, s46
	v_mov_b32_e32 v134, 0
	ds_load_b64 v[134:135], v134 offset:304
	s_wait_dscnt 0x0
	v_pk_mul_f32 v[136:137], v[132:133], v[134:135] op_sel:[1,1] op_sel_hi:[0,1]
	v_pk_fma_f32 v[138:139], v[132:133], v[134:135], v[136:137] op_sel_hi:[1,0,1]
	v_pk_fma_f32 v[132:133], v[132:133], v[134:135], v[136:137] neg_lo:[0,0,1] neg_hi:[0,0,1]
	s_delay_alu instid0(VALU_DEP_2)
	v_mov_b32_e32 v133, v139
	scratch_store_b64 off, v[132:133], off offset:304
.LBB127_255:
	s_wait_xcnt 0x0
	s_or_b32 exec_lo, exec_lo, s45
	scratch_load_b64 v[132:133], off, off offset:296
	v_cmp_lt_u32_e64 s1, 37, v0
	s_wait_loadcnt 0x0
	ds_store_b64 v1, v[132:133]
	s_wait_storecnt_dscnt 0x0
	s_barrier_signal -1
	s_barrier_wait -1
	s_wait_xcnt 0x0
	s_and_saveexec_b32 s44, s1
	s_cbranch_execz .LBB127_265
; %bb.256:
	s_and_not1_b32 vcc_lo, exec_lo, s3
	s_cbranch_vccnz .LBB127_258
; %bb.257:
	scratch_load_b64 v[132:133], v59, off
	ds_load_b64 v[134:135], v1
	s_wait_loadcnt_dscnt 0x0
	v_pk_mul_f32 v[136:137], v[134:135], v[132:133] op_sel:[1,1] op_sel_hi:[0,1]
	s_delay_alu instid0(VALU_DEP_1) | instskip(SKIP_1) | instid1(VALU_DEP_2)
	v_pk_fma_f32 v[138:139], v[134:135], v[132:133], v[136:137] op_sel_hi:[1,0,1]
	v_pk_fma_f32 v[132:133], v[134:135], v[132:133], v[136:137] neg_lo:[0,0,1] neg_hi:[0,0,1]
	v_mov_b32_e32 v133, v139
	s_cbranch_execz .LBB127_259
	s_branch .LBB127_260
.LBB127_258:
                                        ; implicit-def: $vgpr132_vgpr133
.LBB127_259:
	ds_load_b64 v[132:133], v1
.LBB127_260:
	s_and_saveexec_b32 s45, s0
	s_cbranch_execz .LBB127_264
; %bb.261:
	v_subrev_nc_u32_e32 v134, 38, v0
	s_movk_i32 s46, 0x330
	s_mov_b32 s0, 0
.LBB127_262:                            ; =>This Inner Loop Header: Depth=1
	scratch_load_b64 v[136:137], off, s43
	v_dual_mov_b32 v135, s46 :: v_dual_add_nc_u32 v134, -1, v134
	s_add_co_i32 s46, s46, 8
	s_wait_xcnt 0x0
	s_add_co_i32 s43, s43, 8
	ds_load_b64 v[138:139], v135
	v_cmp_eq_u32_e32 vcc_lo, 0, v134
	s_or_b32 s0, vcc_lo, s0
	s_wait_loadcnt_dscnt 0x0
	v_pk_mul_f32 v[140:141], v[138:139], v[136:137] op_sel:[1,1] op_sel_hi:[0,1]
	s_delay_alu instid0(VALU_DEP_1) | instskip(SKIP_1) | instid1(VALU_DEP_2)
	v_pk_fma_f32 v[142:143], v[138:139], v[136:137], v[140:141] op_sel_hi:[1,0,1]
	v_pk_fma_f32 v[136:137], v[138:139], v[136:137], v[140:141] neg_lo:[0,0,1] neg_hi:[0,0,1]
	v_mov_b32_e32 v137, v143
	s_delay_alu instid0(VALU_DEP_1)
	v_pk_add_f32 v[132:133], v[132:133], v[136:137]
	s_and_not1_b32 exec_lo, exec_lo, s0
	s_cbranch_execnz .LBB127_262
; %bb.263:
	s_or_b32 exec_lo, exec_lo, s0
.LBB127_264:
	s_delay_alu instid0(SALU_CYCLE_1) | instskip(SKIP_4) | instid1(VALU_DEP_1)
	s_or_b32 exec_lo, exec_lo, s45
	v_mov_b32_e32 v134, 0
	ds_load_b64 v[134:135], v134 offset:296
	s_wait_dscnt 0x0
	v_pk_mul_f32 v[136:137], v[132:133], v[134:135] op_sel:[1,1] op_sel_hi:[0,1]
	v_pk_fma_f32 v[138:139], v[132:133], v[134:135], v[136:137] op_sel_hi:[1,0,1]
	v_pk_fma_f32 v[132:133], v[132:133], v[134:135], v[136:137] neg_lo:[0,0,1] neg_hi:[0,0,1]
	s_delay_alu instid0(VALU_DEP_2)
	v_mov_b32_e32 v133, v139
	scratch_store_b64 off, v[132:133], off offset:296
.LBB127_265:
	s_wait_xcnt 0x0
	s_or_b32 exec_lo, exec_lo, s44
	scratch_load_b64 v[132:133], off, off offset:288
	v_cmp_lt_u32_e64 s0, 36, v0
	s_wait_loadcnt 0x0
	ds_store_b64 v1, v[132:133]
	s_wait_storecnt_dscnt 0x0
	s_barrier_signal -1
	s_barrier_wait -1
	s_wait_xcnt 0x0
	s_and_saveexec_b32 s43, s0
	s_cbranch_execz .LBB127_275
; %bb.266:
	s_and_not1_b32 vcc_lo, exec_lo, s3
	s_cbranch_vccnz .LBB127_268
; %bb.267:
	scratch_load_b64 v[132:133], v59, off
	ds_load_b64 v[134:135], v1
	s_wait_loadcnt_dscnt 0x0
	v_pk_mul_f32 v[136:137], v[134:135], v[132:133] op_sel:[1,1] op_sel_hi:[0,1]
	s_delay_alu instid0(VALU_DEP_1) | instskip(SKIP_1) | instid1(VALU_DEP_2)
	v_pk_fma_f32 v[138:139], v[134:135], v[132:133], v[136:137] op_sel_hi:[1,0,1]
	v_pk_fma_f32 v[132:133], v[134:135], v[132:133], v[136:137] neg_lo:[0,0,1] neg_hi:[0,0,1]
	v_mov_b32_e32 v133, v139
	s_cbranch_execz .LBB127_269
	s_branch .LBB127_270
.LBB127_268:
                                        ; implicit-def: $vgpr132_vgpr133
.LBB127_269:
	ds_load_b64 v[132:133], v1
.LBB127_270:
	s_and_saveexec_b32 s44, s1
	s_cbranch_execz .LBB127_274
; %bb.271:
	v_subrev_nc_u32_e32 v134, 37, v0
	s_movk_i32 s45, 0x328
	s_mov_b32 s1, 0
.LBB127_272:                            ; =>This Inner Loop Header: Depth=1
	scratch_load_b64 v[136:137], off, s42
	v_dual_mov_b32 v135, s45 :: v_dual_add_nc_u32 v134, -1, v134
	s_add_co_i32 s45, s45, 8
	s_wait_xcnt 0x0
	s_add_co_i32 s42, s42, 8
	ds_load_b64 v[138:139], v135
	v_cmp_eq_u32_e32 vcc_lo, 0, v134
	s_or_b32 s1, vcc_lo, s1
	s_wait_loadcnt_dscnt 0x0
	v_pk_mul_f32 v[140:141], v[138:139], v[136:137] op_sel:[1,1] op_sel_hi:[0,1]
	s_delay_alu instid0(VALU_DEP_1) | instskip(SKIP_1) | instid1(VALU_DEP_2)
	v_pk_fma_f32 v[142:143], v[138:139], v[136:137], v[140:141] op_sel_hi:[1,0,1]
	v_pk_fma_f32 v[136:137], v[138:139], v[136:137], v[140:141] neg_lo:[0,0,1] neg_hi:[0,0,1]
	v_mov_b32_e32 v137, v143
	s_delay_alu instid0(VALU_DEP_1)
	v_pk_add_f32 v[132:133], v[132:133], v[136:137]
	s_and_not1_b32 exec_lo, exec_lo, s1
	s_cbranch_execnz .LBB127_272
; %bb.273:
	s_or_b32 exec_lo, exec_lo, s1
.LBB127_274:
	s_delay_alu instid0(SALU_CYCLE_1) | instskip(SKIP_4) | instid1(VALU_DEP_1)
	s_or_b32 exec_lo, exec_lo, s44
	v_mov_b32_e32 v134, 0
	ds_load_b64 v[134:135], v134 offset:288
	s_wait_dscnt 0x0
	v_pk_mul_f32 v[136:137], v[132:133], v[134:135] op_sel:[1,1] op_sel_hi:[0,1]
	v_pk_fma_f32 v[138:139], v[132:133], v[134:135], v[136:137] op_sel_hi:[1,0,1]
	v_pk_fma_f32 v[132:133], v[132:133], v[134:135], v[136:137] neg_lo:[0,0,1] neg_hi:[0,0,1]
	s_delay_alu instid0(VALU_DEP_2)
	v_mov_b32_e32 v133, v139
	scratch_store_b64 off, v[132:133], off offset:288
.LBB127_275:
	s_wait_xcnt 0x0
	s_or_b32 exec_lo, exec_lo, s43
	scratch_load_b64 v[132:133], off, off offset:280
	v_cmp_lt_u32_e64 s1, 35, v0
	s_wait_loadcnt 0x0
	ds_store_b64 v1, v[132:133]
	s_wait_storecnt_dscnt 0x0
	s_barrier_signal -1
	s_barrier_wait -1
	s_wait_xcnt 0x0
	s_and_saveexec_b32 s42, s1
	s_cbranch_execz .LBB127_285
; %bb.276:
	s_and_not1_b32 vcc_lo, exec_lo, s3
	s_cbranch_vccnz .LBB127_278
; %bb.277:
	scratch_load_b64 v[132:133], v59, off
	ds_load_b64 v[134:135], v1
	s_wait_loadcnt_dscnt 0x0
	v_pk_mul_f32 v[136:137], v[134:135], v[132:133] op_sel:[1,1] op_sel_hi:[0,1]
	s_delay_alu instid0(VALU_DEP_1) | instskip(SKIP_1) | instid1(VALU_DEP_2)
	v_pk_fma_f32 v[138:139], v[134:135], v[132:133], v[136:137] op_sel_hi:[1,0,1]
	v_pk_fma_f32 v[132:133], v[134:135], v[132:133], v[136:137] neg_lo:[0,0,1] neg_hi:[0,0,1]
	v_mov_b32_e32 v133, v139
	s_cbranch_execz .LBB127_279
	s_branch .LBB127_280
.LBB127_278:
                                        ; implicit-def: $vgpr132_vgpr133
.LBB127_279:
	ds_load_b64 v[132:133], v1
.LBB127_280:
	s_and_saveexec_b32 s43, s0
	s_cbranch_execz .LBB127_284
; %bb.281:
	v_subrev_nc_u32_e32 v134, 36, v0
	s_movk_i32 s44, 0x320
	s_mov_b32 s0, 0
.LBB127_282:                            ; =>This Inner Loop Header: Depth=1
	scratch_load_b64 v[136:137], off, s41
	v_dual_mov_b32 v135, s44 :: v_dual_add_nc_u32 v134, -1, v134
	s_add_co_i32 s44, s44, 8
	s_wait_xcnt 0x0
	s_add_co_i32 s41, s41, 8
	ds_load_b64 v[138:139], v135
	v_cmp_eq_u32_e32 vcc_lo, 0, v134
	s_or_b32 s0, vcc_lo, s0
	s_wait_loadcnt_dscnt 0x0
	v_pk_mul_f32 v[140:141], v[138:139], v[136:137] op_sel:[1,1] op_sel_hi:[0,1]
	s_delay_alu instid0(VALU_DEP_1) | instskip(SKIP_1) | instid1(VALU_DEP_2)
	v_pk_fma_f32 v[142:143], v[138:139], v[136:137], v[140:141] op_sel_hi:[1,0,1]
	v_pk_fma_f32 v[136:137], v[138:139], v[136:137], v[140:141] neg_lo:[0,0,1] neg_hi:[0,0,1]
	v_mov_b32_e32 v137, v143
	s_delay_alu instid0(VALU_DEP_1)
	v_pk_add_f32 v[132:133], v[132:133], v[136:137]
	s_and_not1_b32 exec_lo, exec_lo, s0
	s_cbranch_execnz .LBB127_282
; %bb.283:
	s_or_b32 exec_lo, exec_lo, s0
.LBB127_284:
	s_delay_alu instid0(SALU_CYCLE_1) | instskip(SKIP_4) | instid1(VALU_DEP_1)
	s_or_b32 exec_lo, exec_lo, s43
	v_mov_b32_e32 v134, 0
	ds_load_b64 v[134:135], v134 offset:280
	s_wait_dscnt 0x0
	v_pk_mul_f32 v[136:137], v[132:133], v[134:135] op_sel:[1,1] op_sel_hi:[0,1]
	v_pk_fma_f32 v[138:139], v[132:133], v[134:135], v[136:137] op_sel_hi:[1,0,1]
	v_pk_fma_f32 v[132:133], v[132:133], v[134:135], v[136:137] neg_lo:[0,0,1] neg_hi:[0,0,1]
	s_delay_alu instid0(VALU_DEP_2)
	v_mov_b32_e32 v133, v139
	scratch_store_b64 off, v[132:133], off offset:280
.LBB127_285:
	s_wait_xcnt 0x0
	s_or_b32 exec_lo, exec_lo, s42
	scratch_load_b64 v[132:133], off, off offset:272
	v_cmp_lt_u32_e64 s0, 34, v0
	s_wait_loadcnt 0x0
	ds_store_b64 v1, v[132:133]
	s_wait_storecnt_dscnt 0x0
	s_barrier_signal -1
	s_barrier_wait -1
	s_wait_xcnt 0x0
	s_and_saveexec_b32 s41, s0
	s_cbranch_execz .LBB127_295
; %bb.286:
	s_and_not1_b32 vcc_lo, exec_lo, s3
	s_cbranch_vccnz .LBB127_288
; %bb.287:
	scratch_load_b64 v[132:133], v59, off
	ds_load_b64 v[134:135], v1
	s_wait_loadcnt_dscnt 0x0
	v_pk_mul_f32 v[136:137], v[134:135], v[132:133] op_sel:[1,1] op_sel_hi:[0,1]
	s_delay_alu instid0(VALU_DEP_1) | instskip(SKIP_1) | instid1(VALU_DEP_2)
	v_pk_fma_f32 v[138:139], v[134:135], v[132:133], v[136:137] op_sel_hi:[1,0,1]
	v_pk_fma_f32 v[132:133], v[134:135], v[132:133], v[136:137] neg_lo:[0,0,1] neg_hi:[0,0,1]
	v_mov_b32_e32 v133, v139
	s_cbranch_execz .LBB127_289
	s_branch .LBB127_290
.LBB127_288:
                                        ; implicit-def: $vgpr132_vgpr133
.LBB127_289:
	ds_load_b64 v[132:133], v1
.LBB127_290:
	s_and_saveexec_b32 s42, s1
	s_cbranch_execz .LBB127_294
; %bb.291:
	v_subrev_nc_u32_e32 v134, 35, v0
	s_movk_i32 s43, 0x318
	s_mov_b32 s1, 0
.LBB127_292:                            ; =>This Inner Loop Header: Depth=1
	scratch_load_b64 v[136:137], off, s40
	v_dual_mov_b32 v135, s43 :: v_dual_add_nc_u32 v134, -1, v134
	s_add_co_i32 s43, s43, 8
	s_wait_xcnt 0x0
	s_add_co_i32 s40, s40, 8
	ds_load_b64 v[138:139], v135
	v_cmp_eq_u32_e32 vcc_lo, 0, v134
	s_or_b32 s1, vcc_lo, s1
	s_wait_loadcnt_dscnt 0x0
	v_pk_mul_f32 v[140:141], v[138:139], v[136:137] op_sel:[1,1] op_sel_hi:[0,1]
	s_delay_alu instid0(VALU_DEP_1) | instskip(SKIP_1) | instid1(VALU_DEP_2)
	v_pk_fma_f32 v[142:143], v[138:139], v[136:137], v[140:141] op_sel_hi:[1,0,1]
	v_pk_fma_f32 v[136:137], v[138:139], v[136:137], v[140:141] neg_lo:[0,0,1] neg_hi:[0,0,1]
	v_mov_b32_e32 v137, v143
	s_delay_alu instid0(VALU_DEP_1)
	v_pk_add_f32 v[132:133], v[132:133], v[136:137]
	s_and_not1_b32 exec_lo, exec_lo, s1
	s_cbranch_execnz .LBB127_292
; %bb.293:
	s_or_b32 exec_lo, exec_lo, s1
.LBB127_294:
	s_delay_alu instid0(SALU_CYCLE_1) | instskip(SKIP_4) | instid1(VALU_DEP_1)
	s_or_b32 exec_lo, exec_lo, s42
	v_mov_b32_e32 v134, 0
	ds_load_b64 v[134:135], v134 offset:272
	s_wait_dscnt 0x0
	v_pk_mul_f32 v[136:137], v[132:133], v[134:135] op_sel:[1,1] op_sel_hi:[0,1]
	v_pk_fma_f32 v[138:139], v[132:133], v[134:135], v[136:137] op_sel_hi:[1,0,1]
	v_pk_fma_f32 v[132:133], v[132:133], v[134:135], v[136:137] neg_lo:[0,0,1] neg_hi:[0,0,1]
	s_delay_alu instid0(VALU_DEP_2)
	v_mov_b32_e32 v133, v139
	scratch_store_b64 off, v[132:133], off offset:272
.LBB127_295:
	s_wait_xcnt 0x0
	s_or_b32 exec_lo, exec_lo, s41
	scratch_load_b64 v[132:133], off, off offset:264
	v_cmp_lt_u32_e64 s1, 33, v0
	s_wait_loadcnt 0x0
	ds_store_b64 v1, v[132:133]
	s_wait_storecnt_dscnt 0x0
	s_barrier_signal -1
	s_barrier_wait -1
	s_wait_xcnt 0x0
	s_and_saveexec_b32 s40, s1
	s_cbranch_execz .LBB127_305
; %bb.296:
	s_and_not1_b32 vcc_lo, exec_lo, s3
	s_cbranch_vccnz .LBB127_298
; %bb.297:
	scratch_load_b64 v[132:133], v59, off
	ds_load_b64 v[134:135], v1
	s_wait_loadcnt_dscnt 0x0
	v_pk_mul_f32 v[136:137], v[134:135], v[132:133] op_sel:[1,1] op_sel_hi:[0,1]
	s_delay_alu instid0(VALU_DEP_1) | instskip(SKIP_1) | instid1(VALU_DEP_2)
	v_pk_fma_f32 v[138:139], v[134:135], v[132:133], v[136:137] op_sel_hi:[1,0,1]
	v_pk_fma_f32 v[132:133], v[134:135], v[132:133], v[136:137] neg_lo:[0,0,1] neg_hi:[0,0,1]
	v_mov_b32_e32 v133, v139
	s_cbranch_execz .LBB127_299
	s_branch .LBB127_300
.LBB127_298:
                                        ; implicit-def: $vgpr132_vgpr133
.LBB127_299:
	ds_load_b64 v[132:133], v1
.LBB127_300:
	s_and_saveexec_b32 s41, s0
	s_cbranch_execz .LBB127_304
; %bb.301:
	v_subrev_nc_u32_e32 v134, 34, v0
	s_movk_i32 s42, 0x310
	s_mov_b32 s0, 0
.LBB127_302:                            ; =>This Inner Loop Header: Depth=1
	scratch_load_b64 v[136:137], off, s39
	v_dual_mov_b32 v135, s42 :: v_dual_add_nc_u32 v134, -1, v134
	s_add_co_i32 s42, s42, 8
	s_wait_xcnt 0x0
	s_add_co_i32 s39, s39, 8
	ds_load_b64 v[138:139], v135
	v_cmp_eq_u32_e32 vcc_lo, 0, v134
	s_or_b32 s0, vcc_lo, s0
	s_wait_loadcnt_dscnt 0x0
	v_pk_mul_f32 v[140:141], v[138:139], v[136:137] op_sel:[1,1] op_sel_hi:[0,1]
	s_delay_alu instid0(VALU_DEP_1) | instskip(SKIP_1) | instid1(VALU_DEP_2)
	v_pk_fma_f32 v[142:143], v[138:139], v[136:137], v[140:141] op_sel_hi:[1,0,1]
	v_pk_fma_f32 v[136:137], v[138:139], v[136:137], v[140:141] neg_lo:[0,0,1] neg_hi:[0,0,1]
	v_mov_b32_e32 v137, v143
	s_delay_alu instid0(VALU_DEP_1)
	v_pk_add_f32 v[132:133], v[132:133], v[136:137]
	s_and_not1_b32 exec_lo, exec_lo, s0
	s_cbranch_execnz .LBB127_302
; %bb.303:
	s_or_b32 exec_lo, exec_lo, s0
.LBB127_304:
	s_delay_alu instid0(SALU_CYCLE_1) | instskip(SKIP_4) | instid1(VALU_DEP_1)
	s_or_b32 exec_lo, exec_lo, s41
	v_mov_b32_e32 v134, 0
	ds_load_b64 v[134:135], v134 offset:264
	s_wait_dscnt 0x0
	v_pk_mul_f32 v[136:137], v[132:133], v[134:135] op_sel:[1,1] op_sel_hi:[0,1]
	v_pk_fma_f32 v[138:139], v[132:133], v[134:135], v[136:137] op_sel_hi:[1,0,1]
	v_pk_fma_f32 v[132:133], v[132:133], v[134:135], v[136:137] neg_lo:[0,0,1] neg_hi:[0,0,1]
	s_delay_alu instid0(VALU_DEP_2)
	v_mov_b32_e32 v133, v139
	scratch_store_b64 off, v[132:133], off offset:264
.LBB127_305:
	s_wait_xcnt 0x0
	s_or_b32 exec_lo, exec_lo, s40
	scratch_load_b64 v[132:133], off, off offset:256
	v_cmp_lt_u32_e64 s0, 32, v0
	s_wait_loadcnt 0x0
	ds_store_b64 v1, v[132:133]
	s_wait_storecnt_dscnt 0x0
	s_barrier_signal -1
	s_barrier_wait -1
	s_wait_xcnt 0x0
	s_and_saveexec_b32 s39, s0
	s_cbranch_execz .LBB127_315
; %bb.306:
	s_and_not1_b32 vcc_lo, exec_lo, s3
	s_cbranch_vccnz .LBB127_308
; %bb.307:
	scratch_load_b64 v[132:133], v59, off
	ds_load_b64 v[134:135], v1
	s_wait_loadcnt_dscnt 0x0
	v_pk_mul_f32 v[136:137], v[134:135], v[132:133] op_sel:[1,1] op_sel_hi:[0,1]
	s_delay_alu instid0(VALU_DEP_1) | instskip(SKIP_1) | instid1(VALU_DEP_2)
	v_pk_fma_f32 v[138:139], v[134:135], v[132:133], v[136:137] op_sel_hi:[1,0,1]
	v_pk_fma_f32 v[132:133], v[134:135], v[132:133], v[136:137] neg_lo:[0,0,1] neg_hi:[0,0,1]
	v_mov_b32_e32 v133, v139
	s_cbranch_execz .LBB127_309
	s_branch .LBB127_310
.LBB127_308:
                                        ; implicit-def: $vgpr132_vgpr133
.LBB127_309:
	ds_load_b64 v[132:133], v1
.LBB127_310:
	s_and_saveexec_b32 s40, s1
	s_cbranch_execz .LBB127_314
; %bb.311:
	v_subrev_nc_u32_e32 v134, 33, v0
	s_movk_i32 s41, 0x308
	s_mov_b32 s1, 0
.LBB127_312:                            ; =>This Inner Loop Header: Depth=1
	scratch_load_b64 v[136:137], off, s38
	v_dual_mov_b32 v135, s41 :: v_dual_add_nc_u32 v134, -1, v134
	s_add_co_i32 s41, s41, 8
	s_wait_xcnt 0x0
	s_add_co_i32 s38, s38, 8
	ds_load_b64 v[138:139], v135
	v_cmp_eq_u32_e32 vcc_lo, 0, v134
	s_or_b32 s1, vcc_lo, s1
	s_wait_loadcnt_dscnt 0x0
	v_pk_mul_f32 v[140:141], v[138:139], v[136:137] op_sel:[1,1] op_sel_hi:[0,1]
	s_delay_alu instid0(VALU_DEP_1) | instskip(SKIP_1) | instid1(VALU_DEP_2)
	v_pk_fma_f32 v[142:143], v[138:139], v[136:137], v[140:141] op_sel_hi:[1,0,1]
	v_pk_fma_f32 v[136:137], v[138:139], v[136:137], v[140:141] neg_lo:[0,0,1] neg_hi:[0,0,1]
	v_mov_b32_e32 v137, v143
	s_delay_alu instid0(VALU_DEP_1)
	v_pk_add_f32 v[132:133], v[132:133], v[136:137]
	s_and_not1_b32 exec_lo, exec_lo, s1
	s_cbranch_execnz .LBB127_312
; %bb.313:
	s_or_b32 exec_lo, exec_lo, s1
.LBB127_314:
	s_delay_alu instid0(SALU_CYCLE_1) | instskip(SKIP_4) | instid1(VALU_DEP_1)
	s_or_b32 exec_lo, exec_lo, s40
	v_mov_b32_e32 v134, 0
	ds_load_b64 v[134:135], v134 offset:256
	s_wait_dscnt 0x0
	v_pk_mul_f32 v[136:137], v[132:133], v[134:135] op_sel:[1,1] op_sel_hi:[0,1]
	v_pk_fma_f32 v[138:139], v[132:133], v[134:135], v[136:137] op_sel_hi:[1,0,1]
	v_pk_fma_f32 v[132:133], v[132:133], v[134:135], v[136:137] neg_lo:[0,0,1] neg_hi:[0,0,1]
	s_delay_alu instid0(VALU_DEP_2)
	v_mov_b32_e32 v133, v139
	scratch_store_b64 off, v[132:133], off offset:256
.LBB127_315:
	s_wait_xcnt 0x0
	s_or_b32 exec_lo, exec_lo, s39
	scratch_load_b64 v[132:133], off, off offset:248
	v_cmp_lt_u32_e64 s1, 31, v0
	s_wait_loadcnt 0x0
	ds_store_b64 v1, v[132:133]
	s_wait_storecnt_dscnt 0x0
	s_barrier_signal -1
	s_barrier_wait -1
	s_wait_xcnt 0x0
	s_and_saveexec_b32 s38, s1
	s_cbranch_execz .LBB127_325
; %bb.316:
	s_and_not1_b32 vcc_lo, exec_lo, s3
	s_cbranch_vccnz .LBB127_318
; %bb.317:
	scratch_load_b64 v[132:133], v59, off
	ds_load_b64 v[134:135], v1
	s_wait_loadcnt_dscnt 0x0
	v_pk_mul_f32 v[136:137], v[134:135], v[132:133] op_sel:[1,1] op_sel_hi:[0,1]
	s_delay_alu instid0(VALU_DEP_1) | instskip(SKIP_1) | instid1(VALU_DEP_2)
	v_pk_fma_f32 v[138:139], v[134:135], v[132:133], v[136:137] op_sel_hi:[1,0,1]
	v_pk_fma_f32 v[132:133], v[134:135], v[132:133], v[136:137] neg_lo:[0,0,1] neg_hi:[0,0,1]
	v_mov_b32_e32 v133, v139
	s_cbranch_execz .LBB127_319
	s_branch .LBB127_320
.LBB127_318:
                                        ; implicit-def: $vgpr132_vgpr133
.LBB127_319:
	ds_load_b64 v[132:133], v1
.LBB127_320:
	s_and_saveexec_b32 s39, s0
	s_cbranch_execz .LBB127_324
; %bb.321:
	v_subrev_nc_u32_e32 v134, 32, v0
	s_movk_i32 s40, 0x300
	s_mov_b32 s0, 0
.LBB127_322:                            ; =>This Inner Loop Header: Depth=1
	scratch_load_b64 v[136:137], off, s37
	v_dual_mov_b32 v135, s40 :: v_dual_add_nc_u32 v134, -1, v134
	s_add_co_i32 s40, s40, 8
	s_wait_xcnt 0x0
	s_add_co_i32 s37, s37, 8
	ds_load_b64 v[138:139], v135
	v_cmp_eq_u32_e32 vcc_lo, 0, v134
	s_or_b32 s0, vcc_lo, s0
	s_wait_loadcnt_dscnt 0x0
	v_pk_mul_f32 v[140:141], v[138:139], v[136:137] op_sel:[1,1] op_sel_hi:[0,1]
	s_delay_alu instid0(VALU_DEP_1) | instskip(SKIP_1) | instid1(VALU_DEP_2)
	v_pk_fma_f32 v[142:143], v[138:139], v[136:137], v[140:141] op_sel_hi:[1,0,1]
	v_pk_fma_f32 v[136:137], v[138:139], v[136:137], v[140:141] neg_lo:[0,0,1] neg_hi:[0,0,1]
	v_mov_b32_e32 v137, v143
	s_delay_alu instid0(VALU_DEP_1)
	v_pk_add_f32 v[132:133], v[132:133], v[136:137]
	s_and_not1_b32 exec_lo, exec_lo, s0
	s_cbranch_execnz .LBB127_322
; %bb.323:
	s_or_b32 exec_lo, exec_lo, s0
.LBB127_324:
	s_delay_alu instid0(SALU_CYCLE_1) | instskip(SKIP_4) | instid1(VALU_DEP_1)
	s_or_b32 exec_lo, exec_lo, s39
	v_mov_b32_e32 v134, 0
	ds_load_b64 v[134:135], v134 offset:248
	s_wait_dscnt 0x0
	v_pk_mul_f32 v[136:137], v[132:133], v[134:135] op_sel:[1,1] op_sel_hi:[0,1]
	v_pk_fma_f32 v[138:139], v[132:133], v[134:135], v[136:137] op_sel_hi:[1,0,1]
	v_pk_fma_f32 v[132:133], v[132:133], v[134:135], v[136:137] neg_lo:[0,0,1] neg_hi:[0,0,1]
	s_delay_alu instid0(VALU_DEP_2)
	v_mov_b32_e32 v133, v139
	scratch_store_b64 off, v[132:133], off offset:248
.LBB127_325:
	s_wait_xcnt 0x0
	s_or_b32 exec_lo, exec_lo, s38
	scratch_load_b64 v[132:133], off, off offset:240
	v_cmp_lt_u32_e64 s0, 30, v0
	s_wait_loadcnt 0x0
	ds_store_b64 v1, v[132:133]
	s_wait_storecnt_dscnt 0x0
	s_barrier_signal -1
	s_barrier_wait -1
	s_wait_xcnt 0x0
	s_and_saveexec_b32 s37, s0
	s_cbranch_execz .LBB127_335
; %bb.326:
	s_and_not1_b32 vcc_lo, exec_lo, s3
	s_cbranch_vccnz .LBB127_328
; %bb.327:
	scratch_load_b64 v[132:133], v59, off
	ds_load_b64 v[134:135], v1
	s_wait_loadcnt_dscnt 0x0
	v_pk_mul_f32 v[136:137], v[134:135], v[132:133] op_sel:[1,1] op_sel_hi:[0,1]
	s_delay_alu instid0(VALU_DEP_1) | instskip(SKIP_1) | instid1(VALU_DEP_2)
	v_pk_fma_f32 v[138:139], v[134:135], v[132:133], v[136:137] op_sel_hi:[1,0,1]
	v_pk_fma_f32 v[132:133], v[134:135], v[132:133], v[136:137] neg_lo:[0,0,1] neg_hi:[0,0,1]
	v_mov_b32_e32 v133, v139
	s_cbranch_execz .LBB127_329
	s_branch .LBB127_330
.LBB127_328:
                                        ; implicit-def: $vgpr132_vgpr133
.LBB127_329:
	ds_load_b64 v[132:133], v1
.LBB127_330:
	s_and_saveexec_b32 s38, s1
	s_cbranch_execz .LBB127_334
; %bb.331:
	v_subrev_nc_u32_e32 v134, 31, v0
	s_movk_i32 s39, 0x2f8
	s_mov_b32 s1, 0
.LBB127_332:                            ; =>This Inner Loop Header: Depth=1
	scratch_load_b64 v[136:137], off, s36
	v_dual_mov_b32 v135, s39 :: v_dual_add_nc_u32 v134, -1, v134
	s_add_co_i32 s39, s39, 8
	s_wait_xcnt 0x0
	s_add_co_i32 s36, s36, 8
	ds_load_b64 v[138:139], v135
	v_cmp_eq_u32_e32 vcc_lo, 0, v134
	s_or_b32 s1, vcc_lo, s1
	s_wait_loadcnt_dscnt 0x0
	v_pk_mul_f32 v[140:141], v[138:139], v[136:137] op_sel:[1,1] op_sel_hi:[0,1]
	s_delay_alu instid0(VALU_DEP_1) | instskip(SKIP_1) | instid1(VALU_DEP_2)
	v_pk_fma_f32 v[142:143], v[138:139], v[136:137], v[140:141] op_sel_hi:[1,0,1]
	v_pk_fma_f32 v[136:137], v[138:139], v[136:137], v[140:141] neg_lo:[0,0,1] neg_hi:[0,0,1]
	v_mov_b32_e32 v137, v143
	s_delay_alu instid0(VALU_DEP_1)
	v_pk_add_f32 v[132:133], v[132:133], v[136:137]
	s_and_not1_b32 exec_lo, exec_lo, s1
	s_cbranch_execnz .LBB127_332
; %bb.333:
	s_or_b32 exec_lo, exec_lo, s1
.LBB127_334:
	s_delay_alu instid0(SALU_CYCLE_1) | instskip(SKIP_4) | instid1(VALU_DEP_1)
	s_or_b32 exec_lo, exec_lo, s38
	v_mov_b32_e32 v134, 0
	ds_load_b64 v[134:135], v134 offset:240
	s_wait_dscnt 0x0
	v_pk_mul_f32 v[136:137], v[132:133], v[134:135] op_sel:[1,1] op_sel_hi:[0,1]
	v_pk_fma_f32 v[138:139], v[132:133], v[134:135], v[136:137] op_sel_hi:[1,0,1]
	v_pk_fma_f32 v[132:133], v[132:133], v[134:135], v[136:137] neg_lo:[0,0,1] neg_hi:[0,0,1]
	s_delay_alu instid0(VALU_DEP_2)
	v_mov_b32_e32 v133, v139
	scratch_store_b64 off, v[132:133], off offset:240
.LBB127_335:
	s_wait_xcnt 0x0
	s_or_b32 exec_lo, exec_lo, s37
	scratch_load_b64 v[132:133], off, off offset:232
	v_cmp_lt_u32_e64 s1, 29, v0
	s_wait_loadcnt 0x0
	ds_store_b64 v1, v[132:133]
	s_wait_storecnt_dscnt 0x0
	s_barrier_signal -1
	s_barrier_wait -1
	s_wait_xcnt 0x0
	s_and_saveexec_b32 s36, s1
	s_cbranch_execz .LBB127_345
; %bb.336:
	s_and_not1_b32 vcc_lo, exec_lo, s3
	s_cbranch_vccnz .LBB127_338
; %bb.337:
	scratch_load_b64 v[132:133], v59, off
	ds_load_b64 v[134:135], v1
	s_wait_loadcnt_dscnt 0x0
	v_pk_mul_f32 v[136:137], v[134:135], v[132:133] op_sel:[1,1] op_sel_hi:[0,1]
	s_delay_alu instid0(VALU_DEP_1) | instskip(SKIP_1) | instid1(VALU_DEP_2)
	v_pk_fma_f32 v[138:139], v[134:135], v[132:133], v[136:137] op_sel_hi:[1,0,1]
	v_pk_fma_f32 v[132:133], v[134:135], v[132:133], v[136:137] neg_lo:[0,0,1] neg_hi:[0,0,1]
	v_mov_b32_e32 v133, v139
	s_cbranch_execz .LBB127_339
	s_branch .LBB127_340
.LBB127_338:
                                        ; implicit-def: $vgpr132_vgpr133
.LBB127_339:
	ds_load_b64 v[132:133], v1
.LBB127_340:
	s_and_saveexec_b32 s37, s0
	s_cbranch_execz .LBB127_344
; %bb.341:
	v_subrev_nc_u32_e32 v134, 30, v0
	s_movk_i32 s38, 0x2f0
	s_mov_b32 s0, 0
.LBB127_342:                            ; =>This Inner Loop Header: Depth=1
	scratch_load_b64 v[136:137], off, s35
	v_dual_mov_b32 v135, s38 :: v_dual_add_nc_u32 v134, -1, v134
	s_add_co_i32 s38, s38, 8
	s_wait_xcnt 0x0
	s_add_co_i32 s35, s35, 8
	ds_load_b64 v[138:139], v135
	v_cmp_eq_u32_e32 vcc_lo, 0, v134
	s_or_b32 s0, vcc_lo, s0
	s_wait_loadcnt_dscnt 0x0
	v_pk_mul_f32 v[140:141], v[138:139], v[136:137] op_sel:[1,1] op_sel_hi:[0,1]
	s_delay_alu instid0(VALU_DEP_1) | instskip(SKIP_1) | instid1(VALU_DEP_2)
	v_pk_fma_f32 v[142:143], v[138:139], v[136:137], v[140:141] op_sel_hi:[1,0,1]
	v_pk_fma_f32 v[136:137], v[138:139], v[136:137], v[140:141] neg_lo:[0,0,1] neg_hi:[0,0,1]
	v_mov_b32_e32 v137, v143
	s_delay_alu instid0(VALU_DEP_1)
	v_pk_add_f32 v[132:133], v[132:133], v[136:137]
	s_and_not1_b32 exec_lo, exec_lo, s0
	s_cbranch_execnz .LBB127_342
; %bb.343:
	s_or_b32 exec_lo, exec_lo, s0
.LBB127_344:
	s_delay_alu instid0(SALU_CYCLE_1) | instskip(SKIP_4) | instid1(VALU_DEP_1)
	s_or_b32 exec_lo, exec_lo, s37
	v_mov_b32_e32 v134, 0
	ds_load_b64 v[134:135], v134 offset:232
	s_wait_dscnt 0x0
	v_pk_mul_f32 v[136:137], v[132:133], v[134:135] op_sel:[1,1] op_sel_hi:[0,1]
	v_pk_fma_f32 v[138:139], v[132:133], v[134:135], v[136:137] op_sel_hi:[1,0,1]
	v_pk_fma_f32 v[132:133], v[132:133], v[134:135], v[136:137] neg_lo:[0,0,1] neg_hi:[0,0,1]
	s_delay_alu instid0(VALU_DEP_2)
	v_mov_b32_e32 v133, v139
	scratch_store_b64 off, v[132:133], off offset:232
.LBB127_345:
	s_wait_xcnt 0x0
	s_or_b32 exec_lo, exec_lo, s36
	scratch_load_b64 v[132:133], off, off offset:224
	v_cmp_lt_u32_e64 s0, 28, v0
	s_wait_loadcnt 0x0
	ds_store_b64 v1, v[132:133]
	s_wait_storecnt_dscnt 0x0
	s_barrier_signal -1
	s_barrier_wait -1
	s_wait_xcnt 0x0
	s_and_saveexec_b32 s35, s0
	s_cbranch_execz .LBB127_355
; %bb.346:
	s_and_not1_b32 vcc_lo, exec_lo, s3
	s_cbranch_vccnz .LBB127_348
; %bb.347:
	scratch_load_b64 v[132:133], v59, off
	ds_load_b64 v[134:135], v1
	s_wait_loadcnt_dscnt 0x0
	v_pk_mul_f32 v[136:137], v[134:135], v[132:133] op_sel:[1,1] op_sel_hi:[0,1]
	s_delay_alu instid0(VALU_DEP_1) | instskip(SKIP_1) | instid1(VALU_DEP_2)
	v_pk_fma_f32 v[138:139], v[134:135], v[132:133], v[136:137] op_sel_hi:[1,0,1]
	v_pk_fma_f32 v[132:133], v[134:135], v[132:133], v[136:137] neg_lo:[0,0,1] neg_hi:[0,0,1]
	v_mov_b32_e32 v133, v139
	s_cbranch_execz .LBB127_349
	s_branch .LBB127_350
.LBB127_348:
                                        ; implicit-def: $vgpr132_vgpr133
.LBB127_349:
	ds_load_b64 v[132:133], v1
.LBB127_350:
	s_and_saveexec_b32 s36, s1
	s_cbranch_execz .LBB127_354
; %bb.351:
	v_subrev_nc_u32_e32 v134, 29, v0
	s_movk_i32 s37, 0x2e8
	s_mov_b32 s1, 0
.LBB127_352:                            ; =>This Inner Loop Header: Depth=1
	scratch_load_b64 v[136:137], off, s34
	v_dual_mov_b32 v135, s37 :: v_dual_add_nc_u32 v134, -1, v134
	s_add_co_i32 s37, s37, 8
	s_wait_xcnt 0x0
	s_add_co_i32 s34, s34, 8
	ds_load_b64 v[138:139], v135
	v_cmp_eq_u32_e32 vcc_lo, 0, v134
	s_or_b32 s1, vcc_lo, s1
	s_wait_loadcnt_dscnt 0x0
	v_pk_mul_f32 v[140:141], v[138:139], v[136:137] op_sel:[1,1] op_sel_hi:[0,1]
	s_delay_alu instid0(VALU_DEP_1) | instskip(SKIP_1) | instid1(VALU_DEP_2)
	v_pk_fma_f32 v[142:143], v[138:139], v[136:137], v[140:141] op_sel_hi:[1,0,1]
	v_pk_fma_f32 v[136:137], v[138:139], v[136:137], v[140:141] neg_lo:[0,0,1] neg_hi:[0,0,1]
	v_mov_b32_e32 v137, v143
	s_delay_alu instid0(VALU_DEP_1)
	v_pk_add_f32 v[132:133], v[132:133], v[136:137]
	s_and_not1_b32 exec_lo, exec_lo, s1
	s_cbranch_execnz .LBB127_352
; %bb.353:
	s_or_b32 exec_lo, exec_lo, s1
.LBB127_354:
	s_delay_alu instid0(SALU_CYCLE_1) | instskip(SKIP_4) | instid1(VALU_DEP_1)
	s_or_b32 exec_lo, exec_lo, s36
	v_mov_b32_e32 v134, 0
	ds_load_b64 v[134:135], v134 offset:224
	s_wait_dscnt 0x0
	v_pk_mul_f32 v[136:137], v[132:133], v[134:135] op_sel:[1,1] op_sel_hi:[0,1]
	v_pk_fma_f32 v[138:139], v[132:133], v[134:135], v[136:137] op_sel_hi:[1,0,1]
	v_pk_fma_f32 v[132:133], v[132:133], v[134:135], v[136:137] neg_lo:[0,0,1] neg_hi:[0,0,1]
	s_delay_alu instid0(VALU_DEP_2)
	v_mov_b32_e32 v133, v139
	scratch_store_b64 off, v[132:133], off offset:224
.LBB127_355:
	s_wait_xcnt 0x0
	s_or_b32 exec_lo, exec_lo, s35
	scratch_load_b64 v[132:133], off, off offset:216
	v_cmp_lt_u32_e64 s1, 27, v0
	s_wait_loadcnt 0x0
	ds_store_b64 v1, v[132:133]
	s_wait_storecnt_dscnt 0x0
	s_barrier_signal -1
	s_barrier_wait -1
	s_wait_xcnt 0x0
	s_and_saveexec_b32 s34, s1
	s_cbranch_execz .LBB127_365
; %bb.356:
	s_and_not1_b32 vcc_lo, exec_lo, s3
	s_cbranch_vccnz .LBB127_358
; %bb.357:
	scratch_load_b64 v[132:133], v59, off
	ds_load_b64 v[134:135], v1
	s_wait_loadcnt_dscnt 0x0
	v_pk_mul_f32 v[136:137], v[134:135], v[132:133] op_sel:[1,1] op_sel_hi:[0,1]
	s_delay_alu instid0(VALU_DEP_1) | instskip(SKIP_1) | instid1(VALU_DEP_2)
	v_pk_fma_f32 v[138:139], v[134:135], v[132:133], v[136:137] op_sel_hi:[1,0,1]
	v_pk_fma_f32 v[132:133], v[134:135], v[132:133], v[136:137] neg_lo:[0,0,1] neg_hi:[0,0,1]
	v_mov_b32_e32 v133, v139
	s_cbranch_execz .LBB127_359
	s_branch .LBB127_360
.LBB127_358:
                                        ; implicit-def: $vgpr132_vgpr133
.LBB127_359:
	ds_load_b64 v[132:133], v1
.LBB127_360:
	s_and_saveexec_b32 s35, s0
	s_cbranch_execz .LBB127_364
; %bb.361:
	v_subrev_nc_u32_e32 v134, 28, v0
	s_movk_i32 s36, 0x2e0
	s_mov_b32 s0, 0
.LBB127_362:                            ; =>This Inner Loop Header: Depth=1
	scratch_load_b64 v[136:137], off, s33
	v_dual_mov_b32 v135, s36 :: v_dual_add_nc_u32 v134, -1, v134
	s_add_co_i32 s36, s36, 8
	s_wait_xcnt 0x0
	s_add_co_i32 s33, s33, 8
	ds_load_b64 v[138:139], v135
	v_cmp_eq_u32_e32 vcc_lo, 0, v134
	s_or_b32 s0, vcc_lo, s0
	s_wait_loadcnt_dscnt 0x0
	v_pk_mul_f32 v[140:141], v[138:139], v[136:137] op_sel:[1,1] op_sel_hi:[0,1]
	s_delay_alu instid0(VALU_DEP_1) | instskip(SKIP_1) | instid1(VALU_DEP_2)
	v_pk_fma_f32 v[142:143], v[138:139], v[136:137], v[140:141] op_sel_hi:[1,0,1]
	v_pk_fma_f32 v[136:137], v[138:139], v[136:137], v[140:141] neg_lo:[0,0,1] neg_hi:[0,0,1]
	v_mov_b32_e32 v137, v143
	s_delay_alu instid0(VALU_DEP_1)
	v_pk_add_f32 v[132:133], v[132:133], v[136:137]
	s_and_not1_b32 exec_lo, exec_lo, s0
	s_cbranch_execnz .LBB127_362
; %bb.363:
	s_or_b32 exec_lo, exec_lo, s0
.LBB127_364:
	s_delay_alu instid0(SALU_CYCLE_1) | instskip(SKIP_4) | instid1(VALU_DEP_1)
	s_or_b32 exec_lo, exec_lo, s35
	v_mov_b32_e32 v134, 0
	ds_load_b64 v[134:135], v134 offset:216
	s_wait_dscnt 0x0
	v_pk_mul_f32 v[136:137], v[132:133], v[134:135] op_sel:[1,1] op_sel_hi:[0,1]
	v_pk_fma_f32 v[138:139], v[132:133], v[134:135], v[136:137] op_sel_hi:[1,0,1]
	v_pk_fma_f32 v[132:133], v[132:133], v[134:135], v[136:137] neg_lo:[0,0,1] neg_hi:[0,0,1]
	s_delay_alu instid0(VALU_DEP_2)
	v_mov_b32_e32 v133, v139
	scratch_store_b64 off, v[132:133], off offset:216
.LBB127_365:
	s_wait_xcnt 0x0
	s_or_b32 exec_lo, exec_lo, s34
	scratch_load_b64 v[132:133], off, off offset:208
	v_cmp_lt_u32_e64 s0, 26, v0
	s_wait_loadcnt 0x0
	ds_store_b64 v1, v[132:133]
	s_wait_storecnt_dscnt 0x0
	s_barrier_signal -1
	s_barrier_wait -1
	s_wait_xcnt 0x0
	s_and_saveexec_b32 s33, s0
	s_cbranch_execz .LBB127_375
; %bb.366:
	s_and_not1_b32 vcc_lo, exec_lo, s3
	s_cbranch_vccnz .LBB127_368
; %bb.367:
	scratch_load_b64 v[132:133], v59, off
	ds_load_b64 v[134:135], v1
	s_wait_loadcnt_dscnt 0x0
	v_pk_mul_f32 v[136:137], v[134:135], v[132:133] op_sel:[1,1] op_sel_hi:[0,1]
	s_delay_alu instid0(VALU_DEP_1) | instskip(SKIP_1) | instid1(VALU_DEP_2)
	v_pk_fma_f32 v[138:139], v[134:135], v[132:133], v[136:137] op_sel_hi:[1,0,1]
	v_pk_fma_f32 v[132:133], v[134:135], v[132:133], v[136:137] neg_lo:[0,0,1] neg_hi:[0,0,1]
	v_mov_b32_e32 v133, v139
	s_cbranch_execz .LBB127_369
	s_branch .LBB127_370
.LBB127_368:
                                        ; implicit-def: $vgpr132_vgpr133
.LBB127_369:
	ds_load_b64 v[132:133], v1
.LBB127_370:
	s_and_saveexec_b32 s34, s1
	s_cbranch_execz .LBB127_374
; %bb.371:
	v_subrev_nc_u32_e32 v134, 27, v0
	s_movk_i32 s35, 0x2d8
	s_mov_b32 s1, 0
.LBB127_372:                            ; =>This Inner Loop Header: Depth=1
	scratch_load_b64 v[136:137], off, s31
	v_dual_mov_b32 v135, s35 :: v_dual_add_nc_u32 v134, -1, v134
	s_add_co_i32 s35, s35, 8
	s_wait_xcnt 0x0
	s_add_co_i32 s31, s31, 8
	ds_load_b64 v[138:139], v135
	v_cmp_eq_u32_e32 vcc_lo, 0, v134
	s_or_b32 s1, vcc_lo, s1
	s_wait_loadcnt_dscnt 0x0
	v_pk_mul_f32 v[140:141], v[138:139], v[136:137] op_sel:[1,1] op_sel_hi:[0,1]
	s_delay_alu instid0(VALU_DEP_1) | instskip(SKIP_1) | instid1(VALU_DEP_2)
	v_pk_fma_f32 v[142:143], v[138:139], v[136:137], v[140:141] op_sel_hi:[1,0,1]
	v_pk_fma_f32 v[136:137], v[138:139], v[136:137], v[140:141] neg_lo:[0,0,1] neg_hi:[0,0,1]
	v_mov_b32_e32 v137, v143
	s_delay_alu instid0(VALU_DEP_1)
	v_pk_add_f32 v[132:133], v[132:133], v[136:137]
	s_and_not1_b32 exec_lo, exec_lo, s1
	s_cbranch_execnz .LBB127_372
; %bb.373:
	s_or_b32 exec_lo, exec_lo, s1
.LBB127_374:
	s_delay_alu instid0(SALU_CYCLE_1) | instskip(SKIP_4) | instid1(VALU_DEP_1)
	s_or_b32 exec_lo, exec_lo, s34
	v_mov_b32_e32 v134, 0
	ds_load_b64 v[134:135], v134 offset:208
	s_wait_dscnt 0x0
	v_pk_mul_f32 v[136:137], v[132:133], v[134:135] op_sel:[1,1] op_sel_hi:[0,1]
	v_pk_fma_f32 v[138:139], v[132:133], v[134:135], v[136:137] op_sel_hi:[1,0,1]
	v_pk_fma_f32 v[132:133], v[132:133], v[134:135], v[136:137] neg_lo:[0,0,1] neg_hi:[0,0,1]
	s_delay_alu instid0(VALU_DEP_2)
	v_mov_b32_e32 v133, v139
	scratch_store_b64 off, v[132:133], off offset:208
.LBB127_375:
	s_wait_xcnt 0x0
	s_or_b32 exec_lo, exec_lo, s33
	scratch_load_b64 v[132:133], off, off offset:200
	v_cmp_lt_u32_e64 s1, 25, v0
	s_wait_loadcnt 0x0
	ds_store_b64 v1, v[132:133]
	s_wait_storecnt_dscnt 0x0
	s_barrier_signal -1
	s_barrier_wait -1
	s_wait_xcnt 0x0
	s_and_saveexec_b32 s31, s1
	s_cbranch_execz .LBB127_385
; %bb.376:
	s_and_not1_b32 vcc_lo, exec_lo, s3
	s_cbranch_vccnz .LBB127_378
; %bb.377:
	scratch_load_b64 v[132:133], v59, off
	ds_load_b64 v[134:135], v1
	s_wait_loadcnt_dscnt 0x0
	v_pk_mul_f32 v[136:137], v[134:135], v[132:133] op_sel:[1,1] op_sel_hi:[0,1]
	s_delay_alu instid0(VALU_DEP_1) | instskip(SKIP_1) | instid1(VALU_DEP_2)
	v_pk_fma_f32 v[138:139], v[134:135], v[132:133], v[136:137] op_sel_hi:[1,0,1]
	v_pk_fma_f32 v[132:133], v[134:135], v[132:133], v[136:137] neg_lo:[0,0,1] neg_hi:[0,0,1]
	v_mov_b32_e32 v133, v139
	s_cbranch_execz .LBB127_379
	s_branch .LBB127_380
.LBB127_378:
                                        ; implicit-def: $vgpr132_vgpr133
.LBB127_379:
	ds_load_b64 v[132:133], v1
.LBB127_380:
	s_and_saveexec_b32 s33, s0
	s_cbranch_execz .LBB127_384
; %bb.381:
	v_subrev_nc_u32_e32 v134, 26, v0
	s_movk_i32 s34, 0x2d0
	s_mov_b32 s0, 0
.LBB127_382:                            ; =>This Inner Loop Header: Depth=1
	scratch_load_b64 v[136:137], off, s30
	v_dual_mov_b32 v135, s34 :: v_dual_add_nc_u32 v134, -1, v134
	s_add_co_i32 s34, s34, 8
	s_wait_xcnt 0x0
	s_add_co_i32 s30, s30, 8
	ds_load_b64 v[138:139], v135
	v_cmp_eq_u32_e32 vcc_lo, 0, v134
	s_or_b32 s0, vcc_lo, s0
	s_wait_loadcnt_dscnt 0x0
	v_pk_mul_f32 v[140:141], v[138:139], v[136:137] op_sel:[1,1] op_sel_hi:[0,1]
	s_delay_alu instid0(VALU_DEP_1) | instskip(SKIP_1) | instid1(VALU_DEP_2)
	v_pk_fma_f32 v[142:143], v[138:139], v[136:137], v[140:141] op_sel_hi:[1,0,1]
	v_pk_fma_f32 v[136:137], v[138:139], v[136:137], v[140:141] neg_lo:[0,0,1] neg_hi:[0,0,1]
	v_mov_b32_e32 v137, v143
	s_delay_alu instid0(VALU_DEP_1)
	v_pk_add_f32 v[132:133], v[132:133], v[136:137]
	s_and_not1_b32 exec_lo, exec_lo, s0
	s_cbranch_execnz .LBB127_382
; %bb.383:
	s_or_b32 exec_lo, exec_lo, s0
.LBB127_384:
	s_delay_alu instid0(SALU_CYCLE_1) | instskip(SKIP_4) | instid1(VALU_DEP_1)
	s_or_b32 exec_lo, exec_lo, s33
	v_mov_b32_e32 v134, 0
	ds_load_b64 v[134:135], v134 offset:200
	s_wait_dscnt 0x0
	v_pk_mul_f32 v[136:137], v[132:133], v[134:135] op_sel:[1,1] op_sel_hi:[0,1]
	v_pk_fma_f32 v[138:139], v[132:133], v[134:135], v[136:137] op_sel_hi:[1,0,1]
	v_pk_fma_f32 v[132:133], v[132:133], v[134:135], v[136:137] neg_lo:[0,0,1] neg_hi:[0,0,1]
	s_delay_alu instid0(VALU_DEP_2)
	v_mov_b32_e32 v133, v139
	scratch_store_b64 off, v[132:133], off offset:200
.LBB127_385:
	s_wait_xcnt 0x0
	s_or_b32 exec_lo, exec_lo, s31
	scratch_load_b64 v[132:133], off, off offset:192
	v_cmp_lt_u32_e64 s0, 24, v0
	s_wait_loadcnt 0x0
	ds_store_b64 v1, v[132:133]
	s_wait_storecnt_dscnt 0x0
	s_barrier_signal -1
	s_barrier_wait -1
	s_wait_xcnt 0x0
	s_and_saveexec_b32 s30, s0
	s_cbranch_execz .LBB127_395
; %bb.386:
	s_and_not1_b32 vcc_lo, exec_lo, s3
	s_cbranch_vccnz .LBB127_388
; %bb.387:
	scratch_load_b64 v[132:133], v59, off
	ds_load_b64 v[134:135], v1
	s_wait_loadcnt_dscnt 0x0
	v_pk_mul_f32 v[136:137], v[134:135], v[132:133] op_sel:[1,1] op_sel_hi:[0,1]
	s_delay_alu instid0(VALU_DEP_1) | instskip(SKIP_1) | instid1(VALU_DEP_2)
	v_pk_fma_f32 v[138:139], v[134:135], v[132:133], v[136:137] op_sel_hi:[1,0,1]
	v_pk_fma_f32 v[132:133], v[134:135], v[132:133], v[136:137] neg_lo:[0,0,1] neg_hi:[0,0,1]
	v_mov_b32_e32 v133, v139
	s_cbranch_execz .LBB127_389
	s_branch .LBB127_390
.LBB127_388:
                                        ; implicit-def: $vgpr132_vgpr133
.LBB127_389:
	ds_load_b64 v[132:133], v1
.LBB127_390:
	s_and_saveexec_b32 s31, s1
	s_cbranch_execz .LBB127_394
; %bb.391:
	v_subrev_nc_u32_e32 v134, 25, v0
	s_movk_i32 s33, 0x2c8
	s_mov_b32 s1, 0
.LBB127_392:                            ; =>This Inner Loop Header: Depth=1
	scratch_load_b64 v[136:137], off, s29
	v_dual_mov_b32 v135, s33 :: v_dual_add_nc_u32 v134, -1, v134
	s_add_co_i32 s33, s33, 8
	s_wait_xcnt 0x0
	s_add_co_i32 s29, s29, 8
	ds_load_b64 v[138:139], v135
	v_cmp_eq_u32_e32 vcc_lo, 0, v134
	s_or_b32 s1, vcc_lo, s1
	s_wait_loadcnt_dscnt 0x0
	v_pk_mul_f32 v[140:141], v[138:139], v[136:137] op_sel:[1,1] op_sel_hi:[0,1]
	s_delay_alu instid0(VALU_DEP_1) | instskip(SKIP_1) | instid1(VALU_DEP_2)
	v_pk_fma_f32 v[142:143], v[138:139], v[136:137], v[140:141] op_sel_hi:[1,0,1]
	v_pk_fma_f32 v[136:137], v[138:139], v[136:137], v[140:141] neg_lo:[0,0,1] neg_hi:[0,0,1]
	v_mov_b32_e32 v137, v143
	s_delay_alu instid0(VALU_DEP_1)
	v_pk_add_f32 v[132:133], v[132:133], v[136:137]
	s_and_not1_b32 exec_lo, exec_lo, s1
	s_cbranch_execnz .LBB127_392
; %bb.393:
	s_or_b32 exec_lo, exec_lo, s1
.LBB127_394:
	s_delay_alu instid0(SALU_CYCLE_1) | instskip(SKIP_4) | instid1(VALU_DEP_1)
	s_or_b32 exec_lo, exec_lo, s31
	v_mov_b32_e32 v134, 0
	ds_load_b64 v[134:135], v134 offset:192
	s_wait_dscnt 0x0
	v_pk_mul_f32 v[136:137], v[132:133], v[134:135] op_sel:[1,1] op_sel_hi:[0,1]
	v_pk_fma_f32 v[138:139], v[132:133], v[134:135], v[136:137] op_sel_hi:[1,0,1]
	v_pk_fma_f32 v[132:133], v[132:133], v[134:135], v[136:137] neg_lo:[0,0,1] neg_hi:[0,0,1]
	s_delay_alu instid0(VALU_DEP_2)
	v_mov_b32_e32 v133, v139
	scratch_store_b64 off, v[132:133], off offset:192
.LBB127_395:
	s_wait_xcnt 0x0
	s_or_b32 exec_lo, exec_lo, s30
	scratch_load_b64 v[132:133], off, off offset:184
	v_cmp_lt_u32_e64 s1, 23, v0
	s_wait_loadcnt 0x0
	ds_store_b64 v1, v[132:133]
	s_wait_storecnt_dscnt 0x0
	s_barrier_signal -1
	s_barrier_wait -1
	s_wait_xcnt 0x0
	s_and_saveexec_b32 s29, s1
	s_cbranch_execz .LBB127_405
; %bb.396:
	s_and_not1_b32 vcc_lo, exec_lo, s3
	s_cbranch_vccnz .LBB127_398
; %bb.397:
	scratch_load_b64 v[132:133], v59, off
	ds_load_b64 v[134:135], v1
	s_wait_loadcnt_dscnt 0x0
	v_pk_mul_f32 v[136:137], v[134:135], v[132:133] op_sel:[1,1] op_sel_hi:[0,1]
	s_delay_alu instid0(VALU_DEP_1) | instskip(SKIP_1) | instid1(VALU_DEP_2)
	v_pk_fma_f32 v[138:139], v[134:135], v[132:133], v[136:137] op_sel_hi:[1,0,1]
	v_pk_fma_f32 v[132:133], v[134:135], v[132:133], v[136:137] neg_lo:[0,0,1] neg_hi:[0,0,1]
	v_mov_b32_e32 v133, v139
	s_cbranch_execz .LBB127_399
	s_branch .LBB127_400
.LBB127_398:
                                        ; implicit-def: $vgpr132_vgpr133
.LBB127_399:
	ds_load_b64 v[132:133], v1
.LBB127_400:
	s_and_saveexec_b32 s30, s0
	s_cbranch_execz .LBB127_404
; %bb.401:
	v_subrev_nc_u32_e32 v134, 24, v0
	s_movk_i32 s31, 0x2c0
	s_mov_b32 s0, 0
.LBB127_402:                            ; =>This Inner Loop Header: Depth=1
	scratch_load_b64 v[136:137], off, s28
	v_dual_mov_b32 v135, s31 :: v_dual_add_nc_u32 v134, -1, v134
	s_add_co_i32 s31, s31, 8
	s_wait_xcnt 0x0
	s_add_co_i32 s28, s28, 8
	ds_load_b64 v[138:139], v135
	v_cmp_eq_u32_e32 vcc_lo, 0, v134
	s_or_b32 s0, vcc_lo, s0
	s_wait_loadcnt_dscnt 0x0
	v_pk_mul_f32 v[140:141], v[138:139], v[136:137] op_sel:[1,1] op_sel_hi:[0,1]
	s_delay_alu instid0(VALU_DEP_1) | instskip(SKIP_1) | instid1(VALU_DEP_2)
	v_pk_fma_f32 v[142:143], v[138:139], v[136:137], v[140:141] op_sel_hi:[1,0,1]
	v_pk_fma_f32 v[136:137], v[138:139], v[136:137], v[140:141] neg_lo:[0,0,1] neg_hi:[0,0,1]
	v_mov_b32_e32 v137, v143
	s_delay_alu instid0(VALU_DEP_1)
	v_pk_add_f32 v[132:133], v[132:133], v[136:137]
	s_and_not1_b32 exec_lo, exec_lo, s0
	s_cbranch_execnz .LBB127_402
; %bb.403:
	s_or_b32 exec_lo, exec_lo, s0
.LBB127_404:
	s_delay_alu instid0(SALU_CYCLE_1) | instskip(SKIP_4) | instid1(VALU_DEP_1)
	s_or_b32 exec_lo, exec_lo, s30
	v_mov_b32_e32 v134, 0
	ds_load_b64 v[134:135], v134 offset:184
	s_wait_dscnt 0x0
	v_pk_mul_f32 v[136:137], v[132:133], v[134:135] op_sel:[1,1] op_sel_hi:[0,1]
	v_pk_fma_f32 v[138:139], v[132:133], v[134:135], v[136:137] op_sel_hi:[1,0,1]
	v_pk_fma_f32 v[132:133], v[132:133], v[134:135], v[136:137] neg_lo:[0,0,1] neg_hi:[0,0,1]
	s_delay_alu instid0(VALU_DEP_2)
	v_mov_b32_e32 v133, v139
	scratch_store_b64 off, v[132:133], off offset:184
.LBB127_405:
	s_wait_xcnt 0x0
	s_or_b32 exec_lo, exec_lo, s29
	scratch_load_b64 v[132:133], off, off offset:176
	v_cmp_lt_u32_e64 s0, 22, v0
	s_wait_loadcnt 0x0
	ds_store_b64 v1, v[132:133]
	s_wait_storecnt_dscnt 0x0
	s_barrier_signal -1
	s_barrier_wait -1
	s_wait_xcnt 0x0
	s_and_saveexec_b32 s28, s0
	s_cbranch_execz .LBB127_415
; %bb.406:
	s_and_not1_b32 vcc_lo, exec_lo, s3
	s_cbranch_vccnz .LBB127_408
; %bb.407:
	scratch_load_b64 v[132:133], v59, off
	ds_load_b64 v[134:135], v1
	s_wait_loadcnt_dscnt 0x0
	v_pk_mul_f32 v[136:137], v[134:135], v[132:133] op_sel:[1,1] op_sel_hi:[0,1]
	s_delay_alu instid0(VALU_DEP_1) | instskip(SKIP_1) | instid1(VALU_DEP_2)
	v_pk_fma_f32 v[138:139], v[134:135], v[132:133], v[136:137] op_sel_hi:[1,0,1]
	v_pk_fma_f32 v[132:133], v[134:135], v[132:133], v[136:137] neg_lo:[0,0,1] neg_hi:[0,0,1]
	v_mov_b32_e32 v133, v139
	s_cbranch_execz .LBB127_409
	s_branch .LBB127_410
.LBB127_408:
                                        ; implicit-def: $vgpr132_vgpr133
.LBB127_409:
	ds_load_b64 v[132:133], v1
.LBB127_410:
	s_and_saveexec_b32 s29, s1
	s_cbranch_execz .LBB127_414
; %bb.411:
	v_subrev_nc_u32_e32 v134, 23, v0
	s_movk_i32 s30, 0x2b8
	s_mov_b32 s1, 0
.LBB127_412:                            ; =>This Inner Loop Header: Depth=1
	scratch_load_b64 v[136:137], off, s27
	v_dual_mov_b32 v135, s30 :: v_dual_add_nc_u32 v134, -1, v134
	s_add_co_i32 s30, s30, 8
	s_wait_xcnt 0x0
	s_add_co_i32 s27, s27, 8
	ds_load_b64 v[138:139], v135
	v_cmp_eq_u32_e32 vcc_lo, 0, v134
	s_or_b32 s1, vcc_lo, s1
	s_wait_loadcnt_dscnt 0x0
	v_pk_mul_f32 v[140:141], v[138:139], v[136:137] op_sel:[1,1] op_sel_hi:[0,1]
	s_delay_alu instid0(VALU_DEP_1) | instskip(SKIP_1) | instid1(VALU_DEP_2)
	v_pk_fma_f32 v[142:143], v[138:139], v[136:137], v[140:141] op_sel_hi:[1,0,1]
	v_pk_fma_f32 v[136:137], v[138:139], v[136:137], v[140:141] neg_lo:[0,0,1] neg_hi:[0,0,1]
	v_mov_b32_e32 v137, v143
	s_delay_alu instid0(VALU_DEP_1)
	v_pk_add_f32 v[132:133], v[132:133], v[136:137]
	s_and_not1_b32 exec_lo, exec_lo, s1
	s_cbranch_execnz .LBB127_412
; %bb.413:
	s_or_b32 exec_lo, exec_lo, s1
.LBB127_414:
	s_delay_alu instid0(SALU_CYCLE_1) | instskip(SKIP_4) | instid1(VALU_DEP_1)
	s_or_b32 exec_lo, exec_lo, s29
	v_mov_b32_e32 v134, 0
	ds_load_b64 v[134:135], v134 offset:176
	s_wait_dscnt 0x0
	v_pk_mul_f32 v[136:137], v[132:133], v[134:135] op_sel:[1,1] op_sel_hi:[0,1]
	v_pk_fma_f32 v[138:139], v[132:133], v[134:135], v[136:137] op_sel_hi:[1,0,1]
	v_pk_fma_f32 v[132:133], v[132:133], v[134:135], v[136:137] neg_lo:[0,0,1] neg_hi:[0,0,1]
	s_delay_alu instid0(VALU_DEP_2)
	v_mov_b32_e32 v133, v139
	scratch_store_b64 off, v[132:133], off offset:176
.LBB127_415:
	s_wait_xcnt 0x0
	s_or_b32 exec_lo, exec_lo, s28
	scratch_load_b64 v[132:133], off, off offset:168
	v_cmp_lt_u32_e64 s1, 21, v0
	s_wait_loadcnt 0x0
	ds_store_b64 v1, v[132:133]
	s_wait_storecnt_dscnt 0x0
	s_barrier_signal -1
	s_barrier_wait -1
	s_wait_xcnt 0x0
	s_and_saveexec_b32 s27, s1
	s_cbranch_execz .LBB127_425
; %bb.416:
	s_and_not1_b32 vcc_lo, exec_lo, s3
	s_cbranch_vccnz .LBB127_418
; %bb.417:
	scratch_load_b64 v[132:133], v59, off
	ds_load_b64 v[134:135], v1
	s_wait_loadcnt_dscnt 0x0
	v_pk_mul_f32 v[136:137], v[134:135], v[132:133] op_sel:[1,1] op_sel_hi:[0,1]
	s_delay_alu instid0(VALU_DEP_1) | instskip(SKIP_1) | instid1(VALU_DEP_2)
	v_pk_fma_f32 v[138:139], v[134:135], v[132:133], v[136:137] op_sel_hi:[1,0,1]
	v_pk_fma_f32 v[132:133], v[134:135], v[132:133], v[136:137] neg_lo:[0,0,1] neg_hi:[0,0,1]
	v_mov_b32_e32 v133, v139
	s_cbranch_execz .LBB127_419
	s_branch .LBB127_420
.LBB127_418:
                                        ; implicit-def: $vgpr132_vgpr133
.LBB127_419:
	ds_load_b64 v[132:133], v1
.LBB127_420:
	s_and_saveexec_b32 s28, s0
	s_cbranch_execz .LBB127_424
; %bb.421:
	v_subrev_nc_u32_e32 v134, 22, v0
	s_movk_i32 s29, 0x2b0
	s_mov_b32 s0, 0
.LBB127_422:                            ; =>This Inner Loop Header: Depth=1
	scratch_load_b64 v[136:137], off, s26
	v_dual_mov_b32 v135, s29 :: v_dual_add_nc_u32 v134, -1, v134
	s_add_co_i32 s29, s29, 8
	s_wait_xcnt 0x0
	s_add_co_i32 s26, s26, 8
	ds_load_b64 v[138:139], v135
	v_cmp_eq_u32_e32 vcc_lo, 0, v134
	s_or_b32 s0, vcc_lo, s0
	s_wait_loadcnt_dscnt 0x0
	v_pk_mul_f32 v[140:141], v[138:139], v[136:137] op_sel:[1,1] op_sel_hi:[0,1]
	s_delay_alu instid0(VALU_DEP_1) | instskip(SKIP_1) | instid1(VALU_DEP_2)
	v_pk_fma_f32 v[142:143], v[138:139], v[136:137], v[140:141] op_sel_hi:[1,0,1]
	v_pk_fma_f32 v[136:137], v[138:139], v[136:137], v[140:141] neg_lo:[0,0,1] neg_hi:[0,0,1]
	v_mov_b32_e32 v137, v143
	s_delay_alu instid0(VALU_DEP_1)
	v_pk_add_f32 v[132:133], v[132:133], v[136:137]
	s_and_not1_b32 exec_lo, exec_lo, s0
	s_cbranch_execnz .LBB127_422
; %bb.423:
	s_or_b32 exec_lo, exec_lo, s0
.LBB127_424:
	s_delay_alu instid0(SALU_CYCLE_1) | instskip(SKIP_4) | instid1(VALU_DEP_1)
	s_or_b32 exec_lo, exec_lo, s28
	v_mov_b32_e32 v134, 0
	ds_load_b64 v[134:135], v134 offset:168
	s_wait_dscnt 0x0
	v_pk_mul_f32 v[136:137], v[132:133], v[134:135] op_sel:[1,1] op_sel_hi:[0,1]
	v_pk_fma_f32 v[138:139], v[132:133], v[134:135], v[136:137] op_sel_hi:[1,0,1]
	v_pk_fma_f32 v[132:133], v[132:133], v[134:135], v[136:137] neg_lo:[0,0,1] neg_hi:[0,0,1]
	s_delay_alu instid0(VALU_DEP_2)
	v_mov_b32_e32 v133, v139
	scratch_store_b64 off, v[132:133], off offset:168
.LBB127_425:
	s_wait_xcnt 0x0
	s_or_b32 exec_lo, exec_lo, s27
	scratch_load_b64 v[132:133], off, off offset:160
	v_cmp_lt_u32_e64 s0, 20, v0
	s_wait_loadcnt 0x0
	ds_store_b64 v1, v[132:133]
	s_wait_storecnt_dscnt 0x0
	s_barrier_signal -1
	s_barrier_wait -1
	s_wait_xcnt 0x0
	s_and_saveexec_b32 s26, s0
	s_cbranch_execz .LBB127_435
; %bb.426:
	s_and_not1_b32 vcc_lo, exec_lo, s3
	s_cbranch_vccnz .LBB127_428
; %bb.427:
	scratch_load_b64 v[132:133], v59, off
	ds_load_b64 v[134:135], v1
	s_wait_loadcnt_dscnt 0x0
	v_pk_mul_f32 v[136:137], v[134:135], v[132:133] op_sel:[1,1] op_sel_hi:[0,1]
	s_delay_alu instid0(VALU_DEP_1) | instskip(SKIP_1) | instid1(VALU_DEP_2)
	v_pk_fma_f32 v[138:139], v[134:135], v[132:133], v[136:137] op_sel_hi:[1,0,1]
	v_pk_fma_f32 v[132:133], v[134:135], v[132:133], v[136:137] neg_lo:[0,0,1] neg_hi:[0,0,1]
	v_mov_b32_e32 v133, v139
	s_cbranch_execz .LBB127_429
	s_branch .LBB127_430
.LBB127_428:
                                        ; implicit-def: $vgpr132_vgpr133
.LBB127_429:
	ds_load_b64 v[132:133], v1
.LBB127_430:
	s_and_saveexec_b32 s27, s1
	s_cbranch_execz .LBB127_434
; %bb.431:
	v_subrev_nc_u32_e32 v134, 21, v0
	s_movk_i32 s28, 0x2a8
	s_mov_b32 s1, 0
.LBB127_432:                            ; =>This Inner Loop Header: Depth=1
	scratch_load_b64 v[136:137], off, s25
	v_dual_mov_b32 v135, s28 :: v_dual_add_nc_u32 v134, -1, v134
	s_add_co_i32 s28, s28, 8
	s_wait_xcnt 0x0
	s_add_co_i32 s25, s25, 8
	ds_load_b64 v[138:139], v135
	v_cmp_eq_u32_e32 vcc_lo, 0, v134
	s_or_b32 s1, vcc_lo, s1
	s_wait_loadcnt_dscnt 0x0
	v_pk_mul_f32 v[140:141], v[138:139], v[136:137] op_sel:[1,1] op_sel_hi:[0,1]
	s_delay_alu instid0(VALU_DEP_1) | instskip(SKIP_1) | instid1(VALU_DEP_2)
	v_pk_fma_f32 v[142:143], v[138:139], v[136:137], v[140:141] op_sel_hi:[1,0,1]
	v_pk_fma_f32 v[136:137], v[138:139], v[136:137], v[140:141] neg_lo:[0,0,1] neg_hi:[0,0,1]
	v_mov_b32_e32 v137, v143
	s_delay_alu instid0(VALU_DEP_1)
	v_pk_add_f32 v[132:133], v[132:133], v[136:137]
	s_and_not1_b32 exec_lo, exec_lo, s1
	s_cbranch_execnz .LBB127_432
; %bb.433:
	s_or_b32 exec_lo, exec_lo, s1
.LBB127_434:
	s_delay_alu instid0(SALU_CYCLE_1) | instskip(SKIP_4) | instid1(VALU_DEP_1)
	s_or_b32 exec_lo, exec_lo, s27
	v_mov_b32_e32 v134, 0
	ds_load_b64 v[134:135], v134 offset:160
	s_wait_dscnt 0x0
	v_pk_mul_f32 v[136:137], v[132:133], v[134:135] op_sel:[1,1] op_sel_hi:[0,1]
	v_pk_fma_f32 v[138:139], v[132:133], v[134:135], v[136:137] op_sel_hi:[1,0,1]
	v_pk_fma_f32 v[132:133], v[132:133], v[134:135], v[136:137] neg_lo:[0,0,1] neg_hi:[0,0,1]
	s_delay_alu instid0(VALU_DEP_2)
	v_mov_b32_e32 v133, v139
	scratch_store_b64 off, v[132:133], off offset:160
.LBB127_435:
	s_wait_xcnt 0x0
	s_or_b32 exec_lo, exec_lo, s26
	scratch_load_b64 v[132:133], off, off offset:152
	v_cmp_lt_u32_e64 s1, 19, v0
	s_wait_loadcnt 0x0
	ds_store_b64 v1, v[132:133]
	s_wait_storecnt_dscnt 0x0
	s_barrier_signal -1
	s_barrier_wait -1
	s_wait_xcnt 0x0
	s_and_saveexec_b32 s25, s1
	s_cbranch_execz .LBB127_445
; %bb.436:
	s_and_not1_b32 vcc_lo, exec_lo, s3
	s_cbranch_vccnz .LBB127_438
; %bb.437:
	scratch_load_b64 v[132:133], v59, off
	ds_load_b64 v[134:135], v1
	s_wait_loadcnt_dscnt 0x0
	v_pk_mul_f32 v[136:137], v[134:135], v[132:133] op_sel:[1,1] op_sel_hi:[0,1]
	s_delay_alu instid0(VALU_DEP_1) | instskip(SKIP_1) | instid1(VALU_DEP_2)
	v_pk_fma_f32 v[138:139], v[134:135], v[132:133], v[136:137] op_sel_hi:[1,0,1]
	v_pk_fma_f32 v[132:133], v[134:135], v[132:133], v[136:137] neg_lo:[0,0,1] neg_hi:[0,0,1]
	v_mov_b32_e32 v133, v139
	s_cbranch_execz .LBB127_439
	s_branch .LBB127_440
.LBB127_438:
                                        ; implicit-def: $vgpr132_vgpr133
.LBB127_439:
	ds_load_b64 v[132:133], v1
.LBB127_440:
	s_and_saveexec_b32 s26, s0
	s_cbranch_execz .LBB127_444
; %bb.441:
	v_subrev_nc_u32_e32 v134, 20, v0
	s_movk_i32 s27, 0x2a0
	s_mov_b32 s0, 0
.LBB127_442:                            ; =>This Inner Loop Header: Depth=1
	scratch_load_b64 v[136:137], off, s24
	v_dual_mov_b32 v135, s27 :: v_dual_add_nc_u32 v134, -1, v134
	s_add_co_i32 s27, s27, 8
	s_wait_xcnt 0x0
	s_add_co_i32 s24, s24, 8
	ds_load_b64 v[138:139], v135
	v_cmp_eq_u32_e32 vcc_lo, 0, v134
	s_or_b32 s0, vcc_lo, s0
	s_wait_loadcnt_dscnt 0x0
	v_pk_mul_f32 v[140:141], v[138:139], v[136:137] op_sel:[1,1] op_sel_hi:[0,1]
	s_delay_alu instid0(VALU_DEP_1) | instskip(SKIP_1) | instid1(VALU_DEP_2)
	v_pk_fma_f32 v[142:143], v[138:139], v[136:137], v[140:141] op_sel_hi:[1,0,1]
	v_pk_fma_f32 v[136:137], v[138:139], v[136:137], v[140:141] neg_lo:[0,0,1] neg_hi:[0,0,1]
	v_mov_b32_e32 v137, v143
	s_delay_alu instid0(VALU_DEP_1)
	v_pk_add_f32 v[132:133], v[132:133], v[136:137]
	s_and_not1_b32 exec_lo, exec_lo, s0
	s_cbranch_execnz .LBB127_442
; %bb.443:
	s_or_b32 exec_lo, exec_lo, s0
.LBB127_444:
	s_delay_alu instid0(SALU_CYCLE_1) | instskip(SKIP_4) | instid1(VALU_DEP_1)
	s_or_b32 exec_lo, exec_lo, s26
	v_mov_b32_e32 v134, 0
	ds_load_b64 v[134:135], v134 offset:152
	s_wait_dscnt 0x0
	v_pk_mul_f32 v[136:137], v[132:133], v[134:135] op_sel:[1,1] op_sel_hi:[0,1]
	v_pk_fma_f32 v[138:139], v[132:133], v[134:135], v[136:137] op_sel_hi:[1,0,1]
	v_pk_fma_f32 v[132:133], v[132:133], v[134:135], v[136:137] neg_lo:[0,0,1] neg_hi:[0,0,1]
	s_delay_alu instid0(VALU_DEP_2)
	v_mov_b32_e32 v133, v139
	scratch_store_b64 off, v[132:133], off offset:152
.LBB127_445:
	s_wait_xcnt 0x0
	s_or_b32 exec_lo, exec_lo, s25
	scratch_load_b64 v[132:133], off, off offset:144
	v_cmp_lt_u32_e64 s0, 18, v0
	s_wait_loadcnt 0x0
	ds_store_b64 v1, v[132:133]
	s_wait_storecnt_dscnt 0x0
	s_barrier_signal -1
	s_barrier_wait -1
	s_wait_xcnt 0x0
	s_and_saveexec_b32 s24, s0
	s_cbranch_execz .LBB127_455
; %bb.446:
	s_and_not1_b32 vcc_lo, exec_lo, s3
	s_cbranch_vccnz .LBB127_448
; %bb.447:
	scratch_load_b64 v[132:133], v59, off
	ds_load_b64 v[134:135], v1
	s_wait_loadcnt_dscnt 0x0
	v_pk_mul_f32 v[136:137], v[134:135], v[132:133] op_sel:[1,1] op_sel_hi:[0,1]
	s_delay_alu instid0(VALU_DEP_1) | instskip(SKIP_1) | instid1(VALU_DEP_2)
	v_pk_fma_f32 v[138:139], v[134:135], v[132:133], v[136:137] op_sel_hi:[1,0,1]
	v_pk_fma_f32 v[132:133], v[134:135], v[132:133], v[136:137] neg_lo:[0,0,1] neg_hi:[0,0,1]
	v_mov_b32_e32 v133, v139
	s_cbranch_execz .LBB127_449
	s_branch .LBB127_450
.LBB127_448:
                                        ; implicit-def: $vgpr132_vgpr133
.LBB127_449:
	ds_load_b64 v[132:133], v1
.LBB127_450:
	s_and_saveexec_b32 s25, s1
	s_cbranch_execz .LBB127_454
; %bb.451:
	v_subrev_nc_u32_e32 v134, 19, v0
	s_movk_i32 s26, 0x298
	s_mov_b32 s1, 0
.LBB127_452:                            ; =>This Inner Loop Header: Depth=1
	scratch_load_b64 v[136:137], off, s23
	v_dual_mov_b32 v135, s26 :: v_dual_add_nc_u32 v134, -1, v134
	s_add_co_i32 s26, s26, 8
	s_wait_xcnt 0x0
	s_add_co_i32 s23, s23, 8
	ds_load_b64 v[138:139], v135
	v_cmp_eq_u32_e32 vcc_lo, 0, v134
	s_or_b32 s1, vcc_lo, s1
	s_wait_loadcnt_dscnt 0x0
	v_pk_mul_f32 v[140:141], v[138:139], v[136:137] op_sel:[1,1] op_sel_hi:[0,1]
	s_delay_alu instid0(VALU_DEP_1) | instskip(SKIP_1) | instid1(VALU_DEP_2)
	v_pk_fma_f32 v[142:143], v[138:139], v[136:137], v[140:141] op_sel_hi:[1,0,1]
	v_pk_fma_f32 v[136:137], v[138:139], v[136:137], v[140:141] neg_lo:[0,0,1] neg_hi:[0,0,1]
	v_mov_b32_e32 v137, v143
	s_delay_alu instid0(VALU_DEP_1)
	v_pk_add_f32 v[132:133], v[132:133], v[136:137]
	s_and_not1_b32 exec_lo, exec_lo, s1
	s_cbranch_execnz .LBB127_452
; %bb.453:
	s_or_b32 exec_lo, exec_lo, s1
.LBB127_454:
	s_delay_alu instid0(SALU_CYCLE_1) | instskip(SKIP_4) | instid1(VALU_DEP_1)
	s_or_b32 exec_lo, exec_lo, s25
	v_mov_b32_e32 v134, 0
	ds_load_b64 v[134:135], v134 offset:144
	s_wait_dscnt 0x0
	v_pk_mul_f32 v[136:137], v[132:133], v[134:135] op_sel:[1,1] op_sel_hi:[0,1]
	v_pk_fma_f32 v[138:139], v[132:133], v[134:135], v[136:137] op_sel_hi:[1,0,1]
	v_pk_fma_f32 v[132:133], v[132:133], v[134:135], v[136:137] neg_lo:[0,0,1] neg_hi:[0,0,1]
	s_delay_alu instid0(VALU_DEP_2)
	v_mov_b32_e32 v133, v139
	scratch_store_b64 off, v[132:133], off offset:144
.LBB127_455:
	s_wait_xcnt 0x0
	s_or_b32 exec_lo, exec_lo, s24
	scratch_load_b64 v[132:133], off, off offset:136
	v_cmp_lt_u32_e64 s1, 17, v0
	s_wait_loadcnt 0x0
	ds_store_b64 v1, v[132:133]
	s_wait_storecnt_dscnt 0x0
	s_barrier_signal -1
	s_barrier_wait -1
	s_wait_xcnt 0x0
	s_and_saveexec_b32 s23, s1
	s_cbranch_execz .LBB127_465
; %bb.456:
	s_and_not1_b32 vcc_lo, exec_lo, s3
	s_cbranch_vccnz .LBB127_458
; %bb.457:
	scratch_load_b64 v[132:133], v59, off
	ds_load_b64 v[134:135], v1
	s_wait_loadcnt_dscnt 0x0
	v_pk_mul_f32 v[136:137], v[134:135], v[132:133] op_sel:[1,1] op_sel_hi:[0,1]
	s_delay_alu instid0(VALU_DEP_1) | instskip(SKIP_1) | instid1(VALU_DEP_2)
	v_pk_fma_f32 v[138:139], v[134:135], v[132:133], v[136:137] op_sel_hi:[1,0,1]
	v_pk_fma_f32 v[132:133], v[134:135], v[132:133], v[136:137] neg_lo:[0,0,1] neg_hi:[0,0,1]
	v_mov_b32_e32 v133, v139
	s_cbranch_execz .LBB127_459
	s_branch .LBB127_460
.LBB127_458:
                                        ; implicit-def: $vgpr132_vgpr133
.LBB127_459:
	ds_load_b64 v[132:133], v1
.LBB127_460:
	s_and_saveexec_b32 s24, s0
	s_cbranch_execz .LBB127_464
; %bb.461:
	v_subrev_nc_u32_e32 v134, 18, v0
	s_movk_i32 s25, 0x290
	s_mov_b32 s0, 0
.LBB127_462:                            ; =>This Inner Loop Header: Depth=1
	scratch_load_b64 v[136:137], off, s22
	v_dual_mov_b32 v135, s25 :: v_dual_add_nc_u32 v134, -1, v134
	s_add_co_i32 s25, s25, 8
	s_wait_xcnt 0x0
	s_add_co_i32 s22, s22, 8
	ds_load_b64 v[138:139], v135
	v_cmp_eq_u32_e32 vcc_lo, 0, v134
	s_or_b32 s0, vcc_lo, s0
	s_wait_loadcnt_dscnt 0x0
	v_pk_mul_f32 v[140:141], v[138:139], v[136:137] op_sel:[1,1] op_sel_hi:[0,1]
	s_delay_alu instid0(VALU_DEP_1) | instskip(SKIP_1) | instid1(VALU_DEP_2)
	v_pk_fma_f32 v[142:143], v[138:139], v[136:137], v[140:141] op_sel_hi:[1,0,1]
	v_pk_fma_f32 v[136:137], v[138:139], v[136:137], v[140:141] neg_lo:[0,0,1] neg_hi:[0,0,1]
	v_mov_b32_e32 v137, v143
	s_delay_alu instid0(VALU_DEP_1)
	v_pk_add_f32 v[132:133], v[132:133], v[136:137]
	s_and_not1_b32 exec_lo, exec_lo, s0
	s_cbranch_execnz .LBB127_462
; %bb.463:
	s_or_b32 exec_lo, exec_lo, s0
.LBB127_464:
	s_delay_alu instid0(SALU_CYCLE_1) | instskip(SKIP_4) | instid1(VALU_DEP_1)
	s_or_b32 exec_lo, exec_lo, s24
	v_mov_b32_e32 v134, 0
	ds_load_b64 v[134:135], v134 offset:136
	s_wait_dscnt 0x0
	v_pk_mul_f32 v[136:137], v[132:133], v[134:135] op_sel:[1,1] op_sel_hi:[0,1]
	v_pk_fma_f32 v[138:139], v[132:133], v[134:135], v[136:137] op_sel_hi:[1,0,1]
	v_pk_fma_f32 v[132:133], v[132:133], v[134:135], v[136:137] neg_lo:[0,0,1] neg_hi:[0,0,1]
	s_delay_alu instid0(VALU_DEP_2)
	v_mov_b32_e32 v133, v139
	scratch_store_b64 off, v[132:133], off offset:136
.LBB127_465:
	s_wait_xcnt 0x0
	s_or_b32 exec_lo, exec_lo, s23
	scratch_load_b64 v[132:133], off, off offset:128
	v_cmp_lt_u32_e64 s0, 16, v0
	s_wait_loadcnt 0x0
	ds_store_b64 v1, v[132:133]
	s_wait_storecnt_dscnt 0x0
	s_barrier_signal -1
	s_barrier_wait -1
	s_wait_xcnt 0x0
	s_and_saveexec_b32 s22, s0
	s_cbranch_execz .LBB127_475
; %bb.466:
	s_and_not1_b32 vcc_lo, exec_lo, s3
	s_cbranch_vccnz .LBB127_468
; %bb.467:
	scratch_load_b64 v[132:133], v59, off
	ds_load_b64 v[134:135], v1
	s_wait_loadcnt_dscnt 0x0
	v_pk_mul_f32 v[136:137], v[134:135], v[132:133] op_sel:[1,1] op_sel_hi:[0,1]
	s_delay_alu instid0(VALU_DEP_1) | instskip(SKIP_1) | instid1(VALU_DEP_2)
	v_pk_fma_f32 v[138:139], v[134:135], v[132:133], v[136:137] op_sel_hi:[1,0,1]
	v_pk_fma_f32 v[132:133], v[134:135], v[132:133], v[136:137] neg_lo:[0,0,1] neg_hi:[0,0,1]
	v_mov_b32_e32 v133, v139
	s_cbranch_execz .LBB127_469
	s_branch .LBB127_470
.LBB127_468:
                                        ; implicit-def: $vgpr132_vgpr133
.LBB127_469:
	ds_load_b64 v[132:133], v1
.LBB127_470:
	s_and_saveexec_b32 s23, s1
	s_cbranch_execz .LBB127_474
; %bb.471:
	v_subrev_nc_u32_e32 v134, 17, v0
	s_movk_i32 s24, 0x288
	s_mov_b32 s1, 0
.LBB127_472:                            ; =>This Inner Loop Header: Depth=1
	scratch_load_b64 v[136:137], off, s21
	v_dual_mov_b32 v135, s24 :: v_dual_add_nc_u32 v134, -1, v134
	s_add_co_i32 s24, s24, 8
	s_wait_xcnt 0x0
	s_add_co_i32 s21, s21, 8
	ds_load_b64 v[138:139], v135
	v_cmp_eq_u32_e32 vcc_lo, 0, v134
	s_or_b32 s1, vcc_lo, s1
	s_wait_loadcnt_dscnt 0x0
	v_pk_mul_f32 v[140:141], v[138:139], v[136:137] op_sel:[1,1] op_sel_hi:[0,1]
	s_delay_alu instid0(VALU_DEP_1) | instskip(SKIP_1) | instid1(VALU_DEP_2)
	v_pk_fma_f32 v[142:143], v[138:139], v[136:137], v[140:141] op_sel_hi:[1,0,1]
	v_pk_fma_f32 v[136:137], v[138:139], v[136:137], v[140:141] neg_lo:[0,0,1] neg_hi:[0,0,1]
	v_mov_b32_e32 v137, v143
	s_delay_alu instid0(VALU_DEP_1)
	v_pk_add_f32 v[132:133], v[132:133], v[136:137]
	s_and_not1_b32 exec_lo, exec_lo, s1
	s_cbranch_execnz .LBB127_472
; %bb.473:
	s_or_b32 exec_lo, exec_lo, s1
.LBB127_474:
	s_delay_alu instid0(SALU_CYCLE_1) | instskip(SKIP_4) | instid1(VALU_DEP_1)
	s_or_b32 exec_lo, exec_lo, s23
	v_mov_b32_e32 v134, 0
	ds_load_b64 v[134:135], v134 offset:128
	s_wait_dscnt 0x0
	v_pk_mul_f32 v[136:137], v[132:133], v[134:135] op_sel:[1,1] op_sel_hi:[0,1]
	v_pk_fma_f32 v[138:139], v[132:133], v[134:135], v[136:137] op_sel_hi:[1,0,1]
	v_pk_fma_f32 v[132:133], v[132:133], v[134:135], v[136:137] neg_lo:[0,0,1] neg_hi:[0,0,1]
	s_delay_alu instid0(VALU_DEP_2)
	v_mov_b32_e32 v133, v139
	scratch_store_b64 off, v[132:133], off offset:128
.LBB127_475:
	s_wait_xcnt 0x0
	s_or_b32 exec_lo, exec_lo, s22
	scratch_load_b64 v[132:133], off, off offset:120
	v_cmp_lt_u32_e64 s1, 15, v0
	s_wait_loadcnt 0x0
	ds_store_b64 v1, v[132:133]
	s_wait_storecnt_dscnt 0x0
	s_barrier_signal -1
	s_barrier_wait -1
	s_wait_xcnt 0x0
	s_and_saveexec_b32 s21, s1
	s_cbranch_execz .LBB127_485
; %bb.476:
	s_and_not1_b32 vcc_lo, exec_lo, s3
	s_cbranch_vccnz .LBB127_478
; %bb.477:
	scratch_load_b64 v[132:133], v59, off
	ds_load_b64 v[134:135], v1
	s_wait_loadcnt_dscnt 0x0
	v_pk_mul_f32 v[136:137], v[134:135], v[132:133] op_sel:[1,1] op_sel_hi:[0,1]
	s_delay_alu instid0(VALU_DEP_1) | instskip(SKIP_1) | instid1(VALU_DEP_2)
	v_pk_fma_f32 v[138:139], v[134:135], v[132:133], v[136:137] op_sel_hi:[1,0,1]
	v_pk_fma_f32 v[132:133], v[134:135], v[132:133], v[136:137] neg_lo:[0,0,1] neg_hi:[0,0,1]
	v_mov_b32_e32 v133, v139
	s_cbranch_execz .LBB127_479
	s_branch .LBB127_480
.LBB127_478:
                                        ; implicit-def: $vgpr132_vgpr133
.LBB127_479:
	ds_load_b64 v[132:133], v1
.LBB127_480:
	s_and_saveexec_b32 s22, s0
	s_cbranch_execz .LBB127_484
; %bb.481:
	v_add_nc_u32_e32 v134, -16, v0
	s_movk_i32 s23, 0x280
	s_mov_b32 s0, 0
.LBB127_482:                            ; =>This Inner Loop Header: Depth=1
	scratch_load_b64 v[136:137], off, s20
	v_dual_mov_b32 v135, s23 :: v_dual_add_nc_u32 v134, -1, v134
	s_add_co_i32 s23, s23, 8
	s_wait_xcnt 0x0
	s_add_co_i32 s20, s20, 8
	ds_load_b64 v[138:139], v135
	v_cmp_eq_u32_e32 vcc_lo, 0, v134
	s_or_b32 s0, vcc_lo, s0
	s_wait_loadcnt_dscnt 0x0
	v_pk_mul_f32 v[140:141], v[138:139], v[136:137] op_sel:[1,1] op_sel_hi:[0,1]
	s_delay_alu instid0(VALU_DEP_1) | instskip(SKIP_1) | instid1(VALU_DEP_2)
	v_pk_fma_f32 v[142:143], v[138:139], v[136:137], v[140:141] op_sel_hi:[1,0,1]
	v_pk_fma_f32 v[136:137], v[138:139], v[136:137], v[140:141] neg_lo:[0,0,1] neg_hi:[0,0,1]
	v_mov_b32_e32 v137, v143
	s_delay_alu instid0(VALU_DEP_1)
	v_pk_add_f32 v[132:133], v[132:133], v[136:137]
	s_and_not1_b32 exec_lo, exec_lo, s0
	s_cbranch_execnz .LBB127_482
; %bb.483:
	s_or_b32 exec_lo, exec_lo, s0
.LBB127_484:
	s_delay_alu instid0(SALU_CYCLE_1) | instskip(SKIP_4) | instid1(VALU_DEP_1)
	s_or_b32 exec_lo, exec_lo, s22
	v_mov_b32_e32 v134, 0
	ds_load_b64 v[134:135], v134 offset:120
	s_wait_dscnt 0x0
	v_pk_mul_f32 v[136:137], v[132:133], v[134:135] op_sel:[1,1] op_sel_hi:[0,1]
	v_pk_fma_f32 v[138:139], v[132:133], v[134:135], v[136:137] op_sel_hi:[1,0,1]
	v_pk_fma_f32 v[132:133], v[132:133], v[134:135], v[136:137] neg_lo:[0,0,1] neg_hi:[0,0,1]
	s_delay_alu instid0(VALU_DEP_2)
	v_mov_b32_e32 v133, v139
	scratch_store_b64 off, v[132:133], off offset:120
.LBB127_485:
	s_wait_xcnt 0x0
	s_or_b32 exec_lo, exec_lo, s21
	scratch_load_b64 v[132:133], off, off offset:112
	v_cmp_lt_u32_e64 s0, 14, v0
	s_wait_loadcnt 0x0
	ds_store_b64 v1, v[132:133]
	s_wait_storecnt_dscnt 0x0
	s_barrier_signal -1
	s_barrier_wait -1
	s_wait_xcnt 0x0
	s_and_saveexec_b32 s20, s0
	s_cbranch_execz .LBB127_495
; %bb.486:
	s_and_not1_b32 vcc_lo, exec_lo, s3
	s_cbranch_vccnz .LBB127_488
; %bb.487:
	scratch_load_b64 v[132:133], v59, off
	ds_load_b64 v[134:135], v1
	s_wait_loadcnt_dscnt 0x0
	v_pk_mul_f32 v[136:137], v[134:135], v[132:133] op_sel:[1,1] op_sel_hi:[0,1]
	s_delay_alu instid0(VALU_DEP_1) | instskip(SKIP_1) | instid1(VALU_DEP_2)
	v_pk_fma_f32 v[138:139], v[134:135], v[132:133], v[136:137] op_sel_hi:[1,0,1]
	v_pk_fma_f32 v[132:133], v[134:135], v[132:133], v[136:137] neg_lo:[0,0,1] neg_hi:[0,0,1]
	v_mov_b32_e32 v133, v139
	s_cbranch_execz .LBB127_489
	s_branch .LBB127_490
.LBB127_488:
                                        ; implicit-def: $vgpr132_vgpr133
.LBB127_489:
	ds_load_b64 v[132:133], v1
.LBB127_490:
	s_and_saveexec_b32 s21, s1
	s_cbranch_execz .LBB127_494
; %bb.491:
	v_add_nc_u32_e32 v134, -15, v0
	s_movk_i32 s22, 0x278
	s_mov_b32 s1, 0
.LBB127_492:                            ; =>This Inner Loop Header: Depth=1
	scratch_load_b64 v[136:137], off, s19
	v_dual_mov_b32 v135, s22 :: v_dual_add_nc_u32 v134, -1, v134
	s_add_co_i32 s22, s22, 8
	s_wait_xcnt 0x0
	s_add_co_i32 s19, s19, 8
	ds_load_b64 v[138:139], v135
	v_cmp_eq_u32_e32 vcc_lo, 0, v134
	s_or_b32 s1, vcc_lo, s1
	s_wait_loadcnt_dscnt 0x0
	v_pk_mul_f32 v[140:141], v[138:139], v[136:137] op_sel:[1,1] op_sel_hi:[0,1]
	s_delay_alu instid0(VALU_DEP_1) | instskip(SKIP_1) | instid1(VALU_DEP_2)
	v_pk_fma_f32 v[142:143], v[138:139], v[136:137], v[140:141] op_sel_hi:[1,0,1]
	v_pk_fma_f32 v[136:137], v[138:139], v[136:137], v[140:141] neg_lo:[0,0,1] neg_hi:[0,0,1]
	v_mov_b32_e32 v137, v143
	s_delay_alu instid0(VALU_DEP_1)
	v_pk_add_f32 v[132:133], v[132:133], v[136:137]
	s_and_not1_b32 exec_lo, exec_lo, s1
	s_cbranch_execnz .LBB127_492
; %bb.493:
	s_or_b32 exec_lo, exec_lo, s1
.LBB127_494:
	s_delay_alu instid0(SALU_CYCLE_1) | instskip(SKIP_4) | instid1(VALU_DEP_1)
	s_or_b32 exec_lo, exec_lo, s21
	v_mov_b32_e32 v134, 0
	ds_load_b64 v[134:135], v134 offset:112
	s_wait_dscnt 0x0
	v_pk_mul_f32 v[136:137], v[132:133], v[134:135] op_sel:[1,1] op_sel_hi:[0,1]
	v_pk_fma_f32 v[138:139], v[132:133], v[134:135], v[136:137] op_sel_hi:[1,0,1]
	v_pk_fma_f32 v[132:133], v[132:133], v[134:135], v[136:137] neg_lo:[0,0,1] neg_hi:[0,0,1]
	s_delay_alu instid0(VALU_DEP_2)
	v_mov_b32_e32 v133, v139
	scratch_store_b64 off, v[132:133], off offset:112
.LBB127_495:
	s_wait_xcnt 0x0
	s_or_b32 exec_lo, exec_lo, s20
	scratch_load_b64 v[132:133], off, off offset:104
	v_cmp_lt_u32_e64 s1, 13, v0
	s_wait_loadcnt 0x0
	ds_store_b64 v1, v[132:133]
	s_wait_storecnt_dscnt 0x0
	s_barrier_signal -1
	s_barrier_wait -1
	s_wait_xcnt 0x0
	s_and_saveexec_b32 s19, s1
	s_cbranch_execz .LBB127_505
; %bb.496:
	s_and_not1_b32 vcc_lo, exec_lo, s3
	s_cbranch_vccnz .LBB127_498
; %bb.497:
	scratch_load_b64 v[132:133], v59, off
	ds_load_b64 v[134:135], v1
	s_wait_loadcnt_dscnt 0x0
	v_pk_mul_f32 v[136:137], v[134:135], v[132:133] op_sel:[1,1] op_sel_hi:[0,1]
	s_delay_alu instid0(VALU_DEP_1) | instskip(SKIP_1) | instid1(VALU_DEP_2)
	v_pk_fma_f32 v[138:139], v[134:135], v[132:133], v[136:137] op_sel_hi:[1,0,1]
	v_pk_fma_f32 v[132:133], v[134:135], v[132:133], v[136:137] neg_lo:[0,0,1] neg_hi:[0,0,1]
	v_mov_b32_e32 v133, v139
	s_cbranch_execz .LBB127_499
	s_branch .LBB127_500
.LBB127_498:
                                        ; implicit-def: $vgpr132_vgpr133
.LBB127_499:
	ds_load_b64 v[132:133], v1
.LBB127_500:
	s_and_saveexec_b32 s20, s0
	s_cbranch_execz .LBB127_504
; %bb.501:
	v_add_nc_u32_e32 v134, -14, v0
	s_movk_i32 s21, 0x270
	s_mov_b32 s0, 0
.LBB127_502:                            ; =>This Inner Loop Header: Depth=1
	scratch_load_b64 v[136:137], off, s18
	v_dual_mov_b32 v135, s21 :: v_dual_add_nc_u32 v134, -1, v134
	s_add_co_i32 s21, s21, 8
	s_wait_xcnt 0x0
	s_add_co_i32 s18, s18, 8
	ds_load_b64 v[138:139], v135
	v_cmp_eq_u32_e32 vcc_lo, 0, v134
	s_or_b32 s0, vcc_lo, s0
	s_wait_loadcnt_dscnt 0x0
	v_pk_mul_f32 v[140:141], v[138:139], v[136:137] op_sel:[1,1] op_sel_hi:[0,1]
	s_delay_alu instid0(VALU_DEP_1) | instskip(SKIP_1) | instid1(VALU_DEP_2)
	v_pk_fma_f32 v[142:143], v[138:139], v[136:137], v[140:141] op_sel_hi:[1,0,1]
	v_pk_fma_f32 v[136:137], v[138:139], v[136:137], v[140:141] neg_lo:[0,0,1] neg_hi:[0,0,1]
	v_mov_b32_e32 v137, v143
	s_delay_alu instid0(VALU_DEP_1)
	v_pk_add_f32 v[132:133], v[132:133], v[136:137]
	s_and_not1_b32 exec_lo, exec_lo, s0
	s_cbranch_execnz .LBB127_502
; %bb.503:
	s_or_b32 exec_lo, exec_lo, s0
.LBB127_504:
	s_delay_alu instid0(SALU_CYCLE_1) | instskip(SKIP_4) | instid1(VALU_DEP_1)
	s_or_b32 exec_lo, exec_lo, s20
	v_mov_b32_e32 v134, 0
	ds_load_b64 v[134:135], v134 offset:104
	s_wait_dscnt 0x0
	v_pk_mul_f32 v[136:137], v[132:133], v[134:135] op_sel:[1,1] op_sel_hi:[0,1]
	v_pk_fma_f32 v[138:139], v[132:133], v[134:135], v[136:137] op_sel_hi:[1,0,1]
	v_pk_fma_f32 v[132:133], v[132:133], v[134:135], v[136:137] neg_lo:[0,0,1] neg_hi:[0,0,1]
	s_delay_alu instid0(VALU_DEP_2)
	v_mov_b32_e32 v133, v139
	scratch_store_b64 off, v[132:133], off offset:104
.LBB127_505:
	s_wait_xcnt 0x0
	s_or_b32 exec_lo, exec_lo, s19
	scratch_load_b64 v[132:133], off, off offset:96
	v_cmp_lt_u32_e64 s0, 12, v0
	s_wait_loadcnt 0x0
	ds_store_b64 v1, v[132:133]
	s_wait_storecnt_dscnt 0x0
	s_barrier_signal -1
	s_barrier_wait -1
	s_wait_xcnt 0x0
	s_and_saveexec_b32 s18, s0
	s_cbranch_execz .LBB127_515
; %bb.506:
	s_and_not1_b32 vcc_lo, exec_lo, s3
	s_cbranch_vccnz .LBB127_508
; %bb.507:
	scratch_load_b64 v[132:133], v59, off
	ds_load_b64 v[134:135], v1
	s_wait_loadcnt_dscnt 0x0
	v_pk_mul_f32 v[136:137], v[134:135], v[132:133] op_sel:[1,1] op_sel_hi:[0,1]
	s_delay_alu instid0(VALU_DEP_1) | instskip(SKIP_1) | instid1(VALU_DEP_2)
	v_pk_fma_f32 v[138:139], v[134:135], v[132:133], v[136:137] op_sel_hi:[1,0,1]
	v_pk_fma_f32 v[132:133], v[134:135], v[132:133], v[136:137] neg_lo:[0,0,1] neg_hi:[0,0,1]
	v_mov_b32_e32 v133, v139
	s_cbranch_execz .LBB127_509
	s_branch .LBB127_510
.LBB127_508:
                                        ; implicit-def: $vgpr132_vgpr133
.LBB127_509:
	ds_load_b64 v[132:133], v1
.LBB127_510:
	s_and_saveexec_b32 s19, s1
	s_cbranch_execz .LBB127_514
; %bb.511:
	v_add_nc_u32_e32 v134, -13, v0
	s_movk_i32 s20, 0x268
	s_mov_b32 s1, 0
.LBB127_512:                            ; =>This Inner Loop Header: Depth=1
	scratch_load_b64 v[136:137], off, s17
	v_dual_mov_b32 v135, s20 :: v_dual_add_nc_u32 v134, -1, v134
	s_add_co_i32 s20, s20, 8
	s_wait_xcnt 0x0
	s_add_co_i32 s17, s17, 8
	ds_load_b64 v[138:139], v135
	v_cmp_eq_u32_e32 vcc_lo, 0, v134
	s_or_b32 s1, vcc_lo, s1
	s_wait_loadcnt_dscnt 0x0
	v_pk_mul_f32 v[140:141], v[138:139], v[136:137] op_sel:[1,1] op_sel_hi:[0,1]
	s_delay_alu instid0(VALU_DEP_1) | instskip(SKIP_1) | instid1(VALU_DEP_2)
	v_pk_fma_f32 v[142:143], v[138:139], v[136:137], v[140:141] op_sel_hi:[1,0,1]
	v_pk_fma_f32 v[136:137], v[138:139], v[136:137], v[140:141] neg_lo:[0,0,1] neg_hi:[0,0,1]
	v_mov_b32_e32 v137, v143
	s_delay_alu instid0(VALU_DEP_1)
	v_pk_add_f32 v[132:133], v[132:133], v[136:137]
	s_and_not1_b32 exec_lo, exec_lo, s1
	s_cbranch_execnz .LBB127_512
; %bb.513:
	s_or_b32 exec_lo, exec_lo, s1
.LBB127_514:
	s_delay_alu instid0(SALU_CYCLE_1) | instskip(SKIP_4) | instid1(VALU_DEP_1)
	s_or_b32 exec_lo, exec_lo, s19
	v_mov_b32_e32 v134, 0
	ds_load_b64 v[134:135], v134 offset:96
	s_wait_dscnt 0x0
	v_pk_mul_f32 v[136:137], v[132:133], v[134:135] op_sel:[1,1] op_sel_hi:[0,1]
	v_pk_fma_f32 v[138:139], v[132:133], v[134:135], v[136:137] op_sel_hi:[1,0,1]
	v_pk_fma_f32 v[132:133], v[132:133], v[134:135], v[136:137] neg_lo:[0,0,1] neg_hi:[0,0,1]
	s_delay_alu instid0(VALU_DEP_2)
	v_mov_b32_e32 v133, v139
	scratch_store_b64 off, v[132:133], off offset:96
.LBB127_515:
	s_wait_xcnt 0x0
	s_or_b32 exec_lo, exec_lo, s18
	scratch_load_b64 v[132:133], off, off offset:88
	v_cmp_lt_u32_e64 s1, 11, v0
	s_wait_loadcnt 0x0
	ds_store_b64 v1, v[132:133]
	s_wait_storecnt_dscnt 0x0
	s_barrier_signal -1
	s_barrier_wait -1
	s_wait_xcnt 0x0
	s_and_saveexec_b32 s17, s1
	s_cbranch_execz .LBB127_525
; %bb.516:
	s_and_not1_b32 vcc_lo, exec_lo, s3
	s_cbranch_vccnz .LBB127_518
; %bb.517:
	scratch_load_b64 v[132:133], v59, off
	ds_load_b64 v[134:135], v1
	s_wait_loadcnt_dscnt 0x0
	v_pk_mul_f32 v[136:137], v[134:135], v[132:133] op_sel:[1,1] op_sel_hi:[0,1]
	s_delay_alu instid0(VALU_DEP_1) | instskip(SKIP_1) | instid1(VALU_DEP_2)
	v_pk_fma_f32 v[138:139], v[134:135], v[132:133], v[136:137] op_sel_hi:[1,0,1]
	v_pk_fma_f32 v[132:133], v[134:135], v[132:133], v[136:137] neg_lo:[0,0,1] neg_hi:[0,0,1]
	v_mov_b32_e32 v133, v139
	s_cbranch_execz .LBB127_519
	s_branch .LBB127_520
.LBB127_518:
                                        ; implicit-def: $vgpr132_vgpr133
.LBB127_519:
	ds_load_b64 v[132:133], v1
.LBB127_520:
	s_and_saveexec_b32 s18, s0
	s_cbranch_execz .LBB127_524
; %bb.521:
	v_add_nc_u32_e32 v134, -12, v0
	s_movk_i32 s19, 0x260
	s_mov_b32 s0, 0
.LBB127_522:                            ; =>This Inner Loop Header: Depth=1
	scratch_load_b64 v[136:137], off, s16
	v_dual_mov_b32 v135, s19 :: v_dual_add_nc_u32 v134, -1, v134
	s_add_co_i32 s19, s19, 8
	s_wait_xcnt 0x0
	s_add_co_i32 s16, s16, 8
	ds_load_b64 v[138:139], v135
	v_cmp_eq_u32_e32 vcc_lo, 0, v134
	s_or_b32 s0, vcc_lo, s0
	s_wait_loadcnt_dscnt 0x0
	v_pk_mul_f32 v[140:141], v[138:139], v[136:137] op_sel:[1,1] op_sel_hi:[0,1]
	s_delay_alu instid0(VALU_DEP_1) | instskip(SKIP_1) | instid1(VALU_DEP_2)
	v_pk_fma_f32 v[142:143], v[138:139], v[136:137], v[140:141] op_sel_hi:[1,0,1]
	v_pk_fma_f32 v[136:137], v[138:139], v[136:137], v[140:141] neg_lo:[0,0,1] neg_hi:[0,0,1]
	v_mov_b32_e32 v137, v143
	s_delay_alu instid0(VALU_DEP_1)
	v_pk_add_f32 v[132:133], v[132:133], v[136:137]
	s_and_not1_b32 exec_lo, exec_lo, s0
	s_cbranch_execnz .LBB127_522
; %bb.523:
	s_or_b32 exec_lo, exec_lo, s0
.LBB127_524:
	s_delay_alu instid0(SALU_CYCLE_1) | instskip(SKIP_4) | instid1(VALU_DEP_1)
	s_or_b32 exec_lo, exec_lo, s18
	v_mov_b32_e32 v134, 0
	ds_load_b64 v[134:135], v134 offset:88
	s_wait_dscnt 0x0
	v_pk_mul_f32 v[136:137], v[132:133], v[134:135] op_sel:[1,1] op_sel_hi:[0,1]
	v_pk_fma_f32 v[138:139], v[132:133], v[134:135], v[136:137] op_sel_hi:[1,0,1]
	v_pk_fma_f32 v[132:133], v[132:133], v[134:135], v[136:137] neg_lo:[0,0,1] neg_hi:[0,0,1]
	s_delay_alu instid0(VALU_DEP_2)
	v_mov_b32_e32 v133, v139
	scratch_store_b64 off, v[132:133], off offset:88
.LBB127_525:
	s_wait_xcnt 0x0
	s_or_b32 exec_lo, exec_lo, s17
	scratch_load_b64 v[132:133], off, off offset:80
	v_cmp_lt_u32_e64 s0, 10, v0
	s_wait_loadcnt 0x0
	ds_store_b64 v1, v[132:133]
	s_wait_storecnt_dscnt 0x0
	s_barrier_signal -1
	s_barrier_wait -1
	s_wait_xcnt 0x0
	s_and_saveexec_b32 s16, s0
	s_cbranch_execz .LBB127_535
; %bb.526:
	s_and_not1_b32 vcc_lo, exec_lo, s3
	s_cbranch_vccnz .LBB127_528
; %bb.527:
	scratch_load_b64 v[132:133], v59, off
	ds_load_b64 v[134:135], v1
	s_wait_loadcnt_dscnt 0x0
	v_pk_mul_f32 v[136:137], v[134:135], v[132:133] op_sel:[1,1] op_sel_hi:[0,1]
	s_delay_alu instid0(VALU_DEP_1) | instskip(SKIP_1) | instid1(VALU_DEP_2)
	v_pk_fma_f32 v[138:139], v[134:135], v[132:133], v[136:137] op_sel_hi:[1,0,1]
	v_pk_fma_f32 v[132:133], v[134:135], v[132:133], v[136:137] neg_lo:[0,0,1] neg_hi:[0,0,1]
	v_mov_b32_e32 v133, v139
	s_cbranch_execz .LBB127_529
	s_branch .LBB127_530
.LBB127_528:
                                        ; implicit-def: $vgpr132_vgpr133
.LBB127_529:
	ds_load_b64 v[132:133], v1
.LBB127_530:
	s_and_saveexec_b32 s17, s1
	s_cbranch_execz .LBB127_534
; %bb.531:
	v_add_nc_u32_e32 v134, -11, v0
	s_movk_i32 s18, 0x258
	s_mov_b32 s1, 0
.LBB127_532:                            ; =>This Inner Loop Header: Depth=1
	scratch_load_b64 v[136:137], off, s15
	v_dual_mov_b32 v135, s18 :: v_dual_add_nc_u32 v134, -1, v134
	s_add_co_i32 s18, s18, 8
	s_wait_xcnt 0x0
	s_add_co_i32 s15, s15, 8
	ds_load_b64 v[138:139], v135
	v_cmp_eq_u32_e32 vcc_lo, 0, v134
	s_or_b32 s1, vcc_lo, s1
	s_wait_loadcnt_dscnt 0x0
	v_pk_mul_f32 v[140:141], v[138:139], v[136:137] op_sel:[1,1] op_sel_hi:[0,1]
	s_delay_alu instid0(VALU_DEP_1) | instskip(SKIP_1) | instid1(VALU_DEP_2)
	v_pk_fma_f32 v[142:143], v[138:139], v[136:137], v[140:141] op_sel_hi:[1,0,1]
	v_pk_fma_f32 v[136:137], v[138:139], v[136:137], v[140:141] neg_lo:[0,0,1] neg_hi:[0,0,1]
	v_mov_b32_e32 v137, v143
	s_delay_alu instid0(VALU_DEP_1)
	v_pk_add_f32 v[132:133], v[132:133], v[136:137]
	s_and_not1_b32 exec_lo, exec_lo, s1
	s_cbranch_execnz .LBB127_532
; %bb.533:
	s_or_b32 exec_lo, exec_lo, s1
.LBB127_534:
	s_delay_alu instid0(SALU_CYCLE_1) | instskip(SKIP_4) | instid1(VALU_DEP_1)
	s_or_b32 exec_lo, exec_lo, s17
	v_mov_b32_e32 v134, 0
	ds_load_b64 v[134:135], v134 offset:80
	s_wait_dscnt 0x0
	v_pk_mul_f32 v[136:137], v[132:133], v[134:135] op_sel:[1,1] op_sel_hi:[0,1]
	v_pk_fma_f32 v[138:139], v[132:133], v[134:135], v[136:137] op_sel_hi:[1,0,1]
	v_pk_fma_f32 v[132:133], v[132:133], v[134:135], v[136:137] neg_lo:[0,0,1] neg_hi:[0,0,1]
	s_delay_alu instid0(VALU_DEP_2)
	v_mov_b32_e32 v133, v139
	scratch_store_b64 off, v[132:133], off offset:80
.LBB127_535:
	s_wait_xcnt 0x0
	s_or_b32 exec_lo, exec_lo, s16
	scratch_load_b64 v[132:133], off, off offset:72
	v_cmp_lt_u32_e64 s1, 9, v0
	s_wait_loadcnt 0x0
	ds_store_b64 v1, v[132:133]
	s_wait_storecnt_dscnt 0x0
	s_barrier_signal -1
	s_barrier_wait -1
	s_wait_xcnt 0x0
	s_and_saveexec_b32 s15, s1
	s_cbranch_execz .LBB127_545
; %bb.536:
	s_and_not1_b32 vcc_lo, exec_lo, s3
	s_cbranch_vccnz .LBB127_538
; %bb.537:
	scratch_load_b64 v[132:133], v59, off
	ds_load_b64 v[134:135], v1
	s_wait_loadcnt_dscnt 0x0
	v_pk_mul_f32 v[136:137], v[134:135], v[132:133] op_sel:[1,1] op_sel_hi:[0,1]
	s_delay_alu instid0(VALU_DEP_1) | instskip(SKIP_1) | instid1(VALU_DEP_2)
	v_pk_fma_f32 v[138:139], v[134:135], v[132:133], v[136:137] op_sel_hi:[1,0,1]
	v_pk_fma_f32 v[132:133], v[134:135], v[132:133], v[136:137] neg_lo:[0,0,1] neg_hi:[0,0,1]
	v_mov_b32_e32 v133, v139
	s_cbranch_execz .LBB127_539
	s_branch .LBB127_540
.LBB127_538:
                                        ; implicit-def: $vgpr132_vgpr133
.LBB127_539:
	ds_load_b64 v[132:133], v1
.LBB127_540:
	s_and_saveexec_b32 s16, s0
	s_cbranch_execz .LBB127_544
; %bb.541:
	v_add_nc_u32_e32 v134, -10, v0
	s_movk_i32 s17, 0x250
	s_mov_b32 s0, 0
.LBB127_542:                            ; =>This Inner Loop Header: Depth=1
	scratch_load_b64 v[136:137], off, s14
	v_dual_mov_b32 v135, s17 :: v_dual_add_nc_u32 v134, -1, v134
	s_add_co_i32 s17, s17, 8
	s_wait_xcnt 0x0
	s_add_co_i32 s14, s14, 8
	ds_load_b64 v[138:139], v135
	v_cmp_eq_u32_e32 vcc_lo, 0, v134
	s_or_b32 s0, vcc_lo, s0
	s_wait_loadcnt_dscnt 0x0
	v_pk_mul_f32 v[140:141], v[138:139], v[136:137] op_sel:[1,1] op_sel_hi:[0,1]
	s_delay_alu instid0(VALU_DEP_1) | instskip(SKIP_1) | instid1(VALU_DEP_2)
	v_pk_fma_f32 v[142:143], v[138:139], v[136:137], v[140:141] op_sel_hi:[1,0,1]
	v_pk_fma_f32 v[136:137], v[138:139], v[136:137], v[140:141] neg_lo:[0,0,1] neg_hi:[0,0,1]
	v_mov_b32_e32 v137, v143
	s_delay_alu instid0(VALU_DEP_1)
	v_pk_add_f32 v[132:133], v[132:133], v[136:137]
	s_and_not1_b32 exec_lo, exec_lo, s0
	s_cbranch_execnz .LBB127_542
; %bb.543:
	s_or_b32 exec_lo, exec_lo, s0
.LBB127_544:
	s_delay_alu instid0(SALU_CYCLE_1) | instskip(SKIP_4) | instid1(VALU_DEP_1)
	s_or_b32 exec_lo, exec_lo, s16
	v_mov_b32_e32 v134, 0
	ds_load_b64 v[134:135], v134 offset:72
	s_wait_dscnt 0x0
	v_pk_mul_f32 v[136:137], v[132:133], v[134:135] op_sel:[1,1] op_sel_hi:[0,1]
	v_pk_fma_f32 v[138:139], v[132:133], v[134:135], v[136:137] op_sel_hi:[1,0,1]
	v_pk_fma_f32 v[132:133], v[132:133], v[134:135], v[136:137] neg_lo:[0,0,1] neg_hi:[0,0,1]
	s_delay_alu instid0(VALU_DEP_2)
	v_mov_b32_e32 v133, v139
	scratch_store_b64 off, v[132:133], off offset:72
.LBB127_545:
	s_wait_xcnt 0x0
	s_or_b32 exec_lo, exec_lo, s15
	scratch_load_b64 v[132:133], off, off offset:64
	v_cmp_lt_u32_e64 s0, 8, v0
	s_wait_loadcnt 0x0
	ds_store_b64 v1, v[132:133]
	s_wait_storecnt_dscnt 0x0
	s_barrier_signal -1
	s_barrier_wait -1
	s_wait_xcnt 0x0
	s_and_saveexec_b32 s14, s0
	s_cbranch_execz .LBB127_555
; %bb.546:
	s_and_not1_b32 vcc_lo, exec_lo, s3
	s_cbranch_vccnz .LBB127_548
; %bb.547:
	scratch_load_b64 v[132:133], v59, off
	ds_load_b64 v[134:135], v1
	s_wait_loadcnt_dscnt 0x0
	v_pk_mul_f32 v[136:137], v[134:135], v[132:133] op_sel:[1,1] op_sel_hi:[0,1]
	s_delay_alu instid0(VALU_DEP_1) | instskip(SKIP_1) | instid1(VALU_DEP_2)
	v_pk_fma_f32 v[138:139], v[134:135], v[132:133], v[136:137] op_sel_hi:[1,0,1]
	v_pk_fma_f32 v[132:133], v[134:135], v[132:133], v[136:137] neg_lo:[0,0,1] neg_hi:[0,0,1]
	v_mov_b32_e32 v133, v139
	s_cbranch_execz .LBB127_549
	s_branch .LBB127_550
.LBB127_548:
                                        ; implicit-def: $vgpr132_vgpr133
.LBB127_549:
	ds_load_b64 v[132:133], v1
.LBB127_550:
	s_and_saveexec_b32 s15, s1
	s_cbranch_execz .LBB127_554
; %bb.551:
	v_add_nc_u32_e32 v134, -9, v0
	s_movk_i32 s16, 0x248
	s_mov_b32 s1, 0
.LBB127_552:                            ; =>This Inner Loop Header: Depth=1
	scratch_load_b64 v[136:137], off, s13
	v_dual_mov_b32 v135, s16 :: v_dual_add_nc_u32 v134, -1, v134
	s_add_co_i32 s16, s16, 8
	s_wait_xcnt 0x0
	s_add_co_i32 s13, s13, 8
	ds_load_b64 v[138:139], v135
	v_cmp_eq_u32_e32 vcc_lo, 0, v134
	s_or_b32 s1, vcc_lo, s1
	s_wait_loadcnt_dscnt 0x0
	v_pk_mul_f32 v[140:141], v[138:139], v[136:137] op_sel:[1,1] op_sel_hi:[0,1]
	s_delay_alu instid0(VALU_DEP_1) | instskip(SKIP_1) | instid1(VALU_DEP_2)
	v_pk_fma_f32 v[142:143], v[138:139], v[136:137], v[140:141] op_sel_hi:[1,0,1]
	v_pk_fma_f32 v[136:137], v[138:139], v[136:137], v[140:141] neg_lo:[0,0,1] neg_hi:[0,0,1]
	v_mov_b32_e32 v137, v143
	s_delay_alu instid0(VALU_DEP_1)
	v_pk_add_f32 v[132:133], v[132:133], v[136:137]
	s_and_not1_b32 exec_lo, exec_lo, s1
	s_cbranch_execnz .LBB127_552
; %bb.553:
	s_or_b32 exec_lo, exec_lo, s1
.LBB127_554:
	s_delay_alu instid0(SALU_CYCLE_1) | instskip(SKIP_4) | instid1(VALU_DEP_1)
	s_or_b32 exec_lo, exec_lo, s15
	v_mov_b32_e32 v134, 0
	ds_load_b64 v[134:135], v134 offset:64
	s_wait_dscnt 0x0
	v_pk_mul_f32 v[136:137], v[132:133], v[134:135] op_sel:[1,1] op_sel_hi:[0,1]
	v_pk_fma_f32 v[138:139], v[132:133], v[134:135], v[136:137] op_sel_hi:[1,0,1]
	v_pk_fma_f32 v[132:133], v[132:133], v[134:135], v[136:137] neg_lo:[0,0,1] neg_hi:[0,0,1]
	s_delay_alu instid0(VALU_DEP_2)
	v_mov_b32_e32 v133, v139
	scratch_store_b64 off, v[132:133], off offset:64
.LBB127_555:
	s_wait_xcnt 0x0
	s_or_b32 exec_lo, exec_lo, s14
	scratch_load_b64 v[132:133], off, off offset:56
	v_cmp_lt_u32_e64 s1, 7, v0
	s_wait_loadcnt 0x0
	ds_store_b64 v1, v[132:133]
	s_wait_storecnt_dscnt 0x0
	s_barrier_signal -1
	s_barrier_wait -1
	s_wait_xcnt 0x0
	s_and_saveexec_b32 s13, s1
	s_cbranch_execz .LBB127_565
; %bb.556:
	s_and_not1_b32 vcc_lo, exec_lo, s3
	s_cbranch_vccnz .LBB127_558
; %bb.557:
	scratch_load_b64 v[132:133], v59, off
	ds_load_b64 v[134:135], v1
	s_wait_loadcnt_dscnt 0x0
	v_pk_mul_f32 v[136:137], v[134:135], v[132:133] op_sel:[1,1] op_sel_hi:[0,1]
	s_delay_alu instid0(VALU_DEP_1) | instskip(SKIP_1) | instid1(VALU_DEP_2)
	v_pk_fma_f32 v[138:139], v[134:135], v[132:133], v[136:137] op_sel_hi:[1,0,1]
	v_pk_fma_f32 v[132:133], v[134:135], v[132:133], v[136:137] neg_lo:[0,0,1] neg_hi:[0,0,1]
	v_mov_b32_e32 v133, v139
	s_cbranch_execz .LBB127_559
	s_branch .LBB127_560
.LBB127_558:
                                        ; implicit-def: $vgpr132_vgpr133
.LBB127_559:
	ds_load_b64 v[132:133], v1
.LBB127_560:
	s_and_saveexec_b32 s14, s0
	s_cbranch_execz .LBB127_564
; %bb.561:
	v_add_nc_u32_e32 v134, -8, v0
	s_movk_i32 s15, 0x240
	s_mov_b32 s0, 0
.LBB127_562:                            ; =>This Inner Loop Header: Depth=1
	scratch_load_b64 v[136:137], off, s12
	v_dual_mov_b32 v135, s15 :: v_dual_add_nc_u32 v134, -1, v134
	s_add_co_i32 s15, s15, 8
	s_wait_xcnt 0x0
	s_add_co_i32 s12, s12, 8
	ds_load_b64 v[138:139], v135
	v_cmp_eq_u32_e32 vcc_lo, 0, v134
	s_or_b32 s0, vcc_lo, s0
	s_wait_loadcnt_dscnt 0x0
	v_pk_mul_f32 v[140:141], v[138:139], v[136:137] op_sel:[1,1] op_sel_hi:[0,1]
	s_delay_alu instid0(VALU_DEP_1) | instskip(SKIP_1) | instid1(VALU_DEP_2)
	v_pk_fma_f32 v[142:143], v[138:139], v[136:137], v[140:141] op_sel_hi:[1,0,1]
	v_pk_fma_f32 v[136:137], v[138:139], v[136:137], v[140:141] neg_lo:[0,0,1] neg_hi:[0,0,1]
	v_mov_b32_e32 v137, v143
	s_delay_alu instid0(VALU_DEP_1)
	v_pk_add_f32 v[132:133], v[132:133], v[136:137]
	s_and_not1_b32 exec_lo, exec_lo, s0
	s_cbranch_execnz .LBB127_562
; %bb.563:
	s_or_b32 exec_lo, exec_lo, s0
.LBB127_564:
	s_delay_alu instid0(SALU_CYCLE_1) | instskip(SKIP_4) | instid1(VALU_DEP_1)
	s_or_b32 exec_lo, exec_lo, s14
	v_mov_b32_e32 v134, 0
	ds_load_b64 v[134:135], v134 offset:56
	s_wait_dscnt 0x0
	v_pk_mul_f32 v[136:137], v[132:133], v[134:135] op_sel:[1,1] op_sel_hi:[0,1]
	v_pk_fma_f32 v[138:139], v[132:133], v[134:135], v[136:137] op_sel_hi:[1,0,1]
	v_pk_fma_f32 v[132:133], v[132:133], v[134:135], v[136:137] neg_lo:[0,0,1] neg_hi:[0,0,1]
	s_delay_alu instid0(VALU_DEP_2)
	v_mov_b32_e32 v133, v139
	scratch_store_b64 off, v[132:133], off offset:56
.LBB127_565:
	s_wait_xcnt 0x0
	s_or_b32 exec_lo, exec_lo, s13
	scratch_load_b64 v[132:133], off, off offset:48
	v_cmp_lt_u32_e64 s0, 6, v0
	s_wait_loadcnt 0x0
	ds_store_b64 v1, v[132:133]
	s_wait_storecnt_dscnt 0x0
	s_barrier_signal -1
	s_barrier_wait -1
	s_wait_xcnt 0x0
	s_and_saveexec_b32 s12, s0
	s_cbranch_execz .LBB127_575
; %bb.566:
	s_and_not1_b32 vcc_lo, exec_lo, s3
	s_cbranch_vccnz .LBB127_568
; %bb.567:
	scratch_load_b64 v[132:133], v59, off
	ds_load_b64 v[134:135], v1
	s_wait_loadcnt_dscnt 0x0
	v_pk_mul_f32 v[136:137], v[134:135], v[132:133] op_sel:[1,1] op_sel_hi:[0,1]
	s_delay_alu instid0(VALU_DEP_1) | instskip(SKIP_1) | instid1(VALU_DEP_2)
	v_pk_fma_f32 v[138:139], v[134:135], v[132:133], v[136:137] op_sel_hi:[1,0,1]
	v_pk_fma_f32 v[132:133], v[134:135], v[132:133], v[136:137] neg_lo:[0,0,1] neg_hi:[0,0,1]
	v_mov_b32_e32 v133, v139
	s_cbranch_execz .LBB127_569
	s_branch .LBB127_570
.LBB127_568:
                                        ; implicit-def: $vgpr132_vgpr133
.LBB127_569:
	ds_load_b64 v[132:133], v1
.LBB127_570:
	s_and_saveexec_b32 s13, s1
	s_cbranch_execz .LBB127_574
; %bb.571:
	v_add_nc_u32_e32 v134, -7, v0
	s_movk_i32 s14, 0x238
	s_mov_b32 s1, 0
.LBB127_572:                            ; =>This Inner Loop Header: Depth=1
	scratch_load_b64 v[136:137], off, s11
	v_dual_mov_b32 v135, s14 :: v_dual_add_nc_u32 v134, -1, v134
	s_add_co_i32 s14, s14, 8
	s_wait_xcnt 0x0
	s_add_co_i32 s11, s11, 8
	ds_load_b64 v[138:139], v135
	v_cmp_eq_u32_e32 vcc_lo, 0, v134
	s_or_b32 s1, vcc_lo, s1
	s_wait_loadcnt_dscnt 0x0
	v_pk_mul_f32 v[140:141], v[138:139], v[136:137] op_sel:[1,1] op_sel_hi:[0,1]
	s_delay_alu instid0(VALU_DEP_1) | instskip(SKIP_1) | instid1(VALU_DEP_2)
	v_pk_fma_f32 v[142:143], v[138:139], v[136:137], v[140:141] op_sel_hi:[1,0,1]
	v_pk_fma_f32 v[136:137], v[138:139], v[136:137], v[140:141] neg_lo:[0,0,1] neg_hi:[0,0,1]
	v_mov_b32_e32 v137, v143
	s_delay_alu instid0(VALU_DEP_1)
	v_pk_add_f32 v[132:133], v[132:133], v[136:137]
	s_and_not1_b32 exec_lo, exec_lo, s1
	s_cbranch_execnz .LBB127_572
; %bb.573:
	s_or_b32 exec_lo, exec_lo, s1
.LBB127_574:
	s_delay_alu instid0(SALU_CYCLE_1) | instskip(SKIP_4) | instid1(VALU_DEP_1)
	s_or_b32 exec_lo, exec_lo, s13
	v_mov_b32_e32 v134, 0
	ds_load_b64 v[134:135], v134 offset:48
	s_wait_dscnt 0x0
	v_pk_mul_f32 v[136:137], v[132:133], v[134:135] op_sel:[1,1] op_sel_hi:[0,1]
	v_pk_fma_f32 v[138:139], v[132:133], v[134:135], v[136:137] op_sel_hi:[1,0,1]
	v_pk_fma_f32 v[132:133], v[132:133], v[134:135], v[136:137] neg_lo:[0,0,1] neg_hi:[0,0,1]
	s_delay_alu instid0(VALU_DEP_2)
	v_mov_b32_e32 v133, v139
	scratch_store_b64 off, v[132:133], off offset:48
.LBB127_575:
	s_wait_xcnt 0x0
	s_or_b32 exec_lo, exec_lo, s12
	scratch_load_b64 v[132:133], off, off offset:40
	v_cmp_lt_u32_e64 s1, 5, v0
	s_wait_loadcnt 0x0
	ds_store_b64 v1, v[132:133]
	s_wait_storecnt_dscnt 0x0
	s_barrier_signal -1
	s_barrier_wait -1
	s_wait_xcnt 0x0
	s_and_saveexec_b32 s11, s1
	s_cbranch_execz .LBB127_585
; %bb.576:
	s_and_not1_b32 vcc_lo, exec_lo, s3
	s_cbranch_vccnz .LBB127_578
; %bb.577:
	scratch_load_b64 v[132:133], v59, off
	ds_load_b64 v[134:135], v1
	s_wait_loadcnt_dscnt 0x0
	v_pk_mul_f32 v[136:137], v[134:135], v[132:133] op_sel:[1,1] op_sel_hi:[0,1]
	s_delay_alu instid0(VALU_DEP_1) | instskip(SKIP_1) | instid1(VALU_DEP_2)
	v_pk_fma_f32 v[138:139], v[134:135], v[132:133], v[136:137] op_sel_hi:[1,0,1]
	v_pk_fma_f32 v[132:133], v[134:135], v[132:133], v[136:137] neg_lo:[0,0,1] neg_hi:[0,0,1]
	v_mov_b32_e32 v133, v139
	s_cbranch_execz .LBB127_579
	s_branch .LBB127_580
.LBB127_578:
                                        ; implicit-def: $vgpr132_vgpr133
.LBB127_579:
	ds_load_b64 v[132:133], v1
.LBB127_580:
	s_and_saveexec_b32 s12, s0
	s_cbranch_execz .LBB127_584
; %bb.581:
	v_add_nc_u32_e32 v134, -6, v0
	s_movk_i32 s13, 0x230
	s_mov_b32 s0, 0
.LBB127_582:                            ; =>This Inner Loop Header: Depth=1
	scratch_load_b64 v[136:137], off, s10
	v_dual_mov_b32 v135, s13 :: v_dual_add_nc_u32 v134, -1, v134
	s_add_co_i32 s13, s13, 8
	s_wait_xcnt 0x0
	s_add_co_i32 s10, s10, 8
	ds_load_b64 v[138:139], v135
	v_cmp_eq_u32_e32 vcc_lo, 0, v134
	s_or_b32 s0, vcc_lo, s0
	s_wait_loadcnt_dscnt 0x0
	v_pk_mul_f32 v[140:141], v[138:139], v[136:137] op_sel:[1,1] op_sel_hi:[0,1]
	s_delay_alu instid0(VALU_DEP_1) | instskip(SKIP_1) | instid1(VALU_DEP_2)
	v_pk_fma_f32 v[142:143], v[138:139], v[136:137], v[140:141] op_sel_hi:[1,0,1]
	v_pk_fma_f32 v[136:137], v[138:139], v[136:137], v[140:141] neg_lo:[0,0,1] neg_hi:[0,0,1]
	v_mov_b32_e32 v137, v143
	s_delay_alu instid0(VALU_DEP_1)
	v_pk_add_f32 v[132:133], v[132:133], v[136:137]
	s_and_not1_b32 exec_lo, exec_lo, s0
	s_cbranch_execnz .LBB127_582
; %bb.583:
	s_or_b32 exec_lo, exec_lo, s0
.LBB127_584:
	s_delay_alu instid0(SALU_CYCLE_1) | instskip(SKIP_4) | instid1(VALU_DEP_1)
	s_or_b32 exec_lo, exec_lo, s12
	v_mov_b32_e32 v134, 0
	ds_load_b64 v[134:135], v134 offset:40
	s_wait_dscnt 0x0
	v_pk_mul_f32 v[136:137], v[132:133], v[134:135] op_sel:[1,1] op_sel_hi:[0,1]
	v_pk_fma_f32 v[138:139], v[132:133], v[134:135], v[136:137] op_sel_hi:[1,0,1]
	v_pk_fma_f32 v[132:133], v[132:133], v[134:135], v[136:137] neg_lo:[0,0,1] neg_hi:[0,0,1]
	s_delay_alu instid0(VALU_DEP_2)
	v_mov_b32_e32 v133, v139
	scratch_store_b64 off, v[132:133], off offset:40
.LBB127_585:
	s_wait_xcnt 0x0
	s_or_b32 exec_lo, exec_lo, s11
	scratch_load_b64 v[132:133], off, off offset:32
	v_cmp_lt_u32_e64 s0, 4, v0
	s_wait_loadcnt 0x0
	ds_store_b64 v1, v[132:133]
	s_wait_storecnt_dscnt 0x0
	s_barrier_signal -1
	s_barrier_wait -1
	s_wait_xcnt 0x0
	s_and_saveexec_b32 s10, s0
	s_cbranch_execz .LBB127_595
; %bb.586:
	s_and_not1_b32 vcc_lo, exec_lo, s3
	s_cbranch_vccnz .LBB127_588
; %bb.587:
	scratch_load_b64 v[132:133], v59, off
	ds_load_b64 v[134:135], v1
	s_wait_loadcnt_dscnt 0x0
	v_pk_mul_f32 v[136:137], v[134:135], v[132:133] op_sel:[1,1] op_sel_hi:[0,1]
	s_delay_alu instid0(VALU_DEP_1) | instskip(SKIP_1) | instid1(VALU_DEP_2)
	v_pk_fma_f32 v[138:139], v[134:135], v[132:133], v[136:137] op_sel_hi:[1,0,1]
	v_pk_fma_f32 v[132:133], v[134:135], v[132:133], v[136:137] neg_lo:[0,0,1] neg_hi:[0,0,1]
	v_mov_b32_e32 v133, v139
	s_cbranch_execz .LBB127_589
	s_branch .LBB127_590
.LBB127_588:
                                        ; implicit-def: $vgpr132_vgpr133
.LBB127_589:
	ds_load_b64 v[132:133], v1
.LBB127_590:
	s_and_saveexec_b32 s11, s1
	s_cbranch_execz .LBB127_594
; %bb.591:
	v_add_nc_u32_e32 v134, -5, v0
	s_movk_i32 s12, 0x228
	s_mov_b32 s1, 0
.LBB127_592:                            ; =>This Inner Loop Header: Depth=1
	scratch_load_b64 v[136:137], off, s9
	v_dual_mov_b32 v135, s12 :: v_dual_add_nc_u32 v134, -1, v134
	s_add_co_i32 s12, s12, 8
	s_wait_xcnt 0x0
	s_add_co_i32 s9, s9, 8
	ds_load_b64 v[138:139], v135
	v_cmp_eq_u32_e32 vcc_lo, 0, v134
	s_or_b32 s1, vcc_lo, s1
	s_wait_loadcnt_dscnt 0x0
	v_pk_mul_f32 v[140:141], v[138:139], v[136:137] op_sel:[1,1] op_sel_hi:[0,1]
	s_delay_alu instid0(VALU_DEP_1) | instskip(SKIP_1) | instid1(VALU_DEP_2)
	v_pk_fma_f32 v[142:143], v[138:139], v[136:137], v[140:141] op_sel_hi:[1,0,1]
	v_pk_fma_f32 v[136:137], v[138:139], v[136:137], v[140:141] neg_lo:[0,0,1] neg_hi:[0,0,1]
	v_mov_b32_e32 v137, v143
	s_delay_alu instid0(VALU_DEP_1)
	v_pk_add_f32 v[132:133], v[132:133], v[136:137]
	s_and_not1_b32 exec_lo, exec_lo, s1
	s_cbranch_execnz .LBB127_592
; %bb.593:
	s_or_b32 exec_lo, exec_lo, s1
.LBB127_594:
	s_delay_alu instid0(SALU_CYCLE_1) | instskip(SKIP_4) | instid1(VALU_DEP_1)
	s_or_b32 exec_lo, exec_lo, s11
	v_mov_b32_e32 v134, 0
	ds_load_b64 v[134:135], v134 offset:32
	s_wait_dscnt 0x0
	v_pk_mul_f32 v[136:137], v[132:133], v[134:135] op_sel:[1,1] op_sel_hi:[0,1]
	v_pk_fma_f32 v[138:139], v[132:133], v[134:135], v[136:137] op_sel_hi:[1,0,1]
	v_pk_fma_f32 v[132:133], v[132:133], v[134:135], v[136:137] neg_lo:[0,0,1] neg_hi:[0,0,1]
	s_delay_alu instid0(VALU_DEP_2)
	v_mov_b32_e32 v133, v139
	scratch_store_b64 off, v[132:133], off offset:32
.LBB127_595:
	s_wait_xcnt 0x0
	s_or_b32 exec_lo, exec_lo, s10
	scratch_load_b64 v[132:133], off, off offset:24
	v_cmp_lt_u32_e64 s1, 3, v0
	s_wait_loadcnt 0x0
	ds_store_b64 v1, v[132:133]
	s_wait_storecnt_dscnt 0x0
	s_barrier_signal -1
	s_barrier_wait -1
	s_wait_xcnt 0x0
	s_and_saveexec_b32 s9, s1
	s_cbranch_execz .LBB127_605
; %bb.596:
	s_and_not1_b32 vcc_lo, exec_lo, s3
	s_cbranch_vccnz .LBB127_598
; %bb.597:
	scratch_load_b64 v[132:133], v59, off
	ds_load_b64 v[134:135], v1
	s_wait_loadcnt_dscnt 0x0
	v_pk_mul_f32 v[136:137], v[134:135], v[132:133] op_sel:[1,1] op_sel_hi:[0,1]
	s_delay_alu instid0(VALU_DEP_1) | instskip(SKIP_1) | instid1(VALU_DEP_2)
	v_pk_fma_f32 v[138:139], v[134:135], v[132:133], v[136:137] op_sel_hi:[1,0,1]
	v_pk_fma_f32 v[132:133], v[134:135], v[132:133], v[136:137] neg_lo:[0,0,1] neg_hi:[0,0,1]
	v_mov_b32_e32 v133, v139
	s_cbranch_execz .LBB127_599
	s_branch .LBB127_600
.LBB127_598:
                                        ; implicit-def: $vgpr132_vgpr133
.LBB127_599:
	ds_load_b64 v[132:133], v1
.LBB127_600:
	s_and_saveexec_b32 s10, s0
	s_cbranch_execz .LBB127_604
; %bb.601:
	v_add_nc_u32_e32 v134, -4, v0
	s_movk_i32 s11, 0x220
	s_mov_b32 s0, 0
.LBB127_602:                            ; =>This Inner Loop Header: Depth=1
	scratch_load_b64 v[136:137], off, s2
	v_dual_mov_b32 v135, s11 :: v_dual_add_nc_u32 v134, -1, v134
	s_add_co_i32 s11, s11, 8
	s_wait_xcnt 0x0
	s_add_co_i32 s2, s2, 8
	ds_load_b64 v[138:139], v135
	v_cmp_eq_u32_e32 vcc_lo, 0, v134
	s_or_b32 s0, vcc_lo, s0
	s_wait_loadcnt_dscnt 0x0
	v_pk_mul_f32 v[140:141], v[138:139], v[136:137] op_sel:[1,1] op_sel_hi:[0,1]
	s_delay_alu instid0(VALU_DEP_1) | instskip(SKIP_1) | instid1(VALU_DEP_2)
	v_pk_fma_f32 v[142:143], v[138:139], v[136:137], v[140:141] op_sel_hi:[1,0,1]
	v_pk_fma_f32 v[136:137], v[138:139], v[136:137], v[140:141] neg_lo:[0,0,1] neg_hi:[0,0,1]
	v_mov_b32_e32 v137, v143
	s_delay_alu instid0(VALU_DEP_1)
	v_pk_add_f32 v[132:133], v[132:133], v[136:137]
	s_and_not1_b32 exec_lo, exec_lo, s0
	s_cbranch_execnz .LBB127_602
; %bb.603:
	s_or_b32 exec_lo, exec_lo, s0
.LBB127_604:
	s_delay_alu instid0(SALU_CYCLE_1) | instskip(SKIP_4) | instid1(VALU_DEP_1)
	s_or_b32 exec_lo, exec_lo, s10
	v_mov_b32_e32 v134, 0
	ds_load_b64 v[134:135], v134 offset:24
	s_wait_dscnt 0x0
	v_pk_mul_f32 v[136:137], v[132:133], v[134:135] op_sel:[1,1] op_sel_hi:[0,1]
	v_pk_fma_f32 v[138:139], v[132:133], v[134:135], v[136:137] op_sel_hi:[1,0,1]
	v_pk_fma_f32 v[132:133], v[132:133], v[134:135], v[136:137] neg_lo:[0,0,1] neg_hi:[0,0,1]
	s_delay_alu instid0(VALU_DEP_2)
	v_mov_b32_e32 v133, v139
	scratch_store_b64 off, v[132:133], off offset:24
.LBB127_605:
	s_wait_xcnt 0x0
	s_or_b32 exec_lo, exec_lo, s9
	scratch_load_b64 v[132:133], off, off offset:16
	v_cmp_lt_u32_e64 s2, 2, v0
	s_wait_loadcnt 0x0
	ds_store_b64 v1, v[132:133]
	s_wait_storecnt_dscnt 0x0
	s_barrier_signal -1
	s_barrier_wait -1
	s_wait_xcnt 0x0
	s_and_saveexec_b32 s0, s2
	s_cbranch_execz .LBB127_615
; %bb.606:
	s_and_not1_b32 vcc_lo, exec_lo, s3
	s_cbranch_vccnz .LBB127_608
; %bb.607:
	scratch_load_b64 v[132:133], v59, off
	ds_load_b64 v[134:135], v1
	s_wait_loadcnt_dscnt 0x0
	v_pk_mul_f32 v[136:137], v[134:135], v[132:133] op_sel:[1,1] op_sel_hi:[0,1]
	s_delay_alu instid0(VALU_DEP_1) | instskip(SKIP_1) | instid1(VALU_DEP_2)
	v_pk_fma_f32 v[138:139], v[134:135], v[132:133], v[136:137] op_sel_hi:[1,0,1]
	v_pk_fma_f32 v[132:133], v[134:135], v[132:133], v[136:137] neg_lo:[0,0,1] neg_hi:[0,0,1]
	v_mov_b32_e32 v133, v139
	s_cbranch_execz .LBB127_609
	s_branch .LBB127_610
.LBB127_608:
                                        ; implicit-def: $vgpr132_vgpr133
.LBB127_609:
	ds_load_b64 v[132:133], v1
.LBB127_610:
	s_and_saveexec_b32 s9, s1
	s_cbranch_execz .LBB127_614
; %bb.611:
	v_add_nc_u32_e32 v134, -3, v0
	s_movk_i32 s10, 0x218
	s_mov_b32 s1, 0
.LBB127_612:                            ; =>This Inner Loop Header: Depth=1
	scratch_load_b64 v[136:137], off, s8
	v_dual_mov_b32 v135, s10 :: v_dual_add_nc_u32 v134, -1, v134
	s_add_co_i32 s10, s10, 8
	s_wait_xcnt 0x0
	s_add_co_i32 s8, s8, 8
	ds_load_b64 v[138:139], v135
	v_cmp_eq_u32_e32 vcc_lo, 0, v134
	s_or_b32 s1, vcc_lo, s1
	s_wait_loadcnt_dscnt 0x0
	v_pk_mul_f32 v[140:141], v[138:139], v[136:137] op_sel:[1,1] op_sel_hi:[0,1]
	s_delay_alu instid0(VALU_DEP_1) | instskip(SKIP_1) | instid1(VALU_DEP_2)
	v_pk_fma_f32 v[142:143], v[138:139], v[136:137], v[140:141] op_sel_hi:[1,0,1]
	v_pk_fma_f32 v[136:137], v[138:139], v[136:137], v[140:141] neg_lo:[0,0,1] neg_hi:[0,0,1]
	v_mov_b32_e32 v137, v143
	s_delay_alu instid0(VALU_DEP_1)
	v_pk_add_f32 v[132:133], v[132:133], v[136:137]
	s_and_not1_b32 exec_lo, exec_lo, s1
	s_cbranch_execnz .LBB127_612
; %bb.613:
	s_or_b32 exec_lo, exec_lo, s1
.LBB127_614:
	s_delay_alu instid0(SALU_CYCLE_1) | instskip(SKIP_4) | instid1(VALU_DEP_1)
	s_or_b32 exec_lo, exec_lo, s9
	v_mov_b32_e32 v134, 0
	ds_load_b64 v[134:135], v134 offset:16
	s_wait_dscnt 0x0
	v_pk_mul_f32 v[136:137], v[132:133], v[134:135] op_sel:[1,1] op_sel_hi:[0,1]
	v_pk_fma_f32 v[138:139], v[132:133], v[134:135], v[136:137] op_sel_hi:[1,0,1]
	v_pk_fma_f32 v[132:133], v[132:133], v[134:135], v[136:137] neg_lo:[0,0,1] neg_hi:[0,0,1]
	s_delay_alu instid0(VALU_DEP_2)
	v_mov_b32_e32 v133, v139
	scratch_store_b64 off, v[132:133], off offset:16
.LBB127_615:
	s_wait_xcnt 0x0
	s_or_b32 exec_lo, exec_lo, s0
	scratch_load_b64 v[132:133], off, off offset:8
	v_cmp_lt_u32_e64 s0, 1, v0
	s_wait_loadcnt 0x0
	ds_store_b64 v1, v[132:133]
	s_wait_storecnt_dscnt 0x0
	s_barrier_signal -1
	s_barrier_wait -1
	s_wait_xcnt 0x0
	s_and_saveexec_b32 s1, s0
	s_cbranch_execz .LBB127_625
; %bb.616:
	s_and_not1_b32 vcc_lo, exec_lo, s3
	s_cbranch_vccnz .LBB127_618
; %bb.617:
	scratch_load_b64 v[132:133], v59, off
	ds_load_b64 v[134:135], v1
	s_wait_loadcnt_dscnt 0x0
	v_pk_mul_f32 v[136:137], v[134:135], v[132:133] op_sel:[1,1] op_sel_hi:[0,1]
	s_delay_alu instid0(VALU_DEP_1) | instskip(SKIP_1) | instid1(VALU_DEP_2)
	v_pk_fma_f32 v[138:139], v[134:135], v[132:133], v[136:137] op_sel_hi:[1,0,1]
	v_pk_fma_f32 v[132:133], v[134:135], v[132:133], v[136:137] neg_lo:[0,0,1] neg_hi:[0,0,1]
	v_mov_b32_e32 v133, v139
	s_cbranch_execz .LBB127_619
	s_branch .LBB127_620
.LBB127_618:
                                        ; implicit-def: $vgpr132_vgpr133
.LBB127_619:
	ds_load_b64 v[132:133], v1
.LBB127_620:
	s_and_saveexec_b32 s8, s2
	s_cbranch_execz .LBB127_624
; %bb.621:
	v_add_nc_u32_e32 v134, -2, v0
	s_movk_i32 s9, 0x210
	s_mov_b32 s2, 0
.LBB127_622:                            ; =>This Inner Loop Header: Depth=1
	scratch_load_b64 v[136:137], off, s5
	v_dual_mov_b32 v135, s9 :: v_dual_add_nc_u32 v134, -1, v134
	s_add_co_i32 s9, s9, 8
	s_wait_xcnt 0x0
	s_add_co_i32 s5, s5, 8
	ds_load_b64 v[138:139], v135
	v_cmp_eq_u32_e32 vcc_lo, 0, v134
	s_or_b32 s2, vcc_lo, s2
	s_wait_loadcnt_dscnt 0x0
	v_pk_mul_f32 v[140:141], v[138:139], v[136:137] op_sel:[1,1] op_sel_hi:[0,1]
	s_delay_alu instid0(VALU_DEP_1) | instskip(SKIP_1) | instid1(VALU_DEP_2)
	v_pk_fma_f32 v[142:143], v[138:139], v[136:137], v[140:141] op_sel_hi:[1,0,1]
	v_pk_fma_f32 v[136:137], v[138:139], v[136:137], v[140:141] neg_lo:[0,0,1] neg_hi:[0,0,1]
	v_mov_b32_e32 v137, v143
	s_delay_alu instid0(VALU_DEP_1)
	v_pk_add_f32 v[132:133], v[132:133], v[136:137]
	s_and_not1_b32 exec_lo, exec_lo, s2
	s_cbranch_execnz .LBB127_622
; %bb.623:
	s_or_b32 exec_lo, exec_lo, s2
.LBB127_624:
	s_delay_alu instid0(SALU_CYCLE_1) | instskip(SKIP_4) | instid1(VALU_DEP_1)
	s_or_b32 exec_lo, exec_lo, s8
	v_mov_b32_e32 v134, 0
	ds_load_b64 v[134:135], v134 offset:8
	s_wait_dscnt 0x0
	v_pk_mul_f32 v[136:137], v[132:133], v[134:135] op_sel:[1,1] op_sel_hi:[0,1]
	v_pk_fma_f32 v[138:139], v[132:133], v[134:135], v[136:137] op_sel_hi:[1,0,1]
	v_pk_fma_f32 v[132:133], v[132:133], v[134:135], v[136:137] neg_lo:[0,0,1] neg_hi:[0,0,1]
	s_delay_alu instid0(VALU_DEP_2)
	v_mov_b32_e32 v133, v139
	scratch_store_b64 off, v[132:133], off offset:8
.LBB127_625:
	s_wait_xcnt 0x0
	s_or_b32 exec_lo, exec_lo, s1
	scratch_load_b64 v[132:133], off, off
	s_mov_b32 s2, 0
	s_mov_b32 s1, 0
	s_mov_b32 s8, exec_lo
                                        ; implicit-def: $vgpr192
                                        ; implicit-def: $sgpr5
	s_wait_loadcnt 0x0
	ds_store_b64 v1, v[132:133]
	s_wait_storecnt_dscnt 0x0
	s_barrier_signal -1
	s_barrier_wait -1
	s_wait_xcnt 0x0
	v_cmpx_ne_u32_e32 0, v0
	s_cbranch_execz .LBB127_635
; %bb.626:
	s_and_not1_b32 vcc_lo, exec_lo, s3
	s_cbranch_vccnz .LBB127_628
; %bb.627:
	scratch_load_b64 v[134:135], v59, off
	ds_load_b64 v[136:137], v1
	s_wait_loadcnt_dscnt 0x0
	v_dual_mul_f32 v132, v137, v135 :: v_dual_mul_f32 v133, v136, v135
	s_delay_alu instid0(VALU_DEP_1)
	v_dual_fma_f32 v132, v136, v134, -v132 :: v_dual_fmac_f32 v133, v137, v134
	s_and_not1_b32 vcc_lo, exec_lo, s1
	s_cbranch_vccz .LBB127_629
	s_branch .LBB127_630
.LBB127_628:
                                        ; implicit-def: $vgpr132
.LBB127_629:
	ds_load_b64 v[132:133], v1
.LBB127_630:
	s_and_saveexec_b32 s1, s0
	s_cbranch_execz .LBB127_634
; %bb.631:
	v_add_nc_u32_e32 v134, -1, v0
	s_movk_i32 s5, 0x208
	s_mov_b32 s0, 0
.LBB127_632:                            ; =>This Inner Loop Header: Depth=1
	scratch_load_b64 v[136:137], off, s4
	v_mov_b32_e32 v135, s5
	s_add_co_i32 s5, s5, 8
	s_wait_xcnt 0x0
	s_add_co_i32 s4, s4, 8
	v_add_nc_u32_e32 v134, -1, v134
	ds_load_b64 v[138:139], v135
	v_cmp_eq_u32_e32 vcc_lo, 0, v134
	s_or_b32 s0, vcc_lo, s0
	s_wait_loadcnt_dscnt 0x0
	v_dual_mul_f32 v135, v139, v137 :: v_dual_mul_f32 v137, v138, v137
	s_delay_alu instid0(VALU_DEP_1) | instskip(NEXT) | instid1(VALU_DEP_1)
	v_dual_fma_f32 v135, v138, v136, -v135 :: v_dual_fmac_f32 v137, v139, v136
	v_dual_add_f32 v132, v132, v135 :: v_dual_add_f32 v133, v133, v137
	s_and_not1_b32 exec_lo, exec_lo, s0
	s_cbranch_execnz .LBB127_632
; %bb.633:
	s_or_b32 exec_lo, exec_lo, s0
.LBB127_634:
	s_delay_alu instid0(SALU_CYCLE_1)
	s_or_b32 exec_lo, exec_lo, s1
	v_mov_b32_e32 v134, 0
	s_mov_b32 s1, exec_lo
	s_or_b32 s5, 0, 4
	ds_load_b64 v[134:135], v134
	s_wait_dscnt 0x0
	v_dual_mul_f32 v136, v133, v135 :: v_dual_mul_f32 v192, v132, v135
	s_delay_alu instid0(VALU_DEP_1) | instskip(NEXT) | instid1(VALU_DEP_2)
	v_fma_f32 v132, v132, v134, -v136
	v_fmac_f32_e32 v192, v133, v134
	scratch_store_b32 off, v132, off
.LBB127_635:
	s_wait_xcnt 0x0
	s_or_b32 exec_lo, exec_lo, s8
	s_delay_alu instid0(SALU_CYCLE_1)
	s_and_b32 vcc_lo, exec_lo, s2
	s_cbranch_vccz .LBB127_1261
.LBB127_636:
	scratch_load_b64 v[132:133], off, off offset:8
	v_cmp_eq_u32_e64 s0, 0, v0
	s_wait_loadcnt 0x0
	ds_store_b64 v1, v[132:133]
	s_wait_storecnt_dscnt 0x0
	s_barrier_signal -1
	s_barrier_wait -1
	s_wait_xcnt 0x0
	s_and_saveexec_b32 s2, s0
	s_cbranch_execz .LBB127_642
; %bb.637:
	s_and_b32 vcc_lo, exec_lo, s3
	s_cbranch_vccz .LBB127_639
; %bb.638:
	scratch_load_b64 v[132:133], v59, off
	ds_load_b64 v[134:135], v1
	s_wait_loadcnt_dscnt 0x0
	v_pk_mul_f32 v[136:137], v[134:135], v[132:133] op_sel:[1,1] op_sel_hi:[0,1]
	v_pk_mul_f32 v[138:139], v[134:135], v[132:133] op_sel_hi:[1,0]
	s_delay_alu instid0(VALU_DEP_2) | instskip(NEXT) | instid1(VALU_DEP_2)
	v_pk_fma_f32 v[132:133], v[134:135], v[132:133], v[136:137] op_sel_hi:[1,0,1]
	v_sub_f32_e32 v132, v138, v136
	s_cbranch_execz .LBB127_640
	s_branch .LBB127_641
.LBB127_639:
                                        ; implicit-def: $vgpr133
.LBB127_640:
	ds_load_b64 v[132:133], v1
.LBB127_641:
	s_wait_dscnt 0x0
	v_dual_mov_b32 v134, 0 :: v_dual_mov_b32 v136, v133
	v_mov_b32_e32 v137, v132
	ds_load_b64 v[134:135], v134 offset:8
	s_wait_dscnt 0x0
	v_pk_mul_f32 v[136:137], v[136:137], v[134:135] op_sel:[0,1]
	s_delay_alu instid0(VALU_DEP_1) | instskip(SKIP_1) | instid1(VALU_DEP_2)
	v_pk_fma_f32 v[138:139], v[132:133], v[134:135], v[136:137] op_sel_hi:[1,0,1]
	v_pk_fma_f32 v[132:133], v[132:133], v[134:135], v[136:137] neg_lo:[0,0,1] neg_hi:[0,0,1]
	v_mov_b32_e32 v133, v139
	scratch_store_b64 off, v[132:133], off offset:8
.LBB127_642:
	s_wait_xcnt 0x0
	s_or_b32 exec_lo, exec_lo, s2
	scratch_load_b64 v[132:133], off, off offset:16
	v_cndmask_b32_e64 v134, 0, 1, s3
	s_mov_b32 s2, exec_lo
	s_wait_loadcnt 0x0
	ds_store_b64 v1, v[132:133]
	s_wait_storecnt_dscnt 0x0
	s_barrier_signal -1
	s_barrier_wait -1
	s_wait_xcnt 0x0
	v_cmpx_gt_u32_e32 2, v0
	s_cbranch_execz .LBB127_650
; %bb.643:
	s_and_not1_b32 vcc_lo, exec_lo, s3
	s_cbranch_vccnz .LBB127_645
; %bb.644:
	scratch_load_b64 v[132:133], v59, off
	ds_load_b64 v[136:137], v1
	s_wait_loadcnt_dscnt 0x0
	v_pk_mul_f32 v[138:139], v[136:137], v[132:133] op_sel:[1,1] op_sel_hi:[0,1]
	s_delay_alu instid0(VALU_DEP_1) | instskip(SKIP_1) | instid1(VALU_DEP_2)
	v_pk_fma_f32 v[140:141], v[136:137], v[132:133], v[138:139] op_sel_hi:[1,0,1]
	v_pk_fma_f32 v[132:133], v[136:137], v[132:133], v[138:139] neg_lo:[0,0,1] neg_hi:[0,0,1]
	v_mov_b32_e32 v133, v141
	s_cbranch_execz .LBB127_646
	s_branch .LBB127_647
.LBB127_645:
                                        ; implicit-def: $vgpr132_vgpr133
.LBB127_646:
	ds_load_b64 v[132:133], v1
.LBB127_647:
	s_and_saveexec_b32 s3, s0
	s_cbranch_execz .LBB127_649
; %bb.648:
	scratch_load_b64 v[136:137], off, off offset:8
	v_mov_b32_e32 v135, 0
	ds_load_b64 v[138:139], v135 offset:520
	s_wait_loadcnt_dscnt 0x0
	v_pk_mul_f32 v[140:141], v[138:139], v[136:137] op_sel:[1,1] op_sel_hi:[0,1]
	s_delay_alu instid0(VALU_DEP_1) | instskip(SKIP_1) | instid1(VALU_DEP_2)
	v_pk_fma_f32 v[142:143], v[138:139], v[136:137], v[140:141] op_sel_hi:[1,0,1]
	v_pk_fma_f32 v[136:137], v[138:139], v[136:137], v[140:141] neg_lo:[0,0,1] neg_hi:[0,0,1]
	v_mov_b32_e32 v137, v143
	s_delay_alu instid0(VALU_DEP_1)
	v_pk_add_f32 v[132:133], v[132:133], v[136:137]
.LBB127_649:
	s_or_b32 exec_lo, exec_lo, s3
	v_mov_b32_e32 v135, 0
	ds_load_b64 v[136:137], v135 offset:16
	s_wait_dscnt 0x0
	v_pk_mul_f32 v[138:139], v[132:133], v[136:137] op_sel:[1,1] op_sel_hi:[0,1]
	s_delay_alu instid0(VALU_DEP_1) | instskip(SKIP_1) | instid1(VALU_DEP_2)
	v_pk_fma_f32 v[140:141], v[132:133], v[136:137], v[138:139] op_sel_hi:[1,0,1]
	v_pk_fma_f32 v[132:133], v[132:133], v[136:137], v[138:139] neg_lo:[0,0,1] neg_hi:[0,0,1]
	v_mov_b32_e32 v133, v141
	scratch_store_b64 off, v[132:133], off offset:16
.LBB127_650:
	s_wait_xcnt 0x0
	s_or_b32 exec_lo, exec_lo, s2
	scratch_load_b64 v[132:133], off, off offset:24
	s_mov_b32 s2, exec_lo
	s_wait_loadcnt 0x0
	ds_store_b64 v1, v[132:133]
	s_wait_storecnt_dscnt 0x0
	s_barrier_signal -1
	s_barrier_wait -1
	s_wait_xcnt 0x0
	v_cmpx_gt_u32_e32 3, v0
	s_cbranch_execz .LBB127_660
; %bb.651:
	v_cmp_ne_u32_e32 vcc_lo, 1, v134
	s_cbranch_vccnz .LBB127_653
; %bb.652:
	scratch_load_b64 v[132:133], v59, off
	ds_load_b64 v[136:137], v1
	s_wait_loadcnt_dscnt 0x0
	v_pk_mul_f32 v[138:139], v[136:137], v[132:133] op_sel:[1,1] op_sel_hi:[0,1]
	s_delay_alu instid0(VALU_DEP_1) | instskip(SKIP_1) | instid1(VALU_DEP_2)
	v_pk_fma_f32 v[140:141], v[136:137], v[132:133], v[138:139] op_sel_hi:[1,0,1]
	v_pk_fma_f32 v[132:133], v[136:137], v[132:133], v[138:139] neg_lo:[0,0,1] neg_hi:[0,0,1]
	v_mov_b32_e32 v133, v141
	s_cbranch_execz .LBB127_654
	s_branch .LBB127_655
.LBB127_653:
                                        ; implicit-def: $vgpr132_vgpr133
.LBB127_654:
	ds_load_b64 v[132:133], v1
.LBB127_655:
	s_mov_b32 s3, exec_lo
	v_cmpx_ne_u32_e32 2, v0
	s_cbranch_execz .LBB127_659
; %bb.656:
	scratch_load_b64 v[136:137], v59, off offset:8
	ds_load_b64 v[138:139], v1 offset:8
	s_wait_loadcnt_dscnt 0x0
	v_pk_mul_f32 v[140:141], v[138:139], v[136:137] op_sel:[1,1] op_sel_hi:[0,1]
	s_delay_alu instid0(VALU_DEP_1) | instskip(SKIP_1) | instid1(VALU_DEP_2)
	v_pk_fma_f32 v[142:143], v[138:139], v[136:137], v[140:141] op_sel_hi:[1,0,1]
	v_pk_fma_f32 v[136:137], v[138:139], v[136:137], v[140:141] neg_lo:[0,0,1] neg_hi:[0,0,1]
	v_mov_b32_e32 v137, v143
	s_delay_alu instid0(VALU_DEP_1)
	v_pk_add_f32 v[132:133], v[132:133], v[136:137]
	s_and_saveexec_b32 s4, s0
	s_cbranch_execz .LBB127_658
; %bb.657:
	scratch_load_b64 v[136:137], off, off offset:16
	v_mov_b32_e32 v135, 0
	ds_load_b64 v[138:139], v135 offset:528
	s_wait_loadcnt_dscnt 0x0
	v_pk_mul_f32 v[140:141], v[138:139], v[136:137] op_sel:[1,1] op_sel_hi:[0,1]
	s_delay_alu instid0(VALU_DEP_1) | instskip(SKIP_1) | instid1(VALU_DEP_2)
	v_pk_fma_f32 v[142:143], v[138:139], v[136:137], v[140:141] op_sel_hi:[1,0,1]
	v_pk_fma_f32 v[136:137], v[138:139], v[136:137], v[140:141] neg_lo:[0,0,1] neg_hi:[0,0,1]
	v_mov_b32_e32 v137, v143
	s_delay_alu instid0(VALU_DEP_1)
	v_pk_add_f32 v[132:133], v[132:133], v[136:137]
.LBB127_658:
	s_or_b32 exec_lo, exec_lo, s4
.LBB127_659:
	s_delay_alu instid0(SALU_CYCLE_1) | instskip(SKIP_4) | instid1(VALU_DEP_1)
	s_or_b32 exec_lo, exec_lo, s3
	v_mov_b32_e32 v135, 0
	ds_load_b64 v[136:137], v135 offset:24
	s_wait_dscnt 0x0
	v_pk_mul_f32 v[138:139], v[132:133], v[136:137] op_sel:[1,1] op_sel_hi:[0,1]
	v_pk_fma_f32 v[140:141], v[132:133], v[136:137], v[138:139] op_sel_hi:[1,0,1]
	v_pk_fma_f32 v[132:133], v[132:133], v[136:137], v[138:139] neg_lo:[0,0,1] neg_hi:[0,0,1]
	s_delay_alu instid0(VALU_DEP_2)
	v_mov_b32_e32 v133, v141
	scratch_store_b64 off, v[132:133], off offset:24
.LBB127_660:
	s_wait_xcnt 0x0
	s_or_b32 exec_lo, exec_lo, s2
	scratch_load_b64 v[132:133], off, off offset:32
	s_mov_b32 s0, exec_lo
	s_wait_loadcnt 0x0
	ds_store_b64 v1, v[132:133]
	s_wait_storecnt_dscnt 0x0
	s_barrier_signal -1
	s_barrier_wait -1
	s_wait_xcnt 0x0
	v_cmpx_gt_u32_e32 4, v0
	s_cbranch_execz .LBB127_670
; %bb.661:
	v_cmp_ne_u32_e32 vcc_lo, 1, v134
	s_cbranch_vccnz .LBB127_663
; %bb.662:
	scratch_load_b64 v[132:133], v59, off
	ds_load_b64 v[136:137], v1
	s_wait_loadcnt_dscnt 0x0
	v_pk_mul_f32 v[138:139], v[136:137], v[132:133] op_sel:[1,1] op_sel_hi:[0,1]
	s_delay_alu instid0(VALU_DEP_1) | instskip(SKIP_1) | instid1(VALU_DEP_2)
	v_pk_fma_f32 v[140:141], v[136:137], v[132:133], v[138:139] op_sel_hi:[1,0,1]
	v_pk_fma_f32 v[132:133], v[136:137], v[132:133], v[138:139] neg_lo:[0,0,1] neg_hi:[0,0,1]
	v_mov_b32_e32 v133, v141
	s_cbranch_execz .LBB127_664
	s_branch .LBB127_665
.LBB127_663:
                                        ; implicit-def: $vgpr132_vgpr133
.LBB127_664:
	ds_load_b64 v[132:133], v1
.LBB127_665:
	s_mov_b32 s2, exec_lo
	v_cmpx_ne_u32_e32 3, v0
	s_cbranch_execz .LBB127_669
; %bb.666:
	v_add_nc_u32_e32 v135, 0x208, v58
	v_add3_u32 v136, 0, v58, 8
	v_mov_b32_e32 v137, v0
	s_mov_b32 s3, 0
.LBB127_667:                            ; =>This Inner Loop Header: Depth=1
	scratch_load_b64 v[138:139], v136, off
	ds_load_b64 v[140:141], v135
	s_wait_xcnt 0x0
	v_dual_add_nc_u32 v135, 8, v135 :: v_dual_add_nc_u32 v136, 8, v136
	s_wait_loadcnt_dscnt 0x0
	v_pk_mul_f32 v[142:143], v[140:141], v[138:139] op_sel:[1,1] op_sel_hi:[0,1]
	s_delay_alu instid0(VALU_DEP_1) | instskip(SKIP_2) | instid1(VALU_DEP_3)
	v_pk_fma_f32 v[144:145], v[140:141], v[138:139], v[142:143] op_sel_hi:[1,0,1]
	v_add_nc_u32_e32 v137, 1, v137
	v_pk_fma_f32 v[138:139], v[140:141], v[138:139], v[142:143] neg_lo:[0,0,1] neg_hi:[0,0,1]
	v_mov_b32_e32 v139, v145
	s_delay_alu instid0(VALU_DEP_3) | instskip(NEXT) | instid1(VALU_DEP_2)
	v_cmp_lt_u32_e32 vcc_lo, 2, v137
	v_pk_add_f32 v[132:133], v[132:133], v[138:139]
	s_or_b32 s3, vcc_lo, s3
	s_delay_alu instid0(SALU_CYCLE_1)
	s_and_not1_b32 exec_lo, exec_lo, s3
	s_cbranch_execnz .LBB127_667
; %bb.668:
	s_or_b32 exec_lo, exec_lo, s3
.LBB127_669:
	s_delay_alu instid0(SALU_CYCLE_1) | instskip(SKIP_4) | instid1(VALU_DEP_1)
	s_or_b32 exec_lo, exec_lo, s2
	v_mov_b32_e32 v135, 0
	ds_load_b64 v[136:137], v135 offset:32
	s_wait_dscnt 0x0
	v_pk_mul_f32 v[138:139], v[132:133], v[136:137] op_sel:[1,1] op_sel_hi:[0,1]
	v_pk_fma_f32 v[140:141], v[132:133], v[136:137], v[138:139] op_sel_hi:[1,0,1]
	v_pk_fma_f32 v[132:133], v[132:133], v[136:137], v[138:139] neg_lo:[0,0,1] neg_hi:[0,0,1]
	s_delay_alu instid0(VALU_DEP_2)
	v_mov_b32_e32 v133, v141
	scratch_store_b64 off, v[132:133], off offset:32
.LBB127_670:
	s_wait_xcnt 0x0
	s_or_b32 exec_lo, exec_lo, s0
	scratch_load_b64 v[132:133], off, off offset:40
	s_mov_b32 s0, exec_lo
	s_wait_loadcnt 0x0
	ds_store_b64 v1, v[132:133]
	s_wait_storecnt_dscnt 0x0
	s_barrier_signal -1
	s_barrier_wait -1
	s_wait_xcnt 0x0
	v_cmpx_gt_u32_e32 5, v0
	s_cbranch_execz .LBB127_680
; %bb.671:
	v_cmp_ne_u32_e32 vcc_lo, 1, v134
	s_cbranch_vccnz .LBB127_673
; %bb.672:
	scratch_load_b64 v[132:133], v59, off
	ds_load_b64 v[136:137], v1
	s_wait_loadcnt_dscnt 0x0
	v_pk_mul_f32 v[138:139], v[136:137], v[132:133] op_sel:[1,1] op_sel_hi:[0,1]
	s_delay_alu instid0(VALU_DEP_1) | instskip(SKIP_1) | instid1(VALU_DEP_2)
	v_pk_fma_f32 v[140:141], v[136:137], v[132:133], v[138:139] op_sel_hi:[1,0,1]
	v_pk_fma_f32 v[132:133], v[136:137], v[132:133], v[138:139] neg_lo:[0,0,1] neg_hi:[0,0,1]
	v_mov_b32_e32 v133, v141
	s_cbranch_execz .LBB127_674
	s_branch .LBB127_675
.LBB127_673:
                                        ; implicit-def: $vgpr132_vgpr133
.LBB127_674:
	ds_load_b64 v[132:133], v1
.LBB127_675:
	s_mov_b32 s2, exec_lo
	v_cmpx_ne_u32_e32 4, v0
	s_cbranch_execz .LBB127_679
; %bb.676:
	v_add_nc_u32_e32 v135, 0x208, v58
	v_add3_u32 v136, 0, v58, 8
	v_mov_b32_e32 v137, v0
	s_mov_b32 s3, 0
.LBB127_677:                            ; =>This Inner Loop Header: Depth=1
	scratch_load_b64 v[138:139], v136, off
	ds_load_b64 v[140:141], v135
	s_wait_xcnt 0x0
	v_dual_add_nc_u32 v135, 8, v135 :: v_dual_add_nc_u32 v136, 8, v136
	s_wait_loadcnt_dscnt 0x0
	v_pk_mul_f32 v[142:143], v[140:141], v[138:139] op_sel:[1,1] op_sel_hi:[0,1]
	s_delay_alu instid0(VALU_DEP_1) | instskip(SKIP_2) | instid1(VALU_DEP_3)
	v_pk_fma_f32 v[144:145], v[140:141], v[138:139], v[142:143] op_sel_hi:[1,0,1]
	v_add_nc_u32_e32 v137, 1, v137
	v_pk_fma_f32 v[138:139], v[140:141], v[138:139], v[142:143] neg_lo:[0,0,1] neg_hi:[0,0,1]
	v_mov_b32_e32 v139, v145
	s_delay_alu instid0(VALU_DEP_3) | instskip(NEXT) | instid1(VALU_DEP_2)
	v_cmp_lt_u32_e32 vcc_lo, 3, v137
	v_pk_add_f32 v[132:133], v[132:133], v[138:139]
	s_or_b32 s3, vcc_lo, s3
	s_delay_alu instid0(SALU_CYCLE_1)
	s_and_not1_b32 exec_lo, exec_lo, s3
	s_cbranch_execnz .LBB127_677
; %bb.678:
	s_or_b32 exec_lo, exec_lo, s3
.LBB127_679:
	s_delay_alu instid0(SALU_CYCLE_1) | instskip(SKIP_4) | instid1(VALU_DEP_1)
	s_or_b32 exec_lo, exec_lo, s2
	v_mov_b32_e32 v135, 0
	ds_load_b64 v[136:137], v135 offset:40
	s_wait_dscnt 0x0
	v_pk_mul_f32 v[138:139], v[132:133], v[136:137] op_sel:[1,1] op_sel_hi:[0,1]
	v_pk_fma_f32 v[140:141], v[132:133], v[136:137], v[138:139] op_sel_hi:[1,0,1]
	v_pk_fma_f32 v[132:133], v[132:133], v[136:137], v[138:139] neg_lo:[0,0,1] neg_hi:[0,0,1]
	s_delay_alu instid0(VALU_DEP_2)
	v_mov_b32_e32 v133, v141
	scratch_store_b64 off, v[132:133], off offset:40
.LBB127_680:
	s_wait_xcnt 0x0
	s_or_b32 exec_lo, exec_lo, s0
	scratch_load_b64 v[132:133], off, off offset:48
	s_mov_b32 s0, exec_lo
	s_wait_loadcnt 0x0
	ds_store_b64 v1, v[132:133]
	s_wait_storecnt_dscnt 0x0
	s_barrier_signal -1
	s_barrier_wait -1
	s_wait_xcnt 0x0
	v_cmpx_gt_u32_e32 6, v0
	s_cbranch_execz .LBB127_690
; %bb.681:
	v_cmp_ne_u32_e32 vcc_lo, 1, v134
	s_cbranch_vccnz .LBB127_683
; %bb.682:
	scratch_load_b64 v[132:133], v59, off
	ds_load_b64 v[136:137], v1
	s_wait_loadcnt_dscnt 0x0
	v_pk_mul_f32 v[138:139], v[136:137], v[132:133] op_sel:[1,1] op_sel_hi:[0,1]
	s_delay_alu instid0(VALU_DEP_1) | instskip(SKIP_1) | instid1(VALU_DEP_2)
	v_pk_fma_f32 v[140:141], v[136:137], v[132:133], v[138:139] op_sel_hi:[1,0,1]
	v_pk_fma_f32 v[132:133], v[136:137], v[132:133], v[138:139] neg_lo:[0,0,1] neg_hi:[0,0,1]
	v_mov_b32_e32 v133, v141
	s_cbranch_execz .LBB127_684
	s_branch .LBB127_685
.LBB127_683:
                                        ; implicit-def: $vgpr132_vgpr133
.LBB127_684:
	ds_load_b64 v[132:133], v1
.LBB127_685:
	s_mov_b32 s2, exec_lo
	v_cmpx_ne_u32_e32 5, v0
	s_cbranch_execz .LBB127_689
; %bb.686:
	v_add_nc_u32_e32 v135, 0x208, v58
	v_add3_u32 v136, 0, v58, 8
	v_mov_b32_e32 v137, v0
	s_mov_b32 s3, 0
.LBB127_687:                            ; =>This Inner Loop Header: Depth=1
	scratch_load_b64 v[138:139], v136, off
	ds_load_b64 v[140:141], v135
	s_wait_xcnt 0x0
	v_dual_add_nc_u32 v135, 8, v135 :: v_dual_add_nc_u32 v136, 8, v136
	s_wait_loadcnt_dscnt 0x0
	v_pk_mul_f32 v[142:143], v[140:141], v[138:139] op_sel:[1,1] op_sel_hi:[0,1]
	s_delay_alu instid0(VALU_DEP_1) | instskip(SKIP_2) | instid1(VALU_DEP_3)
	v_pk_fma_f32 v[144:145], v[140:141], v[138:139], v[142:143] op_sel_hi:[1,0,1]
	v_add_nc_u32_e32 v137, 1, v137
	v_pk_fma_f32 v[138:139], v[140:141], v[138:139], v[142:143] neg_lo:[0,0,1] neg_hi:[0,0,1]
	v_mov_b32_e32 v139, v145
	s_delay_alu instid0(VALU_DEP_3) | instskip(NEXT) | instid1(VALU_DEP_2)
	v_cmp_lt_u32_e32 vcc_lo, 4, v137
	v_pk_add_f32 v[132:133], v[132:133], v[138:139]
	s_or_b32 s3, vcc_lo, s3
	s_delay_alu instid0(SALU_CYCLE_1)
	s_and_not1_b32 exec_lo, exec_lo, s3
	s_cbranch_execnz .LBB127_687
; %bb.688:
	s_or_b32 exec_lo, exec_lo, s3
.LBB127_689:
	s_delay_alu instid0(SALU_CYCLE_1) | instskip(SKIP_4) | instid1(VALU_DEP_1)
	s_or_b32 exec_lo, exec_lo, s2
	v_mov_b32_e32 v135, 0
	ds_load_b64 v[136:137], v135 offset:48
	s_wait_dscnt 0x0
	v_pk_mul_f32 v[138:139], v[132:133], v[136:137] op_sel:[1,1] op_sel_hi:[0,1]
	v_pk_fma_f32 v[140:141], v[132:133], v[136:137], v[138:139] op_sel_hi:[1,0,1]
	v_pk_fma_f32 v[132:133], v[132:133], v[136:137], v[138:139] neg_lo:[0,0,1] neg_hi:[0,0,1]
	s_delay_alu instid0(VALU_DEP_2)
	v_mov_b32_e32 v133, v141
	scratch_store_b64 off, v[132:133], off offset:48
.LBB127_690:
	s_wait_xcnt 0x0
	s_or_b32 exec_lo, exec_lo, s0
	scratch_load_b64 v[132:133], off, off offset:56
	s_mov_b32 s0, exec_lo
	s_wait_loadcnt 0x0
	ds_store_b64 v1, v[132:133]
	s_wait_storecnt_dscnt 0x0
	s_barrier_signal -1
	s_barrier_wait -1
	s_wait_xcnt 0x0
	v_cmpx_gt_u32_e32 7, v0
	s_cbranch_execz .LBB127_700
; %bb.691:
	v_cmp_ne_u32_e32 vcc_lo, 1, v134
	s_cbranch_vccnz .LBB127_693
; %bb.692:
	scratch_load_b64 v[132:133], v59, off
	ds_load_b64 v[136:137], v1
	s_wait_loadcnt_dscnt 0x0
	v_pk_mul_f32 v[138:139], v[136:137], v[132:133] op_sel:[1,1] op_sel_hi:[0,1]
	s_delay_alu instid0(VALU_DEP_1) | instskip(SKIP_1) | instid1(VALU_DEP_2)
	v_pk_fma_f32 v[140:141], v[136:137], v[132:133], v[138:139] op_sel_hi:[1,0,1]
	v_pk_fma_f32 v[132:133], v[136:137], v[132:133], v[138:139] neg_lo:[0,0,1] neg_hi:[0,0,1]
	v_mov_b32_e32 v133, v141
	s_cbranch_execz .LBB127_694
	s_branch .LBB127_695
.LBB127_693:
                                        ; implicit-def: $vgpr132_vgpr133
.LBB127_694:
	ds_load_b64 v[132:133], v1
.LBB127_695:
	s_mov_b32 s2, exec_lo
	v_cmpx_ne_u32_e32 6, v0
	s_cbranch_execz .LBB127_699
; %bb.696:
	v_add_nc_u32_e32 v135, 0x208, v58
	v_add3_u32 v136, 0, v58, 8
	v_mov_b32_e32 v137, v0
	s_mov_b32 s3, 0
.LBB127_697:                            ; =>This Inner Loop Header: Depth=1
	scratch_load_b64 v[138:139], v136, off
	ds_load_b64 v[140:141], v135
	s_wait_xcnt 0x0
	v_dual_add_nc_u32 v135, 8, v135 :: v_dual_add_nc_u32 v136, 8, v136
	s_wait_loadcnt_dscnt 0x0
	v_pk_mul_f32 v[142:143], v[140:141], v[138:139] op_sel:[1,1] op_sel_hi:[0,1]
	s_delay_alu instid0(VALU_DEP_1) | instskip(SKIP_2) | instid1(VALU_DEP_3)
	v_pk_fma_f32 v[144:145], v[140:141], v[138:139], v[142:143] op_sel_hi:[1,0,1]
	v_add_nc_u32_e32 v137, 1, v137
	v_pk_fma_f32 v[138:139], v[140:141], v[138:139], v[142:143] neg_lo:[0,0,1] neg_hi:[0,0,1]
	v_mov_b32_e32 v139, v145
	s_delay_alu instid0(VALU_DEP_3) | instskip(NEXT) | instid1(VALU_DEP_2)
	v_cmp_lt_u32_e32 vcc_lo, 5, v137
	v_pk_add_f32 v[132:133], v[132:133], v[138:139]
	s_or_b32 s3, vcc_lo, s3
	s_delay_alu instid0(SALU_CYCLE_1)
	s_and_not1_b32 exec_lo, exec_lo, s3
	s_cbranch_execnz .LBB127_697
; %bb.698:
	s_or_b32 exec_lo, exec_lo, s3
.LBB127_699:
	s_delay_alu instid0(SALU_CYCLE_1) | instskip(SKIP_4) | instid1(VALU_DEP_1)
	s_or_b32 exec_lo, exec_lo, s2
	v_mov_b32_e32 v135, 0
	ds_load_b64 v[136:137], v135 offset:56
	s_wait_dscnt 0x0
	v_pk_mul_f32 v[138:139], v[132:133], v[136:137] op_sel:[1,1] op_sel_hi:[0,1]
	v_pk_fma_f32 v[140:141], v[132:133], v[136:137], v[138:139] op_sel_hi:[1,0,1]
	v_pk_fma_f32 v[132:133], v[132:133], v[136:137], v[138:139] neg_lo:[0,0,1] neg_hi:[0,0,1]
	s_delay_alu instid0(VALU_DEP_2)
	v_mov_b32_e32 v133, v141
	scratch_store_b64 off, v[132:133], off offset:56
.LBB127_700:
	s_wait_xcnt 0x0
	s_or_b32 exec_lo, exec_lo, s0
	scratch_load_b64 v[132:133], off, off offset:64
	s_mov_b32 s0, exec_lo
	s_wait_loadcnt 0x0
	ds_store_b64 v1, v[132:133]
	s_wait_storecnt_dscnt 0x0
	s_barrier_signal -1
	s_barrier_wait -1
	s_wait_xcnt 0x0
	v_cmpx_gt_u32_e32 8, v0
	s_cbranch_execz .LBB127_710
; %bb.701:
	v_cmp_ne_u32_e32 vcc_lo, 1, v134
	s_cbranch_vccnz .LBB127_703
; %bb.702:
	scratch_load_b64 v[132:133], v59, off
	ds_load_b64 v[136:137], v1
	s_wait_loadcnt_dscnt 0x0
	v_pk_mul_f32 v[138:139], v[136:137], v[132:133] op_sel:[1,1] op_sel_hi:[0,1]
	s_delay_alu instid0(VALU_DEP_1) | instskip(SKIP_1) | instid1(VALU_DEP_2)
	v_pk_fma_f32 v[140:141], v[136:137], v[132:133], v[138:139] op_sel_hi:[1,0,1]
	v_pk_fma_f32 v[132:133], v[136:137], v[132:133], v[138:139] neg_lo:[0,0,1] neg_hi:[0,0,1]
	v_mov_b32_e32 v133, v141
	s_cbranch_execz .LBB127_704
	s_branch .LBB127_705
.LBB127_703:
                                        ; implicit-def: $vgpr132_vgpr133
.LBB127_704:
	ds_load_b64 v[132:133], v1
.LBB127_705:
	s_mov_b32 s2, exec_lo
	v_cmpx_ne_u32_e32 7, v0
	s_cbranch_execz .LBB127_709
; %bb.706:
	v_add_nc_u32_e32 v135, 0x208, v58
	v_add3_u32 v136, 0, v58, 8
	v_mov_b32_e32 v137, v0
	s_mov_b32 s3, 0
.LBB127_707:                            ; =>This Inner Loop Header: Depth=1
	scratch_load_b64 v[138:139], v136, off
	ds_load_b64 v[140:141], v135
	s_wait_xcnt 0x0
	v_dual_add_nc_u32 v135, 8, v135 :: v_dual_add_nc_u32 v136, 8, v136
	s_wait_loadcnt_dscnt 0x0
	v_pk_mul_f32 v[142:143], v[140:141], v[138:139] op_sel:[1,1] op_sel_hi:[0,1]
	s_delay_alu instid0(VALU_DEP_1) | instskip(SKIP_2) | instid1(VALU_DEP_3)
	v_pk_fma_f32 v[144:145], v[140:141], v[138:139], v[142:143] op_sel_hi:[1,0,1]
	v_add_nc_u32_e32 v137, 1, v137
	v_pk_fma_f32 v[138:139], v[140:141], v[138:139], v[142:143] neg_lo:[0,0,1] neg_hi:[0,0,1]
	v_mov_b32_e32 v139, v145
	s_delay_alu instid0(VALU_DEP_3) | instskip(NEXT) | instid1(VALU_DEP_2)
	v_cmp_lt_u32_e32 vcc_lo, 6, v137
	v_pk_add_f32 v[132:133], v[132:133], v[138:139]
	s_or_b32 s3, vcc_lo, s3
	s_delay_alu instid0(SALU_CYCLE_1)
	s_and_not1_b32 exec_lo, exec_lo, s3
	s_cbranch_execnz .LBB127_707
; %bb.708:
	s_or_b32 exec_lo, exec_lo, s3
.LBB127_709:
	s_delay_alu instid0(SALU_CYCLE_1) | instskip(SKIP_4) | instid1(VALU_DEP_1)
	s_or_b32 exec_lo, exec_lo, s2
	v_mov_b32_e32 v135, 0
	ds_load_b64 v[136:137], v135 offset:64
	s_wait_dscnt 0x0
	v_pk_mul_f32 v[138:139], v[132:133], v[136:137] op_sel:[1,1] op_sel_hi:[0,1]
	v_pk_fma_f32 v[140:141], v[132:133], v[136:137], v[138:139] op_sel_hi:[1,0,1]
	v_pk_fma_f32 v[132:133], v[132:133], v[136:137], v[138:139] neg_lo:[0,0,1] neg_hi:[0,0,1]
	s_delay_alu instid0(VALU_DEP_2)
	v_mov_b32_e32 v133, v141
	scratch_store_b64 off, v[132:133], off offset:64
.LBB127_710:
	s_wait_xcnt 0x0
	s_or_b32 exec_lo, exec_lo, s0
	scratch_load_b64 v[132:133], off, off offset:72
	s_mov_b32 s0, exec_lo
	s_wait_loadcnt 0x0
	ds_store_b64 v1, v[132:133]
	s_wait_storecnt_dscnt 0x0
	s_barrier_signal -1
	s_barrier_wait -1
	s_wait_xcnt 0x0
	v_cmpx_gt_u32_e32 9, v0
	s_cbranch_execz .LBB127_720
; %bb.711:
	v_cmp_ne_u32_e32 vcc_lo, 1, v134
	s_cbranch_vccnz .LBB127_713
; %bb.712:
	scratch_load_b64 v[132:133], v59, off
	ds_load_b64 v[136:137], v1
	s_wait_loadcnt_dscnt 0x0
	v_pk_mul_f32 v[138:139], v[136:137], v[132:133] op_sel:[1,1] op_sel_hi:[0,1]
	s_delay_alu instid0(VALU_DEP_1) | instskip(SKIP_1) | instid1(VALU_DEP_2)
	v_pk_fma_f32 v[140:141], v[136:137], v[132:133], v[138:139] op_sel_hi:[1,0,1]
	v_pk_fma_f32 v[132:133], v[136:137], v[132:133], v[138:139] neg_lo:[0,0,1] neg_hi:[0,0,1]
	v_mov_b32_e32 v133, v141
	s_cbranch_execz .LBB127_714
	s_branch .LBB127_715
.LBB127_713:
                                        ; implicit-def: $vgpr132_vgpr133
.LBB127_714:
	ds_load_b64 v[132:133], v1
.LBB127_715:
	s_mov_b32 s2, exec_lo
	v_cmpx_ne_u32_e32 8, v0
	s_cbranch_execz .LBB127_719
; %bb.716:
	v_add_nc_u32_e32 v135, 0x208, v58
	v_add3_u32 v136, 0, v58, 8
	v_mov_b32_e32 v137, v0
	s_mov_b32 s3, 0
.LBB127_717:                            ; =>This Inner Loop Header: Depth=1
	scratch_load_b64 v[138:139], v136, off
	ds_load_b64 v[140:141], v135
	s_wait_xcnt 0x0
	v_dual_add_nc_u32 v135, 8, v135 :: v_dual_add_nc_u32 v136, 8, v136
	s_wait_loadcnt_dscnt 0x0
	v_pk_mul_f32 v[142:143], v[140:141], v[138:139] op_sel:[1,1] op_sel_hi:[0,1]
	s_delay_alu instid0(VALU_DEP_1) | instskip(SKIP_2) | instid1(VALU_DEP_3)
	v_pk_fma_f32 v[144:145], v[140:141], v[138:139], v[142:143] op_sel_hi:[1,0,1]
	v_add_nc_u32_e32 v137, 1, v137
	v_pk_fma_f32 v[138:139], v[140:141], v[138:139], v[142:143] neg_lo:[0,0,1] neg_hi:[0,0,1]
	v_mov_b32_e32 v139, v145
	s_delay_alu instid0(VALU_DEP_3) | instskip(NEXT) | instid1(VALU_DEP_2)
	v_cmp_lt_u32_e32 vcc_lo, 7, v137
	v_pk_add_f32 v[132:133], v[132:133], v[138:139]
	s_or_b32 s3, vcc_lo, s3
	s_delay_alu instid0(SALU_CYCLE_1)
	s_and_not1_b32 exec_lo, exec_lo, s3
	s_cbranch_execnz .LBB127_717
; %bb.718:
	s_or_b32 exec_lo, exec_lo, s3
.LBB127_719:
	s_delay_alu instid0(SALU_CYCLE_1) | instskip(SKIP_4) | instid1(VALU_DEP_1)
	s_or_b32 exec_lo, exec_lo, s2
	v_mov_b32_e32 v135, 0
	ds_load_b64 v[136:137], v135 offset:72
	s_wait_dscnt 0x0
	v_pk_mul_f32 v[138:139], v[132:133], v[136:137] op_sel:[1,1] op_sel_hi:[0,1]
	v_pk_fma_f32 v[140:141], v[132:133], v[136:137], v[138:139] op_sel_hi:[1,0,1]
	v_pk_fma_f32 v[132:133], v[132:133], v[136:137], v[138:139] neg_lo:[0,0,1] neg_hi:[0,0,1]
	s_delay_alu instid0(VALU_DEP_2)
	v_mov_b32_e32 v133, v141
	scratch_store_b64 off, v[132:133], off offset:72
.LBB127_720:
	s_wait_xcnt 0x0
	s_or_b32 exec_lo, exec_lo, s0
	scratch_load_b64 v[132:133], off, off offset:80
	s_mov_b32 s0, exec_lo
	s_wait_loadcnt 0x0
	ds_store_b64 v1, v[132:133]
	s_wait_storecnt_dscnt 0x0
	s_barrier_signal -1
	s_barrier_wait -1
	s_wait_xcnt 0x0
	v_cmpx_gt_u32_e32 10, v0
	s_cbranch_execz .LBB127_730
; %bb.721:
	v_cmp_ne_u32_e32 vcc_lo, 1, v134
	s_cbranch_vccnz .LBB127_723
; %bb.722:
	scratch_load_b64 v[132:133], v59, off
	ds_load_b64 v[136:137], v1
	s_wait_loadcnt_dscnt 0x0
	v_pk_mul_f32 v[138:139], v[136:137], v[132:133] op_sel:[1,1] op_sel_hi:[0,1]
	s_delay_alu instid0(VALU_DEP_1) | instskip(SKIP_1) | instid1(VALU_DEP_2)
	v_pk_fma_f32 v[140:141], v[136:137], v[132:133], v[138:139] op_sel_hi:[1,0,1]
	v_pk_fma_f32 v[132:133], v[136:137], v[132:133], v[138:139] neg_lo:[0,0,1] neg_hi:[0,0,1]
	v_mov_b32_e32 v133, v141
	s_cbranch_execz .LBB127_724
	s_branch .LBB127_725
.LBB127_723:
                                        ; implicit-def: $vgpr132_vgpr133
.LBB127_724:
	ds_load_b64 v[132:133], v1
.LBB127_725:
	s_mov_b32 s2, exec_lo
	v_cmpx_ne_u32_e32 9, v0
	s_cbranch_execz .LBB127_729
; %bb.726:
	v_add_nc_u32_e32 v135, 0x208, v58
	v_add3_u32 v136, 0, v58, 8
	v_mov_b32_e32 v137, v0
	s_mov_b32 s3, 0
.LBB127_727:                            ; =>This Inner Loop Header: Depth=1
	scratch_load_b64 v[138:139], v136, off
	ds_load_b64 v[140:141], v135
	s_wait_xcnt 0x0
	v_dual_add_nc_u32 v135, 8, v135 :: v_dual_add_nc_u32 v136, 8, v136
	s_wait_loadcnt_dscnt 0x0
	v_pk_mul_f32 v[142:143], v[140:141], v[138:139] op_sel:[1,1] op_sel_hi:[0,1]
	s_delay_alu instid0(VALU_DEP_1) | instskip(SKIP_2) | instid1(VALU_DEP_3)
	v_pk_fma_f32 v[144:145], v[140:141], v[138:139], v[142:143] op_sel_hi:[1,0,1]
	v_add_nc_u32_e32 v137, 1, v137
	v_pk_fma_f32 v[138:139], v[140:141], v[138:139], v[142:143] neg_lo:[0,0,1] neg_hi:[0,0,1]
	v_mov_b32_e32 v139, v145
	s_delay_alu instid0(VALU_DEP_3) | instskip(NEXT) | instid1(VALU_DEP_2)
	v_cmp_lt_u32_e32 vcc_lo, 8, v137
	v_pk_add_f32 v[132:133], v[132:133], v[138:139]
	s_or_b32 s3, vcc_lo, s3
	s_delay_alu instid0(SALU_CYCLE_1)
	s_and_not1_b32 exec_lo, exec_lo, s3
	s_cbranch_execnz .LBB127_727
; %bb.728:
	s_or_b32 exec_lo, exec_lo, s3
.LBB127_729:
	s_delay_alu instid0(SALU_CYCLE_1) | instskip(SKIP_4) | instid1(VALU_DEP_1)
	s_or_b32 exec_lo, exec_lo, s2
	v_mov_b32_e32 v135, 0
	ds_load_b64 v[136:137], v135 offset:80
	s_wait_dscnt 0x0
	v_pk_mul_f32 v[138:139], v[132:133], v[136:137] op_sel:[1,1] op_sel_hi:[0,1]
	v_pk_fma_f32 v[140:141], v[132:133], v[136:137], v[138:139] op_sel_hi:[1,0,1]
	v_pk_fma_f32 v[132:133], v[132:133], v[136:137], v[138:139] neg_lo:[0,0,1] neg_hi:[0,0,1]
	s_delay_alu instid0(VALU_DEP_2)
	v_mov_b32_e32 v133, v141
	scratch_store_b64 off, v[132:133], off offset:80
.LBB127_730:
	s_wait_xcnt 0x0
	s_or_b32 exec_lo, exec_lo, s0
	scratch_load_b64 v[132:133], off, off offset:88
	s_mov_b32 s0, exec_lo
	s_wait_loadcnt 0x0
	ds_store_b64 v1, v[132:133]
	s_wait_storecnt_dscnt 0x0
	s_barrier_signal -1
	s_barrier_wait -1
	s_wait_xcnt 0x0
	v_cmpx_gt_u32_e32 11, v0
	s_cbranch_execz .LBB127_740
; %bb.731:
	v_cmp_ne_u32_e32 vcc_lo, 1, v134
	s_cbranch_vccnz .LBB127_733
; %bb.732:
	scratch_load_b64 v[132:133], v59, off
	ds_load_b64 v[136:137], v1
	s_wait_loadcnt_dscnt 0x0
	v_pk_mul_f32 v[138:139], v[136:137], v[132:133] op_sel:[1,1] op_sel_hi:[0,1]
	s_delay_alu instid0(VALU_DEP_1) | instskip(SKIP_1) | instid1(VALU_DEP_2)
	v_pk_fma_f32 v[140:141], v[136:137], v[132:133], v[138:139] op_sel_hi:[1,0,1]
	v_pk_fma_f32 v[132:133], v[136:137], v[132:133], v[138:139] neg_lo:[0,0,1] neg_hi:[0,0,1]
	v_mov_b32_e32 v133, v141
	s_cbranch_execz .LBB127_734
	s_branch .LBB127_735
.LBB127_733:
                                        ; implicit-def: $vgpr132_vgpr133
.LBB127_734:
	ds_load_b64 v[132:133], v1
.LBB127_735:
	s_mov_b32 s2, exec_lo
	v_cmpx_ne_u32_e32 10, v0
	s_cbranch_execz .LBB127_739
; %bb.736:
	v_add_nc_u32_e32 v135, 0x208, v58
	v_add3_u32 v136, 0, v58, 8
	v_mov_b32_e32 v137, v0
	s_mov_b32 s3, 0
.LBB127_737:                            ; =>This Inner Loop Header: Depth=1
	scratch_load_b64 v[138:139], v136, off
	ds_load_b64 v[140:141], v135
	s_wait_xcnt 0x0
	v_dual_add_nc_u32 v135, 8, v135 :: v_dual_add_nc_u32 v136, 8, v136
	s_wait_loadcnt_dscnt 0x0
	v_pk_mul_f32 v[142:143], v[140:141], v[138:139] op_sel:[1,1] op_sel_hi:[0,1]
	s_delay_alu instid0(VALU_DEP_1) | instskip(SKIP_2) | instid1(VALU_DEP_3)
	v_pk_fma_f32 v[144:145], v[140:141], v[138:139], v[142:143] op_sel_hi:[1,0,1]
	v_add_nc_u32_e32 v137, 1, v137
	v_pk_fma_f32 v[138:139], v[140:141], v[138:139], v[142:143] neg_lo:[0,0,1] neg_hi:[0,0,1]
	v_mov_b32_e32 v139, v145
	s_delay_alu instid0(VALU_DEP_3) | instskip(NEXT) | instid1(VALU_DEP_2)
	v_cmp_lt_u32_e32 vcc_lo, 9, v137
	v_pk_add_f32 v[132:133], v[132:133], v[138:139]
	s_or_b32 s3, vcc_lo, s3
	s_delay_alu instid0(SALU_CYCLE_1)
	s_and_not1_b32 exec_lo, exec_lo, s3
	s_cbranch_execnz .LBB127_737
; %bb.738:
	s_or_b32 exec_lo, exec_lo, s3
.LBB127_739:
	s_delay_alu instid0(SALU_CYCLE_1) | instskip(SKIP_4) | instid1(VALU_DEP_1)
	s_or_b32 exec_lo, exec_lo, s2
	v_mov_b32_e32 v135, 0
	ds_load_b64 v[136:137], v135 offset:88
	s_wait_dscnt 0x0
	v_pk_mul_f32 v[138:139], v[132:133], v[136:137] op_sel:[1,1] op_sel_hi:[0,1]
	v_pk_fma_f32 v[140:141], v[132:133], v[136:137], v[138:139] op_sel_hi:[1,0,1]
	v_pk_fma_f32 v[132:133], v[132:133], v[136:137], v[138:139] neg_lo:[0,0,1] neg_hi:[0,0,1]
	s_delay_alu instid0(VALU_DEP_2)
	v_mov_b32_e32 v133, v141
	scratch_store_b64 off, v[132:133], off offset:88
.LBB127_740:
	s_wait_xcnt 0x0
	s_or_b32 exec_lo, exec_lo, s0
	scratch_load_b64 v[132:133], off, off offset:96
	s_mov_b32 s0, exec_lo
	s_wait_loadcnt 0x0
	ds_store_b64 v1, v[132:133]
	s_wait_storecnt_dscnt 0x0
	s_barrier_signal -1
	s_barrier_wait -1
	s_wait_xcnt 0x0
	v_cmpx_gt_u32_e32 12, v0
	s_cbranch_execz .LBB127_750
; %bb.741:
	v_cmp_ne_u32_e32 vcc_lo, 1, v134
	s_cbranch_vccnz .LBB127_743
; %bb.742:
	scratch_load_b64 v[132:133], v59, off
	ds_load_b64 v[136:137], v1
	s_wait_loadcnt_dscnt 0x0
	v_pk_mul_f32 v[138:139], v[136:137], v[132:133] op_sel:[1,1] op_sel_hi:[0,1]
	s_delay_alu instid0(VALU_DEP_1) | instskip(SKIP_1) | instid1(VALU_DEP_2)
	v_pk_fma_f32 v[140:141], v[136:137], v[132:133], v[138:139] op_sel_hi:[1,0,1]
	v_pk_fma_f32 v[132:133], v[136:137], v[132:133], v[138:139] neg_lo:[0,0,1] neg_hi:[0,0,1]
	v_mov_b32_e32 v133, v141
	s_cbranch_execz .LBB127_744
	s_branch .LBB127_745
.LBB127_743:
                                        ; implicit-def: $vgpr132_vgpr133
.LBB127_744:
	ds_load_b64 v[132:133], v1
.LBB127_745:
	s_mov_b32 s2, exec_lo
	v_cmpx_ne_u32_e32 11, v0
	s_cbranch_execz .LBB127_749
; %bb.746:
	v_add_nc_u32_e32 v135, 0x208, v58
	v_add3_u32 v136, 0, v58, 8
	v_mov_b32_e32 v137, v0
	s_mov_b32 s3, 0
.LBB127_747:                            ; =>This Inner Loop Header: Depth=1
	scratch_load_b64 v[138:139], v136, off
	ds_load_b64 v[140:141], v135
	s_wait_xcnt 0x0
	v_dual_add_nc_u32 v135, 8, v135 :: v_dual_add_nc_u32 v136, 8, v136
	s_wait_loadcnt_dscnt 0x0
	v_pk_mul_f32 v[142:143], v[140:141], v[138:139] op_sel:[1,1] op_sel_hi:[0,1]
	s_delay_alu instid0(VALU_DEP_1) | instskip(SKIP_2) | instid1(VALU_DEP_3)
	v_pk_fma_f32 v[144:145], v[140:141], v[138:139], v[142:143] op_sel_hi:[1,0,1]
	v_add_nc_u32_e32 v137, 1, v137
	v_pk_fma_f32 v[138:139], v[140:141], v[138:139], v[142:143] neg_lo:[0,0,1] neg_hi:[0,0,1]
	v_mov_b32_e32 v139, v145
	s_delay_alu instid0(VALU_DEP_3) | instskip(NEXT) | instid1(VALU_DEP_2)
	v_cmp_lt_u32_e32 vcc_lo, 10, v137
	v_pk_add_f32 v[132:133], v[132:133], v[138:139]
	s_or_b32 s3, vcc_lo, s3
	s_delay_alu instid0(SALU_CYCLE_1)
	s_and_not1_b32 exec_lo, exec_lo, s3
	s_cbranch_execnz .LBB127_747
; %bb.748:
	s_or_b32 exec_lo, exec_lo, s3
.LBB127_749:
	s_delay_alu instid0(SALU_CYCLE_1) | instskip(SKIP_4) | instid1(VALU_DEP_1)
	s_or_b32 exec_lo, exec_lo, s2
	v_mov_b32_e32 v135, 0
	ds_load_b64 v[136:137], v135 offset:96
	s_wait_dscnt 0x0
	v_pk_mul_f32 v[138:139], v[132:133], v[136:137] op_sel:[1,1] op_sel_hi:[0,1]
	v_pk_fma_f32 v[140:141], v[132:133], v[136:137], v[138:139] op_sel_hi:[1,0,1]
	v_pk_fma_f32 v[132:133], v[132:133], v[136:137], v[138:139] neg_lo:[0,0,1] neg_hi:[0,0,1]
	s_delay_alu instid0(VALU_DEP_2)
	v_mov_b32_e32 v133, v141
	scratch_store_b64 off, v[132:133], off offset:96
.LBB127_750:
	s_wait_xcnt 0x0
	s_or_b32 exec_lo, exec_lo, s0
	scratch_load_b64 v[132:133], off, off offset:104
	s_mov_b32 s0, exec_lo
	s_wait_loadcnt 0x0
	ds_store_b64 v1, v[132:133]
	s_wait_storecnt_dscnt 0x0
	s_barrier_signal -1
	s_barrier_wait -1
	s_wait_xcnt 0x0
	v_cmpx_gt_u32_e32 13, v0
	s_cbranch_execz .LBB127_760
; %bb.751:
	v_cmp_ne_u32_e32 vcc_lo, 1, v134
	s_cbranch_vccnz .LBB127_753
; %bb.752:
	scratch_load_b64 v[132:133], v59, off
	ds_load_b64 v[136:137], v1
	s_wait_loadcnt_dscnt 0x0
	v_pk_mul_f32 v[138:139], v[136:137], v[132:133] op_sel:[1,1] op_sel_hi:[0,1]
	s_delay_alu instid0(VALU_DEP_1) | instskip(SKIP_1) | instid1(VALU_DEP_2)
	v_pk_fma_f32 v[140:141], v[136:137], v[132:133], v[138:139] op_sel_hi:[1,0,1]
	v_pk_fma_f32 v[132:133], v[136:137], v[132:133], v[138:139] neg_lo:[0,0,1] neg_hi:[0,0,1]
	v_mov_b32_e32 v133, v141
	s_cbranch_execz .LBB127_754
	s_branch .LBB127_755
.LBB127_753:
                                        ; implicit-def: $vgpr132_vgpr133
.LBB127_754:
	ds_load_b64 v[132:133], v1
.LBB127_755:
	s_mov_b32 s2, exec_lo
	v_cmpx_ne_u32_e32 12, v0
	s_cbranch_execz .LBB127_759
; %bb.756:
	v_add_nc_u32_e32 v135, 0x208, v58
	v_add3_u32 v136, 0, v58, 8
	v_mov_b32_e32 v137, v0
	s_mov_b32 s3, 0
.LBB127_757:                            ; =>This Inner Loop Header: Depth=1
	scratch_load_b64 v[138:139], v136, off
	ds_load_b64 v[140:141], v135
	s_wait_xcnt 0x0
	v_dual_add_nc_u32 v135, 8, v135 :: v_dual_add_nc_u32 v136, 8, v136
	s_wait_loadcnt_dscnt 0x0
	v_pk_mul_f32 v[142:143], v[140:141], v[138:139] op_sel:[1,1] op_sel_hi:[0,1]
	s_delay_alu instid0(VALU_DEP_1) | instskip(SKIP_2) | instid1(VALU_DEP_3)
	v_pk_fma_f32 v[144:145], v[140:141], v[138:139], v[142:143] op_sel_hi:[1,0,1]
	v_add_nc_u32_e32 v137, 1, v137
	v_pk_fma_f32 v[138:139], v[140:141], v[138:139], v[142:143] neg_lo:[0,0,1] neg_hi:[0,0,1]
	v_mov_b32_e32 v139, v145
	s_delay_alu instid0(VALU_DEP_3) | instskip(NEXT) | instid1(VALU_DEP_2)
	v_cmp_lt_u32_e32 vcc_lo, 11, v137
	v_pk_add_f32 v[132:133], v[132:133], v[138:139]
	s_or_b32 s3, vcc_lo, s3
	s_delay_alu instid0(SALU_CYCLE_1)
	s_and_not1_b32 exec_lo, exec_lo, s3
	s_cbranch_execnz .LBB127_757
; %bb.758:
	s_or_b32 exec_lo, exec_lo, s3
.LBB127_759:
	s_delay_alu instid0(SALU_CYCLE_1) | instskip(SKIP_4) | instid1(VALU_DEP_1)
	s_or_b32 exec_lo, exec_lo, s2
	v_mov_b32_e32 v135, 0
	ds_load_b64 v[136:137], v135 offset:104
	s_wait_dscnt 0x0
	v_pk_mul_f32 v[138:139], v[132:133], v[136:137] op_sel:[1,1] op_sel_hi:[0,1]
	v_pk_fma_f32 v[140:141], v[132:133], v[136:137], v[138:139] op_sel_hi:[1,0,1]
	v_pk_fma_f32 v[132:133], v[132:133], v[136:137], v[138:139] neg_lo:[0,0,1] neg_hi:[0,0,1]
	s_delay_alu instid0(VALU_DEP_2)
	v_mov_b32_e32 v133, v141
	scratch_store_b64 off, v[132:133], off offset:104
.LBB127_760:
	s_wait_xcnt 0x0
	s_or_b32 exec_lo, exec_lo, s0
	scratch_load_b64 v[132:133], off, off offset:112
	s_mov_b32 s0, exec_lo
	s_wait_loadcnt 0x0
	ds_store_b64 v1, v[132:133]
	s_wait_storecnt_dscnt 0x0
	s_barrier_signal -1
	s_barrier_wait -1
	s_wait_xcnt 0x0
	v_cmpx_gt_u32_e32 14, v0
	s_cbranch_execz .LBB127_770
; %bb.761:
	v_cmp_ne_u32_e32 vcc_lo, 1, v134
	s_cbranch_vccnz .LBB127_763
; %bb.762:
	scratch_load_b64 v[132:133], v59, off
	ds_load_b64 v[136:137], v1
	s_wait_loadcnt_dscnt 0x0
	v_pk_mul_f32 v[138:139], v[136:137], v[132:133] op_sel:[1,1] op_sel_hi:[0,1]
	s_delay_alu instid0(VALU_DEP_1) | instskip(SKIP_1) | instid1(VALU_DEP_2)
	v_pk_fma_f32 v[140:141], v[136:137], v[132:133], v[138:139] op_sel_hi:[1,0,1]
	v_pk_fma_f32 v[132:133], v[136:137], v[132:133], v[138:139] neg_lo:[0,0,1] neg_hi:[0,0,1]
	v_mov_b32_e32 v133, v141
	s_cbranch_execz .LBB127_764
	s_branch .LBB127_765
.LBB127_763:
                                        ; implicit-def: $vgpr132_vgpr133
.LBB127_764:
	ds_load_b64 v[132:133], v1
.LBB127_765:
	s_mov_b32 s2, exec_lo
	v_cmpx_ne_u32_e32 13, v0
	s_cbranch_execz .LBB127_769
; %bb.766:
	v_add_nc_u32_e32 v135, 0x208, v58
	v_add3_u32 v136, 0, v58, 8
	v_mov_b32_e32 v137, v0
	s_mov_b32 s3, 0
.LBB127_767:                            ; =>This Inner Loop Header: Depth=1
	scratch_load_b64 v[138:139], v136, off
	ds_load_b64 v[140:141], v135
	s_wait_xcnt 0x0
	v_dual_add_nc_u32 v135, 8, v135 :: v_dual_add_nc_u32 v136, 8, v136
	s_wait_loadcnt_dscnt 0x0
	v_pk_mul_f32 v[142:143], v[140:141], v[138:139] op_sel:[1,1] op_sel_hi:[0,1]
	s_delay_alu instid0(VALU_DEP_1) | instskip(SKIP_2) | instid1(VALU_DEP_3)
	v_pk_fma_f32 v[144:145], v[140:141], v[138:139], v[142:143] op_sel_hi:[1,0,1]
	v_add_nc_u32_e32 v137, 1, v137
	v_pk_fma_f32 v[138:139], v[140:141], v[138:139], v[142:143] neg_lo:[0,0,1] neg_hi:[0,0,1]
	v_mov_b32_e32 v139, v145
	s_delay_alu instid0(VALU_DEP_3) | instskip(NEXT) | instid1(VALU_DEP_2)
	v_cmp_lt_u32_e32 vcc_lo, 12, v137
	v_pk_add_f32 v[132:133], v[132:133], v[138:139]
	s_or_b32 s3, vcc_lo, s3
	s_delay_alu instid0(SALU_CYCLE_1)
	s_and_not1_b32 exec_lo, exec_lo, s3
	s_cbranch_execnz .LBB127_767
; %bb.768:
	s_or_b32 exec_lo, exec_lo, s3
.LBB127_769:
	s_delay_alu instid0(SALU_CYCLE_1) | instskip(SKIP_4) | instid1(VALU_DEP_1)
	s_or_b32 exec_lo, exec_lo, s2
	v_mov_b32_e32 v135, 0
	ds_load_b64 v[136:137], v135 offset:112
	s_wait_dscnt 0x0
	v_pk_mul_f32 v[138:139], v[132:133], v[136:137] op_sel:[1,1] op_sel_hi:[0,1]
	v_pk_fma_f32 v[140:141], v[132:133], v[136:137], v[138:139] op_sel_hi:[1,0,1]
	v_pk_fma_f32 v[132:133], v[132:133], v[136:137], v[138:139] neg_lo:[0,0,1] neg_hi:[0,0,1]
	s_delay_alu instid0(VALU_DEP_2)
	v_mov_b32_e32 v133, v141
	scratch_store_b64 off, v[132:133], off offset:112
.LBB127_770:
	s_wait_xcnt 0x0
	s_or_b32 exec_lo, exec_lo, s0
	scratch_load_b64 v[132:133], off, off offset:120
	s_mov_b32 s0, exec_lo
	s_wait_loadcnt 0x0
	ds_store_b64 v1, v[132:133]
	s_wait_storecnt_dscnt 0x0
	s_barrier_signal -1
	s_barrier_wait -1
	s_wait_xcnt 0x0
	v_cmpx_gt_u32_e32 15, v0
	s_cbranch_execz .LBB127_780
; %bb.771:
	v_cmp_ne_u32_e32 vcc_lo, 1, v134
	s_cbranch_vccnz .LBB127_773
; %bb.772:
	scratch_load_b64 v[132:133], v59, off
	ds_load_b64 v[136:137], v1
	s_wait_loadcnt_dscnt 0x0
	v_pk_mul_f32 v[138:139], v[136:137], v[132:133] op_sel:[1,1] op_sel_hi:[0,1]
	s_delay_alu instid0(VALU_DEP_1) | instskip(SKIP_1) | instid1(VALU_DEP_2)
	v_pk_fma_f32 v[140:141], v[136:137], v[132:133], v[138:139] op_sel_hi:[1,0,1]
	v_pk_fma_f32 v[132:133], v[136:137], v[132:133], v[138:139] neg_lo:[0,0,1] neg_hi:[0,0,1]
	v_mov_b32_e32 v133, v141
	s_cbranch_execz .LBB127_774
	s_branch .LBB127_775
.LBB127_773:
                                        ; implicit-def: $vgpr132_vgpr133
.LBB127_774:
	ds_load_b64 v[132:133], v1
.LBB127_775:
	s_mov_b32 s2, exec_lo
	v_cmpx_ne_u32_e32 14, v0
	s_cbranch_execz .LBB127_779
; %bb.776:
	v_add_nc_u32_e32 v135, 0x208, v58
	v_add3_u32 v136, 0, v58, 8
	v_mov_b32_e32 v137, v0
	s_mov_b32 s3, 0
.LBB127_777:                            ; =>This Inner Loop Header: Depth=1
	scratch_load_b64 v[138:139], v136, off
	ds_load_b64 v[140:141], v135
	s_wait_xcnt 0x0
	v_dual_add_nc_u32 v135, 8, v135 :: v_dual_add_nc_u32 v136, 8, v136
	s_wait_loadcnt_dscnt 0x0
	v_pk_mul_f32 v[142:143], v[140:141], v[138:139] op_sel:[1,1] op_sel_hi:[0,1]
	s_delay_alu instid0(VALU_DEP_1) | instskip(SKIP_2) | instid1(VALU_DEP_3)
	v_pk_fma_f32 v[144:145], v[140:141], v[138:139], v[142:143] op_sel_hi:[1,0,1]
	v_add_nc_u32_e32 v137, 1, v137
	v_pk_fma_f32 v[138:139], v[140:141], v[138:139], v[142:143] neg_lo:[0,0,1] neg_hi:[0,0,1]
	v_mov_b32_e32 v139, v145
	s_delay_alu instid0(VALU_DEP_3) | instskip(NEXT) | instid1(VALU_DEP_2)
	v_cmp_lt_u32_e32 vcc_lo, 13, v137
	v_pk_add_f32 v[132:133], v[132:133], v[138:139]
	s_or_b32 s3, vcc_lo, s3
	s_delay_alu instid0(SALU_CYCLE_1)
	s_and_not1_b32 exec_lo, exec_lo, s3
	s_cbranch_execnz .LBB127_777
; %bb.778:
	s_or_b32 exec_lo, exec_lo, s3
.LBB127_779:
	s_delay_alu instid0(SALU_CYCLE_1) | instskip(SKIP_4) | instid1(VALU_DEP_1)
	s_or_b32 exec_lo, exec_lo, s2
	v_mov_b32_e32 v135, 0
	ds_load_b64 v[136:137], v135 offset:120
	s_wait_dscnt 0x0
	v_pk_mul_f32 v[138:139], v[132:133], v[136:137] op_sel:[1,1] op_sel_hi:[0,1]
	v_pk_fma_f32 v[140:141], v[132:133], v[136:137], v[138:139] op_sel_hi:[1,0,1]
	v_pk_fma_f32 v[132:133], v[132:133], v[136:137], v[138:139] neg_lo:[0,0,1] neg_hi:[0,0,1]
	s_delay_alu instid0(VALU_DEP_2)
	v_mov_b32_e32 v133, v141
	scratch_store_b64 off, v[132:133], off offset:120
.LBB127_780:
	s_wait_xcnt 0x0
	s_or_b32 exec_lo, exec_lo, s0
	scratch_load_b64 v[132:133], off, off offset:128
	s_mov_b32 s0, exec_lo
	s_wait_loadcnt 0x0
	ds_store_b64 v1, v[132:133]
	s_wait_storecnt_dscnt 0x0
	s_barrier_signal -1
	s_barrier_wait -1
	s_wait_xcnt 0x0
	v_cmpx_gt_u32_e32 16, v0
	s_cbranch_execz .LBB127_790
; %bb.781:
	v_cmp_ne_u32_e32 vcc_lo, 1, v134
	s_cbranch_vccnz .LBB127_783
; %bb.782:
	scratch_load_b64 v[132:133], v59, off
	ds_load_b64 v[136:137], v1
	s_wait_loadcnt_dscnt 0x0
	v_pk_mul_f32 v[138:139], v[136:137], v[132:133] op_sel:[1,1] op_sel_hi:[0,1]
	s_delay_alu instid0(VALU_DEP_1) | instskip(SKIP_1) | instid1(VALU_DEP_2)
	v_pk_fma_f32 v[140:141], v[136:137], v[132:133], v[138:139] op_sel_hi:[1,0,1]
	v_pk_fma_f32 v[132:133], v[136:137], v[132:133], v[138:139] neg_lo:[0,0,1] neg_hi:[0,0,1]
	v_mov_b32_e32 v133, v141
	s_cbranch_execz .LBB127_784
	s_branch .LBB127_785
.LBB127_783:
                                        ; implicit-def: $vgpr132_vgpr133
.LBB127_784:
	ds_load_b64 v[132:133], v1
.LBB127_785:
	s_mov_b32 s2, exec_lo
	v_cmpx_ne_u32_e32 15, v0
	s_cbranch_execz .LBB127_789
; %bb.786:
	v_add_nc_u32_e32 v135, 0x208, v58
	v_add3_u32 v136, 0, v58, 8
	v_mov_b32_e32 v137, v0
	s_mov_b32 s3, 0
.LBB127_787:                            ; =>This Inner Loop Header: Depth=1
	scratch_load_b64 v[138:139], v136, off
	ds_load_b64 v[140:141], v135
	s_wait_xcnt 0x0
	v_dual_add_nc_u32 v135, 8, v135 :: v_dual_add_nc_u32 v136, 8, v136
	s_wait_loadcnt_dscnt 0x0
	v_pk_mul_f32 v[142:143], v[140:141], v[138:139] op_sel:[1,1] op_sel_hi:[0,1]
	s_delay_alu instid0(VALU_DEP_1) | instskip(SKIP_2) | instid1(VALU_DEP_3)
	v_pk_fma_f32 v[144:145], v[140:141], v[138:139], v[142:143] op_sel_hi:[1,0,1]
	v_add_nc_u32_e32 v137, 1, v137
	v_pk_fma_f32 v[138:139], v[140:141], v[138:139], v[142:143] neg_lo:[0,0,1] neg_hi:[0,0,1]
	v_mov_b32_e32 v139, v145
	s_delay_alu instid0(VALU_DEP_3) | instskip(NEXT) | instid1(VALU_DEP_2)
	v_cmp_lt_u32_e32 vcc_lo, 14, v137
	v_pk_add_f32 v[132:133], v[132:133], v[138:139]
	s_or_b32 s3, vcc_lo, s3
	s_delay_alu instid0(SALU_CYCLE_1)
	s_and_not1_b32 exec_lo, exec_lo, s3
	s_cbranch_execnz .LBB127_787
; %bb.788:
	s_or_b32 exec_lo, exec_lo, s3
.LBB127_789:
	s_delay_alu instid0(SALU_CYCLE_1) | instskip(SKIP_4) | instid1(VALU_DEP_1)
	s_or_b32 exec_lo, exec_lo, s2
	v_mov_b32_e32 v135, 0
	ds_load_b64 v[136:137], v135 offset:128
	s_wait_dscnt 0x0
	v_pk_mul_f32 v[138:139], v[132:133], v[136:137] op_sel:[1,1] op_sel_hi:[0,1]
	v_pk_fma_f32 v[140:141], v[132:133], v[136:137], v[138:139] op_sel_hi:[1,0,1]
	v_pk_fma_f32 v[132:133], v[132:133], v[136:137], v[138:139] neg_lo:[0,0,1] neg_hi:[0,0,1]
	s_delay_alu instid0(VALU_DEP_2)
	v_mov_b32_e32 v133, v141
	scratch_store_b64 off, v[132:133], off offset:128
.LBB127_790:
	s_wait_xcnt 0x0
	s_or_b32 exec_lo, exec_lo, s0
	scratch_load_b64 v[132:133], off, off offset:136
	s_mov_b32 s0, exec_lo
	s_wait_loadcnt 0x0
	ds_store_b64 v1, v[132:133]
	s_wait_storecnt_dscnt 0x0
	s_barrier_signal -1
	s_barrier_wait -1
	s_wait_xcnt 0x0
	v_cmpx_gt_u32_e32 17, v0
	s_cbranch_execz .LBB127_800
; %bb.791:
	v_cmp_ne_u32_e32 vcc_lo, 1, v134
	s_cbranch_vccnz .LBB127_793
; %bb.792:
	scratch_load_b64 v[132:133], v59, off
	ds_load_b64 v[136:137], v1
	s_wait_loadcnt_dscnt 0x0
	v_pk_mul_f32 v[138:139], v[136:137], v[132:133] op_sel:[1,1] op_sel_hi:[0,1]
	s_delay_alu instid0(VALU_DEP_1) | instskip(SKIP_1) | instid1(VALU_DEP_2)
	v_pk_fma_f32 v[140:141], v[136:137], v[132:133], v[138:139] op_sel_hi:[1,0,1]
	v_pk_fma_f32 v[132:133], v[136:137], v[132:133], v[138:139] neg_lo:[0,0,1] neg_hi:[0,0,1]
	v_mov_b32_e32 v133, v141
	s_cbranch_execz .LBB127_794
	s_branch .LBB127_795
.LBB127_793:
                                        ; implicit-def: $vgpr132_vgpr133
.LBB127_794:
	ds_load_b64 v[132:133], v1
.LBB127_795:
	s_mov_b32 s2, exec_lo
	v_cmpx_ne_u32_e32 16, v0
	s_cbranch_execz .LBB127_799
; %bb.796:
	v_add_nc_u32_e32 v135, 0x208, v58
	v_add3_u32 v136, 0, v58, 8
	v_mov_b32_e32 v137, v0
	s_mov_b32 s3, 0
.LBB127_797:                            ; =>This Inner Loop Header: Depth=1
	scratch_load_b64 v[138:139], v136, off
	ds_load_b64 v[140:141], v135
	s_wait_xcnt 0x0
	v_dual_add_nc_u32 v135, 8, v135 :: v_dual_add_nc_u32 v136, 8, v136
	s_wait_loadcnt_dscnt 0x0
	v_pk_mul_f32 v[142:143], v[140:141], v[138:139] op_sel:[1,1] op_sel_hi:[0,1]
	s_delay_alu instid0(VALU_DEP_1) | instskip(SKIP_2) | instid1(VALU_DEP_3)
	v_pk_fma_f32 v[144:145], v[140:141], v[138:139], v[142:143] op_sel_hi:[1,0,1]
	v_add_nc_u32_e32 v137, 1, v137
	v_pk_fma_f32 v[138:139], v[140:141], v[138:139], v[142:143] neg_lo:[0,0,1] neg_hi:[0,0,1]
	v_mov_b32_e32 v139, v145
	s_delay_alu instid0(VALU_DEP_3) | instskip(NEXT) | instid1(VALU_DEP_2)
	v_cmp_lt_u32_e32 vcc_lo, 15, v137
	v_pk_add_f32 v[132:133], v[132:133], v[138:139]
	s_or_b32 s3, vcc_lo, s3
	s_delay_alu instid0(SALU_CYCLE_1)
	s_and_not1_b32 exec_lo, exec_lo, s3
	s_cbranch_execnz .LBB127_797
; %bb.798:
	s_or_b32 exec_lo, exec_lo, s3
.LBB127_799:
	s_delay_alu instid0(SALU_CYCLE_1) | instskip(SKIP_4) | instid1(VALU_DEP_1)
	s_or_b32 exec_lo, exec_lo, s2
	v_mov_b32_e32 v135, 0
	ds_load_b64 v[136:137], v135 offset:136
	s_wait_dscnt 0x0
	v_pk_mul_f32 v[138:139], v[132:133], v[136:137] op_sel:[1,1] op_sel_hi:[0,1]
	v_pk_fma_f32 v[140:141], v[132:133], v[136:137], v[138:139] op_sel_hi:[1,0,1]
	v_pk_fma_f32 v[132:133], v[132:133], v[136:137], v[138:139] neg_lo:[0,0,1] neg_hi:[0,0,1]
	s_delay_alu instid0(VALU_DEP_2)
	v_mov_b32_e32 v133, v141
	scratch_store_b64 off, v[132:133], off offset:136
.LBB127_800:
	s_wait_xcnt 0x0
	s_or_b32 exec_lo, exec_lo, s0
	scratch_load_b64 v[132:133], off, off offset:144
	s_mov_b32 s0, exec_lo
	s_wait_loadcnt 0x0
	ds_store_b64 v1, v[132:133]
	s_wait_storecnt_dscnt 0x0
	s_barrier_signal -1
	s_barrier_wait -1
	s_wait_xcnt 0x0
	v_cmpx_gt_u32_e32 18, v0
	s_cbranch_execz .LBB127_810
; %bb.801:
	v_cmp_ne_u32_e32 vcc_lo, 1, v134
	s_cbranch_vccnz .LBB127_803
; %bb.802:
	scratch_load_b64 v[132:133], v59, off
	ds_load_b64 v[136:137], v1
	s_wait_loadcnt_dscnt 0x0
	v_pk_mul_f32 v[138:139], v[136:137], v[132:133] op_sel:[1,1] op_sel_hi:[0,1]
	s_delay_alu instid0(VALU_DEP_1) | instskip(SKIP_1) | instid1(VALU_DEP_2)
	v_pk_fma_f32 v[140:141], v[136:137], v[132:133], v[138:139] op_sel_hi:[1,0,1]
	v_pk_fma_f32 v[132:133], v[136:137], v[132:133], v[138:139] neg_lo:[0,0,1] neg_hi:[0,0,1]
	v_mov_b32_e32 v133, v141
	s_cbranch_execz .LBB127_804
	s_branch .LBB127_805
.LBB127_803:
                                        ; implicit-def: $vgpr132_vgpr133
.LBB127_804:
	ds_load_b64 v[132:133], v1
.LBB127_805:
	s_mov_b32 s2, exec_lo
	v_cmpx_ne_u32_e32 17, v0
	s_cbranch_execz .LBB127_809
; %bb.806:
	v_add_nc_u32_e32 v135, 0x208, v58
	v_add3_u32 v136, 0, v58, 8
	v_mov_b32_e32 v137, v0
	s_mov_b32 s3, 0
.LBB127_807:                            ; =>This Inner Loop Header: Depth=1
	scratch_load_b64 v[138:139], v136, off
	ds_load_b64 v[140:141], v135
	s_wait_xcnt 0x0
	v_dual_add_nc_u32 v135, 8, v135 :: v_dual_add_nc_u32 v136, 8, v136
	s_wait_loadcnt_dscnt 0x0
	v_pk_mul_f32 v[142:143], v[140:141], v[138:139] op_sel:[1,1] op_sel_hi:[0,1]
	s_delay_alu instid0(VALU_DEP_1) | instskip(SKIP_2) | instid1(VALU_DEP_3)
	v_pk_fma_f32 v[144:145], v[140:141], v[138:139], v[142:143] op_sel_hi:[1,0,1]
	v_add_nc_u32_e32 v137, 1, v137
	v_pk_fma_f32 v[138:139], v[140:141], v[138:139], v[142:143] neg_lo:[0,0,1] neg_hi:[0,0,1]
	v_mov_b32_e32 v139, v145
	s_delay_alu instid0(VALU_DEP_3) | instskip(NEXT) | instid1(VALU_DEP_2)
	v_cmp_lt_u32_e32 vcc_lo, 16, v137
	v_pk_add_f32 v[132:133], v[132:133], v[138:139]
	s_or_b32 s3, vcc_lo, s3
	s_delay_alu instid0(SALU_CYCLE_1)
	s_and_not1_b32 exec_lo, exec_lo, s3
	s_cbranch_execnz .LBB127_807
; %bb.808:
	s_or_b32 exec_lo, exec_lo, s3
.LBB127_809:
	s_delay_alu instid0(SALU_CYCLE_1) | instskip(SKIP_4) | instid1(VALU_DEP_1)
	s_or_b32 exec_lo, exec_lo, s2
	v_mov_b32_e32 v135, 0
	ds_load_b64 v[136:137], v135 offset:144
	s_wait_dscnt 0x0
	v_pk_mul_f32 v[138:139], v[132:133], v[136:137] op_sel:[1,1] op_sel_hi:[0,1]
	v_pk_fma_f32 v[140:141], v[132:133], v[136:137], v[138:139] op_sel_hi:[1,0,1]
	v_pk_fma_f32 v[132:133], v[132:133], v[136:137], v[138:139] neg_lo:[0,0,1] neg_hi:[0,0,1]
	s_delay_alu instid0(VALU_DEP_2)
	v_mov_b32_e32 v133, v141
	scratch_store_b64 off, v[132:133], off offset:144
.LBB127_810:
	s_wait_xcnt 0x0
	s_or_b32 exec_lo, exec_lo, s0
	scratch_load_b64 v[132:133], off, off offset:152
	s_mov_b32 s0, exec_lo
	s_wait_loadcnt 0x0
	ds_store_b64 v1, v[132:133]
	s_wait_storecnt_dscnt 0x0
	s_barrier_signal -1
	s_barrier_wait -1
	s_wait_xcnt 0x0
	v_cmpx_gt_u32_e32 19, v0
	s_cbranch_execz .LBB127_820
; %bb.811:
	v_cmp_ne_u32_e32 vcc_lo, 1, v134
	s_cbranch_vccnz .LBB127_813
; %bb.812:
	scratch_load_b64 v[132:133], v59, off
	ds_load_b64 v[136:137], v1
	s_wait_loadcnt_dscnt 0x0
	v_pk_mul_f32 v[138:139], v[136:137], v[132:133] op_sel:[1,1] op_sel_hi:[0,1]
	s_delay_alu instid0(VALU_DEP_1) | instskip(SKIP_1) | instid1(VALU_DEP_2)
	v_pk_fma_f32 v[140:141], v[136:137], v[132:133], v[138:139] op_sel_hi:[1,0,1]
	v_pk_fma_f32 v[132:133], v[136:137], v[132:133], v[138:139] neg_lo:[0,0,1] neg_hi:[0,0,1]
	v_mov_b32_e32 v133, v141
	s_cbranch_execz .LBB127_814
	s_branch .LBB127_815
.LBB127_813:
                                        ; implicit-def: $vgpr132_vgpr133
.LBB127_814:
	ds_load_b64 v[132:133], v1
.LBB127_815:
	s_mov_b32 s2, exec_lo
	v_cmpx_ne_u32_e32 18, v0
	s_cbranch_execz .LBB127_819
; %bb.816:
	v_add_nc_u32_e32 v135, 0x208, v58
	v_add3_u32 v136, 0, v58, 8
	v_mov_b32_e32 v137, v0
	s_mov_b32 s3, 0
.LBB127_817:                            ; =>This Inner Loop Header: Depth=1
	scratch_load_b64 v[138:139], v136, off
	ds_load_b64 v[140:141], v135
	s_wait_xcnt 0x0
	v_dual_add_nc_u32 v135, 8, v135 :: v_dual_add_nc_u32 v136, 8, v136
	s_wait_loadcnt_dscnt 0x0
	v_pk_mul_f32 v[142:143], v[140:141], v[138:139] op_sel:[1,1] op_sel_hi:[0,1]
	s_delay_alu instid0(VALU_DEP_1) | instskip(SKIP_2) | instid1(VALU_DEP_3)
	v_pk_fma_f32 v[144:145], v[140:141], v[138:139], v[142:143] op_sel_hi:[1,0,1]
	v_add_nc_u32_e32 v137, 1, v137
	v_pk_fma_f32 v[138:139], v[140:141], v[138:139], v[142:143] neg_lo:[0,0,1] neg_hi:[0,0,1]
	v_mov_b32_e32 v139, v145
	s_delay_alu instid0(VALU_DEP_3) | instskip(NEXT) | instid1(VALU_DEP_2)
	v_cmp_lt_u32_e32 vcc_lo, 17, v137
	v_pk_add_f32 v[132:133], v[132:133], v[138:139]
	s_or_b32 s3, vcc_lo, s3
	s_delay_alu instid0(SALU_CYCLE_1)
	s_and_not1_b32 exec_lo, exec_lo, s3
	s_cbranch_execnz .LBB127_817
; %bb.818:
	s_or_b32 exec_lo, exec_lo, s3
.LBB127_819:
	s_delay_alu instid0(SALU_CYCLE_1) | instskip(SKIP_4) | instid1(VALU_DEP_1)
	s_or_b32 exec_lo, exec_lo, s2
	v_mov_b32_e32 v135, 0
	ds_load_b64 v[136:137], v135 offset:152
	s_wait_dscnt 0x0
	v_pk_mul_f32 v[138:139], v[132:133], v[136:137] op_sel:[1,1] op_sel_hi:[0,1]
	v_pk_fma_f32 v[140:141], v[132:133], v[136:137], v[138:139] op_sel_hi:[1,0,1]
	v_pk_fma_f32 v[132:133], v[132:133], v[136:137], v[138:139] neg_lo:[0,0,1] neg_hi:[0,0,1]
	s_delay_alu instid0(VALU_DEP_2)
	v_mov_b32_e32 v133, v141
	scratch_store_b64 off, v[132:133], off offset:152
.LBB127_820:
	s_wait_xcnt 0x0
	s_or_b32 exec_lo, exec_lo, s0
	scratch_load_b64 v[132:133], off, off offset:160
	s_mov_b32 s0, exec_lo
	s_wait_loadcnt 0x0
	ds_store_b64 v1, v[132:133]
	s_wait_storecnt_dscnt 0x0
	s_barrier_signal -1
	s_barrier_wait -1
	s_wait_xcnt 0x0
	v_cmpx_gt_u32_e32 20, v0
	s_cbranch_execz .LBB127_830
; %bb.821:
	v_cmp_ne_u32_e32 vcc_lo, 1, v134
	s_cbranch_vccnz .LBB127_823
; %bb.822:
	scratch_load_b64 v[132:133], v59, off
	ds_load_b64 v[136:137], v1
	s_wait_loadcnt_dscnt 0x0
	v_pk_mul_f32 v[138:139], v[136:137], v[132:133] op_sel:[1,1] op_sel_hi:[0,1]
	s_delay_alu instid0(VALU_DEP_1) | instskip(SKIP_1) | instid1(VALU_DEP_2)
	v_pk_fma_f32 v[140:141], v[136:137], v[132:133], v[138:139] op_sel_hi:[1,0,1]
	v_pk_fma_f32 v[132:133], v[136:137], v[132:133], v[138:139] neg_lo:[0,0,1] neg_hi:[0,0,1]
	v_mov_b32_e32 v133, v141
	s_cbranch_execz .LBB127_824
	s_branch .LBB127_825
.LBB127_823:
                                        ; implicit-def: $vgpr132_vgpr133
.LBB127_824:
	ds_load_b64 v[132:133], v1
.LBB127_825:
	s_mov_b32 s2, exec_lo
	v_cmpx_ne_u32_e32 19, v0
	s_cbranch_execz .LBB127_829
; %bb.826:
	v_add_nc_u32_e32 v135, 0x208, v58
	v_add3_u32 v136, 0, v58, 8
	v_mov_b32_e32 v137, v0
	s_mov_b32 s3, 0
.LBB127_827:                            ; =>This Inner Loop Header: Depth=1
	scratch_load_b64 v[138:139], v136, off
	ds_load_b64 v[140:141], v135
	s_wait_xcnt 0x0
	v_dual_add_nc_u32 v135, 8, v135 :: v_dual_add_nc_u32 v136, 8, v136
	s_wait_loadcnt_dscnt 0x0
	v_pk_mul_f32 v[142:143], v[140:141], v[138:139] op_sel:[1,1] op_sel_hi:[0,1]
	s_delay_alu instid0(VALU_DEP_1) | instskip(SKIP_2) | instid1(VALU_DEP_3)
	v_pk_fma_f32 v[144:145], v[140:141], v[138:139], v[142:143] op_sel_hi:[1,0,1]
	v_add_nc_u32_e32 v137, 1, v137
	v_pk_fma_f32 v[138:139], v[140:141], v[138:139], v[142:143] neg_lo:[0,0,1] neg_hi:[0,0,1]
	v_mov_b32_e32 v139, v145
	s_delay_alu instid0(VALU_DEP_3) | instskip(NEXT) | instid1(VALU_DEP_2)
	v_cmp_lt_u32_e32 vcc_lo, 18, v137
	v_pk_add_f32 v[132:133], v[132:133], v[138:139]
	s_or_b32 s3, vcc_lo, s3
	s_delay_alu instid0(SALU_CYCLE_1)
	s_and_not1_b32 exec_lo, exec_lo, s3
	s_cbranch_execnz .LBB127_827
; %bb.828:
	s_or_b32 exec_lo, exec_lo, s3
.LBB127_829:
	s_delay_alu instid0(SALU_CYCLE_1) | instskip(SKIP_4) | instid1(VALU_DEP_1)
	s_or_b32 exec_lo, exec_lo, s2
	v_mov_b32_e32 v135, 0
	ds_load_b64 v[136:137], v135 offset:160
	s_wait_dscnt 0x0
	v_pk_mul_f32 v[138:139], v[132:133], v[136:137] op_sel:[1,1] op_sel_hi:[0,1]
	v_pk_fma_f32 v[140:141], v[132:133], v[136:137], v[138:139] op_sel_hi:[1,0,1]
	v_pk_fma_f32 v[132:133], v[132:133], v[136:137], v[138:139] neg_lo:[0,0,1] neg_hi:[0,0,1]
	s_delay_alu instid0(VALU_DEP_2)
	v_mov_b32_e32 v133, v141
	scratch_store_b64 off, v[132:133], off offset:160
.LBB127_830:
	s_wait_xcnt 0x0
	s_or_b32 exec_lo, exec_lo, s0
	scratch_load_b64 v[132:133], off, off offset:168
	s_mov_b32 s0, exec_lo
	s_wait_loadcnt 0x0
	ds_store_b64 v1, v[132:133]
	s_wait_storecnt_dscnt 0x0
	s_barrier_signal -1
	s_barrier_wait -1
	s_wait_xcnt 0x0
	v_cmpx_gt_u32_e32 21, v0
	s_cbranch_execz .LBB127_840
; %bb.831:
	v_cmp_ne_u32_e32 vcc_lo, 1, v134
	s_cbranch_vccnz .LBB127_833
; %bb.832:
	scratch_load_b64 v[132:133], v59, off
	ds_load_b64 v[136:137], v1
	s_wait_loadcnt_dscnt 0x0
	v_pk_mul_f32 v[138:139], v[136:137], v[132:133] op_sel:[1,1] op_sel_hi:[0,1]
	s_delay_alu instid0(VALU_DEP_1) | instskip(SKIP_1) | instid1(VALU_DEP_2)
	v_pk_fma_f32 v[140:141], v[136:137], v[132:133], v[138:139] op_sel_hi:[1,0,1]
	v_pk_fma_f32 v[132:133], v[136:137], v[132:133], v[138:139] neg_lo:[0,0,1] neg_hi:[0,0,1]
	v_mov_b32_e32 v133, v141
	s_cbranch_execz .LBB127_834
	s_branch .LBB127_835
.LBB127_833:
                                        ; implicit-def: $vgpr132_vgpr133
.LBB127_834:
	ds_load_b64 v[132:133], v1
.LBB127_835:
	s_mov_b32 s2, exec_lo
	v_cmpx_ne_u32_e32 20, v0
	s_cbranch_execz .LBB127_839
; %bb.836:
	v_add_nc_u32_e32 v135, 0x208, v58
	v_add3_u32 v136, 0, v58, 8
	v_mov_b32_e32 v137, v0
	s_mov_b32 s3, 0
.LBB127_837:                            ; =>This Inner Loop Header: Depth=1
	scratch_load_b64 v[138:139], v136, off
	ds_load_b64 v[140:141], v135
	s_wait_xcnt 0x0
	v_dual_add_nc_u32 v135, 8, v135 :: v_dual_add_nc_u32 v136, 8, v136
	s_wait_loadcnt_dscnt 0x0
	v_pk_mul_f32 v[142:143], v[140:141], v[138:139] op_sel:[1,1] op_sel_hi:[0,1]
	s_delay_alu instid0(VALU_DEP_1) | instskip(SKIP_2) | instid1(VALU_DEP_3)
	v_pk_fma_f32 v[144:145], v[140:141], v[138:139], v[142:143] op_sel_hi:[1,0,1]
	v_add_nc_u32_e32 v137, 1, v137
	v_pk_fma_f32 v[138:139], v[140:141], v[138:139], v[142:143] neg_lo:[0,0,1] neg_hi:[0,0,1]
	v_mov_b32_e32 v139, v145
	s_delay_alu instid0(VALU_DEP_3) | instskip(NEXT) | instid1(VALU_DEP_2)
	v_cmp_lt_u32_e32 vcc_lo, 19, v137
	v_pk_add_f32 v[132:133], v[132:133], v[138:139]
	s_or_b32 s3, vcc_lo, s3
	s_delay_alu instid0(SALU_CYCLE_1)
	s_and_not1_b32 exec_lo, exec_lo, s3
	s_cbranch_execnz .LBB127_837
; %bb.838:
	s_or_b32 exec_lo, exec_lo, s3
.LBB127_839:
	s_delay_alu instid0(SALU_CYCLE_1) | instskip(SKIP_4) | instid1(VALU_DEP_1)
	s_or_b32 exec_lo, exec_lo, s2
	v_mov_b32_e32 v135, 0
	ds_load_b64 v[136:137], v135 offset:168
	s_wait_dscnt 0x0
	v_pk_mul_f32 v[138:139], v[132:133], v[136:137] op_sel:[1,1] op_sel_hi:[0,1]
	v_pk_fma_f32 v[140:141], v[132:133], v[136:137], v[138:139] op_sel_hi:[1,0,1]
	v_pk_fma_f32 v[132:133], v[132:133], v[136:137], v[138:139] neg_lo:[0,0,1] neg_hi:[0,0,1]
	s_delay_alu instid0(VALU_DEP_2)
	v_mov_b32_e32 v133, v141
	scratch_store_b64 off, v[132:133], off offset:168
.LBB127_840:
	s_wait_xcnt 0x0
	s_or_b32 exec_lo, exec_lo, s0
	scratch_load_b64 v[132:133], off, off offset:176
	s_mov_b32 s0, exec_lo
	s_wait_loadcnt 0x0
	ds_store_b64 v1, v[132:133]
	s_wait_storecnt_dscnt 0x0
	s_barrier_signal -1
	s_barrier_wait -1
	s_wait_xcnt 0x0
	v_cmpx_gt_u32_e32 22, v0
	s_cbranch_execz .LBB127_850
; %bb.841:
	v_cmp_ne_u32_e32 vcc_lo, 1, v134
	s_cbranch_vccnz .LBB127_843
; %bb.842:
	scratch_load_b64 v[132:133], v59, off
	ds_load_b64 v[136:137], v1
	s_wait_loadcnt_dscnt 0x0
	v_pk_mul_f32 v[138:139], v[136:137], v[132:133] op_sel:[1,1] op_sel_hi:[0,1]
	s_delay_alu instid0(VALU_DEP_1) | instskip(SKIP_1) | instid1(VALU_DEP_2)
	v_pk_fma_f32 v[140:141], v[136:137], v[132:133], v[138:139] op_sel_hi:[1,0,1]
	v_pk_fma_f32 v[132:133], v[136:137], v[132:133], v[138:139] neg_lo:[0,0,1] neg_hi:[0,0,1]
	v_mov_b32_e32 v133, v141
	s_cbranch_execz .LBB127_844
	s_branch .LBB127_845
.LBB127_843:
                                        ; implicit-def: $vgpr132_vgpr133
.LBB127_844:
	ds_load_b64 v[132:133], v1
.LBB127_845:
	s_mov_b32 s2, exec_lo
	v_cmpx_ne_u32_e32 21, v0
	s_cbranch_execz .LBB127_849
; %bb.846:
	v_add_nc_u32_e32 v135, 0x208, v58
	v_add3_u32 v136, 0, v58, 8
	v_mov_b32_e32 v137, v0
	s_mov_b32 s3, 0
.LBB127_847:                            ; =>This Inner Loop Header: Depth=1
	scratch_load_b64 v[138:139], v136, off
	ds_load_b64 v[140:141], v135
	s_wait_xcnt 0x0
	v_dual_add_nc_u32 v135, 8, v135 :: v_dual_add_nc_u32 v136, 8, v136
	s_wait_loadcnt_dscnt 0x0
	v_pk_mul_f32 v[142:143], v[140:141], v[138:139] op_sel:[1,1] op_sel_hi:[0,1]
	s_delay_alu instid0(VALU_DEP_1) | instskip(SKIP_2) | instid1(VALU_DEP_3)
	v_pk_fma_f32 v[144:145], v[140:141], v[138:139], v[142:143] op_sel_hi:[1,0,1]
	v_add_nc_u32_e32 v137, 1, v137
	v_pk_fma_f32 v[138:139], v[140:141], v[138:139], v[142:143] neg_lo:[0,0,1] neg_hi:[0,0,1]
	v_mov_b32_e32 v139, v145
	s_delay_alu instid0(VALU_DEP_3) | instskip(NEXT) | instid1(VALU_DEP_2)
	v_cmp_lt_u32_e32 vcc_lo, 20, v137
	v_pk_add_f32 v[132:133], v[132:133], v[138:139]
	s_or_b32 s3, vcc_lo, s3
	s_delay_alu instid0(SALU_CYCLE_1)
	s_and_not1_b32 exec_lo, exec_lo, s3
	s_cbranch_execnz .LBB127_847
; %bb.848:
	s_or_b32 exec_lo, exec_lo, s3
.LBB127_849:
	s_delay_alu instid0(SALU_CYCLE_1) | instskip(SKIP_4) | instid1(VALU_DEP_1)
	s_or_b32 exec_lo, exec_lo, s2
	v_mov_b32_e32 v135, 0
	ds_load_b64 v[136:137], v135 offset:176
	s_wait_dscnt 0x0
	v_pk_mul_f32 v[138:139], v[132:133], v[136:137] op_sel:[1,1] op_sel_hi:[0,1]
	v_pk_fma_f32 v[140:141], v[132:133], v[136:137], v[138:139] op_sel_hi:[1,0,1]
	v_pk_fma_f32 v[132:133], v[132:133], v[136:137], v[138:139] neg_lo:[0,0,1] neg_hi:[0,0,1]
	s_delay_alu instid0(VALU_DEP_2)
	v_mov_b32_e32 v133, v141
	scratch_store_b64 off, v[132:133], off offset:176
.LBB127_850:
	s_wait_xcnt 0x0
	s_or_b32 exec_lo, exec_lo, s0
	scratch_load_b64 v[132:133], off, off offset:184
	s_mov_b32 s0, exec_lo
	s_wait_loadcnt 0x0
	ds_store_b64 v1, v[132:133]
	s_wait_storecnt_dscnt 0x0
	s_barrier_signal -1
	s_barrier_wait -1
	s_wait_xcnt 0x0
	v_cmpx_gt_u32_e32 23, v0
	s_cbranch_execz .LBB127_860
; %bb.851:
	v_cmp_ne_u32_e32 vcc_lo, 1, v134
	s_cbranch_vccnz .LBB127_853
; %bb.852:
	scratch_load_b64 v[132:133], v59, off
	ds_load_b64 v[136:137], v1
	s_wait_loadcnt_dscnt 0x0
	v_pk_mul_f32 v[138:139], v[136:137], v[132:133] op_sel:[1,1] op_sel_hi:[0,1]
	s_delay_alu instid0(VALU_DEP_1) | instskip(SKIP_1) | instid1(VALU_DEP_2)
	v_pk_fma_f32 v[140:141], v[136:137], v[132:133], v[138:139] op_sel_hi:[1,0,1]
	v_pk_fma_f32 v[132:133], v[136:137], v[132:133], v[138:139] neg_lo:[0,0,1] neg_hi:[0,0,1]
	v_mov_b32_e32 v133, v141
	s_cbranch_execz .LBB127_854
	s_branch .LBB127_855
.LBB127_853:
                                        ; implicit-def: $vgpr132_vgpr133
.LBB127_854:
	ds_load_b64 v[132:133], v1
.LBB127_855:
	s_mov_b32 s2, exec_lo
	v_cmpx_ne_u32_e32 22, v0
	s_cbranch_execz .LBB127_859
; %bb.856:
	v_add_nc_u32_e32 v135, 0x208, v58
	v_add3_u32 v136, 0, v58, 8
	v_mov_b32_e32 v137, v0
	s_mov_b32 s3, 0
.LBB127_857:                            ; =>This Inner Loop Header: Depth=1
	scratch_load_b64 v[138:139], v136, off
	ds_load_b64 v[140:141], v135
	s_wait_xcnt 0x0
	v_dual_add_nc_u32 v135, 8, v135 :: v_dual_add_nc_u32 v136, 8, v136
	s_wait_loadcnt_dscnt 0x0
	v_pk_mul_f32 v[142:143], v[140:141], v[138:139] op_sel:[1,1] op_sel_hi:[0,1]
	s_delay_alu instid0(VALU_DEP_1) | instskip(SKIP_2) | instid1(VALU_DEP_3)
	v_pk_fma_f32 v[144:145], v[140:141], v[138:139], v[142:143] op_sel_hi:[1,0,1]
	v_add_nc_u32_e32 v137, 1, v137
	v_pk_fma_f32 v[138:139], v[140:141], v[138:139], v[142:143] neg_lo:[0,0,1] neg_hi:[0,0,1]
	v_mov_b32_e32 v139, v145
	s_delay_alu instid0(VALU_DEP_3) | instskip(NEXT) | instid1(VALU_DEP_2)
	v_cmp_lt_u32_e32 vcc_lo, 21, v137
	v_pk_add_f32 v[132:133], v[132:133], v[138:139]
	s_or_b32 s3, vcc_lo, s3
	s_delay_alu instid0(SALU_CYCLE_1)
	s_and_not1_b32 exec_lo, exec_lo, s3
	s_cbranch_execnz .LBB127_857
; %bb.858:
	s_or_b32 exec_lo, exec_lo, s3
.LBB127_859:
	s_delay_alu instid0(SALU_CYCLE_1) | instskip(SKIP_4) | instid1(VALU_DEP_1)
	s_or_b32 exec_lo, exec_lo, s2
	v_mov_b32_e32 v135, 0
	ds_load_b64 v[136:137], v135 offset:184
	s_wait_dscnt 0x0
	v_pk_mul_f32 v[138:139], v[132:133], v[136:137] op_sel:[1,1] op_sel_hi:[0,1]
	v_pk_fma_f32 v[140:141], v[132:133], v[136:137], v[138:139] op_sel_hi:[1,0,1]
	v_pk_fma_f32 v[132:133], v[132:133], v[136:137], v[138:139] neg_lo:[0,0,1] neg_hi:[0,0,1]
	s_delay_alu instid0(VALU_DEP_2)
	v_mov_b32_e32 v133, v141
	scratch_store_b64 off, v[132:133], off offset:184
.LBB127_860:
	s_wait_xcnt 0x0
	s_or_b32 exec_lo, exec_lo, s0
	scratch_load_b64 v[132:133], off, off offset:192
	s_mov_b32 s0, exec_lo
	s_wait_loadcnt 0x0
	ds_store_b64 v1, v[132:133]
	s_wait_storecnt_dscnt 0x0
	s_barrier_signal -1
	s_barrier_wait -1
	s_wait_xcnt 0x0
	v_cmpx_gt_u32_e32 24, v0
	s_cbranch_execz .LBB127_870
; %bb.861:
	v_cmp_ne_u32_e32 vcc_lo, 1, v134
	s_cbranch_vccnz .LBB127_863
; %bb.862:
	scratch_load_b64 v[132:133], v59, off
	ds_load_b64 v[136:137], v1
	s_wait_loadcnt_dscnt 0x0
	v_pk_mul_f32 v[138:139], v[136:137], v[132:133] op_sel:[1,1] op_sel_hi:[0,1]
	s_delay_alu instid0(VALU_DEP_1) | instskip(SKIP_1) | instid1(VALU_DEP_2)
	v_pk_fma_f32 v[140:141], v[136:137], v[132:133], v[138:139] op_sel_hi:[1,0,1]
	v_pk_fma_f32 v[132:133], v[136:137], v[132:133], v[138:139] neg_lo:[0,0,1] neg_hi:[0,0,1]
	v_mov_b32_e32 v133, v141
	s_cbranch_execz .LBB127_864
	s_branch .LBB127_865
.LBB127_863:
                                        ; implicit-def: $vgpr132_vgpr133
.LBB127_864:
	ds_load_b64 v[132:133], v1
.LBB127_865:
	s_mov_b32 s2, exec_lo
	v_cmpx_ne_u32_e32 23, v0
	s_cbranch_execz .LBB127_869
; %bb.866:
	v_add_nc_u32_e32 v135, 0x208, v58
	v_add3_u32 v136, 0, v58, 8
	v_mov_b32_e32 v137, v0
	s_mov_b32 s3, 0
.LBB127_867:                            ; =>This Inner Loop Header: Depth=1
	scratch_load_b64 v[138:139], v136, off
	ds_load_b64 v[140:141], v135
	s_wait_xcnt 0x0
	v_dual_add_nc_u32 v135, 8, v135 :: v_dual_add_nc_u32 v136, 8, v136
	s_wait_loadcnt_dscnt 0x0
	v_pk_mul_f32 v[142:143], v[140:141], v[138:139] op_sel:[1,1] op_sel_hi:[0,1]
	s_delay_alu instid0(VALU_DEP_1) | instskip(SKIP_2) | instid1(VALU_DEP_3)
	v_pk_fma_f32 v[144:145], v[140:141], v[138:139], v[142:143] op_sel_hi:[1,0,1]
	v_add_nc_u32_e32 v137, 1, v137
	v_pk_fma_f32 v[138:139], v[140:141], v[138:139], v[142:143] neg_lo:[0,0,1] neg_hi:[0,0,1]
	v_mov_b32_e32 v139, v145
	s_delay_alu instid0(VALU_DEP_3) | instskip(NEXT) | instid1(VALU_DEP_2)
	v_cmp_lt_u32_e32 vcc_lo, 22, v137
	v_pk_add_f32 v[132:133], v[132:133], v[138:139]
	s_or_b32 s3, vcc_lo, s3
	s_delay_alu instid0(SALU_CYCLE_1)
	s_and_not1_b32 exec_lo, exec_lo, s3
	s_cbranch_execnz .LBB127_867
; %bb.868:
	s_or_b32 exec_lo, exec_lo, s3
.LBB127_869:
	s_delay_alu instid0(SALU_CYCLE_1) | instskip(SKIP_4) | instid1(VALU_DEP_1)
	s_or_b32 exec_lo, exec_lo, s2
	v_mov_b32_e32 v135, 0
	ds_load_b64 v[136:137], v135 offset:192
	s_wait_dscnt 0x0
	v_pk_mul_f32 v[138:139], v[132:133], v[136:137] op_sel:[1,1] op_sel_hi:[0,1]
	v_pk_fma_f32 v[140:141], v[132:133], v[136:137], v[138:139] op_sel_hi:[1,0,1]
	v_pk_fma_f32 v[132:133], v[132:133], v[136:137], v[138:139] neg_lo:[0,0,1] neg_hi:[0,0,1]
	s_delay_alu instid0(VALU_DEP_2)
	v_mov_b32_e32 v133, v141
	scratch_store_b64 off, v[132:133], off offset:192
.LBB127_870:
	s_wait_xcnt 0x0
	s_or_b32 exec_lo, exec_lo, s0
	scratch_load_b64 v[132:133], off, off offset:200
	s_mov_b32 s0, exec_lo
	s_wait_loadcnt 0x0
	ds_store_b64 v1, v[132:133]
	s_wait_storecnt_dscnt 0x0
	s_barrier_signal -1
	s_barrier_wait -1
	s_wait_xcnt 0x0
	v_cmpx_gt_u32_e32 25, v0
	s_cbranch_execz .LBB127_880
; %bb.871:
	v_cmp_ne_u32_e32 vcc_lo, 1, v134
	s_cbranch_vccnz .LBB127_873
; %bb.872:
	scratch_load_b64 v[132:133], v59, off
	ds_load_b64 v[136:137], v1
	s_wait_loadcnt_dscnt 0x0
	v_pk_mul_f32 v[138:139], v[136:137], v[132:133] op_sel:[1,1] op_sel_hi:[0,1]
	s_delay_alu instid0(VALU_DEP_1) | instskip(SKIP_1) | instid1(VALU_DEP_2)
	v_pk_fma_f32 v[140:141], v[136:137], v[132:133], v[138:139] op_sel_hi:[1,0,1]
	v_pk_fma_f32 v[132:133], v[136:137], v[132:133], v[138:139] neg_lo:[0,0,1] neg_hi:[0,0,1]
	v_mov_b32_e32 v133, v141
	s_cbranch_execz .LBB127_874
	s_branch .LBB127_875
.LBB127_873:
                                        ; implicit-def: $vgpr132_vgpr133
.LBB127_874:
	ds_load_b64 v[132:133], v1
.LBB127_875:
	s_mov_b32 s2, exec_lo
	v_cmpx_ne_u32_e32 24, v0
	s_cbranch_execz .LBB127_879
; %bb.876:
	v_add_nc_u32_e32 v135, 0x208, v58
	v_add3_u32 v136, 0, v58, 8
	v_mov_b32_e32 v137, v0
	s_mov_b32 s3, 0
.LBB127_877:                            ; =>This Inner Loop Header: Depth=1
	scratch_load_b64 v[138:139], v136, off
	ds_load_b64 v[140:141], v135
	s_wait_xcnt 0x0
	v_dual_add_nc_u32 v135, 8, v135 :: v_dual_add_nc_u32 v136, 8, v136
	s_wait_loadcnt_dscnt 0x0
	v_pk_mul_f32 v[142:143], v[140:141], v[138:139] op_sel:[1,1] op_sel_hi:[0,1]
	s_delay_alu instid0(VALU_DEP_1) | instskip(SKIP_2) | instid1(VALU_DEP_3)
	v_pk_fma_f32 v[144:145], v[140:141], v[138:139], v[142:143] op_sel_hi:[1,0,1]
	v_add_nc_u32_e32 v137, 1, v137
	v_pk_fma_f32 v[138:139], v[140:141], v[138:139], v[142:143] neg_lo:[0,0,1] neg_hi:[0,0,1]
	v_mov_b32_e32 v139, v145
	s_delay_alu instid0(VALU_DEP_3) | instskip(NEXT) | instid1(VALU_DEP_2)
	v_cmp_lt_u32_e32 vcc_lo, 23, v137
	v_pk_add_f32 v[132:133], v[132:133], v[138:139]
	s_or_b32 s3, vcc_lo, s3
	s_delay_alu instid0(SALU_CYCLE_1)
	s_and_not1_b32 exec_lo, exec_lo, s3
	s_cbranch_execnz .LBB127_877
; %bb.878:
	s_or_b32 exec_lo, exec_lo, s3
.LBB127_879:
	s_delay_alu instid0(SALU_CYCLE_1) | instskip(SKIP_4) | instid1(VALU_DEP_1)
	s_or_b32 exec_lo, exec_lo, s2
	v_mov_b32_e32 v135, 0
	ds_load_b64 v[136:137], v135 offset:200
	s_wait_dscnt 0x0
	v_pk_mul_f32 v[138:139], v[132:133], v[136:137] op_sel:[1,1] op_sel_hi:[0,1]
	v_pk_fma_f32 v[140:141], v[132:133], v[136:137], v[138:139] op_sel_hi:[1,0,1]
	v_pk_fma_f32 v[132:133], v[132:133], v[136:137], v[138:139] neg_lo:[0,0,1] neg_hi:[0,0,1]
	s_delay_alu instid0(VALU_DEP_2)
	v_mov_b32_e32 v133, v141
	scratch_store_b64 off, v[132:133], off offset:200
.LBB127_880:
	s_wait_xcnt 0x0
	s_or_b32 exec_lo, exec_lo, s0
	scratch_load_b64 v[132:133], off, off offset:208
	s_mov_b32 s0, exec_lo
	s_wait_loadcnt 0x0
	ds_store_b64 v1, v[132:133]
	s_wait_storecnt_dscnt 0x0
	s_barrier_signal -1
	s_barrier_wait -1
	s_wait_xcnt 0x0
	v_cmpx_gt_u32_e32 26, v0
	s_cbranch_execz .LBB127_890
; %bb.881:
	v_cmp_ne_u32_e32 vcc_lo, 1, v134
	s_cbranch_vccnz .LBB127_883
; %bb.882:
	scratch_load_b64 v[132:133], v59, off
	ds_load_b64 v[136:137], v1
	s_wait_loadcnt_dscnt 0x0
	v_pk_mul_f32 v[138:139], v[136:137], v[132:133] op_sel:[1,1] op_sel_hi:[0,1]
	s_delay_alu instid0(VALU_DEP_1) | instskip(SKIP_1) | instid1(VALU_DEP_2)
	v_pk_fma_f32 v[140:141], v[136:137], v[132:133], v[138:139] op_sel_hi:[1,0,1]
	v_pk_fma_f32 v[132:133], v[136:137], v[132:133], v[138:139] neg_lo:[0,0,1] neg_hi:[0,0,1]
	v_mov_b32_e32 v133, v141
	s_cbranch_execz .LBB127_884
	s_branch .LBB127_885
.LBB127_883:
                                        ; implicit-def: $vgpr132_vgpr133
.LBB127_884:
	ds_load_b64 v[132:133], v1
.LBB127_885:
	s_mov_b32 s2, exec_lo
	v_cmpx_ne_u32_e32 25, v0
	s_cbranch_execz .LBB127_889
; %bb.886:
	v_add_nc_u32_e32 v135, 0x208, v58
	v_add3_u32 v136, 0, v58, 8
	v_mov_b32_e32 v137, v0
	s_mov_b32 s3, 0
.LBB127_887:                            ; =>This Inner Loop Header: Depth=1
	scratch_load_b64 v[138:139], v136, off
	ds_load_b64 v[140:141], v135
	s_wait_xcnt 0x0
	v_dual_add_nc_u32 v135, 8, v135 :: v_dual_add_nc_u32 v136, 8, v136
	s_wait_loadcnt_dscnt 0x0
	v_pk_mul_f32 v[142:143], v[140:141], v[138:139] op_sel:[1,1] op_sel_hi:[0,1]
	s_delay_alu instid0(VALU_DEP_1) | instskip(SKIP_2) | instid1(VALU_DEP_3)
	v_pk_fma_f32 v[144:145], v[140:141], v[138:139], v[142:143] op_sel_hi:[1,0,1]
	v_add_nc_u32_e32 v137, 1, v137
	v_pk_fma_f32 v[138:139], v[140:141], v[138:139], v[142:143] neg_lo:[0,0,1] neg_hi:[0,0,1]
	v_mov_b32_e32 v139, v145
	s_delay_alu instid0(VALU_DEP_3) | instskip(NEXT) | instid1(VALU_DEP_2)
	v_cmp_lt_u32_e32 vcc_lo, 24, v137
	v_pk_add_f32 v[132:133], v[132:133], v[138:139]
	s_or_b32 s3, vcc_lo, s3
	s_delay_alu instid0(SALU_CYCLE_1)
	s_and_not1_b32 exec_lo, exec_lo, s3
	s_cbranch_execnz .LBB127_887
; %bb.888:
	s_or_b32 exec_lo, exec_lo, s3
.LBB127_889:
	s_delay_alu instid0(SALU_CYCLE_1) | instskip(SKIP_4) | instid1(VALU_DEP_1)
	s_or_b32 exec_lo, exec_lo, s2
	v_mov_b32_e32 v135, 0
	ds_load_b64 v[136:137], v135 offset:208
	s_wait_dscnt 0x0
	v_pk_mul_f32 v[138:139], v[132:133], v[136:137] op_sel:[1,1] op_sel_hi:[0,1]
	v_pk_fma_f32 v[140:141], v[132:133], v[136:137], v[138:139] op_sel_hi:[1,0,1]
	v_pk_fma_f32 v[132:133], v[132:133], v[136:137], v[138:139] neg_lo:[0,0,1] neg_hi:[0,0,1]
	s_delay_alu instid0(VALU_DEP_2)
	v_mov_b32_e32 v133, v141
	scratch_store_b64 off, v[132:133], off offset:208
.LBB127_890:
	s_wait_xcnt 0x0
	s_or_b32 exec_lo, exec_lo, s0
	scratch_load_b64 v[132:133], off, off offset:216
	s_mov_b32 s0, exec_lo
	s_wait_loadcnt 0x0
	ds_store_b64 v1, v[132:133]
	s_wait_storecnt_dscnt 0x0
	s_barrier_signal -1
	s_barrier_wait -1
	s_wait_xcnt 0x0
	v_cmpx_gt_u32_e32 27, v0
	s_cbranch_execz .LBB127_900
; %bb.891:
	v_cmp_ne_u32_e32 vcc_lo, 1, v134
	s_cbranch_vccnz .LBB127_893
; %bb.892:
	scratch_load_b64 v[132:133], v59, off
	ds_load_b64 v[136:137], v1
	s_wait_loadcnt_dscnt 0x0
	v_pk_mul_f32 v[138:139], v[136:137], v[132:133] op_sel:[1,1] op_sel_hi:[0,1]
	s_delay_alu instid0(VALU_DEP_1) | instskip(SKIP_1) | instid1(VALU_DEP_2)
	v_pk_fma_f32 v[140:141], v[136:137], v[132:133], v[138:139] op_sel_hi:[1,0,1]
	v_pk_fma_f32 v[132:133], v[136:137], v[132:133], v[138:139] neg_lo:[0,0,1] neg_hi:[0,0,1]
	v_mov_b32_e32 v133, v141
	s_cbranch_execz .LBB127_894
	s_branch .LBB127_895
.LBB127_893:
                                        ; implicit-def: $vgpr132_vgpr133
.LBB127_894:
	ds_load_b64 v[132:133], v1
.LBB127_895:
	s_mov_b32 s2, exec_lo
	v_cmpx_ne_u32_e32 26, v0
	s_cbranch_execz .LBB127_899
; %bb.896:
	v_add_nc_u32_e32 v135, 0x208, v58
	v_add3_u32 v136, 0, v58, 8
	v_mov_b32_e32 v137, v0
	s_mov_b32 s3, 0
.LBB127_897:                            ; =>This Inner Loop Header: Depth=1
	scratch_load_b64 v[138:139], v136, off
	ds_load_b64 v[140:141], v135
	s_wait_xcnt 0x0
	v_dual_add_nc_u32 v135, 8, v135 :: v_dual_add_nc_u32 v136, 8, v136
	s_wait_loadcnt_dscnt 0x0
	v_pk_mul_f32 v[142:143], v[140:141], v[138:139] op_sel:[1,1] op_sel_hi:[0,1]
	s_delay_alu instid0(VALU_DEP_1) | instskip(SKIP_2) | instid1(VALU_DEP_3)
	v_pk_fma_f32 v[144:145], v[140:141], v[138:139], v[142:143] op_sel_hi:[1,0,1]
	v_add_nc_u32_e32 v137, 1, v137
	v_pk_fma_f32 v[138:139], v[140:141], v[138:139], v[142:143] neg_lo:[0,0,1] neg_hi:[0,0,1]
	v_mov_b32_e32 v139, v145
	s_delay_alu instid0(VALU_DEP_3) | instskip(NEXT) | instid1(VALU_DEP_2)
	v_cmp_lt_u32_e32 vcc_lo, 25, v137
	v_pk_add_f32 v[132:133], v[132:133], v[138:139]
	s_or_b32 s3, vcc_lo, s3
	s_delay_alu instid0(SALU_CYCLE_1)
	s_and_not1_b32 exec_lo, exec_lo, s3
	s_cbranch_execnz .LBB127_897
; %bb.898:
	s_or_b32 exec_lo, exec_lo, s3
.LBB127_899:
	s_delay_alu instid0(SALU_CYCLE_1) | instskip(SKIP_4) | instid1(VALU_DEP_1)
	s_or_b32 exec_lo, exec_lo, s2
	v_mov_b32_e32 v135, 0
	ds_load_b64 v[136:137], v135 offset:216
	s_wait_dscnt 0x0
	v_pk_mul_f32 v[138:139], v[132:133], v[136:137] op_sel:[1,1] op_sel_hi:[0,1]
	v_pk_fma_f32 v[140:141], v[132:133], v[136:137], v[138:139] op_sel_hi:[1,0,1]
	v_pk_fma_f32 v[132:133], v[132:133], v[136:137], v[138:139] neg_lo:[0,0,1] neg_hi:[0,0,1]
	s_delay_alu instid0(VALU_DEP_2)
	v_mov_b32_e32 v133, v141
	scratch_store_b64 off, v[132:133], off offset:216
.LBB127_900:
	s_wait_xcnt 0x0
	s_or_b32 exec_lo, exec_lo, s0
	scratch_load_b64 v[132:133], off, off offset:224
	s_mov_b32 s0, exec_lo
	s_wait_loadcnt 0x0
	ds_store_b64 v1, v[132:133]
	s_wait_storecnt_dscnt 0x0
	s_barrier_signal -1
	s_barrier_wait -1
	s_wait_xcnt 0x0
	v_cmpx_gt_u32_e32 28, v0
	s_cbranch_execz .LBB127_910
; %bb.901:
	v_cmp_ne_u32_e32 vcc_lo, 1, v134
	s_cbranch_vccnz .LBB127_903
; %bb.902:
	scratch_load_b64 v[132:133], v59, off
	ds_load_b64 v[136:137], v1
	s_wait_loadcnt_dscnt 0x0
	v_pk_mul_f32 v[138:139], v[136:137], v[132:133] op_sel:[1,1] op_sel_hi:[0,1]
	s_delay_alu instid0(VALU_DEP_1) | instskip(SKIP_1) | instid1(VALU_DEP_2)
	v_pk_fma_f32 v[140:141], v[136:137], v[132:133], v[138:139] op_sel_hi:[1,0,1]
	v_pk_fma_f32 v[132:133], v[136:137], v[132:133], v[138:139] neg_lo:[0,0,1] neg_hi:[0,0,1]
	v_mov_b32_e32 v133, v141
	s_cbranch_execz .LBB127_904
	s_branch .LBB127_905
.LBB127_903:
                                        ; implicit-def: $vgpr132_vgpr133
.LBB127_904:
	ds_load_b64 v[132:133], v1
.LBB127_905:
	s_mov_b32 s2, exec_lo
	v_cmpx_ne_u32_e32 27, v0
	s_cbranch_execz .LBB127_909
; %bb.906:
	v_add_nc_u32_e32 v135, 0x208, v58
	v_add3_u32 v136, 0, v58, 8
	v_mov_b32_e32 v137, v0
	s_mov_b32 s3, 0
.LBB127_907:                            ; =>This Inner Loop Header: Depth=1
	scratch_load_b64 v[138:139], v136, off
	ds_load_b64 v[140:141], v135
	s_wait_xcnt 0x0
	v_dual_add_nc_u32 v135, 8, v135 :: v_dual_add_nc_u32 v136, 8, v136
	s_wait_loadcnt_dscnt 0x0
	v_pk_mul_f32 v[142:143], v[140:141], v[138:139] op_sel:[1,1] op_sel_hi:[0,1]
	s_delay_alu instid0(VALU_DEP_1) | instskip(SKIP_2) | instid1(VALU_DEP_3)
	v_pk_fma_f32 v[144:145], v[140:141], v[138:139], v[142:143] op_sel_hi:[1,0,1]
	v_add_nc_u32_e32 v137, 1, v137
	v_pk_fma_f32 v[138:139], v[140:141], v[138:139], v[142:143] neg_lo:[0,0,1] neg_hi:[0,0,1]
	v_mov_b32_e32 v139, v145
	s_delay_alu instid0(VALU_DEP_3) | instskip(NEXT) | instid1(VALU_DEP_2)
	v_cmp_lt_u32_e32 vcc_lo, 26, v137
	v_pk_add_f32 v[132:133], v[132:133], v[138:139]
	s_or_b32 s3, vcc_lo, s3
	s_delay_alu instid0(SALU_CYCLE_1)
	s_and_not1_b32 exec_lo, exec_lo, s3
	s_cbranch_execnz .LBB127_907
; %bb.908:
	s_or_b32 exec_lo, exec_lo, s3
.LBB127_909:
	s_delay_alu instid0(SALU_CYCLE_1) | instskip(SKIP_4) | instid1(VALU_DEP_1)
	s_or_b32 exec_lo, exec_lo, s2
	v_mov_b32_e32 v135, 0
	ds_load_b64 v[136:137], v135 offset:224
	s_wait_dscnt 0x0
	v_pk_mul_f32 v[138:139], v[132:133], v[136:137] op_sel:[1,1] op_sel_hi:[0,1]
	v_pk_fma_f32 v[140:141], v[132:133], v[136:137], v[138:139] op_sel_hi:[1,0,1]
	v_pk_fma_f32 v[132:133], v[132:133], v[136:137], v[138:139] neg_lo:[0,0,1] neg_hi:[0,0,1]
	s_delay_alu instid0(VALU_DEP_2)
	v_mov_b32_e32 v133, v141
	scratch_store_b64 off, v[132:133], off offset:224
.LBB127_910:
	s_wait_xcnt 0x0
	s_or_b32 exec_lo, exec_lo, s0
	scratch_load_b64 v[132:133], off, off offset:232
	s_mov_b32 s0, exec_lo
	s_wait_loadcnt 0x0
	ds_store_b64 v1, v[132:133]
	s_wait_storecnt_dscnt 0x0
	s_barrier_signal -1
	s_barrier_wait -1
	s_wait_xcnt 0x0
	v_cmpx_gt_u32_e32 29, v0
	s_cbranch_execz .LBB127_920
; %bb.911:
	v_cmp_ne_u32_e32 vcc_lo, 1, v134
	s_cbranch_vccnz .LBB127_913
; %bb.912:
	scratch_load_b64 v[132:133], v59, off
	ds_load_b64 v[136:137], v1
	s_wait_loadcnt_dscnt 0x0
	v_pk_mul_f32 v[138:139], v[136:137], v[132:133] op_sel:[1,1] op_sel_hi:[0,1]
	s_delay_alu instid0(VALU_DEP_1) | instskip(SKIP_1) | instid1(VALU_DEP_2)
	v_pk_fma_f32 v[140:141], v[136:137], v[132:133], v[138:139] op_sel_hi:[1,0,1]
	v_pk_fma_f32 v[132:133], v[136:137], v[132:133], v[138:139] neg_lo:[0,0,1] neg_hi:[0,0,1]
	v_mov_b32_e32 v133, v141
	s_cbranch_execz .LBB127_914
	s_branch .LBB127_915
.LBB127_913:
                                        ; implicit-def: $vgpr132_vgpr133
.LBB127_914:
	ds_load_b64 v[132:133], v1
.LBB127_915:
	s_mov_b32 s2, exec_lo
	v_cmpx_ne_u32_e32 28, v0
	s_cbranch_execz .LBB127_919
; %bb.916:
	v_add_nc_u32_e32 v135, 0x208, v58
	v_add3_u32 v136, 0, v58, 8
	v_mov_b32_e32 v137, v0
	s_mov_b32 s3, 0
.LBB127_917:                            ; =>This Inner Loop Header: Depth=1
	scratch_load_b64 v[138:139], v136, off
	ds_load_b64 v[140:141], v135
	s_wait_xcnt 0x0
	v_dual_add_nc_u32 v135, 8, v135 :: v_dual_add_nc_u32 v136, 8, v136
	s_wait_loadcnt_dscnt 0x0
	v_pk_mul_f32 v[142:143], v[140:141], v[138:139] op_sel:[1,1] op_sel_hi:[0,1]
	s_delay_alu instid0(VALU_DEP_1) | instskip(SKIP_2) | instid1(VALU_DEP_3)
	v_pk_fma_f32 v[144:145], v[140:141], v[138:139], v[142:143] op_sel_hi:[1,0,1]
	v_add_nc_u32_e32 v137, 1, v137
	v_pk_fma_f32 v[138:139], v[140:141], v[138:139], v[142:143] neg_lo:[0,0,1] neg_hi:[0,0,1]
	v_mov_b32_e32 v139, v145
	s_delay_alu instid0(VALU_DEP_3) | instskip(NEXT) | instid1(VALU_DEP_2)
	v_cmp_lt_u32_e32 vcc_lo, 27, v137
	v_pk_add_f32 v[132:133], v[132:133], v[138:139]
	s_or_b32 s3, vcc_lo, s3
	s_delay_alu instid0(SALU_CYCLE_1)
	s_and_not1_b32 exec_lo, exec_lo, s3
	s_cbranch_execnz .LBB127_917
; %bb.918:
	s_or_b32 exec_lo, exec_lo, s3
.LBB127_919:
	s_delay_alu instid0(SALU_CYCLE_1) | instskip(SKIP_4) | instid1(VALU_DEP_1)
	s_or_b32 exec_lo, exec_lo, s2
	v_mov_b32_e32 v135, 0
	ds_load_b64 v[136:137], v135 offset:232
	s_wait_dscnt 0x0
	v_pk_mul_f32 v[138:139], v[132:133], v[136:137] op_sel:[1,1] op_sel_hi:[0,1]
	v_pk_fma_f32 v[140:141], v[132:133], v[136:137], v[138:139] op_sel_hi:[1,0,1]
	v_pk_fma_f32 v[132:133], v[132:133], v[136:137], v[138:139] neg_lo:[0,0,1] neg_hi:[0,0,1]
	s_delay_alu instid0(VALU_DEP_2)
	v_mov_b32_e32 v133, v141
	scratch_store_b64 off, v[132:133], off offset:232
.LBB127_920:
	s_wait_xcnt 0x0
	s_or_b32 exec_lo, exec_lo, s0
	scratch_load_b64 v[132:133], off, off offset:240
	s_mov_b32 s0, exec_lo
	s_wait_loadcnt 0x0
	ds_store_b64 v1, v[132:133]
	s_wait_storecnt_dscnt 0x0
	s_barrier_signal -1
	s_barrier_wait -1
	s_wait_xcnt 0x0
	v_cmpx_gt_u32_e32 30, v0
	s_cbranch_execz .LBB127_930
; %bb.921:
	v_cmp_ne_u32_e32 vcc_lo, 1, v134
	s_cbranch_vccnz .LBB127_923
; %bb.922:
	scratch_load_b64 v[132:133], v59, off
	ds_load_b64 v[136:137], v1
	s_wait_loadcnt_dscnt 0x0
	v_pk_mul_f32 v[138:139], v[136:137], v[132:133] op_sel:[1,1] op_sel_hi:[0,1]
	s_delay_alu instid0(VALU_DEP_1) | instskip(SKIP_1) | instid1(VALU_DEP_2)
	v_pk_fma_f32 v[140:141], v[136:137], v[132:133], v[138:139] op_sel_hi:[1,0,1]
	v_pk_fma_f32 v[132:133], v[136:137], v[132:133], v[138:139] neg_lo:[0,0,1] neg_hi:[0,0,1]
	v_mov_b32_e32 v133, v141
	s_cbranch_execz .LBB127_924
	s_branch .LBB127_925
.LBB127_923:
                                        ; implicit-def: $vgpr132_vgpr133
.LBB127_924:
	ds_load_b64 v[132:133], v1
.LBB127_925:
	s_mov_b32 s2, exec_lo
	v_cmpx_ne_u32_e32 29, v0
	s_cbranch_execz .LBB127_929
; %bb.926:
	v_add_nc_u32_e32 v135, 0x208, v58
	v_add3_u32 v136, 0, v58, 8
	v_mov_b32_e32 v137, v0
	s_mov_b32 s3, 0
.LBB127_927:                            ; =>This Inner Loop Header: Depth=1
	scratch_load_b64 v[138:139], v136, off
	ds_load_b64 v[140:141], v135
	s_wait_xcnt 0x0
	v_dual_add_nc_u32 v135, 8, v135 :: v_dual_add_nc_u32 v136, 8, v136
	s_wait_loadcnt_dscnt 0x0
	v_pk_mul_f32 v[142:143], v[140:141], v[138:139] op_sel:[1,1] op_sel_hi:[0,1]
	s_delay_alu instid0(VALU_DEP_1) | instskip(SKIP_2) | instid1(VALU_DEP_3)
	v_pk_fma_f32 v[144:145], v[140:141], v[138:139], v[142:143] op_sel_hi:[1,0,1]
	v_add_nc_u32_e32 v137, 1, v137
	v_pk_fma_f32 v[138:139], v[140:141], v[138:139], v[142:143] neg_lo:[0,0,1] neg_hi:[0,0,1]
	v_mov_b32_e32 v139, v145
	s_delay_alu instid0(VALU_DEP_3) | instskip(NEXT) | instid1(VALU_DEP_2)
	v_cmp_lt_u32_e32 vcc_lo, 28, v137
	v_pk_add_f32 v[132:133], v[132:133], v[138:139]
	s_or_b32 s3, vcc_lo, s3
	s_delay_alu instid0(SALU_CYCLE_1)
	s_and_not1_b32 exec_lo, exec_lo, s3
	s_cbranch_execnz .LBB127_927
; %bb.928:
	s_or_b32 exec_lo, exec_lo, s3
.LBB127_929:
	s_delay_alu instid0(SALU_CYCLE_1) | instskip(SKIP_4) | instid1(VALU_DEP_1)
	s_or_b32 exec_lo, exec_lo, s2
	v_mov_b32_e32 v135, 0
	ds_load_b64 v[136:137], v135 offset:240
	s_wait_dscnt 0x0
	v_pk_mul_f32 v[138:139], v[132:133], v[136:137] op_sel:[1,1] op_sel_hi:[0,1]
	v_pk_fma_f32 v[140:141], v[132:133], v[136:137], v[138:139] op_sel_hi:[1,0,1]
	v_pk_fma_f32 v[132:133], v[132:133], v[136:137], v[138:139] neg_lo:[0,0,1] neg_hi:[0,0,1]
	s_delay_alu instid0(VALU_DEP_2)
	v_mov_b32_e32 v133, v141
	scratch_store_b64 off, v[132:133], off offset:240
.LBB127_930:
	s_wait_xcnt 0x0
	s_or_b32 exec_lo, exec_lo, s0
	scratch_load_b64 v[132:133], off, off offset:248
	s_mov_b32 s0, exec_lo
	s_wait_loadcnt 0x0
	ds_store_b64 v1, v[132:133]
	s_wait_storecnt_dscnt 0x0
	s_barrier_signal -1
	s_barrier_wait -1
	s_wait_xcnt 0x0
	v_cmpx_gt_u32_e32 31, v0
	s_cbranch_execz .LBB127_940
; %bb.931:
	v_cmp_ne_u32_e32 vcc_lo, 1, v134
	s_cbranch_vccnz .LBB127_933
; %bb.932:
	scratch_load_b64 v[132:133], v59, off
	ds_load_b64 v[136:137], v1
	s_wait_loadcnt_dscnt 0x0
	v_pk_mul_f32 v[138:139], v[136:137], v[132:133] op_sel:[1,1] op_sel_hi:[0,1]
	s_delay_alu instid0(VALU_DEP_1) | instskip(SKIP_1) | instid1(VALU_DEP_2)
	v_pk_fma_f32 v[140:141], v[136:137], v[132:133], v[138:139] op_sel_hi:[1,0,1]
	v_pk_fma_f32 v[132:133], v[136:137], v[132:133], v[138:139] neg_lo:[0,0,1] neg_hi:[0,0,1]
	v_mov_b32_e32 v133, v141
	s_cbranch_execz .LBB127_934
	s_branch .LBB127_935
.LBB127_933:
                                        ; implicit-def: $vgpr132_vgpr133
.LBB127_934:
	ds_load_b64 v[132:133], v1
.LBB127_935:
	s_mov_b32 s2, exec_lo
	v_cmpx_ne_u32_e32 30, v0
	s_cbranch_execz .LBB127_939
; %bb.936:
	v_add_nc_u32_e32 v135, 0x208, v58
	v_add3_u32 v136, 0, v58, 8
	v_mov_b32_e32 v137, v0
	s_mov_b32 s3, 0
.LBB127_937:                            ; =>This Inner Loop Header: Depth=1
	scratch_load_b64 v[138:139], v136, off
	ds_load_b64 v[140:141], v135
	s_wait_xcnt 0x0
	v_dual_add_nc_u32 v135, 8, v135 :: v_dual_add_nc_u32 v136, 8, v136
	s_wait_loadcnt_dscnt 0x0
	v_pk_mul_f32 v[142:143], v[140:141], v[138:139] op_sel:[1,1] op_sel_hi:[0,1]
	s_delay_alu instid0(VALU_DEP_1) | instskip(SKIP_2) | instid1(VALU_DEP_3)
	v_pk_fma_f32 v[144:145], v[140:141], v[138:139], v[142:143] op_sel_hi:[1,0,1]
	v_add_nc_u32_e32 v137, 1, v137
	v_pk_fma_f32 v[138:139], v[140:141], v[138:139], v[142:143] neg_lo:[0,0,1] neg_hi:[0,0,1]
	v_mov_b32_e32 v139, v145
	s_delay_alu instid0(VALU_DEP_3) | instskip(NEXT) | instid1(VALU_DEP_2)
	v_cmp_lt_u32_e32 vcc_lo, 29, v137
	v_pk_add_f32 v[132:133], v[132:133], v[138:139]
	s_or_b32 s3, vcc_lo, s3
	s_delay_alu instid0(SALU_CYCLE_1)
	s_and_not1_b32 exec_lo, exec_lo, s3
	s_cbranch_execnz .LBB127_937
; %bb.938:
	s_or_b32 exec_lo, exec_lo, s3
.LBB127_939:
	s_delay_alu instid0(SALU_CYCLE_1) | instskip(SKIP_4) | instid1(VALU_DEP_1)
	s_or_b32 exec_lo, exec_lo, s2
	v_mov_b32_e32 v135, 0
	ds_load_b64 v[136:137], v135 offset:248
	s_wait_dscnt 0x0
	v_pk_mul_f32 v[138:139], v[132:133], v[136:137] op_sel:[1,1] op_sel_hi:[0,1]
	v_pk_fma_f32 v[140:141], v[132:133], v[136:137], v[138:139] op_sel_hi:[1,0,1]
	v_pk_fma_f32 v[132:133], v[132:133], v[136:137], v[138:139] neg_lo:[0,0,1] neg_hi:[0,0,1]
	s_delay_alu instid0(VALU_DEP_2)
	v_mov_b32_e32 v133, v141
	scratch_store_b64 off, v[132:133], off offset:248
.LBB127_940:
	s_wait_xcnt 0x0
	s_or_b32 exec_lo, exec_lo, s0
	scratch_load_b64 v[132:133], off, off offset:256
	s_mov_b32 s0, exec_lo
	s_wait_loadcnt 0x0
	ds_store_b64 v1, v[132:133]
	s_wait_storecnt_dscnt 0x0
	s_barrier_signal -1
	s_barrier_wait -1
	s_wait_xcnt 0x0
	v_cmpx_gt_u32_e32 32, v0
	s_cbranch_execz .LBB127_950
; %bb.941:
	v_cmp_ne_u32_e32 vcc_lo, 1, v134
	s_cbranch_vccnz .LBB127_943
; %bb.942:
	scratch_load_b64 v[132:133], v59, off
	ds_load_b64 v[136:137], v1
	s_wait_loadcnt_dscnt 0x0
	v_pk_mul_f32 v[138:139], v[136:137], v[132:133] op_sel:[1,1] op_sel_hi:[0,1]
	s_delay_alu instid0(VALU_DEP_1) | instskip(SKIP_1) | instid1(VALU_DEP_2)
	v_pk_fma_f32 v[140:141], v[136:137], v[132:133], v[138:139] op_sel_hi:[1,0,1]
	v_pk_fma_f32 v[132:133], v[136:137], v[132:133], v[138:139] neg_lo:[0,0,1] neg_hi:[0,0,1]
	v_mov_b32_e32 v133, v141
	s_cbranch_execz .LBB127_944
	s_branch .LBB127_945
.LBB127_943:
                                        ; implicit-def: $vgpr132_vgpr133
.LBB127_944:
	ds_load_b64 v[132:133], v1
.LBB127_945:
	s_mov_b32 s2, exec_lo
	v_cmpx_ne_u32_e32 31, v0
	s_cbranch_execz .LBB127_949
; %bb.946:
	v_add_nc_u32_e32 v135, 0x208, v58
	v_add3_u32 v136, 0, v58, 8
	v_mov_b32_e32 v137, v0
	s_mov_b32 s3, 0
.LBB127_947:                            ; =>This Inner Loop Header: Depth=1
	scratch_load_b64 v[138:139], v136, off
	ds_load_b64 v[140:141], v135
	s_wait_xcnt 0x0
	v_dual_add_nc_u32 v135, 8, v135 :: v_dual_add_nc_u32 v136, 8, v136
	s_wait_loadcnt_dscnt 0x0
	v_pk_mul_f32 v[142:143], v[140:141], v[138:139] op_sel:[1,1] op_sel_hi:[0,1]
	s_delay_alu instid0(VALU_DEP_1) | instskip(SKIP_2) | instid1(VALU_DEP_3)
	v_pk_fma_f32 v[144:145], v[140:141], v[138:139], v[142:143] op_sel_hi:[1,0,1]
	v_add_nc_u32_e32 v137, 1, v137
	v_pk_fma_f32 v[138:139], v[140:141], v[138:139], v[142:143] neg_lo:[0,0,1] neg_hi:[0,0,1]
	v_mov_b32_e32 v139, v145
	s_delay_alu instid0(VALU_DEP_3) | instskip(NEXT) | instid1(VALU_DEP_2)
	v_cmp_lt_u32_e32 vcc_lo, 30, v137
	v_pk_add_f32 v[132:133], v[132:133], v[138:139]
	s_or_b32 s3, vcc_lo, s3
	s_delay_alu instid0(SALU_CYCLE_1)
	s_and_not1_b32 exec_lo, exec_lo, s3
	s_cbranch_execnz .LBB127_947
; %bb.948:
	s_or_b32 exec_lo, exec_lo, s3
.LBB127_949:
	s_delay_alu instid0(SALU_CYCLE_1) | instskip(SKIP_4) | instid1(VALU_DEP_1)
	s_or_b32 exec_lo, exec_lo, s2
	v_mov_b32_e32 v135, 0
	ds_load_b64 v[136:137], v135 offset:256
	s_wait_dscnt 0x0
	v_pk_mul_f32 v[138:139], v[132:133], v[136:137] op_sel:[1,1] op_sel_hi:[0,1]
	v_pk_fma_f32 v[140:141], v[132:133], v[136:137], v[138:139] op_sel_hi:[1,0,1]
	v_pk_fma_f32 v[132:133], v[132:133], v[136:137], v[138:139] neg_lo:[0,0,1] neg_hi:[0,0,1]
	s_delay_alu instid0(VALU_DEP_2)
	v_mov_b32_e32 v133, v141
	scratch_store_b64 off, v[132:133], off offset:256
.LBB127_950:
	s_wait_xcnt 0x0
	s_or_b32 exec_lo, exec_lo, s0
	scratch_load_b64 v[132:133], off, off offset:264
	s_mov_b32 s0, exec_lo
	s_wait_loadcnt 0x0
	ds_store_b64 v1, v[132:133]
	s_wait_storecnt_dscnt 0x0
	s_barrier_signal -1
	s_barrier_wait -1
	s_wait_xcnt 0x0
	v_cmpx_gt_u32_e32 33, v0
	s_cbranch_execz .LBB127_960
; %bb.951:
	v_cmp_ne_u32_e32 vcc_lo, 1, v134
	s_cbranch_vccnz .LBB127_953
; %bb.952:
	scratch_load_b64 v[132:133], v59, off
	ds_load_b64 v[136:137], v1
	s_wait_loadcnt_dscnt 0x0
	v_pk_mul_f32 v[138:139], v[136:137], v[132:133] op_sel:[1,1] op_sel_hi:[0,1]
	s_delay_alu instid0(VALU_DEP_1) | instskip(SKIP_1) | instid1(VALU_DEP_2)
	v_pk_fma_f32 v[140:141], v[136:137], v[132:133], v[138:139] op_sel_hi:[1,0,1]
	v_pk_fma_f32 v[132:133], v[136:137], v[132:133], v[138:139] neg_lo:[0,0,1] neg_hi:[0,0,1]
	v_mov_b32_e32 v133, v141
	s_cbranch_execz .LBB127_954
	s_branch .LBB127_955
.LBB127_953:
                                        ; implicit-def: $vgpr132_vgpr133
.LBB127_954:
	ds_load_b64 v[132:133], v1
.LBB127_955:
	s_mov_b32 s2, exec_lo
	v_cmpx_ne_u32_e32 32, v0
	s_cbranch_execz .LBB127_959
; %bb.956:
	v_add_nc_u32_e32 v135, 0x208, v58
	v_add3_u32 v136, 0, v58, 8
	v_mov_b32_e32 v137, v0
	s_mov_b32 s3, 0
.LBB127_957:                            ; =>This Inner Loop Header: Depth=1
	scratch_load_b64 v[138:139], v136, off
	ds_load_b64 v[140:141], v135
	s_wait_xcnt 0x0
	v_dual_add_nc_u32 v135, 8, v135 :: v_dual_add_nc_u32 v136, 8, v136
	s_wait_loadcnt_dscnt 0x0
	v_pk_mul_f32 v[142:143], v[140:141], v[138:139] op_sel:[1,1] op_sel_hi:[0,1]
	s_delay_alu instid0(VALU_DEP_1) | instskip(SKIP_2) | instid1(VALU_DEP_3)
	v_pk_fma_f32 v[144:145], v[140:141], v[138:139], v[142:143] op_sel_hi:[1,0,1]
	v_add_nc_u32_e32 v137, 1, v137
	v_pk_fma_f32 v[138:139], v[140:141], v[138:139], v[142:143] neg_lo:[0,0,1] neg_hi:[0,0,1]
	v_mov_b32_e32 v139, v145
	s_delay_alu instid0(VALU_DEP_3) | instskip(NEXT) | instid1(VALU_DEP_2)
	v_cmp_lt_u32_e32 vcc_lo, 31, v137
	v_pk_add_f32 v[132:133], v[132:133], v[138:139]
	s_or_b32 s3, vcc_lo, s3
	s_delay_alu instid0(SALU_CYCLE_1)
	s_and_not1_b32 exec_lo, exec_lo, s3
	s_cbranch_execnz .LBB127_957
; %bb.958:
	s_or_b32 exec_lo, exec_lo, s3
.LBB127_959:
	s_delay_alu instid0(SALU_CYCLE_1) | instskip(SKIP_4) | instid1(VALU_DEP_1)
	s_or_b32 exec_lo, exec_lo, s2
	v_mov_b32_e32 v135, 0
	ds_load_b64 v[136:137], v135 offset:264
	s_wait_dscnt 0x0
	v_pk_mul_f32 v[138:139], v[132:133], v[136:137] op_sel:[1,1] op_sel_hi:[0,1]
	v_pk_fma_f32 v[140:141], v[132:133], v[136:137], v[138:139] op_sel_hi:[1,0,1]
	v_pk_fma_f32 v[132:133], v[132:133], v[136:137], v[138:139] neg_lo:[0,0,1] neg_hi:[0,0,1]
	s_delay_alu instid0(VALU_DEP_2)
	v_mov_b32_e32 v133, v141
	scratch_store_b64 off, v[132:133], off offset:264
.LBB127_960:
	s_wait_xcnt 0x0
	s_or_b32 exec_lo, exec_lo, s0
	scratch_load_b64 v[132:133], off, off offset:272
	s_mov_b32 s0, exec_lo
	s_wait_loadcnt 0x0
	ds_store_b64 v1, v[132:133]
	s_wait_storecnt_dscnt 0x0
	s_barrier_signal -1
	s_barrier_wait -1
	s_wait_xcnt 0x0
	v_cmpx_gt_u32_e32 34, v0
	s_cbranch_execz .LBB127_970
; %bb.961:
	v_cmp_ne_u32_e32 vcc_lo, 1, v134
	s_cbranch_vccnz .LBB127_963
; %bb.962:
	scratch_load_b64 v[132:133], v59, off
	ds_load_b64 v[136:137], v1
	s_wait_loadcnt_dscnt 0x0
	v_pk_mul_f32 v[138:139], v[136:137], v[132:133] op_sel:[1,1] op_sel_hi:[0,1]
	s_delay_alu instid0(VALU_DEP_1) | instskip(SKIP_1) | instid1(VALU_DEP_2)
	v_pk_fma_f32 v[140:141], v[136:137], v[132:133], v[138:139] op_sel_hi:[1,0,1]
	v_pk_fma_f32 v[132:133], v[136:137], v[132:133], v[138:139] neg_lo:[0,0,1] neg_hi:[0,0,1]
	v_mov_b32_e32 v133, v141
	s_cbranch_execz .LBB127_964
	s_branch .LBB127_965
.LBB127_963:
                                        ; implicit-def: $vgpr132_vgpr133
.LBB127_964:
	ds_load_b64 v[132:133], v1
.LBB127_965:
	s_mov_b32 s2, exec_lo
	v_cmpx_ne_u32_e32 33, v0
	s_cbranch_execz .LBB127_969
; %bb.966:
	v_add_nc_u32_e32 v135, 0x208, v58
	v_add3_u32 v136, 0, v58, 8
	v_mov_b32_e32 v137, v0
	s_mov_b32 s3, 0
.LBB127_967:                            ; =>This Inner Loop Header: Depth=1
	scratch_load_b64 v[138:139], v136, off
	ds_load_b64 v[140:141], v135
	s_wait_xcnt 0x0
	v_dual_add_nc_u32 v135, 8, v135 :: v_dual_add_nc_u32 v136, 8, v136
	s_wait_loadcnt_dscnt 0x0
	v_pk_mul_f32 v[142:143], v[140:141], v[138:139] op_sel:[1,1] op_sel_hi:[0,1]
	s_delay_alu instid0(VALU_DEP_1) | instskip(SKIP_2) | instid1(VALU_DEP_3)
	v_pk_fma_f32 v[144:145], v[140:141], v[138:139], v[142:143] op_sel_hi:[1,0,1]
	v_add_nc_u32_e32 v137, 1, v137
	v_pk_fma_f32 v[138:139], v[140:141], v[138:139], v[142:143] neg_lo:[0,0,1] neg_hi:[0,0,1]
	v_mov_b32_e32 v139, v145
	s_delay_alu instid0(VALU_DEP_3) | instskip(NEXT) | instid1(VALU_DEP_2)
	v_cmp_lt_u32_e32 vcc_lo, 32, v137
	v_pk_add_f32 v[132:133], v[132:133], v[138:139]
	s_or_b32 s3, vcc_lo, s3
	s_delay_alu instid0(SALU_CYCLE_1)
	s_and_not1_b32 exec_lo, exec_lo, s3
	s_cbranch_execnz .LBB127_967
; %bb.968:
	s_or_b32 exec_lo, exec_lo, s3
.LBB127_969:
	s_delay_alu instid0(SALU_CYCLE_1) | instskip(SKIP_4) | instid1(VALU_DEP_1)
	s_or_b32 exec_lo, exec_lo, s2
	v_mov_b32_e32 v135, 0
	ds_load_b64 v[136:137], v135 offset:272
	s_wait_dscnt 0x0
	v_pk_mul_f32 v[138:139], v[132:133], v[136:137] op_sel:[1,1] op_sel_hi:[0,1]
	v_pk_fma_f32 v[140:141], v[132:133], v[136:137], v[138:139] op_sel_hi:[1,0,1]
	v_pk_fma_f32 v[132:133], v[132:133], v[136:137], v[138:139] neg_lo:[0,0,1] neg_hi:[0,0,1]
	s_delay_alu instid0(VALU_DEP_2)
	v_mov_b32_e32 v133, v141
	scratch_store_b64 off, v[132:133], off offset:272
.LBB127_970:
	s_wait_xcnt 0x0
	s_or_b32 exec_lo, exec_lo, s0
	scratch_load_b64 v[132:133], off, off offset:280
	s_mov_b32 s0, exec_lo
	s_wait_loadcnt 0x0
	ds_store_b64 v1, v[132:133]
	s_wait_storecnt_dscnt 0x0
	s_barrier_signal -1
	s_barrier_wait -1
	s_wait_xcnt 0x0
	v_cmpx_gt_u32_e32 35, v0
	s_cbranch_execz .LBB127_980
; %bb.971:
	v_cmp_ne_u32_e32 vcc_lo, 1, v134
	s_cbranch_vccnz .LBB127_973
; %bb.972:
	scratch_load_b64 v[132:133], v59, off
	ds_load_b64 v[136:137], v1
	s_wait_loadcnt_dscnt 0x0
	v_pk_mul_f32 v[138:139], v[136:137], v[132:133] op_sel:[1,1] op_sel_hi:[0,1]
	s_delay_alu instid0(VALU_DEP_1) | instskip(SKIP_1) | instid1(VALU_DEP_2)
	v_pk_fma_f32 v[140:141], v[136:137], v[132:133], v[138:139] op_sel_hi:[1,0,1]
	v_pk_fma_f32 v[132:133], v[136:137], v[132:133], v[138:139] neg_lo:[0,0,1] neg_hi:[0,0,1]
	v_mov_b32_e32 v133, v141
	s_cbranch_execz .LBB127_974
	s_branch .LBB127_975
.LBB127_973:
                                        ; implicit-def: $vgpr132_vgpr133
.LBB127_974:
	ds_load_b64 v[132:133], v1
.LBB127_975:
	s_mov_b32 s2, exec_lo
	v_cmpx_ne_u32_e32 34, v0
	s_cbranch_execz .LBB127_979
; %bb.976:
	v_add_nc_u32_e32 v135, 0x208, v58
	v_add3_u32 v136, 0, v58, 8
	v_mov_b32_e32 v137, v0
	s_mov_b32 s3, 0
.LBB127_977:                            ; =>This Inner Loop Header: Depth=1
	scratch_load_b64 v[138:139], v136, off
	ds_load_b64 v[140:141], v135
	s_wait_xcnt 0x0
	v_dual_add_nc_u32 v135, 8, v135 :: v_dual_add_nc_u32 v136, 8, v136
	s_wait_loadcnt_dscnt 0x0
	v_pk_mul_f32 v[142:143], v[140:141], v[138:139] op_sel:[1,1] op_sel_hi:[0,1]
	s_delay_alu instid0(VALU_DEP_1) | instskip(SKIP_2) | instid1(VALU_DEP_3)
	v_pk_fma_f32 v[144:145], v[140:141], v[138:139], v[142:143] op_sel_hi:[1,0,1]
	v_add_nc_u32_e32 v137, 1, v137
	v_pk_fma_f32 v[138:139], v[140:141], v[138:139], v[142:143] neg_lo:[0,0,1] neg_hi:[0,0,1]
	v_mov_b32_e32 v139, v145
	s_delay_alu instid0(VALU_DEP_3) | instskip(NEXT) | instid1(VALU_DEP_2)
	v_cmp_lt_u32_e32 vcc_lo, 33, v137
	v_pk_add_f32 v[132:133], v[132:133], v[138:139]
	s_or_b32 s3, vcc_lo, s3
	s_delay_alu instid0(SALU_CYCLE_1)
	s_and_not1_b32 exec_lo, exec_lo, s3
	s_cbranch_execnz .LBB127_977
; %bb.978:
	s_or_b32 exec_lo, exec_lo, s3
.LBB127_979:
	s_delay_alu instid0(SALU_CYCLE_1) | instskip(SKIP_4) | instid1(VALU_DEP_1)
	s_or_b32 exec_lo, exec_lo, s2
	v_mov_b32_e32 v135, 0
	ds_load_b64 v[136:137], v135 offset:280
	s_wait_dscnt 0x0
	v_pk_mul_f32 v[138:139], v[132:133], v[136:137] op_sel:[1,1] op_sel_hi:[0,1]
	v_pk_fma_f32 v[140:141], v[132:133], v[136:137], v[138:139] op_sel_hi:[1,0,1]
	v_pk_fma_f32 v[132:133], v[132:133], v[136:137], v[138:139] neg_lo:[0,0,1] neg_hi:[0,0,1]
	s_delay_alu instid0(VALU_DEP_2)
	v_mov_b32_e32 v133, v141
	scratch_store_b64 off, v[132:133], off offset:280
.LBB127_980:
	s_wait_xcnt 0x0
	s_or_b32 exec_lo, exec_lo, s0
	scratch_load_b64 v[132:133], off, off offset:288
	s_mov_b32 s0, exec_lo
	s_wait_loadcnt 0x0
	ds_store_b64 v1, v[132:133]
	s_wait_storecnt_dscnt 0x0
	s_barrier_signal -1
	s_barrier_wait -1
	s_wait_xcnt 0x0
	v_cmpx_gt_u32_e32 36, v0
	s_cbranch_execz .LBB127_990
; %bb.981:
	v_cmp_ne_u32_e32 vcc_lo, 1, v134
	s_cbranch_vccnz .LBB127_983
; %bb.982:
	scratch_load_b64 v[132:133], v59, off
	ds_load_b64 v[136:137], v1
	s_wait_loadcnt_dscnt 0x0
	v_pk_mul_f32 v[138:139], v[136:137], v[132:133] op_sel:[1,1] op_sel_hi:[0,1]
	s_delay_alu instid0(VALU_DEP_1) | instskip(SKIP_1) | instid1(VALU_DEP_2)
	v_pk_fma_f32 v[140:141], v[136:137], v[132:133], v[138:139] op_sel_hi:[1,0,1]
	v_pk_fma_f32 v[132:133], v[136:137], v[132:133], v[138:139] neg_lo:[0,0,1] neg_hi:[0,0,1]
	v_mov_b32_e32 v133, v141
	s_cbranch_execz .LBB127_984
	s_branch .LBB127_985
.LBB127_983:
                                        ; implicit-def: $vgpr132_vgpr133
.LBB127_984:
	ds_load_b64 v[132:133], v1
.LBB127_985:
	s_mov_b32 s2, exec_lo
	v_cmpx_ne_u32_e32 35, v0
	s_cbranch_execz .LBB127_989
; %bb.986:
	v_add_nc_u32_e32 v135, 0x208, v58
	v_add3_u32 v136, 0, v58, 8
	v_mov_b32_e32 v137, v0
	s_mov_b32 s3, 0
.LBB127_987:                            ; =>This Inner Loop Header: Depth=1
	scratch_load_b64 v[138:139], v136, off
	ds_load_b64 v[140:141], v135
	s_wait_xcnt 0x0
	v_dual_add_nc_u32 v135, 8, v135 :: v_dual_add_nc_u32 v136, 8, v136
	s_wait_loadcnt_dscnt 0x0
	v_pk_mul_f32 v[142:143], v[140:141], v[138:139] op_sel:[1,1] op_sel_hi:[0,1]
	s_delay_alu instid0(VALU_DEP_1) | instskip(SKIP_2) | instid1(VALU_DEP_3)
	v_pk_fma_f32 v[144:145], v[140:141], v[138:139], v[142:143] op_sel_hi:[1,0,1]
	v_add_nc_u32_e32 v137, 1, v137
	v_pk_fma_f32 v[138:139], v[140:141], v[138:139], v[142:143] neg_lo:[0,0,1] neg_hi:[0,0,1]
	v_mov_b32_e32 v139, v145
	s_delay_alu instid0(VALU_DEP_3) | instskip(NEXT) | instid1(VALU_DEP_2)
	v_cmp_lt_u32_e32 vcc_lo, 34, v137
	v_pk_add_f32 v[132:133], v[132:133], v[138:139]
	s_or_b32 s3, vcc_lo, s3
	s_delay_alu instid0(SALU_CYCLE_1)
	s_and_not1_b32 exec_lo, exec_lo, s3
	s_cbranch_execnz .LBB127_987
; %bb.988:
	s_or_b32 exec_lo, exec_lo, s3
.LBB127_989:
	s_delay_alu instid0(SALU_CYCLE_1) | instskip(SKIP_4) | instid1(VALU_DEP_1)
	s_or_b32 exec_lo, exec_lo, s2
	v_mov_b32_e32 v135, 0
	ds_load_b64 v[136:137], v135 offset:288
	s_wait_dscnt 0x0
	v_pk_mul_f32 v[138:139], v[132:133], v[136:137] op_sel:[1,1] op_sel_hi:[0,1]
	v_pk_fma_f32 v[140:141], v[132:133], v[136:137], v[138:139] op_sel_hi:[1,0,1]
	v_pk_fma_f32 v[132:133], v[132:133], v[136:137], v[138:139] neg_lo:[0,0,1] neg_hi:[0,0,1]
	s_delay_alu instid0(VALU_DEP_2)
	v_mov_b32_e32 v133, v141
	scratch_store_b64 off, v[132:133], off offset:288
.LBB127_990:
	s_wait_xcnt 0x0
	s_or_b32 exec_lo, exec_lo, s0
	scratch_load_b64 v[132:133], off, off offset:296
	s_mov_b32 s0, exec_lo
	s_wait_loadcnt 0x0
	ds_store_b64 v1, v[132:133]
	s_wait_storecnt_dscnt 0x0
	s_barrier_signal -1
	s_barrier_wait -1
	s_wait_xcnt 0x0
	v_cmpx_gt_u32_e32 37, v0
	s_cbranch_execz .LBB127_1000
; %bb.991:
	v_cmp_ne_u32_e32 vcc_lo, 1, v134
	s_cbranch_vccnz .LBB127_993
; %bb.992:
	scratch_load_b64 v[132:133], v59, off
	ds_load_b64 v[136:137], v1
	s_wait_loadcnt_dscnt 0x0
	v_pk_mul_f32 v[138:139], v[136:137], v[132:133] op_sel:[1,1] op_sel_hi:[0,1]
	s_delay_alu instid0(VALU_DEP_1) | instskip(SKIP_1) | instid1(VALU_DEP_2)
	v_pk_fma_f32 v[140:141], v[136:137], v[132:133], v[138:139] op_sel_hi:[1,0,1]
	v_pk_fma_f32 v[132:133], v[136:137], v[132:133], v[138:139] neg_lo:[0,0,1] neg_hi:[0,0,1]
	v_mov_b32_e32 v133, v141
	s_cbranch_execz .LBB127_994
	s_branch .LBB127_995
.LBB127_993:
                                        ; implicit-def: $vgpr132_vgpr133
.LBB127_994:
	ds_load_b64 v[132:133], v1
.LBB127_995:
	s_mov_b32 s2, exec_lo
	v_cmpx_ne_u32_e32 36, v0
	s_cbranch_execz .LBB127_999
; %bb.996:
	v_add_nc_u32_e32 v135, 0x208, v58
	v_add3_u32 v136, 0, v58, 8
	v_mov_b32_e32 v137, v0
	s_mov_b32 s3, 0
.LBB127_997:                            ; =>This Inner Loop Header: Depth=1
	scratch_load_b64 v[138:139], v136, off
	ds_load_b64 v[140:141], v135
	s_wait_xcnt 0x0
	v_dual_add_nc_u32 v135, 8, v135 :: v_dual_add_nc_u32 v136, 8, v136
	s_wait_loadcnt_dscnt 0x0
	v_pk_mul_f32 v[142:143], v[140:141], v[138:139] op_sel:[1,1] op_sel_hi:[0,1]
	s_delay_alu instid0(VALU_DEP_1) | instskip(SKIP_2) | instid1(VALU_DEP_3)
	v_pk_fma_f32 v[144:145], v[140:141], v[138:139], v[142:143] op_sel_hi:[1,0,1]
	v_add_nc_u32_e32 v137, 1, v137
	v_pk_fma_f32 v[138:139], v[140:141], v[138:139], v[142:143] neg_lo:[0,0,1] neg_hi:[0,0,1]
	v_mov_b32_e32 v139, v145
	s_delay_alu instid0(VALU_DEP_3) | instskip(NEXT) | instid1(VALU_DEP_2)
	v_cmp_lt_u32_e32 vcc_lo, 35, v137
	v_pk_add_f32 v[132:133], v[132:133], v[138:139]
	s_or_b32 s3, vcc_lo, s3
	s_delay_alu instid0(SALU_CYCLE_1)
	s_and_not1_b32 exec_lo, exec_lo, s3
	s_cbranch_execnz .LBB127_997
; %bb.998:
	s_or_b32 exec_lo, exec_lo, s3
.LBB127_999:
	s_delay_alu instid0(SALU_CYCLE_1) | instskip(SKIP_4) | instid1(VALU_DEP_1)
	s_or_b32 exec_lo, exec_lo, s2
	v_mov_b32_e32 v135, 0
	ds_load_b64 v[136:137], v135 offset:296
	s_wait_dscnt 0x0
	v_pk_mul_f32 v[138:139], v[132:133], v[136:137] op_sel:[1,1] op_sel_hi:[0,1]
	v_pk_fma_f32 v[140:141], v[132:133], v[136:137], v[138:139] op_sel_hi:[1,0,1]
	v_pk_fma_f32 v[132:133], v[132:133], v[136:137], v[138:139] neg_lo:[0,0,1] neg_hi:[0,0,1]
	s_delay_alu instid0(VALU_DEP_2)
	v_mov_b32_e32 v133, v141
	scratch_store_b64 off, v[132:133], off offset:296
.LBB127_1000:
	s_wait_xcnt 0x0
	s_or_b32 exec_lo, exec_lo, s0
	scratch_load_b64 v[132:133], off, off offset:304
	s_mov_b32 s0, exec_lo
	s_wait_loadcnt 0x0
	ds_store_b64 v1, v[132:133]
	s_wait_storecnt_dscnt 0x0
	s_barrier_signal -1
	s_barrier_wait -1
	s_wait_xcnt 0x0
	v_cmpx_gt_u32_e32 38, v0
	s_cbranch_execz .LBB127_1010
; %bb.1001:
	v_cmp_ne_u32_e32 vcc_lo, 1, v134
	s_cbranch_vccnz .LBB127_1003
; %bb.1002:
	scratch_load_b64 v[132:133], v59, off
	ds_load_b64 v[136:137], v1
	s_wait_loadcnt_dscnt 0x0
	v_pk_mul_f32 v[138:139], v[136:137], v[132:133] op_sel:[1,1] op_sel_hi:[0,1]
	s_delay_alu instid0(VALU_DEP_1) | instskip(SKIP_1) | instid1(VALU_DEP_2)
	v_pk_fma_f32 v[140:141], v[136:137], v[132:133], v[138:139] op_sel_hi:[1,0,1]
	v_pk_fma_f32 v[132:133], v[136:137], v[132:133], v[138:139] neg_lo:[0,0,1] neg_hi:[0,0,1]
	v_mov_b32_e32 v133, v141
	s_cbranch_execz .LBB127_1004
	s_branch .LBB127_1005
.LBB127_1003:
                                        ; implicit-def: $vgpr132_vgpr133
.LBB127_1004:
	ds_load_b64 v[132:133], v1
.LBB127_1005:
	s_mov_b32 s2, exec_lo
	v_cmpx_ne_u32_e32 37, v0
	s_cbranch_execz .LBB127_1009
; %bb.1006:
	v_add_nc_u32_e32 v135, 0x208, v58
	v_add3_u32 v136, 0, v58, 8
	v_mov_b32_e32 v137, v0
	s_mov_b32 s3, 0
.LBB127_1007:                           ; =>This Inner Loop Header: Depth=1
	scratch_load_b64 v[138:139], v136, off
	ds_load_b64 v[140:141], v135
	s_wait_xcnt 0x0
	v_dual_add_nc_u32 v135, 8, v135 :: v_dual_add_nc_u32 v136, 8, v136
	s_wait_loadcnt_dscnt 0x0
	v_pk_mul_f32 v[142:143], v[140:141], v[138:139] op_sel:[1,1] op_sel_hi:[0,1]
	s_delay_alu instid0(VALU_DEP_1) | instskip(SKIP_2) | instid1(VALU_DEP_3)
	v_pk_fma_f32 v[144:145], v[140:141], v[138:139], v[142:143] op_sel_hi:[1,0,1]
	v_add_nc_u32_e32 v137, 1, v137
	v_pk_fma_f32 v[138:139], v[140:141], v[138:139], v[142:143] neg_lo:[0,0,1] neg_hi:[0,0,1]
	v_mov_b32_e32 v139, v145
	s_delay_alu instid0(VALU_DEP_3) | instskip(NEXT) | instid1(VALU_DEP_2)
	v_cmp_lt_u32_e32 vcc_lo, 36, v137
	v_pk_add_f32 v[132:133], v[132:133], v[138:139]
	s_or_b32 s3, vcc_lo, s3
	s_delay_alu instid0(SALU_CYCLE_1)
	s_and_not1_b32 exec_lo, exec_lo, s3
	s_cbranch_execnz .LBB127_1007
; %bb.1008:
	s_or_b32 exec_lo, exec_lo, s3
.LBB127_1009:
	s_delay_alu instid0(SALU_CYCLE_1) | instskip(SKIP_4) | instid1(VALU_DEP_1)
	s_or_b32 exec_lo, exec_lo, s2
	v_mov_b32_e32 v135, 0
	ds_load_b64 v[136:137], v135 offset:304
	s_wait_dscnt 0x0
	v_pk_mul_f32 v[138:139], v[132:133], v[136:137] op_sel:[1,1] op_sel_hi:[0,1]
	v_pk_fma_f32 v[140:141], v[132:133], v[136:137], v[138:139] op_sel_hi:[1,0,1]
	v_pk_fma_f32 v[132:133], v[132:133], v[136:137], v[138:139] neg_lo:[0,0,1] neg_hi:[0,0,1]
	s_delay_alu instid0(VALU_DEP_2)
	v_mov_b32_e32 v133, v141
	scratch_store_b64 off, v[132:133], off offset:304
.LBB127_1010:
	s_wait_xcnt 0x0
	s_or_b32 exec_lo, exec_lo, s0
	scratch_load_b64 v[132:133], off, off offset:312
	s_mov_b32 s0, exec_lo
	s_wait_loadcnt 0x0
	ds_store_b64 v1, v[132:133]
	s_wait_storecnt_dscnt 0x0
	s_barrier_signal -1
	s_barrier_wait -1
	s_wait_xcnt 0x0
	v_cmpx_gt_u32_e32 39, v0
	s_cbranch_execz .LBB127_1020
; %bb.1011:
	v_cmp_ne_u32_e32 vcc_lo, 1, v134
	s_cbranch_vccnz .LBB127_1013
; %bb.1012:
	scratch_load_b64 v[132:133], v59, off
	ds_load_b64 v[136:137], v1
	s_wait_loadcnt_dscnt 0x0
	v_pk_mul_f32 v[138:139], v[136:137], v[132:133] op_sel:[1,1] op_sel_hi:[0,1]
	s_delay_alu instid0(VALU_DEP_1) | instskip(SKIP_1) | instid1(VALU_DEP_2)
	v_pk_fma_f32 v[140:141], v[136:137], v[132:133], v[138:139] op_sel_hi:[1,0,1]
	v_pk_fma_f32 v[132:133], v[136:137], v[132:133], v[138:139] neg_lo:[0,0,1] neg_hi:[0,0,1]
	v_mov_b32_e32 v133, v141
	s_cbranch_execz .LBB127_1014
	s_branch .LBB127_1015
.LBB127_1013:
                                        ; implicit-def: $vgpr132_vgpr133
.LBB127_1014:
	ds_load_b64 v[132:133], v1
.LBB127_1015:
	s_mov_b32 s2, exec_lo
	v_cmpx_ne_u32_e32 38, v0
	s_cbranch_execz .LBB127_1019
; %bb.1016:
	v_add_nc_u32_e32 v135, 0x208, v58
	v_add3_u32 v136, 0, v58, 8
	v_mov_b32_e32 v137, v0
	s_mov_b32 s3, 0
.LBB127_1017:                           ; =>This Inner Loop Header: Depth=1
	scratch_load_b64 v[138:139], v136, off
	ds_load_b64 v[140:141], v135
	s_wait_xcnt 0x0
	v_dual_add_nc_u32 v135, 8, v135 :: v_dual_add_nc_u32 v136, 8, v136
	s_wait_loadcnt_dscnt 0x0
	v_pk_mul_f32 v[142:143], v[140:141], v[138:139] op_sel:[1,1] op_sel_hi:[0,1]
	s_delay_alu instid0(VALU_DEP_1) | instskip(SKIP_2) | instid1(VALU_DEP_3)
	v_pk_fma_f32 v[144:145], v[140:141], v[138:139], v[142:143] op_sel_hi:[1,0,1]
	v_add_nc_u32_e32 v137, 1, v137
	v_pk_fma_f32 v[138:139], v[140:141], v[138:139], v[142:143] neg_lo:[0,0,1] neg_hi:[0,0,1]
	v_mov_b32_e32 v139, v145
	s_delay_alu instid0(VALU_DEP_3) | instskip(NEXT) | instid1(VALU_DEP_2)
	v_cmp_lt_u32_e32 vcc_lo, 37, v137
	v_pk_add_f32 v[132:133], v[132:133], v[138:139]
	s_or_b32 s3, vcc_lo, s3
	s_delay_alu instid0(SALU_CYCLE_1)
	s_and_not1_b32 exec_lo, exec_lo, s3
	s_cbranch_execnz .LBB127_1017
; %bb.1018:
	s_or_b32 exec_lo, exec_lo, s3
.LBB127_1019:
	s_delay_alu instid0(SALU_CYCLE_1) | instskip(SKIP_4) | instid1(VALU_DEP_1)
	s_or_b32 exec_lo, exec_lo, s2
	v_mov_b32_e32 v135, 0
	ds_load_b64 v[136:137], v135 offset:312
	s_wait_dscnt 0x0
	v_pk_mul_f32 v[138:139], v[132:133], v[136:137] op_sel:[1,1] op_sel_hi:[0,1]
	v_pk_fma_f32 v[140:141], v[132:133], v[136:137], v[138:139] op_sel_hi:[1,0,1]
	v_pk_fma_f32 v[132:133], v[132:133], v[136:137], v[138:139] neg_lo:[0,0,1] neg_hi:[0,0,1]
	s_delay_alu instid0(VALU_DEP_2)
	v_mov_b32_e32 v133, v141
	scratch_store_b64 off, v[132:133], off offset:312
.LBB127_1020:
	s_wait_xcnt 0x0
	s_or_b32 exec_lo, exec_lo, s0
	scratch_load_b64 v[132:133], off, off offset:320
	s_mov_b32 s0, exec_lo
	s_wait_loadcnt 0x0
	ds_store_b64 v1, v[132:133]
	s_wait_storecnt_dscnt 0x0
	s_barrier_signal -1
	s_barrier_wait -1
	s_wait_xcnt 0x0
	v_cmpx_gt_u32_e32 40, v0
	s_cbranch_execz .LBB127_1030
; %bb.1021:
	v_cmp_ne_u32_e32 vcc_lo, 1, v134
	s_cbranch_vccnz .LBB127_1023
; %bb.1022:
	scratch_load_b64 v[132:133], v59, off
	ds_load_b64 v[136:137], v1
	s_wait_loadcnt_dscnt 0x0
	v_pk_mul_f32 v[138:139], v[136:137], v[132:133] op_sel:[1,1] op_sel_hi:[0,1]
	s_delay_alu instid0(VALU_DEP_1) | instskip(SKIP_1) | instid1(VALU_DEP_2)
	v_pk_fma_f32 v[140:141], v[136:137], v[132:133], v[138:139] op_sel_hi:[1,0,1]
	v_pk_fma_f32 v[132:133], v[136:137], v[132:133], v[138:139] neg_lo:[0,0,1] neg_hi:[0,0,1]
	v_mov_b32_e32 v133, v141
	s_cbranch_execz .LBB127_1024
	s_branch .LBB127_1025
.LBB127_1023:
                                        ; implicit-def: $vgpr132_vgpr133
.LBB127_1024:
	ds_load_b64 v[132:133], v1
.LBB127_1025:
	s_mov_b32 s2, exec_lo
	v_cmpx_ne_u32_e32 39, v0
	s_cbranch_execz .LBB127_1029
; %bb.1026:
	v_add_nc_u32_e32 v135, 0x208, v58
	v_add3_u32 v136, 0, v58, 8
	v_mov_b32_e32 v137, v0
	s_mov_b32 s3, 0
.LBB127_1027:                           ; =>This Inner Loop Header: Depth=1
	scratch_load_b64 v[138:139], v136, off
	ds_load_b64 v[140:141], v135
	s_wait_xcnt 0x0
	v_dual_add_nc_u32 v135, 8, v135 :: v_dual_add_nc_u32 v136, 8, v136
	s_wait_loadcnt_dscnt 0x0
	v_pk_mul_f32 v[142:143], v[140:141], v[138:139] op_sel:[1,1] op_sel_hi:[0,1]
	s_delay_alu instid0(VALU_DEP_1) | instskip(SKIP_2) | instid1(VALU_DEP_3)
	v_pk_fma_f32 v[144:145], v[140:141], v[138:139], v[142:143] op_sel_hi:[1,0,1]
	v_add_nc_u32_e32 v137, 1, v137
	v_pk_fma_f32 v[138:139], v[140:141], v[138:139], v[142:143] neg_lo:[0,0,1] neg_hi:[0,0,1]
	v_mov_b32_e32 v139, v145
	s_delay_alu instid0(VALU_DEP_3) | instskip(NEXT) | instid1(VALU_DEP_2)
	v_cmp_lt_u32_e32 vcc_lo, 38, v137
	v_pk_add_f32 v[132:133], v[132:133], v[138:139]
	s_or_b32 s3, vcc_lo, s3
	s_delay_alu instid0(SALU_CYCLE_1)
	s_and_not1_b32 exec_lo, exec_lo, s3
	s_cbranch_execnz .LBB127_1027
; %bb.1028:
	s_or_b32 exec_lo, exec_lo, s3
.LBB127_1029:
	s_delay_alu instid0(SALU_CYCLE_1) | instskip(SKIP_4) | instid1(VALU_DEP_1)
	s_or_b32 exec_lo, exec_lo, s2
	v_mov_b32_e32 v135, 0
	ds_load_b64 v[136:137], v135 offset:320
	s_wait_dscnt 0x0
	v_pk_mul_f32 v[138:139], v[132:133], v[136:137] op_sel:[1,1] op_sel_hi:[0,1]
	v_pk_fma_f32 v[140:141], v[132:133], v[136:137], v[138:139] op_sel_hi:[1,0,1]
	v_pk_fma_f32 v[132:133], v[132:133], v[136:137], v[138:139] neg_lo:[0,0,1] neg_hi:[0,0,1]
	s_delay_alu instid0(VALU_DEP_2)
	v_mov_b32_e32 v133, v141
	scratch_store_b64 off, v[132:133], off offset:320
.LBB127_1030:
	s_wait_xcnt 0x0
	s_or_b32 exec_lo, exec_lo, s0
	scratch_load_b64 v[132:133], off, off offset:328
	s_mov_b32 s0, exec_lo
	s_wait_loadcnt 0x0
	ds_store_b64 v1, v[132:133]
	s_wait_storecnt_dscnt 0x0
	s_barrier_signal -1
	s_barrier_wait -1
	s_wait_xcnt 0x0
	v_cmpx_gt_u32_e32 41, v0
	s_cbranch_execz .LBB127_1040
; %bb.1031:
	v_cmp_ne_u32_e32 vcc_lo, 1, v134
	s_cbranch_vccnz .LBB127_1033
; %bb.1032:
	scratch_load_b64 v[132:133], v59, off
	ds_load_b64 v[136:137], v1
	s_wait_loadcnt_dscnt 0x0
	v_pk_mul_f32 v[138:139], v[136:137], v[132:133] op_sel:[1,1] op_sel_hi:[0,1]
	s_delay_alu instid0(VALU_DEP_1) | instskip(SKIP_1) | instid1(VALU_DEP_2)
	v_pk_fma_f32 v[140:141], v[136:137], v[132:133], v[138:139] op_sel_hi:[1,0,1]
	v_pk_fma_f32 v[132:133], v[136:137], v[132:133], v[138:139] neg_lo:[0,0,1] neg_hi:[0,0,1]
	v_mov_b32_e32 v133, v141
	s_cbranch_execz .LBB127_1034
	s_branch .LBB127_1035
.LBB127_1033:
                                        ; implicit-def: $vgpr132_vgpr133
.LBB127_1034:
	ds_load_b64 v[132:133], v1
.LBB127_1035:
	s_mov_b32 s2, exec_lo
	v_cmpx_ne_u32_e32 40, v0
	s_cbranch_execz .LBB127_1039
; %bb.1036:
	v_add_nc_u32_e32 v135, 0x208, v58
	v_add3_u32 v136, 0, v58, 8
	v_mov_b32_e32 v137, v0
	s_mov_b32 s3, 0
.LBB127_1037:                           ; =>This Inner Loop Header: Depth=1
	scratch_load_b64 v[138:139], v136, off
	ds_load_b64 v[140:141], v135
	s_wait_xcnt 0x0
	v_dual_add_nc_u32 v135, 8, v135 :: v_dual_add_nc_u32 v136, 8, v136
	s_wait_loadcnt_dscnt 0x0
	v_pk_mul_f32 v[142:143], v[140:141], v[138:139] op_sel:[1,1] op_sel_hi:[0,1]
	s_delay_alu instid0(VALU_DEP_1) | instskip(SKIP_2) | instid1(VALU_DEP_3)
	v_pk_fma_f32 v[144:145], v[140:141], v[138:139], v[142:143] op_sel_hi:[1,0,1]
	v_add_nc_u32_e32 v137, 1, v137
	v_pk_fma_f32 v[138:139], v[140:141], v[138:139], v[142:143] neg_lo:[0,0,1] neg_hi:[0,0,1]
	v_mov_b32_e32 v139, v145
	s_delay_alu instid0(VALU_DEP_3) | instskip(NEXT) | instid1(VALU_DEP_2)
	v_cmp_lt_u32_e32 vcc_lo, 39, v137
	v_pk_add_f32 v[132:133], v[132:133], v[138:139]
	s_or_b32 s3, vcc_lo, s3
	s_delay_alu instid0(SALU_CYCLE_1)
	s_and_not1_b32 exec_lo, exec_lo, s3
	s_cbranch_execnz .LBB127_1037
; %bb.1038:
	s_or_b32 exec_lo, exec_lo, s3
.LBB127_1039:
	s_delay_alu instid0(SALU_CYCLE_1) | instskip(SKIP_4) | instid1(VALU_DEP_1)
	s_or_b32 exec_lo, exec_lo, s2
	v_mov_b32_e32 v135, 0
	ds_load_b64 v[136:137], v135 offset:328
	s_wait_dscnt 0x0
	v_pk_mul_f32 v[138:139], v[132:133], v[136:137] op_sel:[1,1] op_sel_hi:[0,1]
	v_pk_fma_f32 v[140:141], v[132:133], v[136:137], v[138:139] op_sel_hi:[1,0,1]
	v_pk_fma_f32 v[132:133], v[132:133], v[136:137], v[138:139] neg_lo:[0,0,1] neg_hi:[0,0,1]
	s_delay_alu instid0(VALU_DEP_2)
	v_mov_b32_e32 v133, v141
	scratch_store_b64 off, v[132:133], off offset:328
.LBB127_1040:
	s_wait_xcnt 0x0
	s_or_b32 exec_lo, exec_lo, s0
	scratch_load_b64 v[132:133], off, off offset:336
	s_mov_b32 s0, exec_lo
	s_wait_loadcnt 0x0
	ds_store_b64 v1, v[132:133]
	s_wait_storecnt_dscnt 0x0
	s_barrier_signal -1
	s_barrier_wait -1
	s_wait_xcnt 0x0
	v_cmpx_gt_u32_e32 42, v0
	s_cbranch_execz .LBB127_1050
; %bb.1041:
	v_cmp_ne_u32_e32 vcc_lo, 1, v134
	s_cbranch_vccnz .LBB127_1043
; %bb.1042:
	scratch_load_b64 v[132:133], v59, off
	ds_load_b64 v[136:137], v1
	s_wait_loadcnt_dscnt 0x0
	v_pk_mul_f32 v[138:139], v[136:137], v[132:133] op_sel:[1,1] op_sel_hi:[0,1]
	s_delay_alu instid0(VALU_DEP_1) | instskip(SKIP_1) | instid1(VALU_DEP_2)
	v_pk_fma_f32 v[140:141], v[136:137], v[132:133], v[138:139] op_sel_hi:[1,0,1]
	v_pk_fma_f32 v[132:133], v[136:137], v[132:133], v[138:139] neg_lo:[0,0,1] neg_hi:[0,0,1]
	v_mov_b32_e32 v133, v141
	s_cbranch_execz .LBB127_1044
	s_branch .LBB127_1045
.LBB127_1043:
                                        ; implicit-def: $vgpr132_vgpr133
.LBB127_1044:
	ds_load_b64 v[132:133], v1
.LBB127_1045:
	s_mov_b32 s2, exec_lo
	v_cmpx_ne_u32_e32 41, v0
	s_cbranch_execz .LBB127_1049
; %bb.1046:
	v_add_nc_u32_e32 v135, 0x208, v58
	v_add3_u32 v136, 0, v58, 8
	v_mov_b32_e32 v137, v0
	s_mov_b32 s3, 0
.LBB127_1047:                           ; =>This Inner Loop Header: Depth=1
	scratch_load_b64 v[138:139], v136, off
	ds_load_b64 v[140:141], v135
	s_wait_xcnt 0x0
	v_dual_add_nc_u32 v135, 8, v135 :: v_dual_add_nc_u32 v136, 8, v136
	s_wait_loadcnt_dscnt 0x0
	v_pk_mul_f32 v[142:143], v[140:141], v[138:139] op_sel:[1,1] op_sel_hi:[0,1]
	s_delay_alu instid0(VALU_DEP_1) | instskip(SKIP_2) | instid1(VALU_DEP_3)
	v_pk_fma_f32 v[144:145], v[140:141], v[138:139], v[142:143] op_sel_hi:[1,0,1]
	v_add_nc_u32_e32 v137, 1, v137
	v_pk_fma_f32 v[138:139], v[140:141], v[138:139], v[142:143] neg_lo:[0,0,1] neg_hi:[0,0,1]
	v_mov_b32_e32 v139, v145
	s_delay_alu instid0(VALU_DEP_3) | instskip(NEXT) | instid1(VALU_DEP_2)
	v_cmp_lt_u32_e32 vcc_lo, 40, v137
	v_pk_add_f32 v[132:133], v[132:133], v[138:139]
	s_or_b32 s3, vcc_lo, s3
	s_delay_alu instid0(SALU_CYCLE_1)
	s_and_not1_b32 exec_lo, exec_lo, s3
	s_cbranch_execnz .LBB127_1047
; %bb.1048:
	s_or_b32 exec_lo, exec_lo, s3
.LBB127_1049:
	s_delay_alu instid0(SALU_CYCLE_1) | instskip(SKIP_4) | instid1(VALU_DEP_1)
	s_or_b32 exec_lo, exec_lo, s2
	v_mov_b32_e32 v135, 0
	ds_load_b64 v[136:137], v135 offset:336
	s_wait_dscnt 0x0
	v_pk_mul_f32 v[138:139], v[132:133], v[136:137] op_sel:[1,1] op_sel_hi:[0,1]
	v_pk_fma_f32 v[140:141], v[132:133], v[136:137], v[138:139] op_sel_hi:[1,0,1]
	v_pk_fma_f32 v[132:133], v[132:133], v[136:137], v[138:139] neg_lo:[0,0,1] neg_hi:[0,0,1]
	s_delay_alu instid0(VALU_DEP_2)
	v_mov_b32_e32 v133, v141
	scratch_store_b64 off, v[132:133], off offset:336
.LBB127_1050:
	s_wait_xcnt 0x0
	s_or_b32 exec_lo, exec_lo, s0
	scratch_load_b64 v[132:133], off, off offset:344
	s_mov_b32 s0, exec_lo
	s_wait_loadcnt 0x0
	ds_store_b64 v1, v[132:133]
	s_wait_storecnt_dscnt 0x0
	s_barrier_signal -1
	s_barrier_wait -1
	s_wait_xcnt 0x0
	v_cmpx_gt_u32_e32 43, v0
	s_cbranch_execz .LBB127_1060
; %bb.1051:
	v_cmp_ne_u32_e32 vcc_lo, 1, v134
	s_cbranch_vccnz .LBB127_1053
; %bb.1052:
	scratch_load_b64 v[132:133], v59, off
	ds_load_b64 v[136:137], v1
	s_wait_loadcnt_dscnt 0x0
	v_pk_mul_f32 v[138:139], v[136:137], v[132:133] op_sel:[1,1] op_sel_hi:[0,1]
	s_delay_alu instid0(VALU_DEP_1) | instskip(SKIP_1) | instid1(VALU_DEP_2)
	v_pk_fma_f32 v[140:141], v[136:137], v[132:133], v[138:139] op_sel_hi:[1,0,1]
	v_pk_fma_f32 v[132:133], v[136:137], v[132:133], v[138:139] neg_lo:[0,0,1] neg_hi:[0,0,1]
	v_mov_b32_e32 v133, v141
	s_cbranch_execz .LBB127_1054
	s_branch .LBB127_1055
.LBB127_1053:
                                        ; implicit-def: $vgpr132_vgpr133
.LBB127_1054:
	ds_load_b64 v[132:133], v1
.LBB127_1055:
	s_mov_b32 s2, exec_lo
	v_cmpx_ne_u32_e32 42, v0
	s_cbranch_execz .LBB127_1059
; %bb.1056:
	v_add_nc_u32_e32 v135, 0x208, v58
	v_add3_u32 v136, 0, v58, 8
	v_mov_b32_e32 v137, v0
	s_mov_b32 s3, 0
.LBB127_1057:                           ; =>This Inner Loop Header: Depth=1
	scratch_load_b64 v[138:139], v136, off
	ds_load_b64 v[140:141], v135
	s_wait_xcnt 0x0
	v_dual_add_nc_u32 v135, 8, v135 :: v_dual_add_nc_u32 v136, 8, v136
	s_wait_loadcnt_dscnt 0x0
	v_pk_mul_f32 v[142:143], v[140:141], v[138:139] op_sel:[1,1] op_sel_hi:[0,1]
	s_delay_alu instid0(VALU_DEP_1) | instskip(SKIP_2) | instid1(VALU_DEP_3)
	v_pk_fma_f32 v[144:145], v[140:141], v[138:139], v[142:143] op_sel_hi:[1,0,1]
	v_add_nc_u32_e32 v137, 1, v137
	v_pk_fma_f32 v[138:139], v[140:141], v[138:139], v[142:143] neg_lo:[0,0,1] neg_hi:[0,0,1]
	v_mov_b32_e32 v139, v145
	s_delay_alu instid0(VALU_DEP_3) | instskip(NEXT) | instid1(VALU_DEP_2)
	v_cmp_lt_u32_e32 vcc_lo, 41, v137
	v_pk_add_f32 v[132:133], v[132:133], v[138:139]
	s_or_b32 s3, vcc_lo, s3
	s_delay_alu instid0(SALU_CYCLE_1)
	s_and_not1_b32 exec_lo, exec_lo, s3
	s_cbranch_execnz .LBB127_1057
; %bb.1058:
	s_or_b32 exec_lo, exec_lo, s3
.LBB127_1059:
	s_delay_alu instid0(SALU_CYCLE_1) | instskip(SKIP_4) | instid1(VALU_DEP_1)
	s_or_b32 exec_lo, exec_lo, s2
	v_mov_b32_e32 v135, 0
	ds_load_b64 v[136:137], v135 offset:344
	s_wait_dscnt 0x0
	v_pk_mul_f32 v[138:139], v[132:133], v[136:137] op_sel:[1,1] op_sel_hi:[0,1]
	v_pk_fma_f32 v[140:141], v[132:133], v[136:137], v[138:139] op_sel_hi:[1,0,1]
	v_pk_fma_f32 v[132:133], v[132:133], v[136:137], v[138:139] neg_lo:[0,0,1] neg_hi:[0,0,1]
	s_delay_alu instid0(VALU_DEP_2)
	v_mov_b32_e32 v133, v141
	scratch_store_b64 off, v[132:133], off offset:344
.LBB127_1060:
	s_wait_xcnt 0x0
	s_or_b32 exec_lo, exec_lo, s0
	scratch_load_b64 v[132:133], off, off offset:352
	s_mov_b32 s0, exec_lo
	s_wait_loadcnt 0x0
	ds_store_b64 v1, v[132:133]
	s_wait_storecnt_dscnt 0x0
	s_barrier_signal -1
	s_barrier_wait -1
	s_wait_xcnt 0x0
	v_cmpx_gt_u32_e32 44, v0
	s_cbranch_execz .LBB127_1070
; %bb.1061:
	v_cmp_ne_u32_e32 vcc_lo, 1, v134
	s_cbranch_vccnz .LBB127_1063
; %bb.1062:
	scratch_load_b64 v[132:133], v59, off
	ds_load_b64 v[136:137], v1
	s_wait_loadcnt_dscnt 0x0
	v_pk_mul_f32 v[138:139], v[136:137], v[132:133] op_sel:[1,1] op_sel_hi:[0,1]
	s_delay_alu instid0(VALU_DEP_1) | instskip(SKIP_1) | instid1(VALU_DEP_2)
	v_pk_fma_f32 v[140:141], v[136:137], v[132:133], v[138:139] op_sel_hi:[1,0,1]
	v_pk_fma_f32 v[132:133], v[136:137], v[132:133], v[138:139] neg_lo:[0,0,1] neg_hi:[0,0,1]
	v_mov_b32_e32 v133, v141
	s_cbranch_execz .LBB127_1064
	s_branch .LBB127_1065
.LBB127_1063:
                                        ; implicit-def: $vgpr132_vgpr133
.LBB127_1064:
	ds_load_b64 v[132:133], v1
.LBB127_1065:
	s_mov_b32 s2, exec_lo
	v_cmpx_ne_u32_e32 43, v0
	s_cbranch_execz .LBB127_1069
; %bb.1066:
	v_add_nc_u32_e32 v135, 0x208, v58
	v_add3_u32 v136, 0, v58, 8
	v_mov_b32_e32 v137, v0
	s_mov_b32 s3, 0
.LBB127_1067:                           ; =>This Inner Loop Header: Depth=1
	scratch_load_b64 v[138:139], v136, off
	ds_load_b64 v[140:141], v135
	s_wait_xcnt 0x0
	v_dual_add_nc_u32 v135, 8, v135 :: v_dual_add_nc_u32 v136, 8, v136
	s_wait_loadcnt_dscnt 0x0
	v_pk_mul_f32 v[142:143], v[140:141], v[138:139] op_sel:[1,1] op_sel_hi:[0,1]
	s_delay_alu instid0(VALU_DEP_1) | instskip(SKIP_2) | instid1(VALU_DEP_3)
	v_pk_fma_f32 v[144:145], v[140:141], v[138:139], v[142:143] op_sel_hi:[1,0,1]
	v_add_nc_u32_e32 v137, 1, v137
	v_pk_fma_f32 v[138:139], v[140:141], v[138:139], v[142:143] neg_lo:[0,0,1] neg_hi:[0,0,1]
	v_mov_b32_e32 v139, v145
	s_delay_alu instid0(VALU_DEP_3) | instskip(NEXT) | instid1(VALU_DEP_2)
	v_cmp_lt_u32_e32 vcc_lo, 42, v137
	v_pk_add_f32 v[132:133], v[132:133], v[138:139]
	s_or_b32 s3, vcc_lo, s3
	s_delay_alu instid0(SALU_CYCLE_1)
	s_and_not1_b32 exec_lo, exec_lo, s3
	s_cbranch_execnz .LBB127_1067
; %bb.1068:
	s_or_b32 exec_lo, exec_lo, s3
.LBB127_1069:
	s_delay_alu instid0(SALU_CYCLE_1) | instskip(SKIP_4) | instid1(VALU_DEP_1)
	s_or_b32 exec_lo, exec_lo, s2
	v_mov_b32_e32 v135, 0
	ds_load_b64 v[136:137], v135 offset:352
	s_wait_dscnt 0x0
	v_pk_mul_f32 v[138:139], v[132:133], v[136:137] op_sel:[1,1] op_sel_hi:[0,1]
	v_pk_fma_f32 v[140:141], v[132:133], v[136:137], v[138:139] op_sel_hi:[1,0,1]
	v_pk_fma_f32 v[132:133], v[132:133], v[136:137], v[138:139] neg_lo:[0,0,1] neg_hi:[0,0,1]
	s_delay_alu instid0(VALU_DEP_2)
	v_mov_b32_e32 v133, v141
	scratch_store_b64 off, v[132:133], off offset:352
.LBB127_1070:
	s_wait_xcnt 0x0
	s_or_b32 exec_lo, exec_lo, s0
	scratch_load_b64 v[132:133], off, off offset:360
	s_mov_b32 s0, exec_lo
	s_wait_loadcnt 0x0
	ds_store_b64 v1, v[132:133]
	s_wait_storecnt_dscnt 0x0
	s_barrier_signal -1
	s_barrier_wait -1
	s_wait_xcnt 0x0
	v_cmpx_gt_u32_e32 45, v0
	s_cbranch_execz .LBB127_1080
; %bb.1071:
	v_cmp_ne_u32_e32 vcc_lo, 1, v134
	s_cbranch_vccnz .LBB127_1073
; %bb.1072:
	scratch_load_b64 v[132:133], v59, off
	ds_load_b64 v[136:137], v1
	s_wait_loadcnt_dscnt 0x0
	v_pk_mul_f32 v[138:139], v[136:137], v[132:133] op_sel:[1,1] op_sel_hi:[0,1]
	s_delay_alu instid0(VALU_DEP_1) | instskip(SKIP_1) | instid1(VALU_DEP_2)
	v_pk_fma_f32 v[140:141], v[136:137], v[132:133], v[138:139] op_sel_hi:[1,0,1]
	v_pk_fma_f32 v[132:133], v[136:137], v[132:133], v[138:139] neg_lo:[0,0,1] neg_hi:[0,0,1]
	v_mov_b32_e32 v133, v141
	s_cbranch_execz .LBB127_1074
	s_branch .LBB127_1075
.LBB127_1073:
                                        ; implicit-def: $vgpr132_vgpr133
.LBB127_1074:
	ds_load_b64 v[132:133], v1
.LBB127_1075:
	s_mov_b32 s2, exec_lo
	v_cmpx_ne_u32_e32 44, v0
	s_cbranch_execz .LBB127_1079
; %bb.1076:
	v_add_nc_u32_e32 v135, 0x208, v58
	v_add3_u32 v136, 0, v58, 8
	v_mov_b32_e32 v137, v0
	s_mov_b32 s3, 0
.LBB127_1077:                           ; =>This Inner Loop Header: Depth=1
	scratch_load_b64 v[138:139], v136, off
	ds_load_b64 v[140:141], v135
	s_wait_xcnt 0x0
	v_dual_add_nc_u32 v135, 8, v135 :: v_dual_add_nc_u32 v136, 8, v136
	s_wait_loadcnt_dscnt 0x0
	v_pk_mul_f32 v[142:143], v[140:141], v[138:139] op_sel:[1,1] op_sel_hi:[0,1]
	s_delay_alu instid0(VALU_DEP_1) | instskip(SKIP_2) | instid1(VALU_DEP_3)
	v_pk_fma_f32 v[144:145], v[140:141], v[138:139], v[142:143] op_sel_hi:[1,0,1]
	v_add_nc_u32_e32 v137, 1, v137
	v_pk_fma_f32 v[138:139], v[140:141], v[138:139], v[142:143] neg_lo:[0,0,1] neg_hi:[0,0,1]
	v_mov_b32_e32 v139, v145
	s_delay_alu instid0(VALU_DEP_3) | instskip(NEXT) | instid1(VALU_DEP_2)
	v_cmp_lt_u32_e32 vcc_lo, 43, v137
	v_pk_add_f32 v[132:133], v[132:133], v[138:139]
	s_or_b32 s3, vcc_lo, s3
	s_delay_alu instid0(SALU_CYCLE_1)
	s_and_not1_b32 exec_lo, exec_lo, s3
	s_cbranch_execnz .LBB127_1077
; %bb.1078:
	s_or_b32 exec_lo, exec_lo, s3
.LBB127_1079:
	s_delay_alu instid0(SALU_CYCLE_1) | instskip(SKIP_4) | instid1(VALU_DEP_1)
	s_or_b32 exec_lo, exec_lo, s2
	v_mov_b32_e32 v135, 0
	ds_load_b64 v[136:137], v135 offset:360
	s_wait_dscnt 0x0
	v_pk_mul_f32 v[138:139], v[132:133], v[136:137] op_sel:[1,1] op_sel_hi:[0,1]
	v_pk_fma_f32 v[140:141], v[132:133], v[136:137], v[138:139] op_sel_hi:[1,0,1]
	v_pk_fma_f32 v[132:133], v[132:133], v[136:137], v[138:139] neg_lo:[0,0,1] neg_hi:[0,0,1]
	s_delay_alu instid0(VALU_DEP_2)
	v_mov_b32_e32 v133, v141
	scratch_store_b64 off, v[132:133], off offset:360
.LBB127_1080:
	s_wait_xcnt 0x0
	s_or_b32 exec_lo, exec_lo, s0
	scratch_load_b64 v[132:133], off, off offset:368
	s_mov_b32 s0, exec_lo
	s_wait_loadcnt 0x0
	ds_store_b64 v1, v[132:133]
	s_wait_storecnt_dscnt 0x0
	s_barrier_signal -1
	s_barrier_wait -1
	s_wait_xcnt 0x0
	v_cmpx_gt_u32_e32 46, v0
	s_cbranch_execz .LBB127_1090
; %bb.1081:
	v_cmp_ne_u32_e32 vcc_lo, 1, v134
	s_cbranch_vccnz .LBB127_1083
; %bb.1082:
	scratch_load_b64 v[132:133], v59, off
	ds_load_b64 v[136:137], v1
	s_wait_loadcnt_dscnt 0x0
	v_pk_mul_f32 v[138:139], v[136:137], v[132:133] op_sel:[1,1] op_sel_hi:[0,1]
	s_delay_alu instid0(VALU_DEP_1) | instskip(SKIP_1) | instid1(VALU_DEP_2)
	v_pk_fma_f32 v[140:141], v[136:137], v[132:133], v[138:139] op_sel_hi:[1,0,1]
	v_pk_fma_f32 v[132:133], v[136:137], v[132:133], v[138:139] neg_lo:[0,0,1] neg_hi:[0,0,1]
	v_mov_b32_e32 v133, v141
	s_cbranch_execz .LBB127_1084
	s_branch .LBB127_1085
.LBB127_1083:
                                        ; implicit-def: $vgpr132_vgpr133
.LBB127_1084:
	ds_load_b64 v[132:133], v1
.LBB127_1085:
	s_mov_b32 s2, exec_lo
	v_cmpx_ne_u32_e32 45, v0
	s_cbranch_execz .LBB127_1089
; %bb.1086:
	v_add_nc_u32_e32 v135, 0x208, v58
	v_add3_u32 v136, 0, v58, 8
	v_mov_b32_e32 v137, v0
	s_mov_b32 s3, 0
.LBB127_1087:                           ; =>This Inner Loop Header: Depth=1
	scratch_load_b64 v[138:139], v136, off
	ds_load_b64 v[140:141], v135
	s_wait_xcnt 0x0
	v_dual_add_nc_u32 v135, 8, v135 :: v_dual_add_nc_u32 v136, 8, v136
	s_wait_loadcnt_dscnt 0x0
	v_pk_mul_f32 v[142:143], v[140:141], v[138:139] op_sel:[1,1] op_sel_hi:[0,1]
	s_delay_alu instid0(VALU_DEP_1) | instskip(SKIP_2) | instid1(VALU_DEP_3)
	v_pk_fma_f32 v[144:145], v[140:141], v[138:139], v[142:143] op_sel_hi:[1,0,1]
	v_add_nc_u32_e32 v137, 1, v137
	v_pk_fma_f32 v[138:139], v[140:141], v[138:139], v[142:143] neg_lo:[0,0,1] neg_hi:[0,0,1]
	v_mov_b32_e32 v139, v145
	s_delay_alu instid0(VALU_DEP_3) | instskip(NEXT) | instid1(VALU_DEP_2)
	v_cmp_lt_u32_e32 vcc_lo, 44, v137
	v_pk_add_f32 v[132:133], v[132:133], v[138:139]
	s_or_b32 s3, vcc_lo, s3
	s_delay_alu instid0(SALU_CYCLE_1)
	s_and_not1_b32 exec_lo, exec_lo, s3
	s_cbranch_execnz .LBB127_1087
; %bb.1088:
	s_or_b32 exec_lo, exec_lo, s3
.LBB127_1089:
	s_delay_alu instid0(SALU_CYCLE_1) | instskip(SKIP_4) | instid1(VALU_DEP_1)
	s_or_b32 exec_lo, exec_lo, s2
	v_mov_b32_e32 v135, 0
	ds_load_b64 v[136:137], v135 offset:368
	s_wait_dscnt 0x0
	v_pk_mul_f32 v[138:139], v[132:133], v[136:137] op_sel:[1,1] op_sel_hi:[0,1]
	v_pk_fma_f32 v[140:141], v[132:133], v[136:137], v[138:139] op_sel_hi:[1,0,1]
	v_pk_fma_f32 v[132:133], v[132:133], v[136:137], v[138:139] neg_lo:[0,0,1] neg_hi:[0,0,1]
	s_delay_alu instid0(VALU_DEP_2)
	v_mov_b32_e32 v133, v141
	scratch_store_b64 off, v[132:133], off offset:368
.LBB127_1090:
	s_wait_xcnt 0x0
	s_or_b32 exec_lo, exec_lo, s0
	scratch_load_b64 v[132:133], off, off offset:376
	s_mov_b32 s0, exec_lo
	s_wait_loadcnt 0x0
	ds_store_b64 v1, v[132:133]
	s_wait_storecnt_dscnt 0x0
	s_barrier_signal -1
	s_barrier_wait -1
	s_wait_xcnt 0x0
	v_cmpx_gt_u32_e32 47, v0
	s_cbranch_execz .LBB127_1100
; %bb.1091:
	v_cmp_ne_u32_e32 vcc_lo, 1, v134
	s_cbranch_vccnz .LBB127_1093
; %bb.1092:
	scratch_load_b64 v[132:133], v59, off
	ds_load_b64 v[136:137], v1
	s_wait_loadcnt_dscnt 0x0
	v_pk_mul_f32 v[138:139], v[136:137], v[132:133] op_sel:[1,1] op_sel_hi:[0,1]
	s_delay_alu instid0(VALU_DEP_1) | instskip(SKIP_1) | instid1(VALU_DEP_2)
	v_pk_fma_f32 v[140:141], v[136:137], v[132:133], v[138:139] op_sel_hi:[1,0,1]
	v_pk_fma_f32 v[132:133], v[136:137], v[132:133], v[138:139] neg_lo:[0,0,1] neg_hi:[0,0,1]
	v_mov_b32_e32 v133, v141
	s_cbranch_execz .LBB127_1094
	s_branch .LBB127_1095
.LBB127_1093:
                                        ; implicit-def: $vgpr132_vgpr133
.LBB127_1094:
	ds_load_b64 v[132:133], v1
.LBB127_1095:
	s_mov_b32 s2, exec_lo
	v_cmpx_ne_u32_e32 46, v0
	s_cbranch_execz .LBB127_1099
; %bb.1096:
	v_add_nc_u32_e32 v135, 0x208, v58
	v_add3_u32 v136, 0, v58, 8
	v_mov_b32_e32 v137, v0
	s_mov_b32 s3, 0
.LBB127_1097:                           ; =>This Inner Loop Header: Depth=1
	scratch_load_b64 v[138:139], v136, off
	ds_load_b64 v[140:141], v135
	s_wait_xcnt 0x0
	v_dual_add_nc_u32 v135, 8, v135 :: v_dual_add_nc_u32 v136, 8, v136
	s_wait_loadcnt_dscnt 0x0
	v_pk_mul_f32 v[142:143], v[140:141], v[138:139] op_sel:[1,1] op_sel_hi:[0,1]
	s_delay_alu instid0(VALU_DEP_1) | instskip(SKIP_2) | instid1(VALU_DEP_3)
	v_pk_fma_f32 v[144:145], v[140:141], v[138:139], v[142:143] op_sel_hi:[1,0,1]
	v_add_nc_u32_e32 v137, 1, v137
	v_pk_fma_f32 v[138:139], v[140:141], v[138:139], v[142:143] neg_lo:[0,0,1] neg_hi:[0,0,1]
	v_mov_b32_e32 v139, v145
	s_delay_alu instid0(VALU_DEP_3) | instskip(NEXT) | instid1(VALU_DEP_2)
	v_cmp_lt_u32_e32 vcc_lo, 45, v137
	v_pk_add_f32 v[132:133], v[132:133], v[138:139]
	s_or_b32 s3, vcc_lo, s3
	s_delay_alu instid0(SALU_CYCLE_1)
	s_and_not1_b32 exec_lo, exec_lo, s3
	s_cbranch_execnz .LBB127_1097
; %bb.1098:
	s_or_b32 exec_lo, exec_lo, s3
.LBB127_1099:
	s_delay_alu instid0(SALU_CYCLE_1) | instskip(SKIP_4) | instid1(VALU_DEP_1)
	s_or_b32 exec_lo, exec_lo, s2
	v_mov_b32_e32 v135, 0
	ds_load_b64 v[136:137], v135 offset:376
	s_wait_dscnt 0x0
	v_pk_mul_f32 v[138:139], v[132:133], v[136:137] op_sel:[1,1] op_sel_hi:[0,1]
	v_pk_fma_f32 v[140:141], v[132:133], v[136:137], v[138:139] op_sel_hi:[1,0,1]
	v_pk_fma_f32 v[132:133], v[132:133], v[136:137], v[138:139] neg_lo:[0,0,1] neg_hi:[0,0,1]
	s_delay_alu instid0(VALU_DEP_2)
	v_mov_b32_e32 v133, v141
	scratch_store_b64 off, v[132:133], off offset:376
.LBB127_1100:
	s_wait_xcnt 0x0
	s_or_b32 exec_lo, exec_lo, s0
	scratch_load_b64 v[132:133], off, off offset:384
	s_mov_b32 s0, exec_lo
	s_wait_loadcnt 0x0
	ds_store_b64 v1, v[132:133]
	s_wait_storecnt_dscnt 0x0
	s_barrier_signal -1
	s_barrier_wait -1
	s_wait_xcnt 0x0
	v_cmpx_gt_u32_e32 48, v0
	s_cbranch_execz .LBB127_1110
; %bb.1101:
	v_cmp_ne_u32_e32 vcc_lo, 1, v134
	s_cbranch_vccnz .LBB127_1103
; %bb.1102:
	scratch_load_b64 v[132:133], v59, off
	ds_load_b64 v[136:137], v1
	s_wait_loadcnt_dscnt 0x0
	v_pk_mul_f32 v[138:139], v[136:137], v[132:133] op_sel:[1,1] op_sel_hi:[0,1]
	s_delay_alu instid0(VALU_DEP_1) | instskip(SKIP_1) | instid1(VALU_DEP_2)
	v_pk_fma_f32 v[140:141], v[136:137], v[132:133], v[138:139] op_sel_hi:[1,0,1]
	v_pk_fma_f32 v[132:133], v[136:137], v[132:133], v[138:139] neg_lo:[0,0,1] neg_hi:[0,0,1]
	v_mov_b32_e32 v133, v141
	s_cbranch_execz .LBB127_1104
	s_branch .LBB127_1105
.LBB127_1103:
                                        ; implicit-def: $vgpr132_vgpr133
.LBB127_1104:
	ds_load_b64 v[132:133], v1
.LBB127_1105:
	s_mov_b32 s2, exec_lo
	v_cmpx_ne_u32_e32 47, v0
	s_cbranch_execz .LBB127_1109
; %bb.1106:
	v_add_nc_u32_e32 v135, 0x208, v58
	v_add3_u32 v136, 0, v58, 8
	v_mov_b32_e32 v137, v0
	s_mov_b32 s3, 0
.LBB127_1107:                           ; =>This Inner Loop Header: Depth=1
	scratch_load_b64 v[138:139], v136, off
	ds_load_b64 v[140:141], v135
	s_wait_xcnt 0x0
	v_dual_add_nc_u32 v135, 8, v135 :: v_dual_add_nc_u32 v136, 8, v136
	s_wait_loadcnt_dscnt 0x0
	v_pk_mul_f32 v[142:143], v[140:141], v[138:139] op_sel:[1,1] op_sel_hi:[0,1]
	s_delay_alu instid0(VALU_DEP_1) | instskip(SKIP_2) | instid1(VALU_DEP_3)
	v_pk_fma_f32 v[144:145], v[140:141], v[138:139], v[142:143] op_sel_hi:[1,0,1]
	v_add_nc_u32_e32 v137, 1, v137
	v_pk_fma_f32 v[138:139], v[140:141], v[138:139], v[142:143] neg_lo:[0,0,1] neg_hi:[0,0,1]
	v_mov_b32_e32 v139, v145
	s_delay_alu instid0(VALU_DEP_3) | instskip(NEXT) | instid1(VALU_DEP_2)
	v_cmp_lt_u32_e32 vcc_lo, 46, v137
	v_pk_add_f32 v[132:133], v[132:133], v[138:139]
	s_or_b32 s3, vcc_lo, s3
	s_delay_alu instid0(SALU_CYCLE_1)
	s_and_not1_b32 exec_lo, exec_lo, s3
	s_cbranch_execnz .LBB127_1107
; %bb.1108:
	s_or_b32 exec_lo, exec_lo, s3
.LBB127_1109:
	s_delay_alu instid0(SALU_CYCLE_1) | instskip(SKIP_4) | instid1(VALU_DEP_1)
	s_or_b32 exec_lo, exec_lo, s2
	v_mov_b32_e32 v135, 0
	ds_load_b64 v[136:137], v135 offset:384
	s_wait_dscnt 0x0
	v_pk_mul_f32 v[138:139], v[132:133], v[136:137] op_sel:[1,1] op_sel_hi:[0,1]
	v_pk_fma_f32 v[140:141], v[132:133], v[136:137], v[138:139] op_sel_hi:[1,0,1]
	v_pk_fma_f32 v[132:133], v[132:133], v[136:137], v[138:139] neg_lo:[0,0,1] neg_hi:[0,0,1]
	s_delay_alu instid0(VALU_DEP_2)
	v_mov_b32_e32 v133, v141
	scratch_store_b64 off, v[132:133], off offset:384
.LBB127_1110:
	s_wait_xcnt 0x0
	s_or_b32 exec_lo, exec_lo, s0
	scratch_load_b64 v[132:133], off, off offset:392
	s_mov_b32 s0, exec_lo
	s_wait_loadcnt 0x0
	ds_store_b64 v1, v[132:133]
	s_wait_storecnt_dscnt 0x0
	s_barrier_signal -1
	s_barrier_wait -1
	s_wait_xcnt 0x0
	v_cmpx_gt_u32_e32 49, v0
	s_cbranch_execz .LBB127_1120
; %bb.1111:
	v_cmp_ne_u32_e32 vcc_lo, 1, v134
	s_cbranch_vccnz .LBB127_1113
; %bb.1112:
	scratch_load_b64 v[132:133], v59, off
	ds_load_b64 v[136:137], v1
	s_wait_loadcnt_dscnt 0x0
	v_pk_mul_f32 v[138:139], v[136:137], v[132:133] op_sel:[1,1] op_sel_hi:[0,1]
	s_delay_alu instid0(VALU_DEP_1) | instskip(SKIP_1) | instid1(VALU_DEP_2)
	v_pk_fma_f32 v[140:141], v[136:137], v[132:133], v[138:139] op_sel_hi:[1,0,1]
	v_pk_fma_f32 v[132:133], v[136:137], v[132:133], v[138:139] neg_lo:[0,0,1] neg_hi:[0,0,1]
	v_mov_b32_e32 v133, v141
	s_cbranch_execz .LBB127_1114
	s_branch .LBB127_1115
.LBB127_1113:
                                        ; implicit-def: $vgpr132_vgpr133
.LBB127_1114:
	ds_load_b64 v[132:133], v1
.LBB127_1115:
	s_mov_b32 s2, exec_lo
	v_cmpx_ne_u32_e32 48, v0
	s_cbranch_execz .LBB127_1119
; %bb.1116:
	v_add_nc_u32_e32 v135, 0x208, v58
	v_add3_u32 v136, 0, v58, 8
	v_mov_b32_e32 v137, v0
	s_mov_b32 s3, 0
.LBB127_1117:                           ; =>This Inner Loop Header: Depth=1
	scratch_load_b64 v[138:139], v136, off
	ds_load_b64 v[140:141], v135
	s_wait_xcnt 0x0
	v_dual_add_nc_u32 v135, 8, v135 :: v_dual_add_nc_u32 v136, 8, v136
	s_wait_loadcnt_dscnt 0x0
	v_pk_mul_f32 v[142:143], v[140:141], v[138:139] op_sel:[1,1] op_sel_hi:[0,1]
	s_delay_alu instid0(VALU_DEP_1) | instskip(SKIP_2) | instid1(VALU_DEP_3)
	v_pk_fma_f32 v[144:145], v[140:141], v[138:139], v[142:143] op_sel_hi:[1,0,1]
	v_add_nc_u32_e32 v137, 1, v137
	v_pk_fma_f32 v[138:139], v[140:141], v[138:139], v[142:143] neg_lo:[0,0,1] neg_hi:[0,0,1]
	v_mov_b32_e32 v139, v145
	s_delay_alu instid0(VALU_DEP_3) | instskip(NEXT) | instid1(VALU_DEP_2)
	v_cmp_lt_u32_e32 vcc_lo, 47, v137
	v_pk_add_f32 v[132:133], v[132:133], v[138:139]
	s_or_b32 s3, vcc_lo, s3
	s_delay_alu instid0(SALU_CYCLE_1)
	s_and_not1_b32 exec_lo, exec_lo, s3
	s_cbranch_execnz .LBB127_1117
; %bb.1118:
	s_or_b32 exec_lo, exec_lo, s3
.LBB127_1119:
	s_delay_alu instid0(SALU_CYCLE_1) | instskip(SKIP_4) | instid1(VALU_DEP_1)
	s_or_b32 exec_lo, exec_lo, s2
	v_mov_b32_e32 v135, 0
	ds_load_b64 v[136:137], v135 offset:392
	s_wait_dscnt 0x0
	v_pk_mul_f32 v[138:139], v[132:133], v[136:137] op_sel:[1,1] op_sel_hi:[0,1]
	v_pk_fma_f32 v[140:141], v[132:133], v[136:137], v[138:139] op_sel_hi:[1,0,1]
	v_pk_fma_f32 v[132:133], v[132:133], v[136:137], v[138:139] neg_lo:[0,0,1] neg_hi:[0,0,1]
	s_delay_alu instid0(VALU_DEP_2)
	v_mov_b32_e32 v133, v141
	scratch_store_b64 off, v[132:133], off offset:392
.LBB127_1120:
	s_wait_xcnt 0x0
	s_or_b32 exec_lo, exec_lo, s0
	scratch_load_b64 v[132:133], off, off offset:400
	s_mov_b32 s0, exec_lo
	s_wait_loadcnt 0x0
	ds_store_b64 v1, v[132:133]
	s_wait_storecnt_dscnt 0x0
	s_barrier_signal -1
	s_barrier_wait -1
	s_wait_xcnt 0x0
	v_cmpx_gt_u32_e32 50, v0
	s_cbranch_execz .LBB127_1130
; %bb.1121:
	v_cmp_ne_u32_e32 vcc_lo, 1, v134
	s_cbranch_vccnz .LBB127_1123
; %bb.1122:
	scratch_load_b64 v[132:133], v59, off
	ds_load_b64 v[136:137], v1
	s_wait_loadcnt_dscnt 0x0
	v_pk_mul_f32 v[138:139], v[136:137], v[132:133] op_sel:[1,1] op_sel_hi:[0,1]
	s_delay_alu instid0(VALU_DEP_1) | instskip(SKIP_1) | instid1(VALU_DEP_2)
	v_pk_fma_f32 v[140:141], v[136:137], v[132:133], v[138:139] op_sel_hi:[1,0,1]
	v_pk_fma_f32 v[132:133], v[136:137], v[132:133], v[138:139] neg_lo:[0,0,1] neg_hi:[0,0,1]
	v_mov_b32_e32 v133, v141
	s_cbranch_execz .LBB127_1124
	s_branch .LBB127_1125
.LBB127_1123:
                                        ; implicit-def: $vgpr132_vgpr133
.LBB127_1124:
	ds_load_b64 v[132:133], v1
.LBB127_1125:
	s_mov_b32 s2, exec_lo
	v_cmpx_ne_u32_e32 49, v0
	s_cbranch_execz .LBB127_1129
; %bb.1126:
	v_add_nc_u32_e32 v135, 0x208, v58
	v_add3_u32 v136, 0, v58, 8
	v_mov_b32_e32 v137, v0
	s_mov_b32 s3, 0
.LBB127_1127:                           ; =>This Inner Loop Header: Depth=1
	scratch_load_b64 v[138:139], v136, off
	ds_load_b64 v[140:141], v135
	s_wait_xcnt 0x0
	v_dual_add_nc_u32 v135, 8, v135 :: v_dual_add_nc_u32 v136, 8, v136
	s_wait_loadcnt_dscnt 0x0
	v_pk_mul_f32 v[142:143], v[140:141], v[138:139] op_sel:[1,1] op_sel_hi:[0,1]
	s_delay_alu instid0(VALU_DEP_1) | instskip(SKIP_2) | instid1(VALU_DEP_3)
	v_pk_fma_f32 v[144:145], v[140:141], v[138:139], v[142:143] op_sel_hi:[1,0,1]
	v_add_nc_u32_e32 v137, 1, v137
	v_pk_fma_f32 v[138:139], v[140:141], v[138:139], v[142:143] neg_lo:[0,0,1] neg_hi:[0,0,1]
	v_mov_b32_e32 v139, v145
	s_delay_alu instid0(VALU_DEP_3) | instskip(NEXT) | instid1(VALU_DEP_2)
	v_cmp_lt_u32_e32 vcc_lo, 48, v137
	v_pk_add_f32 v[132:133], v[132:133], v[138:139]
	s_or_b32 s3, vcc_lo, s3
	s_delay_alu instid0(SALU_CYCLE_1)
	s_and_not1_b32 exec_lo, exec_lo, s3
	s_cbranch_execnz .LBB127_1127
; %bb.1128:
	s_or_b32 exec_lo, exec_lo, s3
.LBB127_1129:
	s_delay_alu instid0(SALU_CYCLE_1) | instskip(SKIP_4) | instid1(VALU_DEP_1)
	s_or_b32 exec_lo, exec_lo, s2
	v_mov_b32_e32 v135, 0
	ds_load_b64 v[136:137], v135 offset:400
	s_wait_dscnt 0x0
	v_pk_mul_f32 v[138:139], v[132:133], v[136:137] op_sel:[1,1] op_sel_hi:[0,1]
	v_pk_fma_f32 v[140:141], v[132:133], v[136:137], v[138:139] op_sel_hi:[1,0,1]
	v_pk_fma_f32 v[132:133], v[132:133], v[136:137], v[138:139] neg_lo:[0,0,1] neg_hi:[0,0,1]
	s_delay_alu instid0(VALU_DEP_2)
	v_mov_b32_e32 v133, v141
	scratch_store_b64 off, v[132:133], off offset:400
.LBB127_1130:
	s_wait_xcnt 0x0
	s_or_b32 exec_lo, exec_lo, s0
	scratch_load_b64 v[132:133], off, off offset:408
	s_mov_b32 s0, exec_lo
	s_wait_loadcnt 0x0
	ds_store_b64 v1, v[132:133]
	s_wait_storecnt_dscnt 0x0
	s_barrier_signal -1
	s_barrier_wait -1
	s_wait_xcnt 0x0
	v_cmpx_gt_u32_e32 51, v0
	s_cbranch_execz .LBB127_1140
; %bb.1131:
	v_cmp_ne_u32_e32 vcc_lo, 1, v134
	s_cbranch_vccnz .LBB127_1133
; %bb.1132:
	scratch_load_b64 v[132:133], v59, off
	ds_load_b64 v[136:137], v1
	s_wait_loadcnt_dscnt 0x0
	v_pk_mul_f32 v[138:139], v[136:137], v[132:133] op_sel:[1,1] op_sel_hi:[0,1]
	s_delay_alu instid0(VALU_DEP_1) | instskip(SKIP_1) | instid1(VALU_DEP_2)
	v_pk_fma_f32 v[140:141], v[136:137], v[132:133], v[138:139] op_sel_hi:[1,0,1]
	v_pk_fma_f32 v[132:133], v[136:137], v[132:133], v[138:139] neg_lo:[0,0,1] neg_hi:[0,0,1]
	v_mov_b32_e32 v133, v141
	s_cbranch_execz .LBB127_1134
	s_branch .LBB127_1135
.LBB127_1133:
                                        ; implicit-def: $vgpr132_vgpr133
.LBB127_1134:
	ds_load_b64 v[132:133], v1
.LBB127_1135:
	s_mov_b32 s2, exec_lo
	v_cmpx_ne_u32_e32 50, v0
	s_cbranch_execz .LBB127_1139
; %bb.1136:
	v_add_nc_u32_e32 v135, 0x208, v58
	v_add3_u32 v136, 0, v58, 8
	v_mov_b32_e32 v137, v0
	s_mov_b32 s3, 0
.LBB127_1137:                           ; =>This Inner Loop Header: Depth=1
	scratch_load_b64 v[138:139], v136, off
	ds_load_b64 v[140:141], v135
	s_wait_xcnt 0x0
	v_dual_add_nc_u32 v135, 8, v135 :: v_dual_add_nc_u32 v136, 8, v136
	s_wait_loadcnt_dscnt 0x0
	v_pk_mul_f32 v[142:143], v[140:141], v[138:139] op_sel:[1,1] op_sel_hi:[0,1]
	s_delay_alu instid0(VALU_DEP_1) | instskip(SKIP_2) | instid1(VALU_DEP_3)
	v_pk_fma_f32 v[144:145], v[140:141], v[138:139], v[142:143] op_sel_hi:[1,0,1]
	v_add_nc_u32_e32 v137, 1, v137
	v_pk_fma_f32 v[138:139], v[140:141], v[138:139], v[142:143] neg_lo:[0,0,1] neg_hi:[0,0,1]
	v_mov_b32_e32 v139, v145
	s_delay_alu instid0(VALU_DEP_3) | instskip(NEXT) | instid1(VALU_DEP_2)
	v_cmp_lt_u32_e32 vcc_lo, 49, v137
	v_pk_add_f32 v[132:133], v[132:133], v[138:139]
	s_or_b32 s3, vcc_lo, s3
	s_delay_alu instid0(SALU_CYCLE_1)
	s_and_not1_b32 exec_lo, exec_lo, s3
	s_cbranch_execnz .LBB127_1137
; %bb.1138:
	s_or_b32 exec_lo, exec_lo, s3
.LBB127_1139:
	s_delay_alu instid0(SALU_CYCLE_1) | instskip(SKIP_4) | instid1(VALU_DEP_1)
	s_or_b32 exec_lo, exec_lo, s2
	v_mov_b32_e32 v135, 0
	ds_load_b64 v[136:137], v135 offset:408
	s_wait_dscnt 0x0
	v_pk_mul_f32 v[138:139], v[132:133], v[136:137] op_sel:[1,1] op_sel_hi:[0,1]
	v_pk_fma_f32 v[140:141], v[132:133], v[136:137], v[138:139] op_sel_hi:[1,0,1]
	v_pk_fma_f32 v[132:133], v[132:133], v[136:137], v[138:139] neg_lo:[0,0,1] neg_hi:[0,0,1]
	s_delay_alu instid0(VALU_DEP_2)
	v_mov_b32_e32 v133, v141
	scratch_store_b64 off, v[132:133], off offset:408
.LBB127_1140:
	s_wait_xcnt 0x0
	s_or_b32 exec_lo, exec_lo, s0
	scratch_load_b64 v[132:133], off, off offset:416
	s_mov_b32 s0, exec_lo
	s_wait_loadcnt 0x0
	ds_store_b64 v1, v[132:133]
	s_wait_storecnt_dscnt 0x0
	s_barrier_signal -1
	s_barrier_wait -1
	s_wait_xcnt 0x0
	v_cmpx_gt_u32_e32 52, v0
	s_cbranch_execz .LBB127_1150
; %bb.1141:
	v_cmp_ne_u32_e32 vcc_lo, 1, v134
	s_cbranch_vccnz .LBB127_1143
; %bb.1142:
	scratch_load_b64 v[132:133], v59, off
	ds_load_b64 v[136:137], v1
	s_wait_loadcnt_dscnt 0x0
	v_pk_mul_f32 v[138:139], v[136:137], v[132:133] op_sel:[1,1] op_sel_hi:[0,1]
	s_delay_alu instid0(VALU_DEP_1) | instskip(SKIP_1) | instid1(VALU_DEP_2)
	v_pk_fma_f32 v[140:141], v[136:137], v[132:133], v[138:139] op_sel_hi:[1,0,1]
	v_pk_fma_f32 v[132:133], v[136:137], v[132:133], v[138:139] neg_lo:[0,0,1] neg_hi:[0,0,1]
	v_mov_b32_e32 v133, v141
	s_cbranch_execz .LBB127_1144
	s_branch .LBB127_1145
.LBB127_1143:
                                        ; implicit-def: $vgpr132_vgpr133
.LBB127_1144:
	ds_load_b64 v[132:133], v1
.LBB127_1145:
	s_mov_b32 s2, exec_lo
	v_cmpx_ne_u32_e32 51, v0
	s_cbranch_execz .LBB127_1149
; %bb.1146:
	v_add_nc_u32_e32 v135, 0x208, v58
	v_add3_u32 v136, 0, v58, 8
	v_mov_b32_e32 v137, v0
	s_mov_b32 s3, 0
.LBB127_1147:                           ; =>This Inner Loop Header: Depth=1
	scratch_load_b64 v[138:139], v136, off
	ds_load_b64 v[140:141], v135
	s_wait_xcnt 0x0
	v_dual_add_nc_u32 v135, 8, v135 :: v_dual_add_nc_u32 v136, 8, v136
	s_wait_loadcnt_dscnt 0x0
	v_pk_mul_f32 v[142:143], v[140:141], v[138:139] op_sel:[1,1] op_sel_hi:[0,1]
	s_delay_alu instid0(VALU_DEP_1) | instskip(SKIP_2) | instid1(VALU_DEP_3)
	v_pk_fma_f32 v[144:145], v[140:141], v[138:139], v[142:143] op_sel_hi:[1,0,1]
	v_add_nc_u32_e32 v137, 1, v137
	v_pk_fma_f32 v[138:139], v[140:141], v[138:139], v[142:143] neg_lo:[0,0,1] neg_hi:[0,0,1]
	v_mov_b32_e32 v139, v145
	s_delay_alu instid0(VALU_DEP_3) | instskip(NEXT) | instid1(VALU_DEP_2)
	v_cmp_lt_u32_e32 vcc_lo, 50, v137
	v_pk_add_f32 v[132:133], v[132:133], v[138:139]
	s_or_b32 s3, vcc_lo, s3
	s_delay_alu instid0(SALU_CYCLE_1)
	s_and_not1_b32 exec_lo, exec_lo, s3
	s_cbranch_execnz .LBB127_1147
; %bb.1148:
	s_or_b32 exec_lo, exec_lo, s3
.LBB127_1149:
	s_delay_alu instid0(SALU_CYCLE_1) | instskip(SKIP_4) | instid1(VALU_DEP_1)
	s_or_b32 exec_lo, exec_lo, s2
	v_mov_b32_e32 v135, 0
	ds_load_b64 v[136:137], v135 offset:416
	s_wait_dscnt 0x0
	v_pk_mul_f32 v[138:139], v[132:133], v[136:137] op_sel:[1,1] op_sel_hi:[0,1]
	v_pk_fma_f32 v[140:141], v[132:133], v[136:137], v[138:139] op_sel_hi:[1,0,1]
	v_pk_fma_f32 v[132:133], v[132:133], v[136:137], v[138:139] neg_lo:[0,0,1] neg_hi:[0,0,1]
	s_delay_alu instid0(VALU_DEP_2)
	v_mov_b32_e32 v133, v141
	scratch_store_b64 off, v[132:133], off offset:416
.LBB127_1150:
	s_wait_xcnt 0x0
	s_or_b32 exec_lo, exec_lo, s0
	scratch_load_b64 v[132:133], off, off offset:424
	s_mov_b32 s0, exec_lo
	s_wait_loadcnt 0x0
	ds_store_b64 v1, v[132:133]
	s_wait_storecnt_dscnt 0x0
	s_barrier_signal -1
	s_barrier_wait -1
	s_wait_xcnt 0x0
	v_cmpx_gt_u32_e32 53, v0
	s_cbranch_execz .LBB127_1160
; %bb.1151:
	v_cmp_ne_u32_e32 vcc_lo, 1, v134
	s_cbranch_vccnz .LBB127_1153
; %bb.1152:
	scratch_load_b64 v[132:133], v59, off
	ds_load_b64 v[136:137], v1
	s_wait_loadcnt_dscnt 0x0
	v_pk_mul_f32 v[138:139], v[136:137], v[132:133] op_sel:[1,1] op_sel_hi:[0,1]
	s_delay_alu instid0(VALU_DEP_1) | instskip(SKIP_1) | instid1(VALU_DEP_2)
	v_pk_fma_f32 v[140:141], v[136:137], v[132:133], v[138:139] op_sel_hi:[1,0,1]
	v_pk_fma_f32 v[132:133], v[136:137], v[132:133], v[138:139] neg_lo:[0,0,1] neg_hi:[0,0,1]
	v_mov_b32_e32 v133, v141
	s_cbranch_execz .LBB127_1154
	s_branch .LBB127_1155
.LBB127_1153:
                                        ; implicit-def: $vgpr132_vgpr133
.LBB127_1154:
	ds_load_b64 v[132:133], v1
.LBB127_1155:
	s_mov_b32 s2, exec_lo
	v_cmpx_ne_u32_e32 52, v0
	s_cbranch_execz .LBB127_1159
; %bb.1156:
	v_add_nc_u32_e32 v135, 0x208, v58
	v_add3_u32 v136, 0, v58, 8
	v_mov_b32_e32 v137, v0
	s_mov_b32 s3, 0
.LBB127_1157:                           ; =>This Inner Loop Header: Depth=1
	scratch_load_b64 v[138:139], v136, off
	ds_load_b64 v[140:141], v135
	s_wait_xcnt 0x0
	v_dual_add_nc_u32 v135, 8, v135 :: v_dual_add_nc_u32 v136, 8, v136
	s_wait_loadcnt_dscnt 0x0
	v_pk_mul_f32 v[142:143], v[140:141], v[138:139] op_sel:[1,1] op_sel_hi:[0,1]
	s_delay_alu instid0(VALU_DEP_1) | instskip(SKIP_2) | instid1(VALU_DEP_3)
	v_pk_fma_f32 v[144:145], v[140:141], v[138:139], v[142:143] op_sel_hi:[1,0,1]
	v_add_nc_u32_e32 v137, 1, v137
	v_pk_fma_f32 v[138:139], v[140:141], v[138:139], v[142:143] neg_lo:[0,0,1] neg_hi:[0,0,1]
	v_mov_b32_e32 v139, v145
	s_delay_alu instid0(VALU_DEP_3) | instskip(NEXT) | instid1(VALU_DEP_2)
	v_cmp_lt_u32_e32 vcc_lo, 51, v137
	v_pk_add_f32 v[132:133], v[132:133], v[138:139]
	s_or_b32 s3, vcc_lo, s3
	s_delay_alu instid0(SALU_CYCLE_1)
	s_and_not1_b32 exec_lo, exec_lo, s3
	s_cbranch_execnz .LBB127_1157
; %bb.1158:
	s_or_b32 exec_lo, exec_lo, s3
.LBB127_1159:
	s_delay_alu instid0(SALU_CYCLE_1) | instskip(SKIP_4) | instid1(VALU_DEP_1)
	s_or_b32 exec_lo, exec_lo, s2
	v_mov_b32_e32 v135, 0
	ds_load_b64 v[136:137], v135 offset:424
	s_wait_dscnt 0x0
	v_pk_mul_f32 v[138:139], v[132:133], v[136:137] op_sel:[1,1] op_sel_hi:[0,1]
	v_pk_fma_f32 v[140:141], v[132:133], v[136:137], v[138:139] op_sel_hi:[1,0,1]
	v_pk_fma_f32 v[132:133], v[132:133], v[136:137], v[138:139] neg_lo:[0,0,1] neg_hi:[0,0,1]
	s_delay_alu instid0(VALU_DEP_2)
	v_mov_b32_e32 v133, v141
	scratch_store_b64 off, v[132:133], off offset:424
.LBB127_1160:
	s_wait_xcnt 0x0
	s_or_b32 exec_lo, exec_lo, s0
	scratch_load_b64 v[132:133], off, off offset:432
	s_mov_b32 s0, exec_lo
	s_wait_loadcnt 0x0
	ds_store_b64 v1, v[132:133]
	s_wait_storecnt_dscnt 0x0
	s_barrier_signal -1
	s_barrier_wait -1
	s_wait_xcnt 0x0
	v_cmpx_gt_u32_e32 54, v0
	s_cbranch_execz .LBB127_1170
; %bb.1161:
	v_cmp_ne_u32_e32 vcc_lo, 1, v134
	s_cbranch_vccnz .LBB127_1163
; %bb.1162:
	scratch_load_b64 v[132:133], v59, off
	ds_load_b64 v[136:137], v1
	s_wait_loadcnt_dscnt 0x0
	v_pk_mul_f32 v[138:139], v[136:137], v[132:133] op_sel:[1,1] op_sel_hi:[0,1]
	s_delay_alu instid0(VALU_DEP_1) | instskip(SKIP_1) | instid1(VALU_DEP_2)
	v_pk_fma_f32 v[140:141], v[136:137], v[132:133], v[138:139] op_sel_hi:[1,0,1]
	v_pk_fma_f32 v[132:133], v[136:137], v[132:133], v[138:139] neg_lo:[0,0,1] neg_hi:[0,0,1]
	v_mov_b32_e32 v133, v141
	s_cbranch_execz .LBB127_1164
	s_branch .LBB127_1165
.LBB127_1163:
                                        ; implicit-def: $vgpr132_vgpr133
.LBB127_1164:
	ds_load_b64 v[132:133], v1
.LBB127_1165:
	s_mov_b32 s2, exec_lo
	v_cmpx_ne_u32_e32 53, v0
	s_cbranch_execz .LBB127_1169
; %bb.1166:
	v_add_nc_u32_e32 v135, 0x208, v58
	v_add3_u32 v136, 0, v58, 8
	v_mov_b32_e32 v137, v0
	s_mov_b32 s3, 0
.LBB127_1167:                           ; =>This Inner Loop Header: Depth=1
	scratch_load_b64 v[138:139], v136, off
	ds_load_b64 v[140:141], v135
	s_wait_xcnt 0x0
	v_dual_add_nc_u32 v135, 8, v135 :: v_dual_add_nc_u32 v136, 8, v136
	s_wait_loadcnt_dscnt 0x0
	v_pk_mul_f32 v[142:143], v[140:141], v[138:139] op_sel:[1,1] op_sel_hi:[0,1]
	s_delay_alu instid0(VALU_DEP_1) | instskip(SKIP_2) | instid1(VALU_DEP_3)
	v_pk_fma_f32 v[144:145], v[140:141], v[138:139], v[142:143] op_sel_hi:[1,0,1]
	v_add_nc_u32_e32 v137, 1, v137
	v_pk_fma_f32 v[138:139], v[140:141], v[138:139], v[142:143] neg_lo:[0,0,1] neg_hi:[0,0,1]
	v_mov_b32_e32 v139, v145
	s_delay_alu instid0(VALU_DEP_3) | instskip(NEXT) | instid1(VALU_DEP_2)
	v_cmp_lt_u32_e32 vcc_lo, 52, v137
	v_pk_add_f32 v[132:133], v[132:133], v[138:139]
	s_or_b32 s3, vcc_lo, s3
	s_delay_alu instid0(SALU_CYCLE_1)
	s_and_not1_b32 exec_lo, exec_lo, s3
	s_cbranch_execnz .LBB127_1167
; %bb.1168:
	s_or_b32 exec_lo, exec_lo, s3
.LBB127_1169:
	s_delay_alu instid0(SALU_CYCLE_1) | instskip(SKIP_4) | instid1(VALU_DEP_1)
	s_or_b32 exec_lo, exec_lo, s2
	v_mov_b32_e32 v135, 0
	ds_load_b64 v[136:137], v135 offset:432
	s_wait_dscnt 0x0
	v_pk_mul_f32 v[138:139], v[132:133], v[136:137] op_sel:[1,1] op_sel_hi:[0,1]
	v_pk_fma_f32 v[140:141], v[132:133], v[136:137], v[138:139] op_sel_hi:[1,0,1]
	v_pk_fma_f32 v[132:133], v[132:133], v[136:137], v[138:139] neg_lo:[0,0,1] neg_hi:[0,0,1]
	s_delay_alu instid0(VALU_DEP_2)
	v_mov_b32_e32 v133, v141
	scratch_store_b64 off, v[132:133], off offset:432
.LBB127_1170:
	s_wait_xcnt 0x0
	s_or_b32 exec_lo, exec_lo, s0
	scratch_load_b64 v[132:133], off, off offset:440
	s_mov_b32 s0, exec_lo
	s_wait_loadcnt 0x0
	ds_store_b64 v1, v[132:133]
	s_wait_storecnt_dscnt 0x0
	s_barrier_signal -1
	s_barrier_wait -1
	s_wait_xcnt 0x0
	v_cmpx_gt_u32_e32 55, v0
	s_cbranch_execz .LBB127_1180
; %bb.1171:
	v_cmp_ne_u32_e32 vcc_lo, 1, v134
	s_cbranch_vccnz .LBB127_1173
; %bb.1172:
	scratch_load_b64 v[132:133], v59, off
	ds_load_b64 v[136:137], v1
	s_wait_loadcnt_dscnt 0x0
	v_pk_mul_f32 v[138:139], v[136:137], v[132:133] op_sel:[1,1] op_sel_hi:[0,1]
	s_delay_alu instid0(VALU_DEP_1) | instskip(SKIP_1) | instid1(VALU_DEP_2)
	v_pk_fma_f32 v[140:141], v[136:137], v[132:133], v[138:139] op_sel_hi:[1,0,1]
	v_pk_fma_f32 v[132:133], v[136:137], v[132:133], v[138:139] neg_lo:[0,0,1] neg_hi:[0,0,1]
	v_mov_b32_e32 v133, v141
	s_cbranch_execz .LBB127_1174
	s_branch .LBB127_1175
.LBB127_1173:
                                        ; implicit-def: $vgpr132_vgpr133
.LBB127_1174:
	ds_load_b64 v[132:133], v1
.LBB127_1175:
	s_mov_b32 s2, exec_lo
	v_cmpx_ne_u32_e32 54, v0
	s_cbranch_execz .LBB127_1179
; %bb.1176:
	v_add_nc_u32_e32 v135, 0x208, v58
	v_add3_u32 v136, 0, v58, 8
	v_mov_b32_e32 v137, v0
	s_mov_b32 s3, 0
.LBB127_1177:                           ; =>This Inner Loop Header: Depth=1
	scratch_load_b64 v[138:139], v136, off
	ds_load_b64 v[140:141], v135
	s_wait_xcnt 0x0
	v_dual_add_nc_u32 v135, 8, v135 :: v_dual_add_nc_u32 v136, 8, v136
	s_wait_loadcnt_dscnt 0x0
	v_pk_mul_f32 v[142:143], v[140:141], v[138:139] op_sel:[1,1] op_sel_hi:[0,1]
	s_delay_alu instid0(VALU_DEP_1) | instskip(SKIP_2) | instid1(VALU_DEP_3)
	v_pk_fma_f32 v[144:145], v[140:141], v[138:139], v[142:143] op_sel_hi:[1,0,1]
	v_add_nc_u32_e32 v137, 1, v137
	v_pk_fma_f32 v[138:139], v[140:141], v[138:139], v[142:143] neg_lo:[0,0,1] neg_hi:[0,0,1]
	v_mov_b32_e32 v139, v145
	s_delay_alu instid0(VALU_DEP_3) | instskip(NEXT) | instid1(VALU_DEP_2)
	v_cmp_lt_u32_e32 vcc_lo, 53, v137
	v_pk_add_f32 v[132:133], v[132:133], v[138:139]
	s_or_b32 s3, vcc_lo, s3
	s_delay_alu instid0(SALU_CYCLE_1)
	s_and_not1_b32 exec_lo, exec_lo, s3
	s_cbranch_execnz .LBB127_1177
; %bb.1178:
	s_or_b32 exec_lo, exec_lo, s3
.LBB127_1179:
	s_delay_alu instid0(SALU_CYCLE_1) | instskip(SKIP_4) | instid1(VALU_DEP_1)
	s_or_b32 exec_lo, exec_lo, s2
	v_mov_b32_e32 v135, 0
	ds_load_b64 v[136:137], v135 offset:440
	s_wait_dscnt 0x0
	v_pk_mul_f32 v[138:139], v[132:133], v[136:137] op_sel:[1,1] op_sel_hi:[0,1]
	v_pk_fma_f32 v[140:141], v[132:133], v[136:137], v[138:139] op_sel_hi:[1,0,1]
	v_pk_fma_f32 v[132:133], v[132:133], v[136:137], v[138:139] neg_lo:[0,0,1] neg_hi:[0,0,1]
	s_delay_alu instid0(VALU_DEP_2)
	v_mov_b32_e32 v133, v141
	scratch_store_b64 off, v[132:133], off offset:440
.LBB127_1180:
	s_wait_xcnt 0x0
	s_or_b32 exec_lo, exec_lo, s0
	scratch_load_b64 v[132:133], off, off offset:448
	s_mov_b32 s0, exec_lo
	s_wait_loadcnt 0x0
	ds_store_b64 v1, v[132:133]
	s_wait_storecnt_dscnt 0x0
	s_barrier_signal -1
	s_barrier_wait -1
	s_wait_xcnt 0x0
	v_cmpx_gt_u32_e32 56, v0
	s_cbranch_execz .LBB127_1190
; %bb.1181:
	v_cmp_ne_u32_e32 vcc_lo, 1, v134
	s_cbranch_vccnz .LBB127_1183
; %bb.1182:
	scratch_load_b64 v[132:133], v59, off
	ds_load_b64 v[136:137], v1
	s_wait_loadcnt_dscnt 0x0
	v_pk_mul_f32 v[138:139], v[136:137], v[132:133] op_sel:[1,1] op_sel_hi:[0,1]
	s_delay_alu instid0(VALU_DEP_1) | instskip(SKIP_1) | instid1(VALU_DEP_2)
	v_pk_fma_f32 v[140:141], v[136:137], v[132:133], v[138:139] op_sel_hi:[1,0,1]
	v_pk_fma_f32 v[132:133], v[136:137], v[132:133], v[138:139] neg_lo:[0,0,1] neg_hi:[0,0,1]
	v_mov_b32_e32 v133, v141
	s_cbranch_execz .LBB127_1184
	s_branch .LBB127_1185
.LBB127_1183:
                                        ; implicit-def: $vgpr132_vgpr133
.LBB127_1184:
	ds_load_b64 v[132:133], v1
.LBB127_1185:
	s_mov_b32 s2, exec_lo
	v_cmpx_ne_u32_e32 55, v0
	s_cbranch_execz .LBB127_1189
; %bb.1186:
	v_add_nc_u32_e32 v135, 0x208, v58
	v_add3_u32 v136, 0, v58, 8
	v_mov_b32_e32 v137, v0
	s_mov_b32 s3, 0
.LBB127_1187:                           ; =>This Inner Loop Header: Depth=1
	scratch_load_b64 v[138:139], v136, off
	ds_load_b64 v[140:141], v135
	s_wait_xcnt 0x0
	v_dual_add_nc_u32 v135, 8, v135 :: v_dual_add_nc_u32 v136, 8, v136
	s_wait_loadcnt_dscnt 0x0
	v_pk_mul_f32 v[142:143], v[140:141], v[138:139] op_sel:[1,1] op_sel_hi:[0,1]
	s_delay_alu instid0(VALU_DEP_1) | instskip(SKIP_2) | instid1(VALU_DEP_3)
	v_pk_fma_f32 v[144:145], v[140:141], v[138:139], v[142:143] op_sel_hi:[1,0,1]
	v_add_nc_u32_e32 v137, 1, v137
	v_pk_fma_f32 v[138:139], v[140:141], v[138:139], v[142:143] neg_lo:[0,0,1] neg_hi:[0,0,1]
	v_mov_b32_e32 v139, v145
	s_delay_alu instid0(VALU_DEP_3) | instskip(NEXT) | instid1(VALU_DEP_2)
	v_cmp_lt_u32_e32 vcc_lo, 54, v137
	v_pk_add_f32 v[132:133], v[132:133], v[138:139]
	s_or_b32 s3, vcc_lo, s3
	s_delay_alu instid0(SALU_CYCLE_1)
	s_and_not1_b32 exec_lo, exec_lo, s3
	s_cbranch_execnz .LBB127_1187
; %bb.1188:
	s_or_b32 exec_lo, exec_lo, s3
.LBB127_1189:
	s_delay_alu instid0(SALU_CYCLE_1) | instskip(SKIP_4) | instid1(VALU_DEP_1)
	s_or_b32 exec_lo, exec_lo, s2
	v_mov_b32_e32 v135, 0
	ds_load_b64 v[136:137], v135 offset:448
	s_wait_dscnt 0x0
	v_pk_mul_f32 v[138:139], v[132:133], v[136:137] op_sel:[1,1] op_sel_hi:[0,1]
	v_pk_fma_f32 v[140:141], v[132:133], v[136:137], v[138:139] op_sel_hi:[1,0,1]
	v_pk_fma_f32 v[132:133], v[132:133], v[136:137], v[138:139] neg_lo:[0,0,1] neg_hi:[0,0,1]
	s_delay_alu instid0(VALU_DEP_2)
	v_mov_b32_e32 v133, v141
	scratch_store_b64 off, v[132:133], off offset:448
.LBB127_1190:
	s_wait_xcnt 0x0
	s_or_b32 exec_lo, exec_lo, s0
	scratch_load_b64 v[132:133], off, off offset:456
	s_mov_b32 s0, exec_lo
	s_wait_loadcnt 0x0
	ds_store_b64 v1, v[132:133]
	s_wait_storecnt_dscnt 0x0
	s_barrier_signal -1
	s_barrier_wait -1
	s_wait_xcnt 0x0
	v_cmpx_gt_u32_e32 57, v0
	s_cbranch_execz .LBB127_1200
; %bb.1191:
	v_cmp_ne_u32_e32 vcc_lo, 1, v134
	s_cbranch_vccnz .LBB127_1193
; %bb.1192:
	scratch_load_b64 v[132:133], v59, off
	ds_load_b64 v[136:137], v1
	s_wait_loadcnt_dscnt 0x0
	v_pk_mul_f32 v[138:139], v[136:137], v[132:133] op_sel:[1,1] op_sel_hi:[0,1]
	s_delay_alu instid0(VALU_DEP_1) | instskip(SKIP_1) | instid1(VALU_DEP_2)
	v_pk_fma_f32 v[140:141], v[136:137], v[132:133], v[138:139] op_sel_hi:[1,0,1]
	v_pk_fma_f32 v[132:133], v[136:137], v[132:133], v[138:139] neg_lo:[0,0,1] neg_hi:[0,0,1]
	v_mov_b32_e32 v133, v141
	s_cbranch_execz .LBB127_1194
	s_branch .LBB127_1195
.LBB127_1193:
                                        ; implicit-def: $vgpr132_vgpr133
.LBB127_1194:
	ds_load_b64 v[132:133], v1
.LBB127_1195:
	s_mov_b32 s2, exec_lo
	v_cmpx_ne_u32_e32 56, v0
	s_cbranch_execz .LBB127_1199
; %bb.1196:
	v_add_nc_u32_e32 v135, 0x208, v58
	v_add3_u32 v136, 0, v58, 8
	v_mov_b32_e32 v137, v0
	s_mov_b32 s3, 0
.LBB127_1197:                           ; =>This Inner Loop Header: Depth=1
	scratch_load_b64 v[138:139], v136, off
	ds_load_b64 v[140:141], v135
	s_wait_xcnt 0x0
	v_dual_add_nc_u32 v135, 8, v135 :: v_dual_add_nc_u32 v136, 8, v136
	s_wait_loadcnt_dscnt 0x0
	v_pk_mul_f32 v[142:143], v[140:141], v[138:139] op_sel:[1,1] op_sel_hi:[0,1]
	s_delay_alu instid0(VALU_DEP_1) | instskip(SKIP_2) | instid1(VALU_DEP_3)
	v_pk_fma_f32 v[144:145], v[140:141], v[138:139], v[142:143] op_sel_hi:[1,0,1]
	v_add_nc_u32_e32 v137, 1, v137
	v_pk_fma_f32 v[138:139], v[140:141], v[138:139], v[142:143] neg_lo:[0,0,1] neg_hi:[0,0,1]
	v_mov_b32_e32 v139, v145
	s_delay_alu instid0(VALU_DEP_3) | instskip(NEXT) | instid1(VALU_DEP_2)
	v_cmp_lt_u32_e32 vcc_lo, 55, v137
	v_pk_add_f32 v[132:133], v[132:133], v[138:139]
	s_or_b32 s3, vcc_lo, s3
	s_delay_alu instid0(SALU_CYCLE_1)
	s_and_not1_b32 exec_lo, exec_lo, s3
	s_cbranch_execnz .LBB127_1197
; %bb.1198:
	s_or_b32 exec_lo, exec_lo, s3
.LBB127_1199:
	s_delay_alu instid0(SALU_CYCLE_1) | instskip(SKIP_4) | instid1(VALU_DEP_1)
	s_or_b32 exec_lo, exec_lo, s2
	v_mov_b32_e32 v135, 0
	ds_load_b64 v[136:137], v135 offset:456
	s_wait_dscnt 0x0
	v_pk_mul_f32 v[138:139], v[132:133], v[136:137] op_sel:[1,1] op_sel_hi:[0,1]
	v_pk_fma_f32 v[140:141], v[132:133], v[136:137], v[138:139] op_sel_hi:[1,0,1]
	v_pk_fma_f32 v[132:133], v[132:133], v[136:137], v[138:139] neg_lo:[0,0,1] neg_hi:[0,0,1]
	s_delay_alu instid0(VALU_DEP_2)
	v_mov_b32_e32 v133, v141
	scratch_store_b64 off, v[132:133], off offset:456
.LBB127_1200:
	s_wait_xcnt 0x0
	s_or_b32 exec_lo, exec_lo, s0
	scratch_load_b64 v[132:133], off, off offset:464
	s_mov_b32 s0, exec_lo
	s_wait_loadcnt 0x0
	ds_store_b64 v1, v[132:133]
	s_wait_storecnt_dscnt 0x0
	s_barrier_signal -1
	s_barrier_wait -1
	s_wait_xcnt 0x0
	v_cmpx_gt_u32_e32 58, v0
	s_cbranch_execz .LBB127_1210
; %bb.1201:
	v_cmp_ne_u32_e32 vcc_lo, 1, v134
	s_cbranch_vccnz .LBB127_1203
; %bb.1202:
	scratch_load_b64 v[132:133], v59, off
	ds_load_b64 v[136:137], v1
	s_wait_loadcnt_dscnt 0x0
	v_pk_mul_f32 v[138:139], v[136:137], v[132:133] op_sel:[1,1] op_sel_hi:[0,1]
	s_delay_alu instid0(VALU_DEP_1) | instskip(SKIP_1) | instid1(VALU_DEP_2)
	v_pk_fma_f32 v[140:141], v[136:137], v[132:133], v[138:139] op_sel_hi:[1,0,1]
	v_pk_fma_f32 v[132:133], v[136:137], v[132:133], v[138:139] neg_lo:[0,0,1] neg_hi:[0,0,1]
	v_mov_b32_e32 v133, v141
	s_cbranch_execz .LBB127_1204
	s_branch .LBB127_1205
.LBB127_1203:
                                        ; implicit-def: $vgpr132_vgpr133
.LBB127_1204:
	ds_load_b64 v[132:133], v1
.LBB127_1205:
	s_mov_b32 s2, exec_lo
	v_cmpx_ne_u32_e32 57, v0
	s_cbranch_execz .LBB127_1209
; %bb.1206:
	v_add_nc_u32_e32 v135, 0x208, v58
	v_add3_u32 v136, 0, v58, 8
	v_mov_b32_e32 v137, v0
	s_mov_b32 s3, 0
.LBB127_1207:                           ; =>This Inner Loop Header: Depth=1
	scratch_load_b64 v[138:139], v136, off
	ds_load_b64 v[140:141], v135
	s_wait_xcnt 0x0
	v_dual_add_nc_u32 v135, 8, v135 :: v_dual_add_nc_u32 v136, 8, v136
	s_wait_loadcnt_dscnt 0x0
	v_pk_mul_f32 v[142:143], v[140:141], v[138:139] op_sel:[1,1] op_sel_hi:[0,1]
	s_delay_alu instid0(VALU_DEP_1) | instskip(SKIP_2) | instid1(VALU_DEP_3)
	v_pk_fma_f32 v[144:145], v[140:141], v[138:139], v[142:143] op_sel_hi:[1,0,1]
	v_add_nc_u32_e32 v137, 1, v137
	v_pk_fma_f32 v[138:139], v[140:141], v[138:139], v[142:143] neg_lo:[0,0,1] neg_hi:[0,0,1]
	v_mov_b32_e32 v139, v145
	s_delay_alu instid0(VALU_DEP_3) | instskip(NEXT) | instid1(VALU_DEP_2)
	v_cmp_lt_u32_e32 vcc_lo, 56, v137
	v_pk_add_f32 v[132:133], v[132:133], v[138:139]
	s_or_b32 s3, vcc_lo, s3
	s_delay_alu instid0(SALU_CYCLE_1)
	s_and_not1_b32 exec_lo, exec_lo, s3
	s_cbranch_execnz .LBB127_1207
; %bb.1208:
	s_or_b32 exec_lo, exec_lo, s3
.LBB127_1209:
	s_delay_alu instid0(SALU_CYCLE_1) | instskip(SKIP_4) | instid1(VALU_DEP_1)
	s_or_b32 exec_lo, exec_lo, s2
	v_mov_b32_e32 v135, 0
	ds_load_b64 v[136:137], v135 offset:464
	s_wait_dscnt 0x0
	v_pk_mul_f32 v[138:139], v[132:133], v[136:137] op_sel:[1,1] op_sel_hi:[0,1]
	v_pk_fma_f32 v[140:141], v[132:133], v[136:137], v[138:139] op_sel_hi:[1,0,1]
	v_pk_fma_f32 v[132:133], v[132:133], v[136:137], v[138:139] neg_lo:[0,0,1] neg_hi:[0,0,1]
	s_delay_alu instid0(VALU_DEP_2)
	v_mov_b32_e32 v133, v141
	scratch_store_b64 off, v[132:133], off offset:464
.LBB127_1210:
	s_wait_xcnt 0x0
	s_or_b32 exec_lo, exec_lo, s0
	scratch_load_b64 v[132:133], off, off offset:472
	s_mov_b32 s0, exec_lo
	s_wait_loadcnt 0x0
	ds_store_b64 v1, v[132:133]
	s_wait_storecnt_dscnt 0x0
	s_barrier_signal -1
	s_barrier_wait -1
	s_wait_xcnt 0x0
	v_cmpx_gt_u32_e32 59, v0
	s_cbranch_execz .LBB127_1220
; %bb.1211:
	v_cmp_ne_u32_e32 vcc_lo, 1, v134
	s_cbranch_vccnz .LBB127_1213
; %bb.1212:
	scratch_load_b64 v[132:133], v59, off
	ds_load_b64 v[136:137], v1
	s_wait_loadcnt_dscnt 0x0
	v_pk_mul_f32 v[138:139], v[136:137], v[132:133] op_sel:[1,1] op_sel_hi:[0,1]
	s_delay_alu instid0(VALU_DEP_1) | instskip(SKIP_1) | instid1(VALU_DEP_2)
	v_pk_fma_f32 v[140:141], v[136:137], v[132:133], v[138:139] op_sel_hi:[1,0,1]
	v_pk_fma_f32 v[132:133], v[136:137], v[132:133], v[138:139] neg_lo:[0,0,1] neg_hi:[0,0,1]
	v_mov_b32_e32 v133, v141
	s_cbranch_execz .LBB127_1214
	s_branch .LBB127_1215
.LBB127_1213:
                                        ; implicit-def: $vgpr132_vgpr133
.LBB127_1214:
	ds_load_b64 v[132:133], v1
.LBB127_1215:
	s_mov_b32 s2, exec_lo
	v_cmpx_ne_u32_e32 58, v0
	s_cbranch_execz .LBB127_1219
; %bb.1216:
	v_add_nc_u32_e32 v135, 0x208, v58
	v_add3_u32 v136, 0, v58, 8
	v_mov_b32_e32 v137, v0
	s_mov_b32 s3, 0
.LBB127_1217:                           ; =>This Inner Loop Header: Depth=1
	scratch_load_b64 v[138:139], v136, off
	ds_load_b64 v[140:141], v135
	s_wait_xcnt 0x0
	v_dual_add_nc_u32 v135, 8, v135 :: v_dual_add_nc_u32 v136, 8, v136
	s_wait_loadcnt_dscnt 0x0
	v_pk_mul_f32 v[142:143], v[140:141], v[138:139] op_sel:[1,1] op_sel_hi:[0,1]
	s_delay_alu instid0(VALU_DEP_1) | instskip(SKIP_2) | instid1(VALU_DEP_3)
	v_pk_fma_f32 v[144:145], v[140:141], v[138:139], v[142:143] op_sel_hi:[1,0,1]
	v_add_nc_u32_e32 v137, 1, v137
	v_pk_fma_f32 v[138:139], v[140:141], v[138:139], v[142:143] neg_lo:[0,0,1] neg_hi:[0,0,1]
	v_mov_b32_e32 v139, v145
	s_delay_alu instid0(VALU_DEP_3) | instskip(NEXT) | instid1(VALU_DEP_2)
	v_cmp_lt_u32_e32 vcc_lo, 57, v137
	v_pk_add_f32 v[132:133], v[132:133], v[138:139]
	s_or_b32 s3, vcc_lo, s3
	s_delay_alu instid0(SALU_CYCLE_1)
	s_and_not1_b32 exec_lo, exec_lo, s3
	s_cbranch_execnz .LBB127_1217
; %bb.1218:
	s_or_b32 exec_lo, exec_lo, s3
.LBB127_1219:
	s_delay_alu instid0(SALU_CYCLE_1) | instskip(SKIP_4) | instid1(VALU_DEP_1)
	s_or_b32 exec_lo, exec_lo, s2
	v_mov_b32_e32 v135, 0
	ds_load_b64 v[136:137], v135 offset:472
	s_wait_dscnt 0x0
	v_pk_mul_f32 v[138:139], v[132:133], v[136:137] op_sel:[1,1] op_sel_hi:[0,1]
	v_pk_fma_f32 v[140:141], v[132:133], v[136:137], v[138:139] op_sel_hi:[1,0,1]
	v_pk_fma_f32 v[132:133], v[132:133], v[136:137], v[138:139] neg_lo:[0,0,1] neg_hi:[0,0,1]
	s_delay_alu instid0(VALU_DEP_2)
	v_mov_b32_e32 v133, v141
	scratch_store_b64 off, v[132:133], off offset:472
.LBB127_1220:
	s_wait_xcnt 0x0
	s_or_b32 exec_lo, exec_lo, s0
	scratch_load_b64 v[132:133], off, off offset:480
	s_mov_b32 s0, exec_lo
	s_wait_loadcnt 0x0
	ds_store_b64 v1, v[132:133]
	s_wait_storecnt_dscnt 0x0
	s_barrier_signal -1
	s_barrier_wait -1
	s_wait_xcnt 0x0
	v_cmpx_gt_u32_e32 60, v0
	s_cbranch_execz .LBB127_1230
; %bb.1221:
	v_cmp_ne_u32_e32 vcc_lo, 1, v134
	s_cbranch_vccnz .LBB127_1223
; %bb.1222:
	scratch_load_b64 v[132:133], v59, off
	ds_load_b64 v[136:137], v1
	s_wait_loadcnt_dscnt 0x0
	v_pk_mul_f32 v[138:139], v[136:137], v[132:133] op_sel:[1,1] op_sel_hi:[0,1]
	s_delay_alu instid0(VALU_DEP_1) | instskip(SKIP_1) | instid1(VALU_DEP_2)
	v_pk_fma_f32 v[140:141], v[136:137], v[132:133], v[138:139] op_sel_hi:[1,0,1]
	v_pk_fma_f32 v[132:133], v[136:137], v[132:133], v[138:139] neg_lo:[0,0,1] neg_hi:[0,0,1]
	v_mov_b32_e32 v133, v141
	s_cbranch_execz .LBB127_1224
	s_branch .LBB127_1225
.LBB127_1223:
                                        ; implicit-def: $vgpr132_vgpr133
.LBB127_1224:
	ds_load_b64 v[132:133], v1
.LBB127_1225:
	s_mov_b32 s2, exec_lo
	v_cmpx_ne_u32_e32 59, v0
	s_cbranch_execz .LBB127_1229
; %bb.1226:
	v_add_nc_u32_e32 v135, 0x208, v58
	v_add3_u32 v136, 0, v58, 8
	v_mov_b32_e32 v137, v0
	s_mov_b32 s3, 0
.LBB127_1227:                           ; =>This Inner Loop Header: Depth=1
	scratch_load_b64 v[138:139], v136, off
	ds_load_b64 v[140:141], v135
	s_wait_xcnt 0x0
	v_dual_add_nc_u32 v135, 8, v135 :: v_dual_add_nc_u32 v136, 8, v136
	s_wait_loadcnt_dscnt 0x0
	v_pk_mul_f32 v[142:143], v[140:141], v[138:139] op_sel:[1,1] op_sel_hi:[0,1]
	s_delay_alu instid0(VALU_DEP_1) | instskip(SKIP_2) | instid1(VALU_DEP_3)
	v_pk_fma_f32 v[144:145], v[140:141], v[138:139], v[142:143] op_sel_hi:[1,0,1]
	v_add_nc_u32_e32 v137, 1, v137
	v_pk_fma_f32 v[138:139], v[140:141], v[138:139], v[142:143] neg_lo:[0,0,1] neg_hi:[0,0,1]
	v_mov_b32_e32 v139, v145
	s_delay_alu instid0(VALU_DEP_3) | instskip(NEXT) | instid1(VALU_DEP_2)
	v_cmp_lt_u32_e32 vcc_lo, 58, v137
	v_pk_add_f32 v[132:133], v[132:133], v[138:139]
	s_or_b32 s3, vcc_lo, s3
	s_delay_alu instid0(SALU_CYCLE_1)
	s_and_not1_b32 exec_lo, exec_lo, s3
	s_cbranch_execnz .LBB127_1227
; %bb.1228:
	s_or_b32 exec_lo, exec_lo, s3
.LBB127_1229:
	s_delay_alu instid0(SALU_CYCLE_1) | instskip(SKIP_4) | instid1(VALU_DEP_1)
	s_or_b32 exec_lo, exec_lo, s2
	v_mov_b32_e32 v135, 0
	ds_load_b64 v[136:137], v135 offset:480
	s_wait_dscnt 0x0
	v_pk_mul_f32 v[138:139], v[132:133], v[136:137] op_sel:[1,1] op_sel_hi:[0,1]
	v_pk_fma_f32 v[140:141], v[132:133], v[136:137], v[138:139] op_sel_hi:[1,0,1]
	v_pk_fma_f32 v[132:133], v[132:133], v[136:137], v[138:139] neg_lo:[0,0,1] neg_hi:[0,0,1]
	s_delay_alu instid0(VALU_DEP_2)
	v_mov_b32_e32 v133, v141
	scratch_store_b64 off, v[132:133], off offset:480
.LBB127_1230:
	s_wait_xcnt 0x0
	s_or_b32 exec_lo, exec_lo, s0
	scratch_load_b64 v[132:133], off, off offset:488
	s_mov_b32 s0, exec_lo
	s_wait_loadcnt 0x0
	ds_store_b64 v1, v[132:133]
	s_wait_storecnt_dscnt 0x0
	s_barrier_signal -1
	s_barrier_wait -1
	s_wait_xcnt 0x0
	v_cmpx_gt_u32_e32 61, v0
	s_cbranch_execz .LBB127_1240
; %bb.1231:
	v_cmp_ne_u32_e32 vcc_lo, 1, v134
	s_cbranch_vccnz .LBB127_1233
; %bb.1232:
	scratch_load_b64 v[132:133], v59, off
	ds_load_b64 v[136:137], v1
	s_wait_loadcnt_dscnt 0x0
	v_pk_mul_f32 v[138:139], v[136:137], v[132:133] op_sel:[1,1] op_sel_hi:[0,1]
	s_delay_alu instid0(VALU_DEP_1) | instskip(SKIP_1) | instid1(VALU_DEP_2)
	v_pk_fma_f32 v[140:141], v[136:137], v[132:133], v[138:139] op_sel_hi:[1,0,1]
	v_pk_fma_f32 v[132:133], v[136:137], v[132:133], v[138:139] neg_lo:[0,0,1] neg_hi:[0,0,1]
	v_mov_b32_e32 v133, v141
	s_cbranch_execz .LBB127_1234
	s_branch .LBB127_1235
.LBB127_1233:
                                        ; implicit-def: $vgpr132_vgpr133
.LBB127_1234:
	ds_load_b64 v[132:133], v1
.LBB127_1235:
	s_mov_b32 s2, exec_lo
	v_cmpx_ne_u32_e32 60, v0
	s_cbranch_execz .LBB127_1239
; %bb.1236:
	v_add_nc_u32_e32 v135, 0x208, v58
	v_add3_u32 v136, 0, v58, 8
	v_mov_b32_e32 v137, v0
	s_mov_b32 s3, 0
.LBB127_1237:                           ; =>This Inner Loop Header: Depth=1
	scratch_load_b64 v[138:139], v136, off
	ds_load_b64 v[140:141], v135
	s_wait_xcnt 0x0
	v_dual_add_nc_u32 v135, 8, v135 :: v_dual_add_nc_u32 v136, 8, v136
	s_wait_loadcnt_dscnt 0x0
	v_pk_mul_f32 v[142:143], v[140:141], v[138:139] op_sel:[1,1] op_sel_hi:[0,1]
	s_delay_alu instid0(VALU_DEP_1) | instskip(SKIP_2) | instid1(VALU_DEP_3)
	v_pk_fma_f32 v[144:145], v[140:141], v[138:139], v[142:143] op_sel_hi:[1,0,1]
	v_add_nc_u32_e32 v137, 1, v137
	v_pk_fma_f32 v[138:139], v[140:141], v[138:139], v[142:143] neg_lo:[0,0,1] neg_hi:[0,0,1]
	v_mov_b32_e32 v139, v145
	s_delay_alu instid0(VALU_DEP_3) | instskip(NEXT) | instid1(VALU_DEP_2)
	v_cmp_lt_u32_e32 vcc_lo, 59, v137
	v_pk_add_f32 v[132:133], v[132:133], v[138:139]
	s_or_b32 s3, vcc_lo, s3
	s_delay_alu instid0(SALU_CYCLE_1)
	s_and_not1_b32 exec_lo, exec_lo, s3
	s_cbranch_execnz .LBB127_1237
; %bb.1238:
	s_or_b32 exec_lo, exec_lo, s3
.LBB127_1239:
	s_delay_alu instid0(SALU_CYCLE_1) | instskip(SKIP_4) | instid1(VALU_DEP_1)
	s_or_b32 exec_lo, exec_lo, s2
	v_mov_b32_e32 v135, 0
	ds_load_b64 v[136:137], v135 offset:488
	s_wait_dscnt 0x0
	v_pk_mul_f32 v[138:139], v[132:133], v[136:137] op_sel:[1,1] op_sel_hi:[0,1]
	v_pk_fma_f32 v[140:141], v[132:133], v[136:137], v[138:139] op_sel_hi:[1,0,1]
	v_pk_fma_f32 v[132:133], v[132:133], v[136:137], v[138:139] neg_lo:[0,0,1] neg_hi:[0,0,1]
	s_delay_alu instid0(VALU_DEP_2)
	v_mov_b32_e32 v133, v141
	scratch_store_b64 off, v[132:133], off offset:488
.LBB127_1240:
	s_wait_xcnt 0x0
	s_or_b32 exec_lo, exec_lo, s0
	scratch_load_b64 v[132:133], off, off offset:496
	v_cmp_gt_u32_e64 s0, 62, v0
	s_wait_loadcnt 0x0
	ds_store_b64 v1, v[132:133]
	s_wait_storecnt_dscnt 0x0
	s_barrier_signal -1
	s_barrier_wait -1
	s_wait_xcnt 0x0
	s_and_saveexec_b32 s2, s0
	s_cbranch_execz .LBB127_1250
; %bb.1241:
	v_cmp_ne_u32_e32 vcc_lo, 1, v134
	s_cbranch_vccnz .LBB127_1243
; %bb.1242:
	scratch_load_b64 v[132:133], v59, off
	ds_load_b64 v[136:137], v1
	s_wait_loadcnt_dscnt 0x0
	v_pk_mul_f32 v[138:139], v[136:137], v[132:133] op_sel:[1,1] op_sel_hi:[0,1]
	s_delay_alu instid0(VALU_DEP_1) | instskip(SKIP_1) | instid1(VALU_DEP_2)
	v_pk_fma_f32 v[140:141], v[136:137], v[132:133], v[138:139] op_sel_hi:[1,0,1]
	v_pk_fma_f32 v[132:133], v[136:137], v[132:133], v[138:139] neg_lo:[0,0,1] neg_hi:[0,0,1]
	v_mov_b32_e32 v133, v141
	s_cbranch_execz .LBB127_1244
	s_branch .LBB127_1245
.LBB127_1243:
                                        ; implicit-def: $vgpr132_vgpr133
.LBB127_1244:
	ds_load_b64 v[132:133], v1
.LBB127_1245:
	s_mov_b32 s3, exec_lo
	v_cmpx_ne_u32_e32 61, v0
	s_cbranch_execz .LBB127_1249
; %bb.1246:
	v_add_nc_u32_e32 v135, 0x208, v58
	v_add3_u32 v136, 0, v58, 8
	v_mov_b32_e32 v137, v0
	s_mov_b32 s4, 0
.LBB127_1247:                           ; =>This Inner Loop Header: Depth=1
	scratch_load_b64 v[138:139], v136, off
	ds_load_b64 v[140:141], v135
	s_wait_xcnt 0x0
	v_dual_add_nc_u32 v135, 8, v135 :: v_dual_add_nc_u32 v136, 8, v136
	s_wait_loadcnt_dscnt 0x0
	v_pk_mul_f32 v[142:143], v[140:141], v[138:139] op_sel:[1,1] op_sel_hi:[0,1]
	s_delay_alu instid0(VALU_DEP_1) | instskip(SKIP_2) | instid1(VALU_DEP_3)
	v_pk_fma_f32 v[144:145], v[140:141], v[138:139], v[142:143] op_sel_hi:[1,0,1]
	v_add_nc_u32_e32 v137, 1, v137
	v_pk_fma_f32 v[138:139], v[140:141], v[138:139], v[142:143] neg_lo:[0,0,1] neg_hi:[0,0,1]
	v_mov_b32_e32 v139, v145
	s_delay_alu instid0(VALU_DEP_3) | instskip(NEXT) | instid1(VALU_DEP_2)
	v_cmp_lt_u32_e32 vcc_lo, 60, v137
	v_pk_add_f32 v[132:133], v[132:133], v[138:139]
	s_or_b32 s4, vcc_lo, s4
	s_delay_alu instid0(SALU_CYCLE_1)
	s_and_not1_b32 exec_lo, exec_lo, s4
	s_cbranch_execnz .LBB127_1247
; %bb.1248:
	s_or_b32 exec_lo, exec_lo, s4
.LBB127_1249:
	s_delay_alu instid0(SALU_CYCLE_1) | instskip(SKIP_4) | instid1(VALU_DEP_1)
	s_or_b32 exec_lo, exec_lo, s3
	v_mov_b32_e32 v135, 0
	ds_load_b64 v[136:137], v135 offset:496
	s_wait_dscnt 0x0
	v_pk_mul_f32 v[138:139], v[132:133], v[136:137] op_sel:[1,1] op_sel_hi:[0,1]
	v_pk_fma_f32 v[140:141], v[132:133], v[136:137], v[138:139] op_sel_hi:[1,0,1]
	v_pk_fma_f32 v[132:133], v[132:133], v[136:137], v[138:139] neg_lo:[0,0,1] neg_hi:[0,0,1]
	s_delay_alu instid0(VALU_DEP_2)
	v_mov_b32_e32 v133, v141
	scratch_store_b64 off, v[132:133], off offset:496
.LBB127_1250:
	s_wait_xcnt 0x0
	s_or_b32 exec_lo, exec_lo, s2
	scratch_load_b64 v[132:133], off, off offset:504
	s_mov_b32 s2, exec_lo
                                        ; implicit-def: $vgpr192
                                        ; implicit-def: $sgpr5
	s_wait_loadcnt 0x0
	ds_store_b64 v1, v[132:133]
	s_wait_storecnt_dscnt 0x0
	s_barrier_signal -1
	s_barrier_wait -1
	s_wait_xcnt 0x0
	v_cmpx_ne_u32_e32 63, v0
	s_cbranch_execz .LBB127_1260
; %bb.1251:
	v_cmp_ne_u32_e32 vcc_lo, 1, v134
	s_cbranch_vccnz .LBB127_1253
; %bb.1252:
	scratch_load_b64 v[134:135], v59, off
	ds_load_b64 v[136:137], v1
	s_wait_loadcnt_dscnt 0x0
	v_dual_mul_f32 v59, v137, v135 :: v_dual_mul_f32 v133, v136, v135
	s_delay_alu instid0(VALU_DEP_1)
	v_dual_fma_f32 v132, v136, v134, -v59 :: v_dual_fmac_f32 v133, v137, v134
	s_cbranch_execz .LBB127_1254
	s_branch .LBB127_1255
.LBB127_1253:
                                        ; implicit-def: $vgpr133
.LBB127_1254:
	ds_load_b64 v[132:133], v1
.LBB127_1255:
	s_and_saveexec_b32 s3, s0
	s_cbranch_execz .LBB127_1259
; %bb.1256:
	v_add_nc_u32_e32 v1, 0x208, v58
	v_add3_u32 v58, 0, v58, 8
	s_mov_b32 s0, 0
.LBB127_1257:                           ; =>This Inner Loop Header: Depth=1
	scratch_load_b64 v[134:135], v58, off
	ds_load_b64 v[136:137], v1
	s_wait_loadcnt_dscnt 0x0
	v_dual_add_nc_u32 v1, 8, v1 :: v_dual_mul_f32 v59, v137, v135
	v_dual_mul_f32 v135, v136, v135 :: v_dual_add_nc_u32 v0, 1, v0
	s_delay_alu instid0(VALU_DEP_2) | instskip(NEXT) | instid1(VALU_DEP_2)
	v_fma_f32 v59, v136, v134, -v59
	v_fmac_f32_e32 v135, v137, v134
	s_delay_alu instid0(VALU_DEP_3) | instskip(NEXT) | instid1(VALU_DEP_3)
	v_cmp_lt_u32_e32 vcc_lo, 61, v0
	v_dual_add_nc_u32 v58, 8, v58 :: v_dual_add_f32 v132, v132, v59
	s_delay_alu instid0(VALU_DEP_3) | instskip(SKIP_1) | instid1(SALU_CYCLE_1)
	v_add_f32_e32 v133, v133, v135
	s_or_b32 s0, vcc_lo, s0
	s_and_not1_b32 exec_lo, exec_lo, s0
	s_cbranch_execnz .LBB127_1257
; %bb.1258:
	s_or_b32 exec_lo, exec_lo, s0
.LBB127_1259:
	s_delay_alu instid0(SALU_CYCLE_1)
	s_or_b32 exec_lo, exec_lo, s3
	v_mov_b32_e32 v0, 0
	s_movk_i32 s5, 0x1fc
	s_or_b32 s1, s1, exec_lo
	ds_load_b64 v[0:1], v0 offset:504
	s_wait_dscnt 0x0
	v_dual_mul_f32 v58, v133, v1 :: v_dual_mul_f32 v192, v132, v1
	s_delay_alu instid0(VALU_DEP_1)
	v_dual_fma_f32 v1, v132, v0, -v58 :: v_dual_fmac_f32 v192, v133, v0
	scratch_store_b32 off, v1, off offset:504
.LBB127_1260:
	s_wait_xcnt 0x0
	s_or_b32 exec_lo, exec_lo, s2
.LBB127_1261:
	v_lshl_add_u64 v[190:191], v[6:7], 3, s[6:7]
	v_lshl_add_u64 v[188:189], v[8:9], 3, s[6:7]
	;; [unrolled: 1-line block ×62, first 2 shown]
	s_and_saveexec_b32 s0, s1
	s_cbranch_execz .LBB127_1263
; %bb.1262:
	scratch_store_b32 off, v192, s5
.LBB127_1263:
	s_wait_xcnt 0x0
	s_or_b32 exec_lo, exec_lo, s0
	scratch_load_b64 v[68:69], off, off
	s_wait_loadcnt 0x0
	flat_store_b64 v[2:3], v[68:69]
	scratch_load_b64 v[2:3], off, off offset:8
	s_wait_loadcnt 0x0
	flat_store_b64 v[4:5], v[2:3]
	scratch_load_b64 v[2:3], off, off offset:16
	;; [unrolled: 3-line block ×63, first 2 shown]
	s_wait_loadcnt 0x0
	flat_store_b64 v[0:1], v[2:3]
.LBB127_1264:
	s_sendmsg sendmsg(MSG_DEALLOC_VGPRS)
	s_endpgm
	.section	.rodata,"a",@progbits
	.p2align	6, 0x0
	.amdhsa_kernel _ZN9rocsolver6v33100L18trti2_kernel_smallILi64E19rocblas_complex_numIfEPKPS3_EEv13rocblas_fill_17rocblas_diagonal_T1_iil
		.amdhsa_group_segment_fixed_size 1024
		.amdhsa_private_segment_fixed_size 528
		.amdhsa_kernarg_size 32
		.amdhsa_user_sgpr_count 2
		.amdhsa_user_sgpr_dispatch_ptr 0
		.amdhsa_user_sgpr_queue_ptr 0
		.amdhsa_user_sgpr_kernarg_segment_ptr 1
		.amdhsa_user_sgpr_dispatch_id 0
		.amdhsa_user_sgpr_kernarg_preload_length 0
		.amdhsa_user_sgpr_kernarg_preload_offset 0
		.amdhsa_user_sgpr_private_segment_size 0
		.amdhsa_wavefront_size32 1
		.amdhsa_uses_dynamic_stack 0
		.amdhsa_enable_private_segment 1
		.amdhsa_system_sgpr_workgroup_id_x 1
		.amdhsa_system_sgpr_workgroup_id_y 0
		.amdhsa_system_sgpr_workgroup_id_z 0
		.amdhsa_system_sgpr_workgroup_info 0
		.amdhsa_system_vgpr_workitem_id 0
		.amdhsa_next_free_vgpr 193
		.amdhsa_next_free_sgpr 70
		.amdhsa_named_barrier_count 0
		.amdhsa_reserve_vcc 1
		.amdhsa_float_round_mode_32 0
		.amdhsa_float_round_mode_16_64 0
		.amdhsa_float_denorm_mode_32 3
		.amdhsa_float_denorm_mode_16_64 3
		.amdhsa_fp16_overflow 0
		.amdhsa_memory_ordered 1
		.amdhsa_forward_progress 1
		.amdhsa_inst_pref_size 255
		.amdhsa_round_robin_scheduling 0
		.amdhsa_exception_fp_ieee_invalid_op 0
		.amdhsa_exception_fp_denorm_src 0
		.amdhsa_exception_fp_ieee_div_zero 0
		.amdhsa_exception_fp_ieee_overflow 0
		.amdhsa_exception_fp_ieee_underflow 0
		.amdhsa_exception_fp_ieee_inexact 0
		.amdhsa_exception_int_div_zero 0
	.end_amdhsa_kernel
	.section	.text._ZN9rocsolver6v33100L18trti2_kernel_smallILi64E19rocblas_complex_numIfEPKPS3_EEv13rocblas_fill_17rocblas_diagonal_T1_iil,"axG",@progbits,_ZN9rocsolver6v33100L18trti2_kernel_smallILi64E19rocblas_complex_numIfEPKPS3_EEv13rocblas_fill_17rocblas_diagonal_T1_iil,comdat
.Lfunc_end127:
	.size	_ZN9rocsolver6v33100L18trti2_kernel_smallILi64E19rocblas_complex_numIfEPKPS3_EEv13rocblas_fill_17rocblas_diagonal_T1_iil, .Lfunc_end127-_ZN9rocsolver6v33100L18trti2_kernel_smallILi64E19rocblas_complex_numIfEPKPS3_EEv13rocblas_fill_17rocblas_diagonal_T1_iil
                                        ; -- End function
	.set _ZN9rocsolver6v33100L18trti2_kernel_smallILi64E19rocblas_complex_numIfEPKPS3_EEv13rocblas_fill_17rocblas_diagonal_T1_iil.num_vgpr, 193
	.set _ZN9rocsolver6v33100L18trti2_kernel_smallILi64E19rocblas_complex_numIfEPKPS3_EEv13rocblas_fill_17rocblas_diagonal_T1_iil.num_agpr, 0
	.set _ZN9rocsolver6v33100L18trti2_kernel_smallILi64E19rocblas_complex_numIfEPKPS3_EEv13rocblas_fill_17rocblas_diagonal_T1_iil.numbered_sgpr, 70
	.set _ZN9rocsolver6v33100L18trti2_kernel_smallILi64E19rocblas_complex_numIfEPKPS3_EEv13rocblas_fill_17rocblas_diagonal_T1_iil.num_named_barrier, 0
	.set _ZN9rocsolver6v33100L18trti2_kernel_smallILi64E19rocblas_complex_numIfEPKPS3_EEv13rocblas_fill_17rocblas_diagonal_T1_iil.private_seg_size, 528
	.set _ZN9rocsolver6v33100L18trti2_kernel_smallILi64E19rocblas_complex_numIfEPKPS3_EEv13rocblas_fill_17rocblas_diagonal_T1_iil.uses_vcc, 1
	.set _ZN9rocsolver6v33100L18trti2_kernel_smallILi64E19rocblas_complex_numIfEPKPS3_EEv13rocblas_fill_17rocblas_diagonal_T1_iil.uses_flat_scratch, 0
	.set _ZN9rocsolver6v33100L18trti2_kernel_smallILi64E19rocblas_complex_numIfEPKPS3_EEv13rocblas_fill_17rocblas_diagonal_T1_iil.has_dyn_sized_stack, 0
	.set _ZN9rocsolver6v33100L18trti2_kernel_smallILi64E19rocblas_complex_numIfEPKPS3_EEv13rocblas_fill_17rocblas_diagonal_T1_iil.has_recursion, 0
	.set _ZN9rocsolver6v33100L18trti2_kernel_smallILi64E19rocblas_complex_numIfEPKPS3_EEv13rocblas_fill_17rocblas_diagonal_T1_iil.has_indirect_call, 0
	.section	.AMDGPU.csdata,"",@progbits
; Kernel info:
; codeLenInByte = 49508
; TotalNumSgprs: 72
; NumVgprs: 193
; ScratchSize: 528
; MemoryBound: 0
; FloatMode: 240
; IeeeMode: 1
; LDSByteSize: 1024 bytes/workgroup (compile time only)
; SGPRBlocks: 0
; VGPRBlocks: 12
; NumSGPRsForWavesPerEU: 72
; NumVGPRsForWavesPerEU: 193
; NamedBarCnt: 0
; Occupancy: 4
; WaveLimiterHint : 1
; COMPUTE_PGM_RSRC2:SCRATCH_EN: 1
; COMPUTE_PGM_RSRC2:USER_SGPR: 2
; COMPUTE_PGM_RSRC2:TRAP_HANDLER: 0
; COMPUTE_PGM_RSRC2:TGID_X_EN: 1
; COMPUTE_PGM_RSRC2:TGID_Y_EN: 0
; COMPUTE_PGM_RSRC2:TGID_Z_EN: 0
; COMPUTE_PGM_RSRC2:TIDIG_COMP_CNT: 0
	.section	.AMDGPU.gpr_maximums,"",@progbits
	.set amdgpu.max_num_vgpr, 0
	.set amdgpu.max_num_agpr, 0
	.set amdgpu.max_num_sgpr, 0
	.section	.AMDGPU.csdata,"",@progbits
	.type	__hip_cuid_a50428c6d1581a17,@object ; @__hip_cuid_a50428c6d1581a17
	.section	.bss,"aw",@nobits
	.globl	__hip_cuid_a50428c6d1581a17
__hip_cuid_a50428c6d1581a17:
	.byte	0                               ; 0x0
	.size	__hip_cuid_a50428c6d1581a17, 1

	.ident	"AMD clang version 22.0.0git (https://github.com/RadeonOpenCompute/llvm-project roc-7.2.4 26084 f58b06dce1f9c15707c5f808fd002e18c2accf7e)"
	.section	".note.GNU-stack","",@progbits
	.addrsig
	.addrsig_sym __hip_cuid_a50428c6d1581a17
	.amdgpu_metadata
---
amdhsa.kernels:
  - .args:
      - .offset:         0
        .size:           4
        .value_kind:     by_value
      - .offset:         4
        .size:           4
        .value_kind:     by_value
      - .address_space:  global
        .offset:         8
        .size:           8
        .value_kind:     global_buffer
      - .offset:         16
        .size:           4
        .value_kind:     by_value
      - .offset:         20
        .size:           4
        .value_kind:     by_value
      - .offset:         24
        .size:           8
        .value_kind:     by_value
    .group_segment_fixed_size: 0
    .kernarg_segment_align: 8
    .kernarg_segment_size: 32
    .language:       OpenCL C
    .language_version:
      - 2
      - 0
    .max_flat_workgroup_size: 64
    .name:           _ZN9rocsolver6v33100L18trti2_kernel_smallILi1E19rocblas_complex_numIfEPS3_EEv13rocblas_fill_17rocblas_diagonal_T1_iil
    .private_segment_fixed_size: 0
    .sgpr_count:     12
    .sgpr_spill_count: 0
    .symbol:         _ZN9rocsolver6v33100L18trti2_kernel_smallILi1E19rocblas_complex_numIfEPS3_EEv13rocblas_fill_17rocblas_diagonal_T1_iil.kd
    .uniform_work_group_size: 1
    .uses_dynamic_stack: false
    .vgpr_count:     7
    .vgpr_spill_count: 0
    .wavefront_size: 32
  - .args:
      - .offset:         0
        .size:           4
        .value_kind:     by_value
      - .offset:         4
        .size:           4
        .value_kind:     by_value
      - .address_space:  global
        .offset:         8
        .size:           8
        .value_kind:     global_buffer
      - .offset:         16
        .size:           4
        .value_kind:     by_value
      - .offset:         20
        .size:           4
        .value_kind:     by_value
      - .offset:         24
        .size:           8
        .value_kind:     by_value
    .group_segment_fixed_size: 1056
    .kernarg_segment_align: 8
    .kernarg_segment_size: 32
    .language:       OpenCL C
    .language_version:
      - 2
      - 0
    .max_flat_workgroup_size: 64
    .name:           _ZN9rocsolver6v33100L18trti2_kernel_smallILi2E19rocblas_complex_numIfEPS3_EEv13rocblas_fill_17rocblas_diagonal_T1_iil
    .private_segment_fixed_size: 0
    .sgpr_count:     16
    .sgpr_spill_count: 0
    .symbol:         _ZN9rocsolver6v33100L18trti2_kernel_smallILi2E19rocblas_complex_numIfEPS3_EEv13rocblas_fill_17rocblas_diagonal_T1_iil.kd
    .uniform_work_group_size: 1
    .uses_dynamic_stack: false
    .vgpr_count:     18
    .vgpr_spill_count: 0
    .wavefront_size: 32
  - .args:
      - .offset:         0
        .size:           4
        .value_kind:     by_value
      - .offset:         4
        .size:           4
        .value_kind:     by_value
      - .address_space:  global
        .offset:         8
        .size:           8
        .value_kind:     global_buffer
      - .offset:         16
        .size:           4
        .value_kind:     by_value
      - .offset:         20
        .size:           4
        .value_kind:     by_value
      - .offset:         24
        .size:           8
        .value_kind:     by_value
    .group_segment_fixed_size: 1600
    .kernarg_segment_align: 8
    .kernarg_segment_size: 32
    .language:       OpenCL C
    .language_version:
      - 2
      - 0
    .max_flat_workgroup_size: 64
    .name:           _ZN9rocsolver6v33100L18trti2_kernel_smallILi3E19rocblas_complex_numIfEPS3_EEv13rocblas_fill_17rocblas_diagonal_T1_iil
    .private_segment_fixed_size: 0
    .sgpr_count:     16
    .sgpr_spill_count: 0
    .symbol:         _ZN9rocsolver6v33100L18trti2_kernel_smallILi3E19rocblas_complex_numIfEPS3_EEv13rocblas_fill_17rocblas_diagonal_T1_iil.kd
    .uniform_work_group_size: 1
    .uses_dynamic_stack: false
    .vgpr_count:     20
    .vgpr_spill_count: 0
    .wavefront_size: 32
  - .args:
      - .offset:         0
        .size:           4
        .value_kind:     by_value
      - .offset:         4
        .size:           4
        .value_kind:     by_value
      - .address_space:  global
        .offset:         8
        .size:           8
        .value_kind:     global_buffer
      - .offset:         16
        .size:           4
        .value_kind:     by_value
      - .offset:         20
        .size:           4
        .value_kind:     by_value
      - .offset:         24
        .size:           8
        .value_kind:     by_value
    .group_segment_fixed_size: 2112
    .kernarg_segment_align: 8
    .kernarg_segment_size: 32
    .language:       OpenCL C
    .language_version:
      - 2
      - 0
    .max_flat_workgroup_size: 64
    .name:           _ZN9rocsolver6v33100L18trti2_kernel_smallILi4E19rocblas_complex_numIfEPS3_EEv13rocblas_fill_17rocblas_diagonal_T1_iil
    .private_segment_fixed_size: 0
    .sgpr_count:     16
    .sgpr_spill_count: 0
    .symbol:         _ZN9rocsolver6v33100L18trti2_kernel_smallILi4E19rocblas_complex_numIfEPS3_EEv13rocblas_fill_17rocblas_diagonal_T1_iil.kd
    .uniform_work_group_size: 1
    .uses_dynamic_stack: false
    .vgpr_count:     24
    .vgpr_spill_count: 0
    .wavefront_size: 32
  - .args:
      - .offset:         0
        .size:           4
        .value_kind:     by_value
      - .offset:         4
        .size:           4
        .value_kind:     by_value
      - .address_space:  global
        .offset:         8
        .size:           8
        .value_kind:     global_buffer
      - .offset:         16
        .size:           4
        .value_kind:     by_value
      - .offset:         20
        .size:           4
        .value_kind:     by_value
      - .offset:         24
        .size:           8
        .value_kind:     by_value
    .group_segment_fixed_size: 2656
    .kernarg_segment_align: 8
    .kernarg_segment_size: 32
    .language:       OpenCL C
    .language_version:
      - 2
      - 0
    .max_flat_workgroup_size: 64
    .name:           _ZN9rocsolver6v33100L18trti2_kernel_smallILi5E19rocblas_complex_numIfEPS3_EEv13rocblas_fill_17rocblas_diagonal_T1_iil
    .private_segment_fixed_size: 0
    .sgpr_count:     16
    .sgpr_spill_count: 0
    .symbol:         _ZN9rocsolver6v33100L18trti2_kernel_smallILi5E19rocblas_complex_numIfEPS3_EEv13rocblas_fill_17rocblas_diagonal_T1_iil.kd
    .uniform_work_group_size: 1
    .uses_dynamic_stack: false
    .vgpr_count:     30
    .vgpr_spill_count: 0
    .wavefront_size: 32
  - .args:
      - .offset:         0
        .size:           4
        .value_kind:     by_value
      - .offset:         4
        .size:           4
        .value_kind:     by_value
      - .address_space:  global
        .offset:         8
        .size:           8
        .value_kind:     global_buffer
      - .offset:         16
        .size:           4
        .value_kind:     by_value
      - .offset:         20
        .size:           4
        .value_kind:     by_value
      - .offset:         24
        .size:           8
        .value_kind:     by_value
    .group_segment_fixed_size: 3168
    .kernarg_segment_align: 8
    .kernarg_segment_size: 32
    .language:       OpenCL C
    .language_version:
      - 2
      - 0
    .max_flat_workgroup_size: 64
    .name:           _ZN9rocsolver6v33100L18trti2_kernel_smallILi6E19rocblas_complex_numIfEPS3_EEv13rocblas_fill_17rocblas_diagonal_T1_iil
    .private_segment_fixed_size: 0
    .sgpr_count:     16
    .sgpr_spill_count: 0
    .symbol:         _ZN9rocsolver6v33100L18trti2_kernel_smallILi6E19rocblas_complex_numIfEPS3_EEv13rocblas_fill_17rocblas_diagonal_T1_iil.kd
    .uniform_work_group_size: 1
    .uses_dynamic_stack: false
    .vgpr_count:     32
    .vgpr_spill_count: 0
    .wavefront_size: 32
  - .args:
      - .offset:         0
        .size:           4
        .value_kind:     by_value
      - .offset:         4
        .size:           4
        .value_kind:     by_value
      - .address_space:  global
        .offset:         8
        .size:           8
        .value_kind:     global_buffer
      - .offset:         16
        .size:           4
        .value_kind:     by_value
      - .offset:         20
        .size:           4
        .value_kind:     by_value
      - .offset:         24
        .size:           8
        .value_kind:     by_value
    .group_segment_fixed_size: 3712
    .kernarg_segment_align: 8
    .kernarg_segment_size: 32
    .language:       OpenCL C
    .language_version:
      - 2
      - 0
    .max_flat_workgroup_size: 64
    .name:           _ZN9rocsolver6v33100L18trti2_kernel_smallILi7E19rocblas_complex_numIfEPS3_EEv13rocblas_fill_17rocblas_diagonal_T1_iil
    .private_segment_fixed_size: 0
    .sgpr_count:     16
    .sgpr_spill_count: 0
    .symbol:         _ZN9rocsolver6v33100L18trti2_kernel_smallILi7E19rocblas_complex_numIfEPS3_EEv13rocblas_fill_17rocblas_diagonal_T1_iil.kd
    .uniform_work_group_size: 1
    .uses_dynamic_stack: false
    .vgpr_count:     36
    .vgpr_spill_count: 0
    .wavefront_size: 32
  - .args:
      - .offset:         0
        .size:           4
        .value_kind:     by_value
      - .offset:         4
        .size:           4
        .value_kind:     by_value
      - .address_space:  global
        .offset:         8
        .size:           8
        .value_kind:     global_buffer
      - .offset:         16
        .size:           4
        .value_kind:     by_value
      - .offset:         20
        .size:           4
        .value_kind:     by_value
      - .offset:         24
        .size:           8
        .value_kind:     by_value
    .group_segment_fixed_size: 4224
    .kernarg_segment_align: 8
    .kernarg_segment_size: 32
    .language:       OpenCL C
    .language_version:
      - 2
      - 0
    .max_flat_workgroup_size: 64
    .name:           _ZN9rocsolver6v33100L18trti2_kernel_smallILi8E19rocblas_complex_numIfEPS3_EEv13rocblas_fill_17rocblas_diagonal_T1_iil
    .private_segment_fixed_size: 0
    .sgpr_count:     16
    .sgpr_spill_count: 0
    .symbol:         _ZN9rocsolver6v33100L18trti2_kernel_smallILi8E19rocblas_complex_numIfEPS3_EEv13rocblas_fill_17rocblas_diagonal_T1_iil.kd
    .uniform_work_group_size: 1
    .uses_dynamic_stack: false
    .vgpr_count:     40
    .vgpr_spill_count: 0
    .wavefront_size: 32
  - .args:
      - .offset:         0
        .size:           4
        .value_kind:     by_value
      - .offset:         4
        .size:           4
        .value_kind:     by_value
      - .address_space:  global
        .offset:         8
        .size:           8
        .value_kind:     global_buffer
      - .offset:         16
        .size:           4
        .value_kind:     by_value
      - .offset:         20
        .size:           4
        .value_kind:     by_value
      - .offset:         24
        .size:           8
        .value_kind:     by_value
    .group_segment_fixed_size: 4768
    .kernarg_segment_align: 8
    .kernarg_segment_size: 32
    .language:       OpenCL C
    .language_version:
      - 2
      - 0
    .max_flat_workgroup_size: 64
    .name:           _ZN9rocsolver6v33100L18trti2_kernel_smallILi9E19rocblas_complex_numIfEPS3_EEv13rocblas_fill_17rocblas_diagonal_T1_iil
    .private_segment_fixed_size: 0
    .sgpr_count:     16
    .sgpr_spill_count: 0
    .symbol:         _ZN9rocsolver6v33100L18trti2_kernel_smallILi9E19rocblas_complex_numIfEPS3_EEv13rocblas_fill_17rocblas_diagonal_T1_iil.kd
    .uniform_work_group_size: 1
    .uses_dynamic_stack: false
    .vgpr_count:     44
    .vgpr_spill_count: 0
    .wavefront_size: 32
  - .args:
      - .offset:         0
        .size:           4
        .value_kind:     by_value
      - .offset:         4
        .size:           4
        .value_kind:     by_value
      - .address_space:  global
        .offset:         8
        .size:           8
        .value_kind:     global_buffer
      - .offset:         16
        .size:           4
        .value_kind:     by_value
      - .offset:         20
        .size:           4
        .value_kind:     by_value
      - .offset:         24
        .size:           8
        .value_kind:     by_value
    .group_segment_fixed_size: 5280
    .kernarg_segment_align: 8
    .kernarg_segment_size: 32
    .language:       OpenCL C
    .language_version:
      - 2
      - 0
    .max_flat_workgroup_size: 64
    .name:           _ZN9rocsolver6v33100L18trti2_kernel_smallILi10E19rocblas_complex_numIfEPS3_EEv13rocblas_fill_17rocblas_diagonal_T1_iil
    .private_segment_fixed_size: 0
    .sgpr_count:     16
    .sgpr_spill_count: 0
    .symbol:         _ZN9rocsolver6v33100L18trti2_kernel_smallILi10E19rocblas_complex_numIfEPS3_EEv13rocblas_fill_17rocblas_diagonal_T1_iil.kd
    .uniform_work_group_size: 1
    .uses_dynamic_stack: false
    .vgpr_count:     48
    .vgpr_spill_count: 0
    .wavefront_size: 32
  - .args:
      - .offset:         0
        .size:           4
        .value_kind:     by_value
      - .offset:         4
        .size:           4
        .value_kind:     by_value
      - .address_space:  global
        .offset:         8
        .size:           8
        .value_kind:     global_buffer
      - .offset:         16
        .size:           4
        .value_kind:     by_value
      - .offset:         20
        .size:           4
        .value_kind:     by_value
      - .offset:         24
        .size:           8
        .value_kind:     by_value
    .group_segment_fixed_size: 5824
    .kernarg_segment_align: 8
    .kernarg_segment_size: 32
    .language:       OpenCL C
    .language_version:
      - 2
      - 0
    .max_flat_workgroup_size: 64
    .name:           _ZN9rocsolver6v33100L18trti2_kernel_smallILi11E19rocblas_complex_numIfEPS3_EEv13rocblas_fill_17rocblas_diagonal_T1_iil
    .private_segment_fixed_size: 0
    .sgpr_count:     16
    .sgpr_spill_count: 0
    .symbol:         _ZN9rocsolver6v33100L18trti2_kernel_smallILi11E19rocblas_complex_numIfEPS3_EEv13rocblas_fill_17rocblas_diagonal_T1_iil.kd
    .uniform_work_group_size: 1
    .uses_dynamic_stack: false
    .vgpr_count:     52
    .vgpr_spill_count: 0
    .wavefront_size: 32
  - .args:
      - .offset:         0
        .size:           4
        .value_kind:     by_value
      - .offset:         4
        .size:           4
        .value_kind:     by_value
      - .address_space:  global
        .offset:         8
        .size:           8
        .value_kind:     global_buffer
      - .offset:         16
        .size:           4
        .value_kind:     by_value
      - .offset:         20
        .size:           4
        .value_kind:     by_value
      - .offset:         24
        .size:           8
        .value_kind:     by_value
    .group_segment_fixed_size: 6336
    .kernarg_segment_align: 8
    .kernarg_segment_size: 32
    .language:       OpenCL C
    .language_version:
      - 2
      - 0
    .max_flat_workgroup_size: 64
    .name:           _ZN9rocsolver6v33100L18trti2_kernel_smallILi12E19rocblas_complex_numIfEPS3_EEv13rocblas_fill_17rocblas_diagonal_T1_iil
    .private_segment_fixed_size: 0
    .sgpr_count:     16
    .sgpr_spill_count: 0
    .symbol:         _ZN9rocsolver6v33100L18trti2_kernel_smallILi12E19rocblas_complex_numIfEPS3_EEv13rocblas_fill_17rocblas_diagonal_T1_iil.kd
    .uniform_work_group_size: 1
    .uses_dynamic_stack: false
    .vgpr_count:     56
    .vgpr_spill_count: 0
    .wavefront_size: 32
  - .args:
      - .offset:         0
        .size:           4
        .value_kind:     by_value
      - .offset:         4
        .size:           4
        .value_kind:     by_value
      - .address_space:  global
        .offset:         8
        .size:           8
        .value_kind:     global_buffer
      - .offset:         16
        .size:           4
        .value_kind:     by_value
      - .offset:         20
        .size:           4
        .value_kind:     by_value
      - .offset:         24
        .size:           8
        .value_kind:     by_value
    .group_segment_fixed_size: 6880
    .kernarg_segment_align: 8
    .kernarg_segment_size: 32
    .language:       OpenCL C
    .language_version:
      - 2
      - 0
    .max_flat_workgroup_size: 64
    .name:           _ZN9rocsolver6v33100L18trti2_kernel_smallILi13E19rocblas_complex_numIfEPS3_EEv13rocblas_fill_17rocblas_diagonal_T1_iil
    .private_segment_fixed_size: 0
    .sgpr_count:     16
    .sgpr_spill_count: 0
    .symbol:         _ZN9rocsolver6v33100L18trti2_kernel_smallILi13E19rocblas_complex_numIfEPS3_EEv13rocblas_fill_17rocblas_diagonal_T1_iil.kd
    .uniform_work_group_size: 1
    .uses_dynamic_stack: false
    .vgpr_count:     60
    .vgpr_spill_count: 0
    .wavefront_size: 32
  - .args:
      - .offset:         0
        .size:           4
        .value_kind:     by_value
      - .offset:         4
        .size:           4
        .value_kind:     by_value
      - .address_space:  global
        .offset:         8
        .size:           8
        .value_kind:     global_buffer
      - .offset:         16
        .size:           4
        .value_kind:     by_value
      - .offset:         20
        .size:           4
        .value_kind:     by_value
      - .offset:         24
        .size:           8
        .value_kind:     by_value
    .group_segment_fixed_size: 7392
    .kernarg_segment_align: 8
    .kernarg_segment_size: 32
    .language:       OpenCL C
    .language_version:
      - 2
      - 0
    .max_flat_workgroup_size: 64
    .name:           _ZN9rocsolver6v33100L18trti2_kernel_smallILi14E19rocblas_complex_numIfEPS3_EEv13rocblas_fill_17rocblas_diagonal_T1_iil
    .private_segment_fixed_size: 0
    .sgpr_count:     16
    .sgpr_spill_count: 0
    .symbol:         _ZN9rocsolver6v33100L18trti2_kernel_smallILi14E19rocblas_complex_numIfEPS3_EEv13rocblas_fill_17rocblas_diagonal_T1_iil.kd
    .uniform_work_group_size: 1
    .uses_dynamic_stack: false
    .vgpr_count:     64
    .vgpr_spill_count: 0
    .wavefront_size: 32
  - .args:
      - .offset:         0
        .size:           4
        .value_kind:     by_value
      - .offset:         4
        .size:           4
        .value_kind:     by_value
      - .address_space:  global
        .offset:         8
        .size:           8
        .value_kind:     global_buffer
      - .offset:         16
        .size:           4
        .value_kind:     by_value
      - .offset:         20
        .size:           4
        .value_kind:     by_value
      - .offset:         24
        .size:           8
        .value_kind:     by_value
    .group_segment_fixed_size: 7936
    .kernarg_segment_align: 8
    .kernarg_segment_size: 32
    .language:       OpenCL C
    .language_version:
      - 2
      - 0
    .max_flat_workgroup_size: 64
    .name:           _ZN9rocsolver6v33100L18trti2_kernel_smallILi15E19rocblas_complex_numIfEPS3_EEv13rocblas_fill_17rocblas_diagonal_T1_iil
    .private_segment_fixed_size: 0
    .sgpr_count:     16
    .sgpr_spill_count: 0
    .symbol:         _ZN9rocsolver6v33100L18trti2_kernel_smallILi15E19rocblas_complex_numIfEPS3_EEv13rocblas_fill_17rocblas_diagonal_T1_iil.kd
    .uniform_work_group_size: 1
    .uses_dynamic_stack: false
    .vgpr_count:     68
    .vgpr_spill_count: 0
    .wavefront_size: 32
  - .args:
      - .offset:         0
        .size:           4
        .value_kind:     by_value
      - .offset:         4
        .size:           4
        .value_kind:     by_value
      - .address_space:  global
        .offset:         8
        .size:           8
        .value_kind:     global_buffer
      - .offset:         16
        .size:           4
        .value_kind:     by_value
      - .offset:         20
        .size:           4
        .value_kind:     by_value
      - .offset:         24
        .size:           8
        .value_kind:     by_value
    .group_segment_fixed_size: 8448
    .kernarg_segment_align: 8
    .kernarg_segment_size: 32
    .language:       OpenCL C
    .language_version:
      - 2
      - 0
    .max_flat_workgroup_size: 64
    .name:           _ZN9rocsolver6v33100L18trti2_kernel_smallILi16E19rocblas_complex_numIfEPS3_EEv13rocblas_fill_17rocblas_diagonal_T1_iil
    .private_segment_fixed_size: 0
    .sgpr_count:     16
    .sgpr_spill_count: 0
    .symbol:         _ZN9rocsolver6v33100L18trti2_kernel_smallILi16E19rocblas_complex_numIfEPS3_EEv13rocblas_fill_17rocblas_diagonal_T1_iil.kd
    .uniform_work_group_size: 1
    .uses_dynamic_stack: false
    .vgpr_count:     72
    .vgpr_spill_count: 0
    .wavefront_size: 32
  - .args:
      - .offset:         0
        .size:           4
        .value_kind:     by_value
      - .offset:         4
        .size:           4
        .value_kind:     by_value
      - .address_space:  global
        .offset:         8
        .size:           8
        .value_kind:     global_buffer
      - .offset:         16
        .size:           4
        .value_kind:     by_value
      - .offset:         20
        .size:           4
        .value_kind:     by_value
      - .offset:         24
        .size:           8
        .value_kind:     by_value
    .group_segment_fixed_size: 8992
    .kernarg_segment_align: 8
    .kernarg_segment_size: 32
    .language:       OpenCL C
    .language_version:
      - 2
      - 0
    .max_flat_workgroup_size: 64
    .name:           _ZN9rocsolver6v33100L18trti2_kernel_smallILi17E19rocblas_complex_numIfEPS3_EEv13rocblas_fill_17rocblas_diagonal_T1_iil
    .private_segment_fixed_size: 0
    .sgpr_count:     16
    .sgpr_spill_count: 0
    .symbol:         _ZN9rocsolver6v33100L18trti2_kernel_smallILi17E19rocblas_complex_numIfEPS3_EEv13rocblas_fill_17rocblas_diagonal_T1_iil.kd
    .uniform_work_group_size: 1
    .uses_dynamic_stack: false
    .vgpr_count:     76
    .vgpr_spill_count: 0
    .wavefront_size: 32
  - .args:
      - .offset:         0
        .size:           4
        .value_kind:     by_value
      - .offset:         4
        .size:           4
        .value_kind:     by_value
      - .address_space:  global
        .offset:         8
        .size:           8
        .value_kind:     global_buffer
      - .offset:         16
        .size:           4
        .value_kind:     by_value
      - .offset:         20
        .size:           4
        .value_kind:     by_value
      - .offset:         24
        .size:           8
        .value_kind:     by_value
    .group_segment_fixed_size: 9504
    .kernarg_segment_align: 8
    .kernarg_segment_size: 32
    .language:       OpenCL C
    .language_version:
      - 2
      - 0
    .max_flat_workgroup_size: 64
    .name:           _ZN9rocsolver6v33100L18trti2_kernel_smallILi18E19rocblas_complex_numIfEPS3_EEv13rocblas_fill_17rocblas_diagonal_T1_iil
    .private_segment_fixed_size: 0
    .sgpr_count:     16
    .sgpr_spill_count: 0
    .symbol:         _ZN9rocsolver6v33100L18trti2_kernel_smallILi18E19rocblas_complex_numIfEPS3_EEv13rocblas_fill_17rocblas_diagonal_T1_iil.kd
    .uniform_work_group_size: 1
    .uses_dynamic_stack: false
    .vgpr_count:     80
    .vgpr_spill_count: 0
    .wavefront_size: 32
  - .args:
      - .offset:         0
        .size:           4
        .value_kind:     by_value
      - .offset:         4
        .size:           4
        .value_kind:     by_value
      - .address_space:  global
        .offset:         8
        .size:           8
        .value_kind:     global_buffer
      - .offset:         16
        .size:           4
        .value_kind:     by_value
      - .offset:         20
        .size:           4
        .value_kind:     by_value
      - .offset:         24
        .size:           8
        .value_kind:     by_value
    .group_segment_fixed_size: 10048
    .kernarg_segment_align: 8
    .kernarg_segment_size: 32
    .language:       OpenCL C
    .language_version:
      - 2
      - 0
    .max_flat_workgroup_size: 64
    .name:           _ZN9rocsolver6v33100L18trti2_kernel_smallILi19E19rocblas_complex_numIfEPS3_EEv13rocblas_fill_17rocblas_diagonal_T1_iil
    .private_segment_fixed_size: 0
    .sgpr_count:     16
    .sgpr_spill_count: 0
    .symbol:         _ZN9rocsolver6v33100L18trti2_kernel_smallILi19E19rocblas_complex_numIfEPS3_EEv13rocblas_fill_17rocblas_diagonal_T1_iil.kd
    .uniform_work_group_size: 1
    .uses_dynamic_stack: false
    .vgpr_count:     84
    .vgpr_spill_count: 0
    .wavefront_size: 32
  - .args:
      - .offset:         0
        .size:           4
        .value_kind:     by_value
      - .offset:         4
        .size:           4
        .value_kind:     by_value
      - .address_space:  global
        .offset:         8
        .size:           8
        .value_kind:     global_buffer
      - .offset:         16
        .size:           4
        .value_kind:     by_value
      - .offset:         20
        .size:           4
        .value_kind:     by_value
      - .offset:         24
        .size:           8
        .value_kind:     by_value
    .group_segment_fixed_size: 320
    .kernarg_segment_align: 8
    .kernarg_segment_size: 32
    .language:       OpenCL C
    .language_version:
      - 2
      - 0
    .max_flat_workgroup_size: 64
    .name:           _ZN9rocsolver6v33100L18trti2_kernel_smallILi20E19rocblas_complex_numIfEPS3_EEv13rocblas_fill_17rocblas_diagonal_T1_iil
    .private_segment_fixed_size: 176
    .sgpr_count:     19
    .sgpr_spill_count: 0
    .symbol:         _ZN9rocsolver6v33100L18trti2_kernel_smallILi20E19rocblas_complex_numIfEPS3_EEv13rocblas_fill_17rocblas_diagonal_T1_iil.kd
    .uniform_work_group_size: 1
    .uses_dynamic_stack: false
    .vgpr_count:     62
    .vgpr_spill_count: 0
    .wavefront_size: 32
  - .args:
      - .offset:         0
        .size:           4
        .value_kind:     by_value
      - .offset:         4
        .size:           4
        .value_kind:     by_value
      - .address_space:  global
        .offset:         8
        .size:           8
        .value_kind:     global_buffer
      - .offset:         16
        .size:           4
        .value_kind:     by_value
      - .offset:         20
        .size:           4
        .value_kind:     by_value
      - .offset:         24
        .size:           8
        .value_kind:     by_value
    .group_segment_fixed_size: 344
    .kernarg_segment_align: 8
    .kernarg_segment_size: 32
    .language:       OpenCL C
    .language_version:
      - 2
      - 0
    .max_flat_workgroup_size: 64
    .name:           _ZN9rocsolver6v33100L18trti2_kernel_smallILi21E19rocblas_complex_numIfEPS3_EEv13rocblas_fill_17rocblas_diagonal_T1_iil
    .private_segment_fixed_size: 176
    .sgpr_count:     19
    .sgpr_spill_count: 0
    .symbol:         _ZN9rocsolver6v33100L18trti2_kernel_smallILi21E19rocblas_complex_numIfEPS3_EEv13rocblas_fill_17rocblas_diagonal_T1_iil.kd
    .uniform_work_group_size: 1
    .uses_dynamic_stack: false
    .vgpr_count:     64
    .vgpr_spill_count: 0
    .wavefront_size: 32
  - .args:
      - .offset:         0
        .size:           4
        .value_kind:     by_value
      - .offset:         4
        .size:           4
        .value_kind:     by_value
      - .address_space:  global
        .offset:         8
        .size:           8
        .value_kind:     global_buffer
      - .offset:         16
        .size:           4
        .value_kind:     by_value
      - .offset:         20
        .size:           4
        .value_kind:     by_value
      - .offset:         24
        .size:           8
        .value_kind:     by_value
    .group_segment_fixed_size: 352
    .kernarg_segment_align: 8
    .kernarg_segment_size: 32
    .language:       OpenCL C
    .language_version:
      - 2
      - 0
    .max_flat_workgroup_size: 64
    .name:           _ZN9rocsolver6v33100L18trti2_kernel_smallILi22E19rocblas_complex_numIfEPS3_EEv13rocblas_fill_17rocblas_diagonal_T1_iil
    .private_segment_fixed_size: 192
    .sgpr_count:     20
    .sgpr_spill_count: 0
    .symbol:         _ZN9rocsolver6v33100L18trti2_kernel_smallILi22E19rocblas_complex_numIfEPS3_EEv13rocblas_fill_17rocblas_diagonal_T1_iil.kd
    .uniform_work_group_size: 1
    .uses_dynamic_stack: false
    .vgpr_count:     68
    .vgpr_spill_count: 0
    .wavefront_size: 32
  - .args:
      - .offset:         0
        .size:           4
        .value_kind:     by_value
      - .offset:         4
        .size:           4
        .value_kind:     by_value
      - .address_space:  global
        .offset:         8
        .size:           8
        .value_kind:     global_buffer
      - .offset:         16
        .size:           4
        .value_kind:     by_value
      - .offset:         20
        .size:           4
        .value_kind:     by_value
      - .offset:         24
        .size:           8
        .value_kind:     by_value
    .group_segment_fixed_size: 376
    .kernarg_segment_align: 8
    .kernarg_segment_size: 32
    .language:       OpenCL C
    .language_version:
      - 2
      - 0
    .max_flat_workgroup_size: 64
    .name:           _ZN9rocsolver6v33100L18trti2_kernel_smallILi23E19rocblas_complex_numIfEPS3_EEv13rocblas_fill_17rocblas_diagonal_T1_iil
    .private_segment_fixed_size: 192
    .sgpr_count:     20
    .sgpr_spill_count: 0
    .symbol:         _ZN9rocsolver6v33100L18trti2_kernel_smallILi23E19rocblas_complex_numIfEPS3_EEv13rocblas_fill_17rocblas_diagonal_T1_iil.kd
    .uniform_work_group_size: 1
    .uses_dynamic_stack: false
    .vgpr_count:     80
    .vgpr_spill_count: 0
    .wavefront_size: 32
  - .args:
      - .offset:         0
        .size:           4
        .value_kind:     by_value
      - .offset:         4
        .size:           4
        .value_kind:     by_value
      - .address_space:  global
        .offset:         8
        .size:           8
        .value_kind:     global_buffer
      - .offset:         16
        .size:           4
        .value_kind:     by_value
      - .offset:         20
        .size:           4
        .value_kind:     by_value
      - .offset:         24
        .size:           8
        .value_kind:     by_value
    .group_segment_fixed_size: 384
    .kernarg_segment_align: 8
    .kernarg_segment_size: 32
    .language:       OpenCL C
    .language_version:
      - 2
      - 0
    .max_flat_workgroup_size: 64
    .name:           _ZN9rocsolver6v33100L18trti2_kernel_smallILi24E19rocblas_complex_numIfEPS3_EEv13rocblas_fill_17rocblas_diagonal_T1_iil
    .private_segment_fixed_size: 208
    .sgpr_count:     21
    .sgpr_spill_count: 0
    .symbol:         _ZN9rocsolver6v33100L18trti2_kernel_smallILi24E19rocblas_complex_numIfEPS3_EEv13rocblas_fill_17rocblas_diagonal_T1_iil.kd
    .uniform_work_group_size: 1
    .uses_dynamic_stack: false
    .vgpr_count:     80
    .vgpr_spill_count: 0
    .wavefront_size: 32
  - .args:
      - .offset:         0
        .size:           4
        .value_kind:     by_value
      - .offset:         4
        .size:           4
        .value_kind:     by_value
      - .address_space:  global
        .offset:         8
        .size:           8
        .value_kind:     global_buffer
      - .offset:         16
        .size:           4
        .value_kind:     by_value
      - .offset:         20
        .size:           4
        .value_kind:     by_value
      - .offset:         24
        .size:           8
        .value_kind:     by_value
    .group_segment_fixed_size: 408
    .kernarg_segment_align: 8
    .kernarg_segment_size: 32
    .language:       OpenCL C
    .language_version:
      - 2
      - 0
    .max_flat_workgroup_size: 64
    .name:           _ZN9rocsolver6v33100L18trti2_kernel_smallILi25E19rocblas_complex_numIfEPS3_EEv13rocblas_fill_17rocblas_diagonal_T1_iil
    .private_segment_fixed_size: 208
    .sgpr_count:     21
    .sgpr_spill_count: 0
    .symbol:         _ZN9rocsolver6v33100L18trti2_kernel_smallILi25E19rocblas_complex_numIfEPS3_EEv13rocblas_fill_17rocblas_diagonal_T1_iil.kd
    .uniform_work_group_size: 1
    .uses_dynamic_stack: false
    .vgpr_count:     80
    .vgpr_spill_count: 0
    .wavefront_size: 32
  - .args:
      - .offset:         0
        .size:           4
        .value_kind:     by_value
      - .offset:         4
        .size:           4
        .value_kind:     by_value
      - .address_space:  global
        .offset:         8
        .size:           8
        .value_kind:     global_buffer
      - .offset:         16
        .size:           4
        .value_kind:     by_value
      - .offset:         20
        .size:           4
        .value_kind:     by_value
      - .offset:         24
        .size:           8
        .value_kind:     by_value
    .group_segment_fixed_size: 416
    .kernarg_segment_align: 8
    .kernarg_segment_size: 32
    .language:       OpenCL C
    .language_version:
      - 2
      - 0
    .max_flat_workgroup_size: 64
    .name:           _ZN9rocsolver6v33100L18trti2_kernel_smallILi26E19rocblas_complex_numIfEPS3_EEv13rocblas_fill_17rocblas_diagonal_T1_iil
    .private_segment_fixed_size: 224
    .sgpr_count:     22
    .sgpr_spill_count: 0
    .symbol:         _ZN9rocsolver6v33100L18trti2_kernel_smallILi26E19rocblas_complex_numIfEPS3_EEv13rocblas_fill_17rocblas_diagonal_T1_iil.kd
    .uniform_work_group_size: 1
    .uses_dynamic_stack: false
    .vgpr_count:     82
    .vgpr_spill_count: 0
    .wavefront_size: 32
  - .args:
      - .offset:         0
        .size:           4
        .value_kind:     by_value
      - .offset:         4
        .size:           4
        .value_kind:     by_value
      - .address_space:  global
        .offset:         8
        .size:           8
        .value_kind:     global_buffer
      - .offset:         16
        .size:           4
        .value_kind:     by_value
      - .offset:         20
        .size:           4
        .value_kind:     by_value
      - .offset:         24
        .size:           8
        .value_kind:     by_value
    .group_segment_fixed_size: 440
    .kernarg_segment_align: 8
    .kernarg_segment_size: 32
    .language:       OpenCL C
    .language_version:
      - 2
      - 0
    .max_flat_workgroup_size: 64
    .name:           _ZN9rocsolver6v33100L18trti2_kernel_smallILi27E19rocblas_complex_numIfEPS3_EEv13rocblas_fill_17rocblas_diagonal_T1_iil
    .private_segment_fixed_size: 224
    .sgpr_count:     22
    .sgpr_spill_count: 0
    .symbol:         _ZN9rocsolver6v33100L18trti2_kernel_smallILi27E19rocblas_complex_numIfEPS3_EEv13rocblas_fill_17rocblas_diagonal_T1_iil.kd
    .uniform_work_group_size: 1
    .uses_dynamic_stack: false
    .vgpr_count:     80
    .vgpr_spill_count: 0
    .wavefront_size: 32
  - .args:
      - .offset:         0
        .size:           4
        .value_kind:     by_value
      - .offset:         4
        .size:           4
        .value_kind:     by_value
      - .address_space:  global
        .offset:         8
        .size:           8
        .value_kind:     global_buffer
      - .offset:         16
        .size:           4
        .value_kind:     by_value
      - .offset:         20
        .size:           4
        .value_kind:     by_value
      - .offset:         24
        .size:           8
        .value_kind:     by_value
    .group_segment_fixed_size: 448
    .kernarg_segment_align: 8
    .kernarg_segment_size: 32
    .language:       OpenCL C
    .language_version:
      - 2
      - 0
    .max_flat_workgroup_size: 64
    .name:           _ZN9rocsolver6v33100L18trti2_kernel_smallILi28E19rocblas_complex_numIfEPS3_EEv13rocblas_fill_17rocblas_diagonal_T1_iil
    .private_segment_fixed_size: 240
    .sgpr_count:     23
    .sgpr_spill_count: 0
    .symbol:         _ZN9rocsolver6v33100L18trti2_kernel_smallILi28E19rocblas_complex_numIfEPS3_EEv13rocblas_fill_17rocblas_diagonal_T1_iil.kd
    .uniform_work_group_size: 1
    .uses_dynamic_stack: false
    .vgpr_count:     84
    .vgpr_spill_count: 0
    .wavefront_size: 32
  - .args:
      - .offset:         0
        .size:           4
        .value_kind:     by_value
      - .offset:         4
        .size:           4
        .value_kind:     by_value
      - .address_space:  global
        .offset:         8
        .size:           8
        .value_kind:     global_buffer
      - .offset:         16
        .size:           4
        .value_kind:     by_value
      - .offset:         20
        .size:           4
        .value_kind:     by_value
      - .offset:         24
        .size:           8
        .value_kind:     by_value
    .group_segment_fixed_size: 472
    .kernarg_segment_align: 8
    .kernarg_segment_size: 32
    .language:       OpenCL C
    .language_version:
      - 2
      - 0
    .max_flat_workgroup_size: 64
    .name:           _ZN9rocsolver6v33100L18trti2_kernel_smallILi29E19rocblas_complex_numIfEPS3_EEv13rocblas_fill_17rocblas_diagonal_T1_iil
    .private_segment_fixed_size: 240
    .sgpr_count:     23
    .sgpr_spill_count: 0
    .symbol:         _ZN9rocsolver6v33100L18trti2_kernel_smallILi29E19rocblas_complex_numIfEPS3_EEv13rocblas_fill_17rocblas_diagonal_T1_iil.kd
    .uniform_work_group_size: 1
    .uses_dynamic_stack: false
    .vgpr_count:     90
    .vgpr_spill_count: 0
    .wavefront_size: 32
  - .args:
      - .offset:         0
        .size:           4
        .value_kind:     by_value
      - .offset:         4
        .size:           4
        .value_kind:     by_value
      - .address_space:  global
        .offset:         8
        .size:           8
        .value_kind:     global_buffer
      - .offset:         16
        .size:           4
        .value_kind:     by_value
      - .offset:         20
        .size:           4
        .value_kind:     by_value
      - .offset:         24
        .size:           8
        .value_kind:     by_value
    .group_segment_fixed_size: 480
    .kernarg_segment_align: 8
    .kernarg_segment_size: 32
    .language:       OpenCL C
    .language_version:
      - 2
      - 0
    .max_flat_workgroup_size: 64
    .name:           _ZN9rocsolver6v33100L18trti2_kernel_smallILi30E19rocblas_complex_numIfEPS3_EEv13rocblas_fill_17rocblas_diagonal_T1_iil
    .private_segment_fixed_size: 256
    .sgpr_count:     24
    .sgpr_spill_count: 0
    .symbol:         _ZN9rocsolver6v33100L18trti2_kernel_smallILi30E19rocblas_complex_numIfEPS3_EEv13rocblas_fill_17rocblas_diagonal_T1_iil.kd
    .uniform_work_group_size: 1
    .uses_dynamic_stack: false
    .vgpr_count:     88
    .vgpr_spill_count: 0
    .wavefront_size: 32
  - .args:
      - .offset:         0
        .size:           4
        .value_kind:     by_value
      - .offset:         4
        .size:           4
        .value_kind:     by_value
      - .address_space:  global
        .offset:         8
        .size:           8
        .value_kind:     global_buffer
      - .offset:         16
        .size:           4
        .value_kind:     by_value
      - .offset:         20
        .size:           4
        .value_kind:     by_value
      - .offset:         24
        .size:           8
        .value_kind:     by_value
    .group_segment_fixed_size: 504
    .kernarg_segment_align: 8
    .kernarg_segment_size: 32
    .language:       OpenCL C
    .language_version:
      - 2
      - 0
    .max_flat_workgroup_size: 64
    .name:           _ZN9rocsolver6v33100L18trti2_kernel_smallILi31E19rocblas_complex_numIfEPS3_EEv13rocblas_fill_17rocblas_diagonal_T1_iil
    .private_segment_fixed_size: 256
    .sgpr_count:     24
    .sgpr_spill_count: 0
    .symbol:         _ZN9rocsolver6v33100L18trti2_kernel_smallILi31E19rocblas_complex_numIfEPS3_EEv13rocblas_fill_17rocblas_diagonal_T1_iil.kd
    .uniform_work_group_size: 1
    .uses_dynamic_stack: false
    .vgpr_count:     98
    .vgpr_spill_count: 0
    .wavefront_size: 32
  - .args:
      - .offset:         0
        .size:           4
        .value_kind:     by_value
      - .offset:         4
        .size:           4
        .value_kind:     by_value
      - .address_space:  global
        .offset:         8
        .size:           8
        .value_kind:     global_buffer
      - .offset:         16
        .size:           4
        .value_kind:     by_value
      - .offset:         20
        .size:           4
        .value_kind:     by_value
      - .offset:         24
        .size:           8
        .value_kind:     by_value
    .group_segment_fixed_size: 512
    .kernarg_segment_align: 8
    .kernarg_segment_size: 32
    .language:       OpenCL C
    .language_version:
      - 2
      - 0
    .max_flat_workgroup_size: 64
    .name:           _ZN9rocsolver6v33100L18trti2_kernel_smallILi32E19rocblas_complex_numIfEPS3_EEv13rocblas_fill_17rocblas_diagonal_T1_iil
    .private_segment_fixed_size: 272
    .sgpr_count:     25
    .sgpr_spill_count: 0
    .symbol:         _ZN9rocsolver6v33100L18trti2_kernel_smallILi32E19rocblas_complex_numIfEPS3_EEv13rocblas_fill_17rocblas_diagonal_T1_iil.kd
    .uniform_work_group_size: 1
    .uses_dynamic_stack: false
    .vgpr_count:     96
    .vgpr_spill_count: 0
    .wavefront_size: 32
  - .args:
      - .offset:         0
        .size:           4
        .value_kind:     by_value
      - .offset:         4
        .size:           4
        .value_kind:     by_value
      - .address_space:  global
        .offset:         8
        .size:           8
        .value_kind:     global_buffer
      - .offset:         16
        .size:           4
        .value_kind:     by_value
      - .offset:         20
        .size:           4
        .value_kind:     by_value
      - .offset:         24
        .size:           8
        .value_kind:     by_value
    .group_segment_fixed_size: 536
    .kernarg_segment_align: 8
    .kernarg_segment_size: 32
    .language:       OpenCL C
    .language_version:
      - 2
      - 0
    .max_flat_workgroup_size: 64
    .name:           _ZN9rocsolver6v33100L18trti2_kernel_smallILi33E19rocblas_complex_numIfEPS3_EEv13rocblas_fill_17rocblas_diagonal_T1_iil
    .private_segment_fixed_size: 272
    .sgpr_count:     25
    .sgpr_spill_count: 0
    .symbol:         _ZN9rocsolver6v33100L18trti2_kernel_smallILi33E19rocblas_complex_numIfEPS3_EEv13rocblas_fill_17rocblas_diagonal_T1_iil.kd
    .uniform_work_group_size: 1
    .uses_dynamic_stack: false
    .vgpr_count:     98
    .vgpr_spill_count: 0
    .wavefront_size: 32
  - .args:
      - .offset:         0
        .size:           4
        .value_kind:     by_value
      - .offset:         4
        .size:           4
        .value_kind:     by_value
      - .address_space:  global
        .offset:         8
        .size:           8
        .value_kind:     global_buffer
      - .offset:         16
        .size:           4
        .value_kind:     by_value
      - .offset:         20
        .size:           4
        .value_kind:     by_value
      - .offset:         24
        .size:           8
        .value_kind:     by_value
    .group_segment_fixed_size: 544
    .kernarg_segment_align: 8
    .kernarg_segment_size: 32
    .language:       OpenCL C
    .language_version:
      - 2
      - 0
    .max_flat_workgroup_size: 64
    .name:           _ZN9rocsolver6v33100L18trti2_kernel_smallILi34E19rocblas_complex_numIfEPS3_EEv13rocblas_fill_17rocblas_diagonal_T1_iil
    .private_segment_fixed_size: 288
    .sgpr_count:     26
    .sgpr_spill_count: 0
    .symbol:         _ZN9rocsolver6v33100L18trti2_kernel_smallILi34E19rocblas_complex_numIfEPS3_EEv13rocblas_fill_17rocblas_diagonal_T1_iil.kd
    .uniform_work_group_size: 1
    .uses_dynamic_stack: false
    .vgpr_count:     98
    .vgpr_spill_count: 0
    .wavefront_size: 32
  - .args:
      - .offset:         0
        .size:           4
        .value_kind:     by_value
      - .offset:         4
        .size:           4
        .value_kind:     by_value
      - .address_space:  global
        .offset:         8
        .size:           8
        .value_kind:     global_buffer
      - .offset:         16
        .size:           4
        .value_kind:     by_value
      - .offset:         20
        .size:           4
        .value_kind:     by_value
      - .offset:         24
        .size:           8
        .value_kind:     by_value
    .group_segment_fixed_size: 568
    .kernarg_segment_align: 8
    .kernarg_segment_size: 32
    .language:       OpenCL C
    .language_version:
      - 2
      - 0
    .max_flat_workgroup_size: 64
    .name:           _ZN9rocsolver6v33100L18trti2_kernel_smallILi35E19rocblas_complex_numIfEPS3_EEv13rocblas_fill_17rocblas_diagonal_T1_iil
    .private_segment_fixed_size: 288
    .sgpr_count:     26
    .sgpr_spill_count: 0
    .symbol:         _ZN9rocsolver6v33100L18trti2_kernel_smallILi35E19rocblas_complex_numIfEPS3_EEv13rocblas_fill_17rocblas_diagonal_T1_iil.kd
    .uniform_work_group_size: 1
    .uses_dynamic_stack: false
    .vgpr_count:     104
    .vgpr_spill_count: 0
    .wavefront_size: 32
  - .args:
      - .offset:         0
        .size:           4
        .value_kind:     by_value
      - .offset:         4
        .size:           4
        .value_kind:     by_value
      - .address_space:  global
        .offset:         8
        .size:           8
        .value_kind:     global_buffer
      - .offset:         16
        .size:           4
        .value_kind:     by_value
      - .offset:         20
        .size:           4
        .value_kind:     by_value
      - .offset:         24
        .size:           8
        .value_kind:     by_value
    .group_segment_fixed_size: 576
    .kernarg_segment_align: 8
    .kernarg_segment_size: 32
    .language:       OpenCL C
    .language_version:
      - 2
      - 0
    .max_flat_workgroup_size: 64
    .name:           _ZN9rocsolver6v33100L18trti2_kernel_smallILi36E19rocblas_complex_numIfEPS3_EEv13rocblas_fill_17rocblas_diagonal_T1_iil
    .private_segment_fixed_size: 304
    .sgpr_count:     27
    .sgpr_spill_count: 0
    .symbol:         _ZN9rocsolver6v33100L18trti2_kernel_smallILi36E19rocblas_complex_numIfEPS3_EEv13rocblas_fill_17rocblas_diagonal_T1_iil.kd
    .uniform_work_group_size: 1
    .uses_dynamic_stack: false
    .vgpr_count:     108
    .vgpr_spill_count: 0
    .wavefront_size: 32
  - .args:
      - .offset:         0
        .size:           4
        .value_kind:     by_value
      - .offset:         4
        .size:           4
        .value_kind:     by_value
      - .address_space:  global
        .offset:         8
        .size:           8
        .value_kind:     global_buffer
      - .offset:         16
        .size:           4
        .value_kind:     by_value
      - .offset:         20
        .size:           4
        .value_kind:     by_value
      - .offset:         24
        .size:           8
        .value_kind:     by_value
    .group_segment_fixed_size: 600
    .kernarg_segment_align: 8
    .kernarg_segment_size: 32
    .language:       OpenCL C
    .language_version:
      - 2
      - 0
    .max_flat_workgroup_size: 64
    .name:           _ZN9rocsolver6v33100L18trti2_kernel_smallILi37E19rocblas_complex_numIfEPS3_EEv13rocblas_fill_17rocblas_diagonal_T1_iil
    .private_segment_fixed_size: 304
    .sgpr_count:     27
    .sgpr_spill_count: 0
    .symbol:         _ZN9rocsolver6v33100L18trti2_kernel_smallILi37E19rocblas_complex_numIfEPS3_EEv13rocblas_fill_17rocblas_diagonal_T1_iil.kd
    .uniform_work_group_size: 1
    .uses_dynamic_stack: false
    .vgpr_count:     104
    .vgpr_spill_count: 0
    .wavefront_size: 32
  - .args:
      - .offset:         0
        .size:           4
        .value_kind:     by_value
      - .offset:         4
        .size:           4
        .value_kind:     by_value
      - .address_space:  global
        .offset:         8
        .size:           8
        .value_kind:     global_buffer
      - .offset:         16
        .size:           4
        .value_kind:     by_value
      - .offset:         20
        .size:           4
        .value_kind:     by_value
      - .offset:         24
        .size:           8
        .value_kind:     by_value
    .group_segment_fixed_size: 608
    .kernarg_segment_align: 8
    .kernarg_segment_size: 32
    .language:       OpenCL C
    .language_version:
      - 2
      - 0
    .max_flat_workgroup_size: 64
    .name:           _ZN9rocsolver6v33100L18trti2_kernel_smallILi38E19rocblas_complex_numIfEPS3_EEv13rocblas_fill_17rocblas_diagonal_T1_iil
    .private_segment_fixed_size: 320
    .sgpr_count:     28
    .sgpr_spill_count: 0
    .symbol:         _ZN9rocsolver6v33100L18trti2_kernel_smallILi38E19rocblas_complex_numIfEPS3_EEv13rocblas_fill_17rocblas_diagonal_T1_iil.kd
    .uniform_work_group_size: 1
    .uses_dynamic_stack: false
    .vgpr_count:     109
    .vgpr_spill_count: 0
    .wavefront_size: 32
  - .args:
      - .offset:         0
        .size:           4
        .value_kind:     by_value
      - .offset:         4
        .size:           4
        .value_kind:     by_value
      - .address_space:  global
        .offset:         8
        .size:           8
        .value_kind:     global_buffer
      - .offset:         16
        .size:           4
        .value_kind:     by_value
      - .offset:         20
        .size:           4
        .value_kind:     by_value
      - .offset:         24
        .size:           8
        .value_kind:     by_value
    .group_segment_fixed_size: 632
    .kernarg_segment_align: 8
    .kernarg_segment_size: 32
    .language:       OpenCL C
    .language_version:
      - 2
      - 0
    .max_flat_workgroup_size: 64
    .name:           _ZN9rocsolver6v33100L18trti2_kernel_smallILi39E19rocblas_complex_numIfEPS3_EEv13rocblas_fill_17rocblas_diagonal_T1_iil
    .private_segment_fixed_size: 320
    .sgpr_count:     28
    .sgpr_spill_count: 0
    .symbol:         _ZN9rocsolver6v33100L18trti2_kernel_smallILi39E19rocblas_complex_numIfEPS3_EEv13rocblas_fill_17rocblas_diagonal_T1_iil.kd
    .uniform_work_group_size: 1
    .uses_dynamic_stack: false
    .vgpr_count:     112
    .vgpr_spill_count: 0
    .wavefront_size: 32
  - .args:
      - .offset:         0
        .size:           4
        .value_kind:     by_value
      - .offset:         4
        .size:           4
        .value_kind:     by_value
      - .address_space:  global
        .offset:         8
        .size:           8
        .value_kind:     global_buffer
      - .offset:         16
        .size:           4
        .value_kind:     by_value
      - .offset:         20
        .size:           4
        .value_kind:     by_value
      - .offset:         24
        .size:           8
        .value_kind:     by_value
    .group_segment_fixed_size: 640
    .kernarg_segment_align: 8
    .kernarg_segment_size: 32
    .language:       OpenCL C
    .language_version:
      - 2
      - 0
    .max_flat_workgroup_size: 64
    .name:           _ZN9rocsolver6v33100L18trti2_kernel_smallILi40E19rocblas_complex_numIfEPS3_EEv13rocblas_fill_17rocblas_diagonal_T1_iil
    .private_segment_fixed_size: 336
    .sgpr_count:     29
    .sgpr_spill_count: 0
    .symbol:         _ZN9rocsolver6v33100L18trti2_kernel_smallILi40E19rocblas_complex_numIfEPS3_EEv13rocblas_fill_17rocblas_diagonal_T1_iil.kd
    .uniform_work_group_size: 1
    .uses_dynamic_stack: false
    .vgpr_count:     116
    .vgpr_spill_count: 0
    .wavefront_size: 32
  - .args:
      - .offset:         0
        .size:           4
        .value_kind:     by_value
      - .offset:         4
        .size:           4
        .value_kind:     by_value
      - .address_space:  global
        .offset:         8
        .size:           8
        .value_kind:     global_buffer
      - .offset:         16
        .size:           4
        .value_kind:     by_value
      - .offset:         20
        .size:           4
        .value_kind:     by_value
      - .offset:         24
        .size:           8
        .value_kind:     by_value
    .group_segment_fixed_size: 664
    .kernarg_segment_align: 8
    .kernarg_segment_size: 32
    .language:       OpenCL C
    .language_version:
      - 2
      - 0
    .max_flat_workgroup_size: 64
    .name:           _ZN9rocsolver6v33100L18trti2_kernel_smallILi41E19rocblas_complex_numIfEPS3_EEv13rocblas_fill_17rocblas_diagonal_T1_iil
    .private_segment_fixed_size: 336
    .sgpr_count:     29
    .sgpr_spill_count: 0
    .symbol:         _ZN9rocsolver6v33100L18trti2_kernel_smallILi41E19rocblas_complex_numIfEPS3_EEv13rocblas_fill_17rocblas_diagonal_T1_iil.kd
    .uniform_work_group_size: 1
    .uses_dynamic_stack: false
    .vgpr_count:     122
    .vgpr_spill_count: 0
    .wavefront_size: 32
  - .args:
      - .offset:         0
        .size:           4
        .value_kind:     by_value
      - .offset:         4
        .size:           4
        .value_kind:     by_value
      - .address_space:  global
        .offset:         8
        .size:           8
        .value_kind:     global_buffer
      - .offset:         16
        .size:           4
        .value_kind:     by_value
      - .offset:         20
        .size:           4
        .value_kind:     by_value
      - .offset:         24
        .size:           8
        .value_kind:     by_value
    .group_segment_fixed_size: 672
    .kernarg_segment_align: 8
    .kernarg_segment_size: 32
    .language:       OpenCL C
    .language_version:
      - 2
      - 0
    .max_flat_workgroup_size: 64
    .name:           _ZN9rocsolver6v33100L18trti2_kernel_smallILi42E19rocblas_complex_numIfEPS3_EEv13rocblas_fill_17rocblas_diagonal_T1_iil
    .private_segment_fixed_size: 352
    .sgpr_count:     30
    .sgpr_spill_count: 0
    .symbol:         _ZN9rocsolver6v33100L18trti2_kernel_smallILi42E19rocblas_complex_numIfEPS3_EEv13rocblas_fill_17rocblas_diagonal_T1_iil.kd
    .uniform_work_group_size: 1
    .uses_dynamic_stack: false
    .vgpr_count:     126
    .vgpr_spill_count: 0
    .wavefront_size: 32
  - .args:
      - .offset:         0
        .size:           4
        .value_kind:     by_value
      - .offset:         4
        .size:           4
        .value_kind:     by_value
      - .address_space:  global
        .offset:         8
        .size:           8
        .value_kind:     global_buffer
      - .offset:         16
        .size:           4
        .value_kind:     by_value
      - .offset:         20
        .size:           4
        .value_kind:     by_value
      - .offset:         24
        .size:           8
        .value_kind:     by_value
    .group_segment_fixed_size: 696
    .kernarg_segment_align: 8
    .kernarg_segment_size: 32
    .language:       OpenCL C
    .language_version:
      - 2
      - 0
    .max_flat_workgroup_size: 64
    .name:           _ZN9rocsolver6v33100L18trti2_kernel_smallILi43E19rocblas_complex_numIfEPS3_EEv13rocblas_fill_17rocblas_diagonal_T1_iil
    .private_segment_fixed_size: 352
    .sgpr_count:     30
    .sgpr_spill_count: 0
    .symbol:         _ZN9rocsolver6v33100L18trti2_kernel_smallILi43E19rocblas_complex_numIfEPS3_EEv13rocblas_fill_17rocblas_diagonal_T1_iil.kd
    .uniform_work_group_size: 1
    .uses_dynamic_stack: false
    .vgpr_count:     128
    .vgpr_spill_count: 0
    .wavefront_size: 32
  - .args:
      - .offset:         0
        .size:           4
        .value_kind:     by_value
      - .offset:         4
        .size:           4
        .value_kind:     by_value
      - .address_space:  global
        .offset:         8
        .size:           8
        .value_kind:     global_buffer
      - .offset:         16
        .size:           4
        .value_kind:     by_value
      - .offset:         20
        .size:           4
        .value_kind:     by_value
      - .offset:         24
        .size:           8
        .value_kind:     by_value
    .group_segment_fixed_size: 704
    .kernarg_segment_align: 8
    .kernarg_segment_size: 32
    .language:       OpenCL C
    .language_version:
      - 2
      - 0
    .max_flat_workgroup_size: 64
    .name:           _ZN9rocsolver6v33100L18trti2_kernel_smallILi44E19rocblas_complex_numIfEPS3_EEv13rocblas_fill_17rocblas_diagonal_T1_iil
    .private_segment_fixed_size: 368
    .sgpr_count:     31
    .sgpr_spill_count: 0
    .symbol:         _ZN9rocsolver6v33100L18trti2_kernel_smallILi44E19rocblas_complex_numIfEPS3_EEv13rocblas_fill_17rocblas_diagonal_T1_iil.kd
    .uniform_work_group_size: 1
    .uses_dynamic_stack: false
    .vgpr_count:     125
    .vgpr_spill_count: 0
    .wavefront_size: 32
  - .args:
      - .offset:         0
        .size:           4
        .value_kind:     by_value
      - .offset:         4
        .size:           4
        .value_kind:     by_value
      - .address_space:  global
        .offset:         8
        .size:           8
        .value_kind:     global_buffer
      - .offset:         16
        .size:           4
        .value_kind:     by_value
      - .offset:         20
        .size:           4
        .value_kind:     by_value
      - .offset:         24
        .size:           8
        .value_kind:     by_value
    .group_segment_fixed_size: 728
    .kernarg_segment_align: 8
    .kernarg_segment_size: 32
    .language:       OpenCL C
    .language_version:
      - 2
      - 0
    .max_flat_workgroup_size: 64
    .name:           _ZN9rocsolver6v33100L18trti2_kernel_smallILi45E19rocblas_complex_numIfEPS3_EEv13rocblas_fill_17rocblas_diagonal_T1_iil
    .private_segment_fixed_size: 368
    .sgpr_count:     31
    .sgpr_spill_count: 0
    .symbol:         _ZN9rocsolver6v33100L18trti2_kernel_smallILi45E19rocblas_complex_numIfEPS3_EEv13rocblas_fill_17rocblas_diagonal_T1_iil.kd
    .uniform_work_group_size: 1
    .uses_dynamic_stack: false
    .vgpr_count:     127
    .vgpr_spill_count: 0
    .wavefront_size: 32
  - .args:
      - .offset:         0
        .size:           4
        .value_kind:     by_value
      - .offset:         4
        .size:           4
        .value_kind:     by_value
      - .address_space:  global
        .offset:         8
        .size:           8
        .value_kind:     global_buffer
      - .offset:         16
        .size:           4
        .value_kind:     by_value
      - .offset:         20
        .size:           4
        .value_kind:     by_value
      - .offset:         24
        .size:           8
        .value_kind:     by_value
    .group_segment_fixed_size: 736
    .kernarg_segment_align: 8
    .kernarg_segment_size: 32
    .language:       OpenCL C
    .language_version:
      - 2
      - 0
    .max_flat_workgroup_size: 64
    .name:           _ZN9rocsolver6v33100L18trti2_kernel_smallILi46E19rocblas_complex_numIfEPS3_EEv13rocblas_fill_17rocblas_diagonal_T1_iil
    .private_segment_fixed_size: 384
    .sgpr_count:     32
    .sgpr_spill_count: 0
    .symbol:         _ZN9rocsolver6v33100L18trti2_kernel_smallILi46E19rocblas_complex_numIfEPS3_EEv13rocblas_fill_17rocblas_diagonal_T1_iil.kd
    .uniform_work_group_size: 1
    .uses_dynamic_stack: false
    .vgpr_count:     133
    .vgpr_spill_count: 0
    .wavefront_size: 32
  - .args:
      - .offset:         0
        .size:           4
        .value_kind:     by_value
      - .offset:         4
        .size:           4
        .value_kind:     by_value
      - .address_space:  global
        .offset:         8
        .size:           8
        .value_kind:     global_buffer
      - .offset:         16
        .size:           4
        .value_kind:     by_value
      - .offset:         20
        .size:           4
        .value_kind:     by_value
      - .offset:         24
        .size:           8
        .value_kind:     by_value
    .group_segment_fixed_size: 760
    .kernarg_segment_align: 8
    .kernarg_segment_size: 32
    .language:       OpenCL C
    .language_version:
      - 2
      - 0
    .max_flat_workgroup_size: 64
    .name:           _ZN9rocsolver6v33100L18trti2_kernel_smallILi47E19rocblas_complex_numIfEPS3_EEv13rocblas_fill_17rocblas_diagonal_T1_iil
    .private_segment_fixed_size: 384
    .sgpr_count:     32
    .sgpr_spill_count: 0
    .symbol:         _ZN9rocsolver6v33100L18trti2_kernel_smallILi47E19rocblas_complex_numIfEPS3_EEv13rocblas_fill_17rocblas_diagonal_T1_iil.kd
    .uniform_work_group_size: 1
    .uses_dynamic_stack: false
    .vgpr_count:     136
    .vgpr_spill_count: 0
    .wavefront_size: 32
  - .args:
      - .offset:         0
        .size:           4
        .value_kind:     by_value
      - .offset:         4
        .size:           4
        .value_kind:     by_value
      - .address_space:  global
        .offset:         8
        .size:           8
        .value_kind:     global_buffer
      - .offset:         16
        .size:           4
        .value_kind:     by_value
      - .offset:         20
        .size:           4
        .value_kind:     by_value
      - .offset:         24
        .size:           8
        .value_kind:     by_value
    .group_segment_fixed_size: 768
    .kernarg_segment_align: 8
    .kernarg_segment_size: 32
    .language:       OpenCL C
    .language_version:
      - 2
      - 0
    .max_flat_workgroup_size: 64
    .name:           _ZN9rocsolver6v33100L18trti2_kernel_smallILi48E19rocblas_complex_numIfEPS3_EEv13rocblas_fill_17rocblas_diagonal_T1_iil
    .private_segment_fixed_size: 400
    .sgpr_count:     33
    .sgpr_spill_count: 0
    .symbol:         _ZN9rocsolver6v33100L18trti2_kernel_smallILi48E19rocblas_complex_numIfEPS3_EEv13rocblas_fill_17rocblas_diagonal_T1_iil.kd
    .uniform_work_group_size: 1
    .uses_dynamic_stack: false
    .vgpr_count:     144
    .vgpr_spill_count: 0
    .wavefront_size: 32
  - .args:
      - .offset:         0
        .size:           4
        .value_kind:     by_value
      - .offset:         4
        .size:           4
        .value_kind:     by_value
      - .address_space:  global
        .offset:         8
        .size:           8
        .value_kind:     global_buffer
      - .offset:         16
        .size:           4
        .value_kind:     by_value
      - .offset:         20
        .size:           4
        .value_kind:     by_value
      - .offset:         24
        .size:           8
        .value_kind:     by_value
    .group_segment_fixed_size: 792
    .kernarg_segment_align: 8
    .kernarg_segment_size: 32
    .language:       OpenCL C
    .language_version:
      - 2
      - 0
    .max_flat_workgroup_size: 64
    .name:           _ZN9rocsolver6v33100L18trti2_kernel_smallILi49E19rocblas_complex_numIfEPS3_EEv13rocblas_fill_17rocblas_diagonal_T1_iil
    .private_segment_fixed_size: 400
    .sgpr_count:     33
    .sgpr_spill_count: 0
    .symbol:         _ZN9rocsolver6v33100L18trti2_kernel_smallILi49E19rocblas_complex_numIfEPS3_EEv13rocblas_fill_17rocblas_diagonal_T1_iil.kd
    .uniform_work_group_size: 1
    .uses_dynamic_stack: false
    .vgpr_count:     144
    .vgpr_spill_count: 0
    .wavefront_size: 32
  - .args:
      - .offset:         0
        .size:           4
        .value_kind:     by_value
      - .offset:         4
        .size:           4
        .value_kind:     by_value
      - .address_space:  global
        .offset:         8
        .size:           8
        .value_kind:     global_buffer
      - .offset:         16
        .size:           4
        .value_kind:     by_value
      - .offset:         20
        .size:           4
        .value_kind:     by_value
      - .offset:         24
        .size:           8
        .value_kind:     by_value
    .group_segment_fixed_size: 800
    .kernarg_segment_align: 8
    .kernarg_segment_size: 32
    .language:       OpenCL C
    .language_version:
      - 2
      - 0
    .max_flat_workgroup_size: 64
    .name:           _ZN9rocsolver6v33100L18trti2_kernel_smallILi50E19rocblas_complex_numIfEPS3_EEv13rocblas_fill_17rocblas_diagonal_T1_iil
    .private_segment_fixed_size: 416
    .sgpr_count:     34
    .sgpr_spill_count: 0
    .symbol:         _ZN9rocsolver6v33100L18trti2_kernel_smallILi50E19rocblas_complex_numIfEPS3_EEv13rocblas_fill_17rocblas_diagonal_T1_iil.kd
    .uniform_work_group_size: 1
    .uses_dynamic_stack: false
    .vgpr_count:     144
    .vgpr_spill_count: 0
    .wavefront_size: 32
  - .args:
      - .offset:         0
        .size:           4
        .value_kind:     by_value
      - .offset:         4
        .size:           4
        .value_kind:     by_value
      - .address_space:  global
        .offset:         8
        .size:           8
        .value_kind:     global_buffer
      - .offset:         16
        .size:           4
        .value_kind:     by_value
      - .offset:         20
        .size:           4
        .value_kind:     by_value
      - .offset:         24
        .size:           8
        .value_kind:     by_value
    .group_segment_fixed_size: 824
    .kernarg_segment_align: 8
    .kernarg_segment_size: 32
    .language:       OpenCL C
    .language_version:
      - 2
      - 0
    .max_flat_workgroup_size: 64
    .name:           _ZN9rocsolver6v33100L18trti2_kernel_smallILi51E19rocblas_complex_numIfEPS3_EEv13rocblas_fill_17rocblas_diagonal_T1_iil
    .private_segment_fixed_size: 416
    .sgpr_count:     34
    .sgpr_spill_count: 0
    .symbol:         _ZN9rocsolver6v33100L18trti2_kernel_smallILi51E19rocblas_complex_numIfEPS3_EEv13rocblas_fill_17rocblas_diagonal_T1_iil.kd
    .uniform_work_group_size: 1
    .uses_dynamic_stack: false
    .vgpr_count:     144
    .vgpr_spill_count: 0
    .wavefront_size: 32
  - .args:
      - .offset:         0
        .size:           4
        .value_kind:     by_value
      - .offset:         4
        .size:           4
        .value_kind:     by_value
      - .address_space:  global
        .offset:         8
        .size:           8
        .value_kind:     global_buffer
      - .offset:         16
        .size:           4
        .value_kind:     by_value
      - .offset:         20
        .size:           4
        .value_kind:     by_value
      - .offset:         24
        .size:           8
        .value_kind:     by_value
    .group_segment_fixed_size: 832
    .kernarg_segment_align: 8
    .kernarg_segment_size: 32
    .language:       OpenCL C
    .language_version:
      - 2
      - 0
    .max_flat_workgroup_size: 64
    .name:           _ZN9rocsolver6v33100L18trti2_kernel_smallILi52E19rocblas_complex_numIfEPS3_EEv13rocblas_fill_17rocblas_diagonal_T1_iil
    .private_segment_fixed_size: 432
    .sgpr_count:     36
    .sgpr_spill_count: 0
    .symbol:         _ZN9rocsolver6v33100L18trti2_kernel_smallILi52E19rocblas_complex_numIfEPS3_EEv13rocblas_fill_17rocblas_diagonal_T1_iil.kd
    .uniform_work_group_size: 1
    .uses_dynamic_stack: false
    .vgpr_count:     149
    .vgpr_spill_count: 0
    .wavefront_size: 32
  - .args:
      - .offset:         0
        .size:           4
        .value_kind:     by_value
      - .offset:         4
        .size:           4
        .value_kind:     by_value
      - .address_space:  global
        .offset:         8
        .size:           8
        .value_kind:     global_buffer
      - .offset:         16
        .size:           4
        .value_kind:     by_value
      - .offset:         20
        .size:           4
        .value_kind:     by_value
      - .offset:         24
        .size:           8
        .value_kind:     by_value
    .group_segment_fixed_size: 856
    .kernarg_segment_align: 8
    .kernarg_segment_size: 32
    .language:       OpenCL C
    .language_version:
      - 2
      - 0
    .max_flat_workgroup_size: 64
    .name:           _ZN9rocsolver6v33100L18trti2_kernel_smallILi53E19rocblas_complex_numIfEPS3_EEv13rocblas_fill_17rocblas_diagonal_T1_iil
    .private_segment_fixed_size: 432
    .sgpr_count:     36
    .sgpr_spill_count: 0
    .symbol:         _ZN9rocsolver6v33100L18trti2_kernel_smallILi53E19rocblas_complex_numIfEPS3_EEv13rocblas_fill_17rocblas_diagonal_T1_iil.kd
    .uniform_work_group_size: 1
    .uses_dynamic_stack: false
    .vgpr_count:     151
    .vgpr_spill_count: 0
    .wavefront_size: 32
  - .args:
      - .offset:         0
        .size:           4
        .value_kind:     by_value
      - .offset:         4
        .size:           4
        .value_kind:     by_value
      - .address_space:  global
        .offset:         8
        .size:           8
        .value_kind:     global_buffer
      - .offset:         16
        .size:           4
        .value_kind:     by_value
      - .offset:         20
        .size:           4
        .value_kind:     by_value
      - .offset:         24
        .size:           8
        .value_kind:     by_value
    .group_segment_fixed_size: 864
    .kernarg_segment_align: 8
    .kernarg_segment_size: 32
    .language:       OpenCL C
    .language_version:
      - 2
      - 0
    .max_flat_workgroup_size: 64
    .name:           _ZN9rocsolver6v33100L18trti2_kernel_smallILi54E19rocblas_complex_numIfEPS3_EEv13rocblas_fill_17rocblas_diagonal_T1_iil
    .private_segment_fixed_size: 448
    .sgpr_count:     37
    .sgpr_spill_count: 0
    .symbol:         _ZN9rocsolver6v33100L18trti2_kernel_smallILi54E19rocblas_complex_numIfEPS3_EEv13rocblas_fill_17rocblas_diagonal_T1_iil.kd
    .uniform_work_group_size: 1
    .uses_dynamic_stack: false
    .vgpr_count:     157
    .vgpr_spill_count: 0
    .wavefront_size: 32
  - .args:
      - .offset:         0
        .size:           4
        .value_kind:     by_value
      - .offset:         4
        .size:           4
        .value_kind:     by_value
      - .address_space:  global
        .offset:         8
        .size:           8
        .value_kind:     global_buffer
      - .offset:         16
        .size:           4
        .value_kind:     by_value
      - .offset:         20
        .size:           4
        .value_kind:     by_value
      - .offset:         24
        .size:           8
        .value_kind:     by_value
    .group_segment_fixed_size: 888
    .kernarg_segment_align: 8
    .kernarg_segment_size: 32
    .language:       OpenCL C
    .language_version:
      - 2
      - 0
    .max_flat_workgroup_size: 64
    .name:           _ZN9rocsolver6v33100L18trti2_kernel_smallILi55E19rocblas_complex_numIfEPS3_EEv13rocblas_fill_17rocblas_diagonal_T1_iil
    .private_segment_fixed_size: 448
    .sgpr_count:     37
    .sgpr_spill_count: 0
    .symbol:         _ZN9rocsolver6v33100L18trti2_kernel_smallILi55E19rocblas_complex_numIfEPS3_EEv13rocblas_fill_17rocblas_diagonal_T1_iil.kd
    .uniform_work_group_size: 1
    .uses_dynamic_stack: false
    .vgpr_count:     166
    .vgpr_spill_count: 0
    .wavefront_size: 32
  - .args:
      - .offset:         0
        .size:           4
        .value_kind:     by_value
      - .offset:         4
        .size:           4
        .value_kind:     by_value
      - .address_space:  global
        .offset:         8
        .size:           8
        .value_kind:     global_buffer
      - .offset:         16
        .size:           4
        .value_kind:     by_value
      - .offset:         20
        .size:           4
        .value_kind:     by_value
      - .offset:         24
        .size:           8
        .value_kind:     by_value
    .group_segment_fixed_size: 896
    .kernarg_segment_align: 8
    .kernarg_segment_size: 32
    .language:       OpenCL C
    .language_version:
      - 2
      - 0
    .max_flat_workgroup_size: 64
    .name:           _ZN9rocsolver6v33100L18trti2_kernel_smallILi56E19rocblas_complex_numIfEPS3_EEv13rocblas_fill_17rocblas_diagonal_T1_iil
    .private_segment_fixed_size: 464
    .sgpr_count:     38
    .sgpr_spill_count: 0
    .symbol:         _ZN9rocsolver6v33100L18trti2_kernel_smallILi56E19rocblas_complex_numIfEPS3_EEv13rocblas_fill_17rocblas_diagonal_T1_iil.kd
    .uniform_work_group_size: 1
    .uses_dynamic_stack: false
    .vgpr_count:     164
    .vgpr_spill_count: 0
    .wavefront_size: 32
  - .args:
      - .offset:         0
        .size:           4
        .value_kind:     by_value
      - .offset:         4
        .size:           4
        .value_kind:     by_value
      - .address_space:  global
        .offset:         8
        .size:           8
        .value_kind:     global_buffer
      - .offset:         16
        .size:           4
        .value_kind:     by_value
      - .offset:         20
        .size:           4
        .value_kind:     by_value
      - .offset:         24
        .size:           8
        .value_kind:     by_value
    .group_segment_fixed_size: 920
    .kernarg_segment_align: 8
    .kernarg_segment_size: 32
    .language:       OpenCL C
    .language_version:
      - 2
      - 0
    .max_flat_workgroup_size: 64
    .name:           _ZN9rocsolver6v33100L18trti2_kernel_smallILi57E19rocblas_complex_numIfEPS3_EEv13rocblas_fill_17rocblas_diagonal_T1_iil
    .private_segment_fixed_size: 464
    .sgpr_count:     38
    .sgpr_spill_count: 0
    .symbol:         _ZN9rocsolver6v33100L18trti2_kernel_smallILi57E19rocblas_complex_numIfEPS3_EEv13rocblas_fill_17rocblas_diagonal_T1_iil.kd
    .uniform_work_group_size: 1
    .uses_dynamic_stack: false
    .vgpr_count:     160
    .vgpr_spill_count: 0
    .wavefront_size: 32
  - .args:
      - .offset:         0
        .size:           4
        .value_kind:     by_value
      - .offset:         4
        .size:           4
        .value_kind:     by_value
      - .address_space:  global
        .offset:         8
        .size:           8
        .value_kind:     global_buffer
      - .offset:         16
        .size:           4
        .value_kind:     by_value
      - .offset:         20
        .size:           4
        .value_kind:     by_value
      - .offset:         24
        .size:           8
        .value_kind:     by_value
    .group_segment_fixed_size: 928
    .kernarg_segment_align: 8
    .kernarg_segment_size: 32
    .language:       OpenCL C
    .language_version:
      - 2
      - 0
    .max_flat_workgroup_size: 64
    .name:           _ZN9rocsolver6v33100L18trti2_kernel_smallILi58E19rocblas_complex_numIfEPS3_EEv13rocblas_fill_17rocblas_diagonal_T1_iil
    .private_segment_fixed_size: 480
    .sgpr_count:     39
    .sgpr_spill_count: 0
    .symbol:         _ZN9rocsolver6v33100L18trti2_kernel_smallILi58E19rocblas_complex_numIfEPS3_EEv13rocblas_fill_17rocblas_diagonal_T1_iil.kd
    .uniform_work_group_size: 1
    .uses_dynamic_stack: false
    .vgpr_count:     165
    .vgpr_spill_count: 0
    .wavefront_size: 32
  - .args:
      - .offset:         0
        .size:           4
        .value_kind:     by_value
      - .offset:         4
        .size:           4
        .value_kind:     by_value
      - .address_space:  global
        .offset:         8
        .size:           8
        .value_kind:     global_buffer
      - .offset:         16
        .size:           4
        .value_kind:     by_value
      - .offset:         20
        .size:           4
        .value_kind:     by_value
      - .offset:         24
        .size:           8
        .value_kind:     by_value
    .group_segment_fixed_size: 952
    .kernarg_segment_align: 8
    .kernarg_segment_size: 32
    .language:       OpenCL C
    .language_version:
      - 2
      - 0
    .max_flat_workgroup_size: 64
    .name:           _ZN9rocsolver6v33100L18trti2_kernel_smallILi59E19rocblas_complex_numIfEPS3_EEv13rocblas_fill_17rocblas_diagonal_T1_iil
    .private_segment_fixed_size: 480
    .sgpr_count:     39
    .sgpr_spill_count: 0
    .symbol:         _ZN9rocsolver6v33100L18trti2_kernel_smallILi59E19rocblas_complex_numIfEPS3_EEv13rocblas_fill_17rocblas_diagonal_T1_iil.kd
    .uniform_work_group_size: 1
    .uses_dynamic_stack: false
    .vgpr_count:     167
    .vgpr_spill_count: 0
    .wavefront_size: 32
  - .args:
      - .offset:         0
        .size:           4
        .value_kind:     by_value
      - .offset:         4
        .size:           4
        .value_kind:     by_value
      - .address_space:  global
        .offset:         8
        .size:           8
        .value_kind:     global_buffer
      - .offset:         16
        .size:           4
        .value_kind:     by_value
      - .offset:         20
        .size:           4
        .value_kind:     by_value
      - .offset:         24
        .size:           8
        .value_kind:     by_value
    .group_segment_fixed_size: 960
    .kernarg_segment_align: 8
    .kernarg_segment_size: 32
    .language:       OpenCL C
    .language_version:
      - 2
      - 0
    .max_flat_workgroup_size: 64
    .name:           _ZN9rocsolver6v33100L18trti2_kernel_smallILi60E19rocblas_complex_numIfEPS3_EEv13rocblas_fill_17rocblas_diagonal_T1_iil
    .private_segment_fixed_size: 496
    .sgpr_count:     40
    .sgpr_spill_count: 0
    .symbol:         _ZN9rocsolver6v33100L18trti2_kernel_smallILi60E19rocblas_complex_numIfEPS3_EEv13rocblas_fill_17rocblas_diagonal_T1_iil.kd
    .uniform_work_group_size: 1
    .uses_dynamic_stack: false
    .vgpr_count:     173
    .vgpr_spill_count: 0
    .wavefront_size: 32
  - .args:
      - .offset:         0
        .size:           4
        .value_kind:     by_value
      - .offset:         4
        .size:           4
        .value_kind:     by_value
      - .address_space:  global
        .offset:         8
        .size:           8
        .value_kind:     global_buffer
      - .offset:         16
        .size:           4
        .value_kind:     by_value
      - .offset:         20
        .size:           4
        .value_kind:     by_value
      - .offset:         24
        .size:           8
        .value_kind:     by_value
    .group_segment_fixed_size: 984
    .kernarg_segment_align: 8
    .kernarg_segment_size: 32
    .language:       OpenCL C
    .language_version:
      - 2
      - 0
    .max_flat_workgroup_size: 64
    .name:           _ZN9rocsolver6v33100L18trti2_kernel_smallILi61E19rocblas_complex_numIfEPS3_EEv13rocblas_fill_17rocblas_diagonal_T1_iil
    .private_segment_fixed_size: 496
    .sgpr_count:     40
    .sgpr_spill_count: 0
    .symbol:         _ZN9rocsolver6v33100L18trti2_kernel_smallILi61E19rocblas_complex_numIfEPS3_EEv13rocblas_fill_17rocblas_diagonal_T1_iil.kd
    .uniform_work_group_size: 1
    .uses_dynamic_stack: false
    .vgpr_count:     175
    .vgpr_spill_count: 0
    .wavefront_size: 32
  - .args:
      - .offset:         0
        .size:           4
        .value_kind:     by_value
      - .offset:         4
        .size:           4
        .value_kind:     by_value
      - .address_space:  global
        .offset:         8
        .size:           8
        .value_kind:     global_buffer
      - .offset:         16
        .size:           4
        .value_kind:     by_value
      - .offset:         20
        .size:           4
        .value_kind:     by_value
      - .offset:         24
        .size:           8
        .value_kind:     by_value
    .group_segment_fixed_size: 992
    .kernarg_segment_align: 8
    .kernarg_segment_size: 32
    .language:       OpenCL C
    .language_version:
      - 2
      - 0
    .max_flat_workgroup_size: 64
    .name:           _ZN9rocsolver6v33100L18trti2_kernel_smallILi62E19rocblas_complex_numIfEPS3_EEv13rocblas_fill_17rocblas_diagonal_T1_iil
    .private_segment_fixed_size: 512
    .sgpr_count:     41
    .sgpr_spill_count: 0
    .symbol:         _ZN9rocsolver6v33100L18trti2_kernel_smallILi62E19rocblas_complex_numIfEPS3_EEv13rocblas_fill_17rocblas_diagonal_T1_iil.kd
    .uniform_work_group_size: 1
    .uses_dynamic_stack: false
    .vgpr_count:     181
    .vgpr_spill_count: 0
    .wavefront_size: 32
  - .args:
      - .offset:         0
        .size:           4
        .value_kind:     by_value
      - .offset:         4
        .size:           4
        .value_kind:     by_value
      - .address_space:  global
        .offset:         8
        .size:           8
        .value_kind:     global_buffer
      - .offset:         16
        .size:           4
        .value_kind:     by_value
      - .offset:         20
        .size:           4
        .value_kind:     by_value
      - .offset:         24
        .size:           8
        .value_kind:     by_value
    .group_segment_fixed_size: 1016
    .kernarg_segment_align: 8
    .kernarg_segment_size: 32
    .language:       OpenCL C
    .language_version:
      - 2
      - 0
    .max_flat_workgroup_size: 64
    .name:           _ZN9rocsolver6v33100L18trti2_kernel_smallILi63E19rocblas_complex_numIfEPS3_EEv13rocblas_fill_17rocblas_diagonal_T1_iil
    .private_segment_fixed_size: 512
    .sgpr_count:     41
    .sgpr_spill_count: 0
    .symbol:         _ZN9rocsolver6v33100L18trti2_kernel_smallILi63E19rocblas_complex_numIfEPS3_EEv13rocblas_fill_17rocblas_diagonal_T1_iil.kd
    .uniform_work_group_size: 1
    .uses_dynamic_stack: false
    .vgpr_count:     184
    .vgpr_spill_count: 0
    .wavefront_size: 32
  - .args:
      - .offset:         0
        .size:           4
        .value_kind:     by_value
      - .offset:         4
        .size:           4
        .value_kind:     by_value
      - .address_space:  global
        .offset:         8
        .size:           8
        .value_kind:     global_buffer
      - .offset:         16
        .size:           4
        .value_kind:     by_value
      - .offset:         20
        .size:           4
        .value_kind:     by_value
      - .offset:         24
        .size:           8
        .value_kind:     by_value
    .group_segment_fixed_size: 1024
    .kernarg_segment_align: 8
    .kernarg_segment_size: 32
    .language:       OpenCL C
    .language_version:
      - 2
      - 0
    .max_flat_workgroup_size: 64
    .name:           _ZN9rocsolver6v33100L18trti2_kernel_smallILi64E19rocblas_complex_numIfEPS3_EEv13rocblas_fill_17rocblas_diagonal_T1_iil
    .private_segment_fixed_size: 528
    .sgpr_count:     42
    .sgpr_spill_count: 0
    .symbol:         _ZN9rocsolver6v33100L18trti2_kernel_smallILi64E19rocblas_complex_numIfEPS3_EEv13rocblas_fill_17rocblas_diagonal_T1_iil.kd
    .uniform_work_group_size: 1
    .uses_dynamic_stack: false
    .vgpr_count:     181
    .vgpr_spill_count: 0
    .wavefront_size: 32
  - .args:
      - .offset:         0
        .size:           4
        .value_kind:     by_value
      - .offset:         4
        .size:           4
        .value_kind:     by_value
      - .address_space:  global
        .offset:         8
        .size:           8
        .value_kind:     global_buffer
      - .offset:         16
        .size:           4
        .value_kind:     by_value
      - .offset:         20
        .size:           4
        .value_kind:     by_value
      - .offset:         24
        .size:           8
        .value_kind:     by_value
    .group_segment_fixed_size: 0
    .kernarg_segment_align: 8
    .kernarg_segment_size: 32
    .language:       OpenCL C
    .language_version:
      - 2
      - 0
    .max_flat_workgroup_size: 64
    .name:           _ZN9rocsolver6v33100L18trti2_kernel_smallILi1E19rocblas_complex_numIfEPKPS3_EEv13rocblas_fill_17rocblas_diagonal_T1_iil
    .private_segment_fixed_size: 0
    .sgpr_count:     11
    .sgpr_spill_count: 0
    .symbol:         _ZN9rocsolver6v33100L18trti2_kernel_smallILi1E19rocblas_complex_numIfEPKPS3_EEv13rocblas_fill_17rocblas_diagonal_T1_iil.kd
    .uniform_work_group_size: 1
    .uses_dynamic_stack: false
    .vgpr_count:     7
    .vgpr_spill_count: 0
    .wavefront_size: 32
  - .args:
      - .offset:         0
        .size:           4
        .value_kind:     by_value
      - .offset:         4
        .size:           4
        .value_kind:     by_value
      - .address_space:  global
        .offset:         8
        .size:           8
        .value_kind:     global_buffer
      - .offset:         16
        .size:           4
        .value_kind:     by_value
      - .offset:         20
        .size:           4
        .value_kind:     by_value
      - .offset:         24
        .size:           8
        .value_kind:     by_value
    .group_segment_fixed_size: 1056
    .kernarg_segment_align: 8
    .kernarg_segment_size: 32
    .language:       OpenCL C
    .language_version:
      - 2
      - 0
    .max_flat_workgroup_size: 64
    .name:           _ZN9rocsolver6v33100L18trti2_kernel_smallILi2E19rocblas_complex_numIfEPKPS3_EEv13rocblas_fill_17rocblas_diagonal_T1_iil
    .private_segment_fixed_size: 0
    .sgpr_count:     14
    .sgpr_spill_count: 0
    .symbol:         _ZN9rocsolver6v33100L18trti2_kernel_smallILi2E19rocblas_complex_numIfEPKPS3_EEv13rocblas_fill_17rocblas_diagonal_T1_iil.kd
    .uniform_work_group_size: 1
    .uses_dynamic_stack: false
    .vgpr_count:     16
    .vgpr_spill_count: 0
    .wavefront_size: 32
  - .args:
      - .offset:         0
        .size:           4
        .value_kind:     by_value
      - .offset:         4
        .size:           4
        .value_kind:     by_value
      - .address_space:  global
        .offset:         8
        .size:           8
        .value_kind:     global_buffer
      - .offset:         16
        .size:           4
        .value_kind:     by_value
      - .offset:         20
        .size:           4
        .value_kind:     by_value
      - .offset:         24
        .size:           8
        .value_kind:     by_value
    .group_segment_fixed_size: 1600
    .kernarg_segment_align: 8
    .kernarg_segment_size: 32
    .language:       OpenCL C
    .language_version:
      - 2
      - 0
    .max_flat_workgroup_size: 64
    .name:           _ZN9rocsolver6v33100L18trti2_kernel_smallILi3E19rocblas_complex_numIfEPKPS3_EEv13rocblas_fill_17rocblas_diagonal_T1_iil
    .private_segment_fixed_size: 0
    .sgpr_count:     14
    .sgpr_spill_count: 0
    .symbol:         _ZN9rocsolver6v33100L18trti2_kernel_smallILi3E19rocblas_complex_numIfEPKPS3_EEv13rocblas_fill_17rocblas_diagonal_T1_iil.kd
    .uniform_work_group_size: 1
    .uses_dynamic_stack: false
    .vgpr_count:     18
    .vgpr_spill_count: 0
    .wavefront_size: 32
  - .args:
      - .offset:         0
        .size:           4
        .value_kind:     by_value
      - .offset:         4
        .size:           4
        .value_kind:     by_value
      - .address_space:  global
        .offset:         8
        .size:           8
        .value_kind:     global_buffer
      - .offset:         16
        .size:           4
        .value_kind:     by_value
      - .offset:         20
        .size:           4
        .value_kind:     by_value
      - .offset:         24
        .size:           8
        .value_kind:     by_value
    .group_segment_fixed_size: 2112
    .kernarg_segment_align: 8
    .kernarg_segment_size: 32
    .language:       OpenCL C
    .language_version:
      - 2
      - 0
    .max_flat_workgroup_size: 64
    .name:           _ZN9rocsolver6v33100L18trti2_kernel_smallILi4E19rocblas_complex_numIfEPKPS3_EEv13rocblas_fill_17rocblas_diagonal_T1_iil
    .private_segment_fixed_size: 0
    .sgpr_count:     14
    .sgpr_spill_count: 0
    .symbol:         _ZN9rocsolver6v33100L18trti2_kernel_smallILi4E19rocblas_complex_numIfEPKPS3_EEv13rocblas_fill_17rocblas_diagonal_T1_iil.kd
    .uniform_work_group_size: 1
    .uses_dynamic_stack: false
    .vgpr_count:     24
    .vgpr_spill_count: 0
    .wavefront_size: 32
  - .args:
      - .offset:         0
        .size:           4
        .value_kind:     by_value
      - .offset:         4
        .size:           4
        .value_kind:     by_value
      - .address_space:  global
        .offset:         8
        .size:           8
        .value_kind:     global_buffer
      - .offset:         16
        .size:           4
        .value_kind:     by_value
      - .offset:         20
        .size:           4
        .value_kind:     by_value
      - .offset:         24
        .size:           8
        .value_kind:     by_value
    .group_segment_fixed_size: 2656
    .kernarg_segment_align: 8
    .kernarg_segment_size: 32
    .language:       OpenCL C
    .language_version:
      - 2
      - 0
    .max_flat_workgroup_size: 64
    .name:           _ZN9rocsolver6v33100L18trti2_kernel_smallILi5E19rocblas_complex_numIfEPKPS3_EEv13rocblas_fill_17rocblas_diagonal_T1_iil
    .private_segment_fixed_size: 0
    .sgpr_count:     14
    .sgpr_spill_count: 0
    .symbol:         _ZN9rocsolver6v33100L18trti2_kernel_smallILi5E19rocblas_complex_numIfEPKPS3_EEv13rocblas_fill_17rocblas_diagonal_T1_iil.kd
    .uniform_work_group_size: 1
    .uses_dynamic_stack: false
    .vgpr_count:     30
    .vgpr_spill_count: 0
    .wavefront_size: 32
  - .args:
      - .offset:         0
        .size:           4
        .value_kind:     by_value
      - .offset:         4
        .size:           4
        .value_kind:     by_value
      - .address_space:  global
        .offset:         8
        .size:           8
        .value_kind:     global_buffer
      - .offset:         16
        .size:           4
        .value_kind:     by_value
      - .offset:         20
        .size:           4
        .value_kind:     by_value
      - .offset:         24
        .size:           8
        .value_kind:     by_value
    .group_segment_fixed_size: 3168
    .kernarg_segment_align: 8
    .kernarg_segment_size: 32
    .language:       OpenCL C
    .language_version:
      - 2
      - 0
    .max_flat_workgroup_size: 64
    .name:           _ZN9rocsolver6v33100L18trti2_kernel_smallILi6E19rocblas_complex_numIfEPKPS3_EEv13rocblas_fill_17rocblas_diagonal_T1_iil
    .private_segment_fixed_size: 0
    .sgpr_count:     14
    .sgpr_spill_count: 0
    .symbol:         _ZN9rocsolver6v33100L18trti2_kernel_smallILi6E19rocblas_complex_numIfEPKPS3_EEv13rocblas_fill_17rocblas_diagonal_T1_iil.kd
    .uniform_work_group_size: 1
    .uses_dynamic_stack: false
    .vgpr_count:     32
    .vgpr_spill_count: 0
    .wavefront_size: 32
  - .args:
      - .offset:         0
        .size:           4
        .value_kind:     by_value
      - .offset:         4
        .size:           4
        .value_kind:     by_value
      - .address_space:  global
        .offset:         8
        .size:           8
        .value_kind:     global_buffer
      - .offset:         16
        .size:           4
        .value_kind:     by_value
      - .offset:         20
        .size:           4
        .value_kind:     by_value
      - .offset:         24
        .size:           8
        .value_kind:     by_value
    .group_segment_fixed_size: 3712
    .kernarg_segment_align: 8
    .kernarg_segment_size: 32
    .language:       OpenCL C
    .language_version:
      - 2
      - 0
    .max_flat_workgroup_size: 64
    .name:           _ZN9rocsolver6v33100L18trti2_kernel_smallILi7E19rocblas_complex_numIfEPKPS3_EEv13rocblas_fill_17rocblas_diagonal_T1_iil
    .private_segment_fixed_size: 0
    .sgpr_count:     14
    .sgpr_spill_count: 0
    .symbol:         _ZN9rocsolver6v33100L18trti2_kernel_smallILi7E19rocblas_complex_numIfEPKPS3_EEv13rocblas_fill_17rocblas_diagonal_T1_iil.kd
    .uniform_work_group_size: 1
    .uses_dynamic_stack: false
    .vgpr_count:     34
    .vgpr_spill_count: 0
    .wavefront_size: 32
  - .args:
      - .offset:         0
        .size:           4
        .value_kind:     by_value
      - .offset:         4
        .size:           4
        .value_kind:     by_value
      - .address_space:  global
        .offset:         8
        .size:           8
        .value_kind:     global_buffer
      - .offset:         16
        .size:           4
        .value_kind:     by_value
      - .offset:         20
        .size:           4
        .value_kind:     by_value
      - .offset:         24
        .size:           8
        .value_kind:     by_value
    .group_segment_fixed_size: 4224
    .kernarg_segment_align: 8
    .kernarg_segment_size: 32
    .language:       OpenCL C
    .language_version:
      - 2
      - 0
    .max_flat_workgroup_size: 64
    .name:           _ZN9rocsolver6v33100L18trti2_kernel_smallILi8E19rocblas_complex_numIfEPKPS3_EEv13rocblas_fill_17rocblas_diagonal_T1_iil
    .private_segment_fixed_size: 0
    .sgpr_count:     14
    .sgpr_spill_count: 0
    .symbol:         _ZN9rocsolver6v33100L18trti2_kernel_smallILi8E19rocblas_complex_numIfEPKPS3_EEv13rocblas_fill_17rocblas_diagonal_T1_iil.kd
    .uniform_work_group_size: 1
    .uses_dynamic_stack: false
    .vgpr_count:     36
    .vgpr_spill_count: 0
    .wavefront_size: 32
  - .args:
      - .offset:         0
        .size:           4
        .value_kind:     by_value
      - .offset:         4
        .size:           4
        .value_kind:     by_value
      - .address_space:  global
        .offset:         8
        .size:           8
        .value_kind:     global_buffer
      - .offset:         16
        .size:           4
        .value_kind:     by_value
      - .offset:         20
        .size:           4
        .value_kind:     by_value
      - .offset:         24
        .size:           8
        .value_kind:     by_value
    .group_segment_fixed_size: 4768
    .kernarg_segment_align: 8
    .kernarg_segment_size: 32
    .language:       OpenCL C
    .language_version:
      - 2
      - 0
    .max_flat_workgroup_size: 64
    .name:           _ZN9rocsolver6v33100L18trti2_kernel_smallILi9E19rocblas_complex_numIfEPKPS3_EEv13rocblas_fill_17rocblas_diagonal_T1_iil
    .private_segment_fixed_size: 0
    .sgpr_count:     14
    .sgpr_spill_count: 0
    .symbol:         _ZN9rocsolver6v33100L18trti2_kernel_smallILi9E19rocblas_complex_numIfEPKPS3_EEv13rocblas_fill_17rocblas_diagonal_T1_iil.kd
    .uniform_work_group_size: 1
    .uses_dynamic_stack: false
    .vgpr_count:     38
    .vgpr_spill_count: 0
    .wavefront_size: 32
  - .args:
      - .offset:         0
        .size:           4
        .value_kind:     by_value
      - .offset:         4
        .size:           4
        .value_kind:     by_value
      - .address_space:  global
        .offset:         8
        .size:           8
        .value_kind:     global_buffer
      - .offset:         16
        .size:           4
        .value_kind:     by_value
      - .offset:         20
        .size:           4
        .value_kind:     by_value
      - .offset:         24
        .size:           8
        .value_kind:     by_value
    .group_segment_fixed_size: 5280
    .kernarg_segment_align: 8
    .kernarg_segment_size: 32
    .language:       OpenCL C
    .language_version:
      - 2
      - 0
    .max_flat_workgroup_size: 64
    .name:           _ZN9rocsolver6v33100L18trti2_kernel_smallILi10E19rocblas_complex_numIfEPKPS3_EEv13rocblas_fill_17rocblas_diagonal_T1_iil
    .private_segment_fixed_size: 0
    .sgpr_count:     14
    .sgpr_spill_count: 0
    .symbol:         _ZN9rocsolver6v33100L18trti2_kernel_smallILi10E19rocblas_complex_numIfEPKPS3_EEv13rocblas_fill_17rocblas_diagonal_T1_iil.kd
    .uniform_work_group_size: 1
    .uses_dynamic_stack: false
    .vgpr_count:     40
    .vgpr_spill_count: 0
    .wavefront_size: 32
  - .args:
      - .offset:         0
        .size:           4
        .value_kind:     by_value
      - .offset:         4
        .size:           4
        .value_kind:     by_value
      - .address_space:  global
        .offset:         8
        .size:           8
        .value_kind:     global_buffer
      - .offset:         16
        .size:           4
        .value_kind:     by_value
      - .offset:         20
        .size:           4
        .value_kind:     by_value
      - .offset:         24
        .size:           8
        .value_kind:     by_value
    .group_segment_fixed_size: 5824
    .kernarg_segment_align: 8
    .kernarg_segment_size: 32
    .language:       OpenCL C
    .language_version:
      - 2
      - 0
    .max_flat_workgroup_size: 64
    .name:           _ZN9rocsolver6v33100L18trti2_kernel_smallILi11E19rocblas_complex_numIfEPKPS3_EEv13rocblas_fill_17rocblas_diagonal_T1_iil
    .private_segment_fixed_size: 0
    .sgpr_count:     14
    .sgpr_spill_count: 0
    .symbol:         _ZN9rocsolver6v33100L18trti2_kernel_smallILi11E19rocblas_complex_numIfEPKPS3_EEv13rocblas_fill_17rocblas_diagonal_T1_iil.kd
    .uniform_work_group_size: 1
    .uses_dynamic_stack: false
    .vgpr_count:     42
    .vgpr_spill_count: 0
    .wavefront_size: 32
  - .args:
      - .offset:         0
        .size:           4
        .value_kind:     by_value
      - .offset:         4
        .size:           4
        .value_kind:     by_value
      - .address_space:  global
        .offset:         8
        .size:           8
        .value_kind:     global_buffer
      - .offset:         16
        .size:           4
        .value_kind:     by_value
      - .offset:         20
        .size:           4
        .value_kind:     by_value
      - .offset:         24
        .size:           8
        .value_kind:     by_value
    .group_segment_fixed_size: 6336
    .kernarg_segment_align: 8
    .kernarg_segment_size: 32
    .language:       OpenCL C
    .language_version:
      - 2
      - 0
    .max_flat_workgroup_size: 64
    .name:           _ZN9rocsolver6v33100L18trti2_kernel_smallILi12E19rocblas_complex_numIfEPKPS3_EEv13rocblas_fill_17rocblas_diagonal_T1_iil
    .private_segment_fixed_size: 0
    .sgpr_count:     14
    .sgpr_spill_count: 0
    .symbol:         _ZN9rocsolver6v33100L18trti2_kernel_smallILi12E19rocblas_complex_numIfEPKPS3_EEv13rocblas_fill_17rocblas_diagonal_T1_iil.kd
    .uniform_work_group_size: 1
    .uses_dynamic_stack: false
    .vgpr_count:     44
    .vgpr_spill_count: 0
    .wavefront_size: 32
  - .args:
      - .offset:         0
        .size:           4
        .value_kind:     by_value
      - .offset:         4
        .size:           4
        .value_kind:     by_value
      - .address_space:  global
        .offset:         8
        .size:           8
        .value_kind:     global_buffer
      - .offset:         16
        .size:           4
        .value_kind:     by_value
      - .offset:         20
        .size:           4
        .value_kind:     by_value
      - .offset:         24
        .size:           8
        .value_kind:     by_value
    .group_segment_fixed_size: 6880
    .kernarg_segment_align: 8
    .kernarg_segment_size: 32
    .language:       OpenCL C
    .language_version:
      - 2
      - 0
    .max_flat_workgroup_size: 64
    .name:           _ZN9rocsolver6v33100L18trti2_kernel_smallILi13E19rocblas_complex_numIfEPKPS3_EEv13rocblas_fill_17rocblas_diagonal_T1_iil
    .private_segment_fixed_size: 0
    .sgpr_count:     14
    .sgpr_spill_count: 0
    .symbol:         _ZN9rocsolver6v33100L18trti2_kernel_smallILi13E19rocblas_complex_numIfEPKPS3_EEv13rocblas_fill_17rocblas_diagonal_T1_iil.kd
    .uniform_work_group_size: 1
    .uses_dynamic_stack: false
    .vgpr_count:     46
    .vgpr_spill_count: 0
    .wavefront_size: 32
  - .args:
      - .offset:         0
        .size:           4
        .value_kind:     by_value
      - .offset:         4
        .size:           4
        .value_kind:     by_value
      - .address_space:  global
        .offset:         8
        .size:           8
        .value_kind:     global_buffer
      - .offset:         16
        .size:           4
        .value_kind:     by_value
      - .offset:         20
        .size:           4
        .value_kind:     by_value
      - .offset:         24
        .size:           8
        .value_kind:     by_value
    .group_segment_fixed_size: 7392
    .kernarg_segment_align: 8
    .kernarg_segment_size: 32
    .language:       OpenCL C
    .language_version:
      - 2
      - 0
    .max_flat_workgroup_size: 64
    .name:           _ZN9rocsolver6v33100L18trti2_kernel_smallILi14E19rocblas_complex_numIfEPKPS3_EEv13rocblas_fill_17rocblas_diagonal_T1_iil
    .private_segment_fixed_size: 0
    .sgpr_count:     14
    .sgpr_spill_count: 0
    .symbol:         _ZN9rocsolver6v33100L18trti2_kernel_smallILi14E19rocblas_complex_numIfEPKPS3_EEv13rocblas_fill_17rocblas_diagonal_T1_iil.kd
    .uniform_work_group_size: 1
    .uses_dynamic_stack: false
    .vgpr_count:     50
    .vgpr_spill_count: 0
    .wavefront_size: 32
  - .args:
      - .offset:         0
        .size:           4
        .value_kind:     by_value
      - .offset:         4
        .size:           4
        .value_kind:     by_value
      - .address_space:  global
        .offset:         8
        .size:           8
        .value_kind:     global_buffer
      - .offset:         16
        .size:           4
        .value_kind:     by_value
      - .offset:         20
        .size:           4
        .value_kind:     by_value
      - .offset:         24
        .size:           8
        .value_kind:     by_value
    .group_segment_fixed_size: 7936
    .kernarg_segment_align: 8
    .kernarg_segment_size: 32
    .language:       OpenCL C
    .language_version:
      - 2
      - 0
    .max_flat_workgroup_size: 64
    .name:           _ZN9rocsolver6v33100L18trti2_kernel_smallILi15E19rocblas_complex_numIfEPKPS3_EEv13rocblas_fill_17rocblas_diagonal_T1_iil
    .private_segment_fixed_size: 0
    .sgpr_count:     14
    .sgpr_spill_count: 0
    .symbol:         _ZN9rocsolver6v33100L18trti2_kernel_smallILi15E19rocblas_complex_numIfEPKPS3_EEv13rocblas_fill_17rocblas_diagonal_T1_iil.kd
    .uniform_work_group_size: 1
    .uses_dynamic_stack: false
    .vgpr_count:     52
    .vgpr_spill_count: 0
    .wavefront_size: 32
  - .args:
      - .offset:         0
        .size:           4
        .value_kind:     by_value
      - .offset:         4
        .size:           4
        .value_kind:     by_value
      - .address_space:  global
        .offset:         8
        .size:           8
        .value_kind:     global_buffer
      - .offset:         16
        .size:           4
        .value_kind:     by_value
      - .offset:         20
        .size:           4
        .value_kind:     by_value
      - .offset:         24
        .size:           8
        .value_kind:     by_value
    .group_segment_fixed_size: 8448
    .kernarg_segment_align: 8
    .kernarg_segment_size: 32
    .language:       OpenCL C
    .language_version:
      - 2
      - 0
    .max_flat_workgroup_size: 64
    .name:           _ZN9rocsolver6v33100L18trti2_kernel_smallILi16E19rocblas_complex_numIfEPKPS3_EEv13rocblas_fill_17rocblas_diagonal_T1_iil
    .private_segment_fixed_size: 0
    .sgpr_count:     14
    .sgpr_spill_count: 0
    .symbol:         _ZN9rocsolver6v33100L18trti2_kernel_smallILi16E19rocblas_complex_numIfEPKPS3_EEv13rocblas_fill_17rocblas_diagonal_T1_iil.kd
    .uniform_work_group_size: 1
    .uses_dynamic_stack: false
    .vgpr_count:     54
    .vgpr_spill_count: 0
    .wavefront_size: 32
  - .args:
      - .offset:         0
        .size:           4
        .value_kind:     by_value
      - .offset:         4
        .size:           4
        .value_kind:     by_value
      - .address_space:  global
        .offset:         8
        .size:           8
        .value_kind:     global_buffer
      - .offset:         16
        .size:           4
        .value_kind:     by_value
      - .offset:         20
        .size:           4
        .value_kind:     by_value
      - .offset:         24
        .size:           8
        .value_kind:     by_value
    .group_segment_fixed_size: 8992
    .kernarg_segment_align: 8
    .kernarg_segment_size: 32
    .language:       OpenCL C
    .language_version:
      - 2
      - 0
    .max_flat_workgroup_size: 64
    .name:           _ZN9rocsolver6v33100L18trti2_kernel_smallILi17E19rocblas_complex_numIfEPKPS3_EEv13rocblas_fill_17rocblas_diagonal_T1_iil
    .private_segment_fixed_size: 0
    .sgpr_count:     14
    .sgpr_spill_count: 0
    .symbol:         _ZN9rocsolver6v33100L18trti2_kernel_smallILi17E19rocblas_complex_numIfEPKPS3_EEv13rocblas_fill_17rocblas_diagonal_T1_iil.kd
    .uniform_work_group_size: 1
    .uses_dynamic_stack: false
    .vgpr_count:     56
    .vgpr_spill_count: 0
    .wavefront_size: 32
  - .args:
      - .offset:         0
        .size:           4
        .value_kind:     by_value
      - .offset:         4
        .size:           4
        .value_kind:     by_value
      - .address_space:  global
        .offset:         8
        .size:           8
        .value_kind:     global_buffer
      - .offset:         16
        .size:           4
        .value_kind:     by_value
      - .offset:         20
        .size:           4
        .value_kind:     by_value
      - .offset:         24
        .size:           8
        .value_kind:     by_value
    .group_segment_fixed_size: 9504
    .kernarg_segment_align: 8
    .kernarg_segment_size: 32
    .language:       OpenCL C
    .language_version:
      - 2
      - 0
    .max_flat_workgroup_size: 64
    .name:           _ZN9rocsolver6v33100L18trti2_kernel_smallILi18E19rocblas_complex_numIfEPKPS3_EEv13rocblas_fill_17rocblas_diagonal_T1_iil
    .private_segment_fixed_size: 0
    .sgpr_count:     14
    .sgpr_spill_count: 0
    .symbol:         _ZN9rocsolver6v33100L18trti2_kernel_smallILi18E19rocblas_complex_numIfEPKPS3_EEv13rocblas_fill_17rocblas_diagonal_T1_iil.kd
    .uniform_work_group_size: 1
    .uses_dynamic_stack: false
    .vgpr_count:     58
    .vgpr_spill_count: 0
    .wavefront_size: 32
  - .args:
      - .offset:         0
        .size:           4
        .value_kind:     by_value
      - .offset:         4
        .size:           4
        .value_kind:     by_value
      - .address_space:  global
        .offset:         8
        .size:           8
        .value_kind:     global_buffer
      - .offset:         16
        .size:           4
        .value_kind:     by_value
      - .offset:         20
        .size:           4
        .value_kind:     by_value
      - .offset:         24
        .size:           8
        .value_kind:     by_value
    .group_segment_fixed_size: 10048
    .kernarg_segment_align: 8
    .kernarg_segment_size: 32
    .language:       OpenCL C
    .language_version:
      - 2
      - 0
    .max_flat_workgroup_size: 64
    .name:           _ZN9rocsolver6v33100L18trti2_kernel_smallILi19E19rocblas_complex_numIfEPKPS3_EEv13rocblas_fill_17rocblas_diagonal_T1_iil
    .private_segment_fixed_size: 0
    .sgpr_count:     14
    .sgpr_spill_count: 0
    .symbol:         _ZN9rocsolver6v33100L18trti2_kernel_smallILi19E19rocblas_complex_numIfEPKPS3_EEv13rocblas_fill_17rocblas_diagonal_T1_iil.kd
    .uniform_work_group_size: 1
    .uses_dynamic_stack: false
    .vgpr_count:     60
    .vgpr_spill_count: 0
    .wavefront_size: 32
  - .args:
      - .offset:         0
        .size:           4
        .value_kind:     by_value
      - .offset:         4
        .size:           4
        .value_kind:     by_value
      - .address_space:  global
        .offset:         8
        .size:           8
        .value_kind:     global_buffer
      - .offset:         16
        .size:           4
        .value_kind:     by_value
      - .offset:         20
        .size:           4
        .value_kind:     by_value
      - .offset:         24
        .size:           8
        .value_kind:     by_value
    .group_segment_fixed_size: 320
    .kernarg_segment_align: 8
    .kernarg_segment_size: 32
    .language:       OpenCL C
    .language_version:
      - 2
      - 0
    .max_flat_workgroup_size: 64
    .name:           _ZN9rocsolver6v33100L18trti2_kernel_smallILi20E19rocblas_complex_numIfEPKPS3_EEv13rocblas_fill_17rocblas_diagonal_T1_iil
    .private_segment_fixed_size: 176
    .sgpr_count:     27
    .sgpr_spill_count: 0
    .symbol:         _ZN9rocsolver6v33100L18trti2_kernel_smallILi20E19rocblas_complex_numIfEPKPS3_EEv13rocblas_fill_17rocblas_diagonal_T1_iil.kd
    .uniform_work_group_size: 1
    .uses_dynamic_stack: false
    .vgpr_count:     59
    .vgpr_spill_count: 0
    .wavefront_size: 32
  - .args:
      - .offset:         0
        .size:           4
        .value_kind:     by_value
      - .offset:         4
        .size:           4
        .value_kind:     by_value
      - .address_space:  global
        .offset:         8
        .size:           8
        .value_kind:     global_buffer
      - .offset:         16
        .size:           4
        .value_kind:     by_value
      - .offset:         20
        .size:           4
        .value_kind:     by_value
      - .offset:         24
        .size:           8
        .value_kind:     by_value
    .group_segment_fixed_size: 344
    .kernarg_segment_align: 8
    .kernarg_segment_size: 32
    .language:       OpenCL C
    .language_version:
      - 2
      - 0
    .max_flat_workgroup_size: 64
    .name:           _ZN9rocsolver6v33100L18trti2_kernel_smallILi21E19rocblas_complex_numIfEPKPS3_EEv13rocblas_fill_17rocblas_diagonal_T1_iil
    .private_segment_fixed_size: 176
    .sgpr_count:     28
    .sgpr_spill_count: 0
    .symbol:         _ZN9rocsolver6v33100L18trti2_kernel_smallILi21E19rocblas_complex_numIfEPKPS3_EEv13rocblas_fill_17rocblas_diagonal_T1_iil.kd
    .uniform_work_group_size: 1
    .uses_dynamic_stack: false
    .vgpr_count:     63
    .vgpr_spill_count: 0
    .wavefront_size: 32
  - .args:
      - .offset:         0
        .size:           4
        .value_kind:     by_value
      - .offset:         4
        .size:           4
        .value_kind:     by_value
      - .address_space:  global
        .offset:         8
        .size:           8
        .value_kind:     global_buffer
      - .offset:         16
        .size:           4
        .value_kind:     by_value
      - .offset:         20
        .size:           4
        .value_kind:     by_value
      - .offset:         24
        .size:           8
        .value_kind:     by_value
    .group_segment_fixed_size: 352
    .kernarg_segment_align: 8
    .kernarg_segment_size: 32
    .language:       OpenCL C
    .language_version:
      - 2
      - 0
    .max_flat_workgroup_size: 64
    .name:           _ZN9rocsolver6v33100L18trti2_kernel_smallILi22E19rocblas_complex_numIfEPKPS3_EEv13rocblas_fill_17rocblas_diagonal_T1_iil
    .private_segment_fixed_size: 192
    .sgpr_count:     29
    .sgpr_spill_count: 0
    .symbol:         _ZN9rocsolver6v33100L18trti2_kernel_smallILi22E19rocblas_complex_numIfEPKPS3_EEv13rocblas_fill_17rocblas_diagonal_T1_iil.kd
    .uniform_work_group_size: 1
    .uses_dynamic_stack: false
    .vgpr_count:     65
    .vgpr_spill_count: 0
    .wavefront_size: 32
  - .args:
      - .offset:         0
        .size:           4
        .value_kind:     by_value
      - .offset:         4
        .size:           4
        .value_kind:     by_value
      - .address_space:  global
        .offset:         8
        .size:           8
        .value_kind:     global_buffer
      - .offset:         16
        .size:           4
        .value_kind:     by_value
      - .offset:         20
        .size:           4
        .value_kind:     by_value
      - .offset:         24
        .size:           8
        .value_kind:     by_value
    .group_segment_fixed_size: 376
    .kernarg_segment_align: 8
    .kernarg_segment_size: 32
    .language:       OpenCL C
    .language_version:
      - 2
      - 0
    .max_flat_workgroup_size: 64
    .name:           _ZN9rocsolver6v33100L18trti2_kernel_smallILi23E19rocblas_complex_numIfEPKPS3_EEv13rocblas_fill_17rocblas_diagonal_T1_iil
    .private_segment_fixed_size: 192
    .sgpr_count:     30
    .sgpr_spill_count: 0
    .symbol:         _ZN9rocsolver6v33100L18trti2_kernel_smallILi23E19rocblas_complex_numIfEPKPS3_EEv13rocblas_fill_17rocblas_diagonal_T1_iil.kd
    .uniform_work_group_size: 1
    .uses_dynamic_stack: false
    .vgpr_count:     69
    .vgpr_spill_count: 0
    .wavefront_size: 32
  - .args:
      - .offset:         0
        .size:           4
        .value_kind:     by_value
      - .offset:         4
        .size:           4
        .value_kind:     by_value
      - .address_space:  global
        .offset:         8
        .size:           8
        .value_kind:     global_buffer
      - .offset:         16
        .size:           4
        .value_kind:     by_value
      - .offset:         20
        .size:           4
        .value_kind:     by_value
      - .offset:         24
        .size:           8
        .value_kind:     by_value
    .group_segment_fixed_size: 384
    .kernarg_segment_align: 8
    .kernarg_segment_size: 32
    .language:       OpenCL C
    .language_version:
      - 2
      - 0
    .max_flat_workgroup_size: 64
    .name:           _ZN9rocsolver6v33100L18trti2_kernel_smallILi24E19rocblas_complex_numIfEPKPS3_EEv13rocblas_fill_17rocblas_diagonal_T1_iil
    .private_segment_fixed_size: 208
    .sgpr_count:     31
    .sgpr_spill_count: 0
    .symbol:         _ZN9rocsolver6v33100L18trti2_kernel_smallILi24E19rocblas_complex_numIfEPKPS3_EEv13rocblas_fill_17rocblas_diagonal_T1_iil.kd
    .uniform_work_group_size: 1
    .uses_dynamic_stack: false
    .vgpr_count:     71
    .vgpr_spill_count: 0
    .wavefront_size: 32
  - .args:
      - .offset:         0
        .size:           4
        .value_kind:     by_value
      - .offset:         4
        .size:           4
        .value_kind:     by_value
      - .address_space:  global
        .offset:         8
        .size:           8
        .value_kind:     global_buffer
      - .offset:         16
        .size:           4
        .value_kind:     by_value
      - .offset:         20
        .size:           4
        .value_kind:     by_value
      - .offset:         24
        .size:           8
        .value_kind:     by_value
    .group_segment_fixed_size: 408
    .kernarg_segment_align: 8
    .kernarg_segment_size: 32
    .language:       OpenCL C
    .language_version:
      - 2
      - 0
    .max_flat_workgroup_size: 64
    .name:           _ZN9rocsolver6v33100L18trti2_kernel_smallILi25E19rocblas_complex_numIfEPKPS3_EEv13rocblas_fill_17rocblas_diagonal_T1_iil
    .private_segment_fixed_size: 208
    .sgpr_count:     32
    .sgpr_spill_count: 0
    .symbol:         _ZN9rocsolver6v33100L18trti2_kernel_smallILi25E19rocblas_complex_numIfEPKPS3_EEv13rocblas_fill_17rocblas_diagonal_T1_iil.kd
    .uniform_work_group_size: 1
    .uses_dynamic_stack: false
    .vgpr_count:     75
    .vgpr_spill_count: 0
    .wavefront_size: 32
  - .args:
      - .offset:         0
        .size:           4
        .value_kind:     by_value
      - .offset:         4
        .size:           4
        .value_kind:     by_value
      - .address_space:  global
        .offset:         8
        .size:           8
        .value_kind:     global_buffer
      - .offset:         16
        .size:           4
        .value_kind:     by_value
      - .offset:         20
        .size:           4
        .value_kind:     by_value
      - .offset:         24
        .size:           8
        .value_kind:     by_value
    .group_segment_fixed_size: 416
    .kernarg_segment_align: 8
    .kernarg_segment_size: 32
    .language:       OpenCL C
    .language_version:
      - 2
      - 0
    .max_flat_workgroup_size: 64
    .name:           _ZN9rocsolver6v33100L18trti2_kernel_smallILi26E19rocblas_complex_numIfEPKPS3_EEv13rocblas_fill_17rocblas_diagonal_T1_iil
    .private_segment_fixed_size: 224
    .sgpr_count:     33
    .sgpr_spill_count: 0
    .symbol:         _ZN9rocsolver6v33100L18trti2_kernel_smallILi26E19rocblas_complex_numIfEPKPS3_EEv13rocblas_fill_17rocblas_diagonal_T1_iil.kd
    .uniform_work_group_size: 1
    .uses_dynamic_stack: false
    .vgpr_count:     77
    .vgpr_spill_count: 0
    .wavefront_size: 32
  - .args:
      - .offset:         0
        .size:           4
        .value_kind:     by_value
      - .offset:         4
        .size:           4
        .value_kind:     by_value
      - .address_space:  global
        .offset:         8
        .size:           8
        .value_kind:     global_buffer
      - .offset:         16
        .size:           4
        .value_kind:     by_value
      - .offset:         20
        .size:           4
        .value_kind:     by_value
      - .offset:         24
        .size:           8
        .value_kind:     by_value
    .group_segment_fixed_size: 440
    .kernarg_segment_align: 8
    .kernarg_segment_size: 32
    .language:       OpenCL C
    .language_version:
      - 2
      - 0
    .max_flat_workgroup_size: 64
    .name:           _ZN9rocsolver6v33100L18trti2_kernel_smallILi27E19rocblas_complex_numIfEPKPS3_EEv13rocblas_fill_17rocblas_diagonal_T1_iil
    .private_segment_fixed_size: 224
    .sgpr_count:     34
    .sgpr_spill_count: 0
    .symbol:         _ZN9rocsolver6v33100L18trti2_kernel_smallILi27E19rocblas_complex_numIfEPKPS3_EEv13rocblas_fill_17rocblas_diagonal_T1_iil.kd
    .uniform_work_group_size: 1
    .uses_dynamic_stack: false
    .vgpr_count:     81
    .vgpr_spill_count: 0
    .wavefront_size: 32
  - .args:
      - .offset:         0
        .size:           4
        .value_kind:     by_value
      - .offset:         4
        .size:           4
        .value_kind:     by_value
      - .address_space:  global
        .offset:         8
        .size:           8
        .value_kind:     global_buffer
      - .offset:         16
        .size:           4
        .value_kind:     by_value
      - .offset:         20
        .size:           4
        .value_kind:     by_value
      - .offset:         24
        .size:           8
        .value_kind:     by_value
    .group_segment_fixed_size: 448
    .kernarg_segment_align: 8
    .kernarg_segment_size: 32
    .language:       OpenCL C
    .language_version:
      - 2
      - 0
    .max_flat_workgroup_size: 64
    .name:           _ZN9rocsolver6v33100L18trti2_kernel_smallILi28E19rocblas_complex_numIfEPKPS3_EEv13rocblas_fill_17rocblas_diagonal_T1_iil
    .private_segment_fixed_size: 240
    .sgpr_count:     36
    .sgpr_spill_count: 0
    .symbol:         _ZN9rocsolver6v33100L18trti2_kernel_smallILi28E19rocblas_complex_numIfEPKPS3_EEv13rocblas_fill_17rocblas_diagonal_T1_iil.kd
    .uniform_work_group_size: 1
    .uses_dynamic_stack: false
    .vgpr_count:     83
    .vgpr_spill_count: 0
    .wavefront_size: 32
  - .args:
      - .offset:         0
        .size:           4
        .value_kind:     by_value
      - .offset:         4
        .size:           4
        .value_kind:     by_value
      - .address_space:  global
        .offset:         8
        .size:           8
        .value_kind:     global_buffer
      - .offset:         16
        .size:           4
        .value_kind:     by_value
      - .offset:         20
        .size:           4
        .value_kind:     by_value
      - .offset:         24
        .size:           8
        .value_kind:     by_value
    .group_segment_fixed_size: 472
    .kernarg_segment_align: 8
    .kernarg_segment_size: 32
    .language:       OpenCL C
    .language_version:
      - 2
      - 0
    .max_flat_workgroup_size: 64
    .name:           _ZN9rocsolver6v33100L18trti2_kernel_smallILi29E19rocblas_complex_numIfEPKPS3_EEv13rocblas_fill_17rocblas_diagonal_T1_iil
    .private_segment_fixed_size: 240
    .sgpr_count:     37
    .sgpr_spill_count: 0
    .symbol:         _ZN9rocsolver6v33100L18trti2_kernel_smallILi29E19rocblas_complex_numIfEPKPS3_EEv13rocblas_fill_17rocblas_diagonal_T1_iil.kd
    .uniform_work_group_size: 1
    .uses_dynamic_stack: false
    .vgpr_count:     87
    .vgpr_spill_count: 0
    .wavefront_size: 32
  - .args:
      - .offset:         0
        .size:           4
        .value_kind:     by_value
      - .offset:         4
        .size:           4
        .value_kind:     by_value
      - .address_space:  global
        .offset:         8
        .size:           8
        .value_kind:     global_buffer
      - .offset:         16
        .size:           4
        .value_kind:     by_value
      - .offset:         20
        .size:           4
        .value_kind:     by_value
      - .offset:         24
        .size:           8
        .value_kind:     by_value
    .group_segment_fixed_size: 480
    .kernarg_segment_align: 8
    .kernarg_segment_size: 32
    .language:       OpenCL C
    .language_version:
      - 2
      - 0
    .max_flat_workgroup_size: 64
    .name:           _ZN9rocsolver6v33100L18trti2_kernel_smallILi30E19rocblas_complex_numIfEPKPS3_EEv13rocblas_fill_17rocblas_diagonal_T1_iil
    .private_segment_fixed_size: 256
    .sgpr_count:     38
    .sgpr_spill_count: 0
    .symbol:         _ZN9rocsolver6v33100L18trti2_kernel_smallILi30E19rocblas_complex_numIfEPKPS3_EEv13rocblas_fill_17rocblas_diagonal_T1_iil.kd
    .uniform_work_group_size: 1
    .uses_dynamic_stack: false
    .vgpr_count:     89
    .vgpr_spill_count: 0
    .wavefront_size: 32
  - .args:
      - .offset:         0
        .size:           4
        .value_kind:     by_value
      - .offset:         4
        .size:           4
        .value_kind:     by_value
      - .address_space:  global
        .offset:         8
        .size:           8
        .value_kind:     global_buffer
      - .offset:         16
        .size:           4
        .value_kind:     by_value
      - .offset:         20
        .size:           4
        .value_kind:     by_value
      - .offset:         24
        .size:           8
        .value_kind:     by_value
    .group_segment_fixed_size: 504
    .kernarg_segment_align: 8
    .kernarg_segment_size: 32
    .language:       OpenCL C
    .language_version:
      - 2
      - 0
    .max_flat_workgroup_size: 64
    .name:           _ZN9rocsolver6v33100L18trti2_kernel_smallILi31E19rocblas_complex_numIfEPKPS3_EEv13rocblas_fill_17rocblas_diagonal_T1_iil
    .private_segment_fixed_size: 256
    .sgpr_count:     39
    .sgpr_spill_count: 0
    .symbol:         _ZN9rocsolver6v33100L18trti2_kernel_smallILi31E19rocblas_complex_numIfEPKPS3_EEv13rocblas_fill_17rocblas_diagonal_T1_iil.kd
    .uniform_work_group_size: 1
    .uses_dynamic_stack: false
    .vgpr_count:     93
    .vgpr_spill_count: 0
    .wavefront_size: 32
  - .args:
      - .offset:         0
        .size:           4
        .value_kind:     by_value
      - .offset:         4
        .size:           4
        .value_kind:     by_value
      - .address_space:  global
        .offset:         8
        .size:           8
        .value_kind:     global_buffer
      - .offset:         16
        .size:           4
        .value_kind:     by_value
      - .offset:         20
        .size:           4
        .value_kind:     by_value
      - .offset:         24
        .size:           8
        .value_kind:     by_value
    .group_segment_fixed_size: 512
    .kernarg_segment_align: 8
    .kernarg_segment_size: 32
    .language:       OpenCL C
    .language_version:
      - 2
      - 0
    .max_flat_workgroup_size: 64
    .name:           _ZN9rocsolver6v33100L18trti2_kernel_smallILi32E19rocblas_complex_numIfEPKPS3_EEv13rocblas_fill_17rocblas_diagonal_T1_iil
    .private_segment_fixed_size: 272
    .sgpr_count:     40
    .sgpr_spill_count: 0
    .symbol:         _ZN9rocsolver6v33100L18trti2_kernel_smallILi32E19rocblas_complex_numIfEPKPS3_EEv13rocblas_fill_17rocblas_diagonal_T1_iil.kd
    .uniform_work_group_size: 1
    .uses_dynamic_stack: false
    .vgpr_count:     95
    .vgpr_spill_count: 0
    .wavefront_size: 32
  - .args:
      - .offset:         0
        .size:           4
        .value_kind:     by_value
      - .offset:         4
        .size:           4
        .value_kind:     by_value
      - .address_space:  global
        .offset:         8
        .size:           8
        .value_kind:     global_buffer
      - .offset:         16
        .size:           4
        .value_kind:     by_value
      - .offset:         20
        .size:           4
        .value_kind:     by_value
      - .offset:         24
        .size:           8
        .value_kind:     by_value
    .group_segment_fixed_size: 536
    .kernarg_segment_align: 8
    .kernarg_segment_size: 32
    .language:       OpenCL C
    .language_version:
      - 2
      - 0
    .max_flat_workgroup_size: 64
    .name:           _ZN9rocsolver6v33100L18trti2_kernel_smallILi33E19rocblas_complex_numIfEPKPS3_EEv13rocblas_fill_17rocblas_diagonal_T1_iil
    .private_segment_fixed_size: 272
    .sgpr_count:     41
    .sgpr_spill_count: 0
    .symbol:         _ZN9rocsolver6v33100L18trti2_kernel_smallILi33E19rocblas_complex_numIfEPKPS3_EEv13rocblas_fill_17rocblas_diagonal_T1_iil.kd
    .uniform_work_group_size: 1
    .uses_dynamic_stack: false
    .vgpr_count:     99
    .vgpr_spill_count: 0
    .wavefront_size: 32
  - .args:
      - .offset:         0
        .size:           4
        .value_kind:     by_value
      - .offset:         4
        .size:           4
        .value_kind:     by_value
      - .address_space:  global
        .offset:         8
        .size:           8
        .value_kind:     global_buffer
      - .offset:         16
        .size:           4
        .value_kind:     by_value
      - .offset:         20
        .size:           4
        .value_kind:     by_value
      - .offset:         24
        .size:           8
        .value_kind:     by_value
    .group_segment_fixed_size: 544
    .kernarg_segment_align: 8
    .kernarg_segment_size: 32
    .language:       OpenCL C
    .language_version:
      - 2
      - 0
    .max_flat_workgroup_size: 64
    .name:           _ZN9rocsolver6v33100L18trti2_kernel_smallILi34E19rocblas_complex_numIfEPKPS3_EEv13rocblas_fill_17rocblas_diagonal_T1_iil
    .private_segment_fixed_size: 288
    .sgpr_count:     42
    .sgpr_spill_count: 0
    .symbol:         _ZN9rocsolver6v33100L18trti2_kernel_smallILi34E19rocblas_complex_numIfEPKPS3_EEv13rocblas_fill_17rocblas_diagonal_T1_iil.kd
    .uniform_work_group_size: 1
    .uses_dynamic_stack: false
    .vgpr_count:     101
    .vgpr_spill_count: 0
    .wavefront_size: 32
  - .args:
      - .offset:         0
        .size:           4
        .value_kind:     by_value
      - .offset:         4
        .size:           4
        .value_kind:     by_value
      - .address_space:  global
        .offset:         8
        .size:           8
        .value_kind:     global_buffer
      - .offset:         16
        .size:           4
        .value_kind:     by_value
      - .offset:         20
        .size:           4
        .value_kind:     by_value
      - .offset:         24
        .size:           8
        .value_kind:     by_value
    .group_segment_fixed_size: 568
    .kernarg_segment_align: 8
    .kernarg_segment_size: 32
    .language:       OpenCL C
    .language_version:
      - 2
      - 0
    .max_flat_workgroup_size: 64
    .name:           _ZN9rocsolver6v33100L18trti2_kernel_smallILi35E19rocblas_complex_numIfEPKPS3_EEv13rocblas_fill_17rocblas_diagonal_T1_iil
    .private_segment_fixed_size: 288
    .sgpr_count:     43
    .sgpr_spill_count: 0
    .symbol:         _ZN9rocsolver6v33100L18trti2_kernel_smallILi35E19rocblas_complex_numIfEPKPS3_EEv13rocblas_fill_17rocblas_diagonal_T1_iil.kd
    .uniform_work_group_size: 1
    .uses_dynamic_stack: false
    .vgpr_count:     105
    .vgpr_spill_count: 0
    .wavefront_size: 32
  - .args:
      - .offset:         0
        .size:           4
        .value_kind:     by_value
      - .offset:         4
        .size:           4
        .value_kind:     by_value
      - .address_space:  global
        .offset:         8
        .size:           8
        .value_kind:     global_buffer
      - .offset:         16
        .size:           4
        .value_kind:     by_value
      - .offset:         20
        .size:           4
        .value_kind:     by_value
      - .offset:         24
        .size:           8
        .value_kind:     by_value
    .group_segment_fixed_size: 576
    .kernarg_segment_align: 8
    .kernarg_segment_size: 32
    .language:       OpenCL C
    .language_version:
      - 2
      - 0
    .max_flat_workgroup_size: 64
    .name:           _ZN9rocsolver6v33100L18trti2_kernel_smallILi36E19rocblas_complex_numIfEPKPS3_EEv13rocblas_fill_17rocblas_diagonal_T1_iil
    .private_segment_fixed_size: 304
    .sgpr_count:     44
    .sgpr_spill_count: 0
    .symbol:         _ZN9rocsolver6v33100L18trti2_kernel_smallILi36E19rocblas_complex_numIfEPKPS3_EEv13rocblas_fill_17rocblas_diagonal_T1_iil.kd
    .uniform_work_group_size: 1
    .uses_dynamic_stack: false
    .vgpr_count:     107
    .vgpr_spill_count: 0
    .wavefront_size: 32
  - .args:
      - .offset:         0
        .size:           4
        .value_kind:     by_value
      - .offset:         4
        .size:           4
        .value_kind:     by_value
      - .address_space:  global
        .offset:         8
        .size:           8
        .value_kind:     global_buffer
      - .offset:         16
        .size:           4
        .value_kind:     by_value
      - .offset:         20
        .size:           4
        .value_kind:     by_value
      - .offset:         24
        .size:           8
        .value_kind:     by_value
    .group_segment_fixed_size: 600
    .kernarg_segment_align: 8
    .kernarg_segment_size: 32
    .language:       OpenCL C
    .language_version:
      - 2
      - 0
    .max_flat_workgroup_size: 64
    .name:           _ZN9rocsolver6v33100L18trti2_kernel_smallILi37E19rocblas_complex_numIfEPKPS3_EEv13rocblas_fill_17rocblas_diagonal_T1_iil
    .private_segment_fixed_size: 304
    .sgpr_count:     45
    .sgpr_spill_count: 0
    .symbol:         _ZN9rocsolver6v33100L18trti2_kernel_smallILi37E19rocblas_complex_numIfEPKPS3_EEv13rocblas_fill_17rocblas_diagonal_T1_iil.kd
    .uniform_work_group_size: 1
    .uses_dynamic_stack: false
    .vgpr_count:     111
    .vgpr_spill_count: 0
    .wavefront_size: 32
  - .args:
      - .offset:         0
        .size:           4
        .value_kind:     by_value
      - .offset:         4
        .size:           4
        .value_kind:     by_value
      - .address_space:  global
        .offset:         8
        .size:           8
        .value_kind:     global_buffer
      - .offset:         16
        .size:           4
        .value_kind:     by_value
      - .offset:         20
        .size:           4
        .value_kind:     by_value
      - .offset:         24
        .size:           8
        .value_kind:     by_value
    .group_segment_fixed_size: 608
    .kernarg_segment_align: 8
    .kernarg_segment_size: 32
    .language:       OpenCL C
    .language_version:
      - 2
      - 0
    .max_flat_workgroup_size: 64
    .name:           _ZN9rocsolver6v33100L18trti2_kernel_smallILi38E19rocblas_complex_numIfEPKPS3_EEv13rocblas_fill_17rocblas_diagonal_T1_iil
    .private_segment_fixed_size: 320
    .sgpr_count:     46
    .sgpr_spill_count: 0
    .symbol:         _ZN9rocsolver6v33100L18trti2_kernel_smallILi38E19rocblas_complex_numIfEPKPS3_EEv13rocblas_fill_17rocblas_diagonal_T1_iil.kd
    .uniform_work_group_size: 1
    .uses_dynamic_stack: false
    .vgpr_count:     113
    .vgpr_spill_count: 0
    .wavefront_size: 32
  - .args:
      - .offset:         0
        .size:           4
        .value_kind:     by_value
      - .offset:         4
        .size:           4
        .value_kind:     by_value
      - .address_space:  global
        .offset:         8
        .size:           8
        .value_kind:     global_buffer
      - .offset:         16
        .size:           4
        .value_kind:     by_value
      - .offset:         20
        .size:           4
        .value_kind:     by_value
      - .offset:         24
        .size:           8
        .value_kind:     by_value
    .group_segment_fixed_size: 632
    .kernarg_segment_align: 8
    .kernarg_segment_size: 32
    .language:       OpenCL C
    .language_version:
      - 2
      - 0
    .max_flat_workgroup_size: 64
    .name:           _ZN9rocsolver6v33100L18trti2_kernel_smallILi39E19rocblas_complex_numIfEPKPS3_EEv13rocblas_fill_17rocblas_diagonal_T1_iil
    .private_segment_fixed_size: 320
    .sgpr_count:     47
    .sgpr_spill_count: 0
    .symbol:         _ZN9rocsolver6v33100L18trti2_kernel_smallILi39E19rocblas_complex_numIfEPKPS3_EEv13rocblas_fill_17rocblas_diagonal_T1_iil.kd
    .uniform_work_group_size: 1
    .uses_dynamic_stack: false
    .vgpr_count:     117
    .vgpr_spill_count: 0
    .wavefront_size: 32
  - .args:
      - .offset:         0
        .size:           4
        .value_kind:     by_value
      - .offset:         4
        .size:           4
        .value_kind:     by_value
      - .address_space:  global
        .offset:         8
        .size:           8
        .value_kind:     global_buffer
      - .offset:         16
        .size:           4
        .value_kind:     by_value
      - .offset:         20
        .size:           4
        .value_kind:     by_value
      - .offset:         24
        .size:           8
        .value_kind:     by_value
    .group_segment_fixed_size: 640
    .kernarg_segment_align: 8
    .kernarg_segment_size: 32
    .language:       OpenCL C
    .language_version:
      - 2
      - 0
    .max_flat_workgroup_size: 64
    .name:           _ZN9rocsolver6v33100L18trti2_kernel_smallILi40E19rocblas_complex_numIfEPKPS3_EEv13rocblas_fill_17rocblas_diagonal_T1_iil
    .private_segment_fixed_size: 336
    .sgpr_count:     48
    .sgpr_spill_count: 0
    .symbol:         _ZN9rocsolver6v33100L18trti2_kernel_smallILi40E19rocblas_complex_numIfEPKPS3_EEv13rocblas_fill_17rocblas_diagonal_T1_iil.kd
    .uniform_work_group_size: 1
    .uses_dynamic_stack: false
    .vgpr_count:     119
    .vgpr_spill_count: 0
    .wavefront_size: 32
  - .args:
      - .offset:         0
        .size:           4
        .value_kind:     by_value
      - .offset:         4
        .size:           4
        .value_kind:     by_value
      - .address_space:  global
        .offset:         8
        .size:           8
        .value_kind:     global_buffer
      - .offset:         16
        .size:           4
        .value_kind:     by_value
      - .offset:         20
        .size:           4
        .value_kind:     by_value
      - .offset:         24
        .size:           8
        .value_kind:     by_value
    .group_segment_fixed_size: 664
    .kernarg_segment_align: 8
    .kernarg_segment_size: 32
    .language:       OpenCL C
    .language_version:
      - 2
      - 0
    .max_flat_workgroup_size: 64
    .name:           _ZN9rocsolver6v33100L18trti2_kernel_smallILi41E19rocblas_complex_numIfEPKPS3_EEv13rocblas_fill_17rocblas_diagonal_T1_iil
    .private_segment_fixed_size: 336
    .sgpr_count:     49
    .sgpr_spill_count: 0
    .symbol:         _ZN9rocsolver6v33100L18trti2_kernel_smallILi41E19rocblas_complex_numIfEPKPS3_EEv13rocblas_fill_17rocblas_diagonal_T1_iil.kd
    .uniform_work_group_size: 1
    .uses_dynamic_stack: false
    .vgpr_count:     123
    .vgpr_spill_count: 0
    .wavefront_size: 32
  - .args:
      - .offset:         0
        .size:           4
        .value_kind:     by_value
      - .offset:         4
        .size:           4
        .value_kind:     by_value
      - .address_space:  global
        .offset:         8
        .size:           8
        .value_kind:     global_buffer
      - .offset:         16
        .size:           4
        .value_kind:     by_value
      - .offset:         20
        .size:           4
        .value_kind:     by_value
      - .offset:         24
        .size:           8
        .value_kind:     by_value
    .group_segment_fixed_size: 672
    .kernarg_segment_align: 8
    .kernarg_segment_size: 32
    .language:       OpenCL C
    .language_version:
      - 2
      - 0
    .max_flat_workgroup_size: 64
    .name:           _ZN9rocsolver6v33100L18trti2_kernel_smallILi42E19rocblas_complex_numIfEPKPS3_EEv13rocblas_fill_17rocblas_diagonal_T1_iil
    .private_segment_fixed_size: 352
    .sgpr_count:     50
    .sgpr_spill_count: 0
    .symbol:         _ZN9rocsolver6v33100L18trti2_kernel_smallILi42E19rocblas_complex_numIfEPKPS3_EEv13rocblas_fill_17rocblas_diagonal_T1_iil.kd
    .uniform_work_group_size: 1
    .uses_dynamic_stack: false
    .vgpr_count:     125
    .vgpr_spill_count: 0
    .wavefront_size: 32
  - .args:
      - .offset:         0
        .size:           4
        .value_kind:     by_value
      - .offset:         4
        .size:           4
        .value_kind:     by_value
      - .address_space:  global
        .offset:         8
        .size:           8
        .value_kind:     global_buffer
      - .offset:         16
        .size:           4
        .value_kind:     by_value
      - .offset:         20
        .size:           4
        .value_kind:     by_value
      - .offset:         24
        .size:           8
        .value_kind:     by_value
    .group_segment_fixed_size: 696
    .kernarg_segment_align: 8
    .kernarg_segment_size: 32
    .language:       OpenCL C
    .language_version:
      - 2
      - 0
    .max_flat_workgroup_size: 64
    .name:           _ZN9rocsolver6v33100L18trti2_kernel_smallILi43E19rocblas_complex_numIfEPKPS3_EEv13rocblas_fill_17rocblas_diagonal_T1_iil
    .private_segment_fixed_size: 352
    .sgpr_count:     51
    .sgpr_spill_count: 0
    .symbol:         _ZN9rocsolver6v33100L18trti2_kernel_smallILi43E19rocblas_complex_numIfEPKPS3_EEv13rocblas_fill_17rocblas_diagonal_T1_iil.kd
    .uniform_work_group_size: 1
    .uses_dynamic_stack: false
    .vgpr_count:     129
    .vgpr_spill_count: 0
    .wavefront_size: 32
  - .args:
      - .offset:         0
        .size:           4
        .value_kind:     by_value
      - .offset:         4
        .size:           4
        .value_kind:     by_value
      - .address_space:  global
        .offset:         8
        .size:           8
        .value_kind:     global_buffer
      - .offset:         16
        .size:           4
        .value_kind:     by_value
      - .offset:         20
        .size:           4
        .value_kind:     by_value
      - .offset:         24
        .size:           8
        .value_kind:     by_value
    .group_segment_fixed_size: 704
    .kernarg_segment_align: 8
    .kernarg_segment_size: 32
    .language:       OpenCL C
    .language_version:
      - 2
      - 0
    .max_flat_workgroup_size: 64
    .name:           _ZN9rocsolver6v33100L18trti2_kernel_smallILi44E19rocblas_complex_numIfEPKPS3_EEv13rocblas_fill_17rocblas_diagonal_T1_iil
    .private_segment_fixed_size: 368
    .sgpr_count:     52
    .sgpr_spill_count: 0
    .symbol:         _ZN9rocsolver6v33100L18trti2_kernel_smallILi44E19rocblas_complex_numIfEPKPS3_EEv13rocblas_fill_17rocblas_diagonal_T1_iil.kd
    .uniform_work_group_size: 1
    .uses_dynamic_stack: false
    .vgpr_count:     131
    .vgpr_spill_count: 0
    .wavefront_size: 32
  - .args:
      - .offset:         0
        .size:           4
        .value_kind:     by_value
      - .offset:         4
        .size:           4
        .value_kind:     by_value
      - .address_space:  global
        .offset:         8
        .size:           8
        .value_kind:     global_buffer
      - .offset:         16
        .size:           4
        .value_kind:     by_value
      - .offset:         20
        .size:           4
        .value_kind:     by_value
      - .offset:         24
        .size:           8
        .value_kind:     by_value
    .group_segment_fixed_size: 728
    .kernarg_segment_align: 8
    .kernarg_segment_size: 32
    .language:       OpenCL C
    .language_version:
      - 2
      - 0
    .max_flat_workgroup_size: 64
    .name:           _ZN9rocsolver6v33100L18trti2_kernel_smallILi45E19rocblas_complex_numIfEPKPS3_EEv13rocblas_fill_17rocblas_diagonal_T1_iil
    .private_segment_fixed_size: 368
    .sgpr_count:     53
    .sgpr_spill_count: 0
    .symbol:         _ZN9rocsolver6v33100L18trti2_kernel_smallILi45E19rocblas_complex_numIfEPKPS3_EEv13rocblas_fill_17rocblas_diagonal_T1_iil.kd
    .uniform_work_group_size: 1
    .uses_dynamic_stack: false
    .vgpr_count:     135
    .vgpr_spill_count: 0
    .wavefront_size: 32
  - .args:
      - .offset:         0
        .size:           4
        .value_kind:     by_value
      - .offset:         4
        .size:           4
        .value_kind:     by_value
      - .address_space:  global
        .offset:         8
        .size:           8
        .value_kind:     global_buffer
      - .offset:         16
        .size:           4
        .value_kind:     by_value
      - .offset:         20
        .size:           4
        .value_kind:     by_value
      - .offset:         24
        .size:           8
        .value_kind:     by_value
    .group_segment_fixed_size: 736
    .kernarg_segment_align: 8
    .kernarg_segment_size: 32
    .language:       OpenCL C
    .language_version:
      - 2
      - 0
    .max_flat_workgroup_size: 64
    .name:           _ZN9rocsolver6v33100L18trti2_kernel_smallILi46E19rocblas_complex_numIfEPKPS3_EEv13rocblas_fill_17rocblas_diagonal_T1_iil
    .private_segment_fixed_size: 384
    .sgpr_count:     54
    .sgpr_spill_count: 0
    .symbol:         _ZN9rocsolver6v33100L18trti2_kernel_smallILi46E19rocblas_complex_numIfEPKPS3_EEv13rocblas_fill_17rocblas_diagonal_T1_iil.kd
    .uniform_work_group_size: 1
    .uses_dynamic_stack: false
    .vgpr_count:     137
    .vgpr_spill_count: 0
    .wavefront_size: 32
  - .args:
      - .offset:         0
        .size:           4
        .value_kind:     by_value
      - .offset:         4
        .size:           4
        .value_kind:     by_value
      - .address_space:  global
        .offset:         8
        .size:           8
        .value_kind:     global_buffer
      - .offset:         16
        .size:           4
        .value_kind:     by_value
      - .offset:         20
        .size:           4
        .value_kind:     by_value
      - .offset:         24
        .size:           8
        .value_kind:     by_value
    .group_segment_fixed_size: 760
    .kernarg_segment_align: 8
    .kernarg_segment_size: 32
    .language:       OpenCL C
    .language_version:
      - 2
      - 0
    .max_flat_workgroup_size: 64
    .name:           _ZN9rocsolver6v33100L18trti2_kernel_smallILi47E19rocblas_complex_numIfEPKPS3_EEv13rocblas_fill_17rocblas_diagonal_T1_iil
    .private_segment_fixed_size: 384
    .sgpr_count:     55
    .sgpr_spill_count: 0
    .symbol:         _ZN9rocsolver6v33100L18trti2_kernel_smallILi47E19rocblas_complex_numIfEPKPS3_EEv13rocblas_fill_17rocblas_diagonal_T1_iil.kd
    .uniform_work_group_size: 1
    .uses_dynamic_stack: false
    .vgpr_count:     141
    .vgpr_spill_count: 0
    .wavefront_size: 32
  - .args:
      - .offset:         0
        .size:           4
        .value_kind:     by_value
      - .offset:         4
        .size:           4
        .value_kind:     by_value
      - .address_space:  global
        .offset:         8
        .size:           8
        .value_kind:     global_buffer
      - .offset:         16
        .size:           4
        .value_kind:     by_value
      - .offset:         20
        .size:           4
        .value_kind:     by_value
      - .offset:         24
        .size:           8
        .value_kind:     by_value
    .group_segment_fixed_size: 768
    .kernarg_segment_align: 8
    .kernarg_segment_size: 32
    .language:       OpenCL C
    .language_version:
      - 2
      - 0
    .max_flat_workgroup_size: 64
    .name:           _ZN9rocsolver6v33100L18trti2_kernel_smallILi48E19rocblas_complex_numIfEPKPS3_EEv13rocblas_fill_17rocblas_diagonal_T1_iil
    .private_segment_fixed_size: 400
    .sgpr_count:     56
    .sgpr_spill_count: 0
    .symbol:         _ZN9rocsolver6v33100L18trti2_kernel_smallILi48E19rocblas_complex_numIfEPKPS3_EEv13rocblas_fill_17rocblas_diagonal_T1_iil.kd
    .uniform_work_group_size: 1
    .uses_dynamic_stack: false
    .vgpr_count:     143
    .vgpr_spill_count: 0
    .wavefront_size: 32
  - .args:
      - .offset:         0
        .size:           4
        .value_kind:     by_value
      - .offset:         4
        .size:           4
        .value_kind:     by_value
      - .address_space:  global
        .offset:         8
        .size:           8
        .value_kind:     global_buffer
      - .offset:         16
        .size:           4
        .value_kind:     by_value
      - .offset:         20
        .size:           4
        .value_kind:     by_value
      - .offset:         24
        .size:           8
        .value_kind:     by_value
    .group_segment_fixed_size: 792
    .kernarg_segment_align: 8
    .kernarg_segment_size: 32
    .language:       OpenCL C
    .language_version:
      - 2
      - 0
    .max_flat_workgroup_size: 64
    .name:           _ZN9rocsolver6v33100L18trti2_kernel_smallILi49E19rocblas_complex_numIfEPKPS3_EEv13rocblas_fill_17rocblas_diagonal_T1_iil
    .private_segment_fixed_size: 400
    .sgpr_count:     57
    .sgpr_spill_count: 0
    .symbol:         _ZN9rocsolver6v33100L18trti2_kernel_smallILi49E19rocblas_complex_numIfEPKPS3_EEv13rocblas_fill_17rocblas_diagonal_T1_iil.kd
    .uniform_work_group_size: 1
    .uses_dynamic_stack: false
    .vgpr_count:     147
    .vgpr_spill_count: 0
    .wavefront_size: 32
  - .args:
      - .offset:         0
        .size:           4
        .value_kind:     by_value
      - .offset:         4
        .size:           4
        .value_kind:     by_value
      - .address_space:  global
        .offset:         8
        .size:           8
        .value_kind:     global_buffer
      - .offset:         16
        .size:           4
        .value_kind:     by_value
      - .offset:         20
        .size:           4
        .value_kind:     by_value
      - .offset:         24
        .size:           8
        .value_kind:     by_value
    .group_segment_fixed_size: 800
    .kernarg_segment_align: 8
    .kernarg_segment_size: 32
    .language:       OpenCL C
    .language_version:
      - 2
      - 0
    .max_flat_workgroup_size: 64
    .name:           _ZN9rocsolver6v33100L18trti2_kernel_smallILi50E19rocblas_complex_numIfEPKPS3_EEv13rocblas_fill_17rocblas_diagonal_T1_iil
    .private_segment_fixed_size: 416
    .sgpr_count:     58
    .sgpr_spill_count: 0
    .symbol:         _ZN9rocsolver6v33100L18trti2_kernel_smallILi50E19rocblas_complex_numIfEPKPS3_EEv13rocblas_fill_17rocblas_diagonal_T1_iil.kd
    .uniform_work_group_size: 1
    .uses_dynamic_stack: false
    .vgpr_count:     149
    .vgpr_spill_count: 0
    .wavefront_size: 32
  - .args:
      - .offset:         0
        .size:           4
        .value_kind:     by_value
      - .offset:         4
        .size:           4
        .value_kind:     by_value
      - .address_space:  global
        .offset:         8
        .size:           8
        .value_kind:     global_buffer
      - .offset:         16
        .size:           4
        .value_kind:     by_value
      - .offset:         20
        .size:           4
        .value_kind:     by_value
      - .offset:         24
        .size:           8
        .value_kind:     by_value
    .group_segment_fixed_size: 824
    .kernarg_segment_align: 8
    .kernarg_segment_size: 32
    .language:       OpenCL C
    .language_version:
      - 2
      - 0
    .max_flat_workgroup_size: 64
    .name:           _ZN9rocsolver6v33100L18trti2_kernel_smallILi51E19rocblas_complex_numIfEPKPS3_EEv13rocblas_fill_17rocblas_diagonal_T1_iil
    .private_segment_fixed_size: 416
    .sgpr_count:     59
    .sgpr_spill_count: 0
    .symbol:         _ZN9rocsolver6v33100L18trti2_kernel_smallILi51E19rocblas_complex_numIfEPKPS3_EEv13rocblas_fill_17rocblas_diagonal_T1_iil.kd
    .uniform_work_group_size: 1
    .uses_dynamic_stack: false
    .vgpr_count:     153
    .vgpr_spill_count: 0
    .wavefront_size: 32
  - .args:
      - .offset:         0
        .size:           4
        .value_kind:     by_value
      - .offset:         4
        .size:           4
        .value_kind:     by_value
      - .address_space:  global
        .offset:         8
        .size:           8
        .value_kind:     global_buffer
      - .offset:         16
        .size:           4
        .value_kind:     by_value
      - .offset:         20
        .size:           4
        .value_kind:     by_value
      - .offset:         24
        .size:           8
        .value_kind:     by_value
    .group_segment_fixed_size: 832
    .kernarg_segment_align: 8
    .kernarg_segment_size: 32
    .language:       OpenCL C
    .language_version:
      - 2
      - 0
    .max_flat_workgroup_size: 64
    .name:           _ZN9rocsolver6v33100L18trti2_kernel_smallILi52E19rocblas_complex_numIfEPKPS3_EEv13rocblas_fill_17rocblas_diagonal_T1_iil
    .private_segment_fixed_size: 432
    .sgpr_count:     60
    .sgpr_spill_count: 0
    .symbol:         _ZN9rocsolver6v33100L18trti2_kernel_smallILi52E19rocblas_complex_numIfEPKPS3_EEv13rocblas_fill_17rocblas_diagonal_T1_iil.kd
    .uniform_work_group_size: 1
    .uses_dynamic_stack: false
    .vgpr_count:     155
    .vgpr_spill_count: 0
    .wavefront_size: 32
  - .args:
      - .offset:         0
        .size:           4
        .value_kind:     by_value
      - .offset:         4
        .size:           4
        .value_kind:     by_value
      - .address_space:  global
        .offset:         8
        .size:           8
        .value_kind:     global_buffer
      - .offset:         16
        .size:           4
        .value_kind:     by_value
      - .offset:         20
        .size:           4
        .value_kind:     by_value
      - .offset:         24
        .size:           8
        .value_kind:     by_value
    .group_segment_fixed_size: 856
    .kernarg_segment_align: 8
    .kernarg_segment_size: 32
    .language:       OpenCL C
    .language_version:
      - 2
      - 0
    .max_flat_workgroup_size: 64
    .name:           _ZN9rocsolver6v33100L18trti2_kernel_smallILi53E19rocblas_complex_numIfEPKPS3_EEv13rocblas_fill_17rocblas_diagonal_T1_iil
    .private_segment_fixed_size: 432
    .sgpr_count:     61
    .sgpr_spill_count: 0
    .symbol:         _ZN9rocsolver6v33100L18trti2_kernel_smallILi53E19rocblas_complex_numIfEPKPS3_EEv13rocblas_fill_17rocblas_diagonal_T1_iil.kd
    .uniform_work_group_size: 1
    .uses_dynamic_stack: false
    .vgpr_count:     159
    .vgpr_spill_count: 0
    .wavefront_size: 32
  - .args:
      - .offset:         0
        .size:           4
        .value_kind:     by_value
      - .offset:         4
        .size:           4
        .value_kind:     by_value
      - .address_space:  global
        .offset:         8
        .size:           8
        .value_kind:     global_buffer
      - .offset:         16
        .size:           4
        .value_kind:     by_value
      - .offset:         20
        .size:           4
        .value_kind:     by_value
      - .offset:         24
        .size:           8
        .value_kind:     by_value
    .group_segment_fixed_size: 864
    .kernarg_segment_align: 8
    .kernarg_segment_size: 32
    .language:       OpenCL C
    .language_version:
      - 2
      - 0
    .max_flat_workgroup_size: 64
    .name:           _ZN9rocsolver6v33100L18trti2_kernel_smallILi54E19rocblas_complex_numIfEPKPS3_EEv13rocblas_fill_17rocblas_diagonal_T1_iil
    .private_segment_fixed_size: 448
    .sgpr_count:     62
    .sgpr_spill_count: 0
    .symbol:         _ZN9rocsolver6v33100L18trti2_kernel_smallILi54E19rocblas_complex_numIfEPKPS3_EEv13rocblas_fill_17rocblas_diagonal_T1_iil.kd
    .uniform_work_group_size: 1
    .uses_dynamic_stack: false
    .vgpr_count:     161
    .vgpr_spill_count: 0
    .wavefront_size: 32
  - .args:
      - .offset:         0
        .size:           4
        .value_kind:     by_value
      - .offset:         4
        .size:           4
        .value_kind:     by_value
      - .address_space:  global
        .offset:         8
        .size:           8
        .value_kind:     global_buffer
      - .offset:         16
        .size:           4
        .value_kind:     by_value
      - .offset:         20
        .size:           4
        .value_kind:     by_value
      - .offset:         24
        .size:           8
        .value_kind:     by_value
    .group_segment_fixed_size: 888
    .kernarg_segment_align: 8
    .kernarg_segment_size: 32
    .language:       OpenCL C
    .language_version:
      - 2
      - 0
    .max_flat_workgroup_size: 64
    .name:           _ZN9rocsolver6v33100L18trti2_kernel_smallILi55E19rocblas_complex_numIfEPKPS3_EEv13rocblas_fill_17rocblas_diagonal_T1_iil
    .private_segment_fixed_size: 448
    .sgpr_count:     63
    .sgpr_spill_count: 0
    .symbol:         _ZN9rocsolver6v33100L18trti2_kernel_smallILi55E19rocblas_complex_numIfEPKPS3_EEv13rocblas_fill_17rocblas_diagonal_T1_iil.kd
    .uniform_work_group_size: 1
    .uses_dynamic_stack: false
    .vgpr_count:     165
    .vgpr_spill_count: 0
    .wavefront_size: 32
  - .args:
      - .offset:         0
        .size:           4
        .value_kind:     by_value
      - .offset:         4
        .size:           4
        .value_kind:     by_value
      - .address_space:  global
        .offset:         8
        .size:           8
        .value_kind:     global_buffer
      - .offset:         16
        .size:           4
        .value_kind:     by_value
      - .offset:         20
        .size:           4
        .value_kind:     by_value
      - .offset:         24
        .size:           8
        .value_kind:     by_value
    .group_segment_fixed_size: 896
    .kernarg_segment_align: 8
    .kernarg_segment_size: 32
    .language:       OpenCL C
    .language_version:
      - 2
      - 0
    .max_flat_workgroup_size: 64
    .name:           _ZN9rocsolver6v33100L18trti2_kernel_smallILi56E19rocblas_complex_numIfEPKPS3_EEv13rocblas_fill_17rocblas_diagonal_T1_iil
    .private_segment_fixed_size: 464
    .sgpr_count:     64
    .sgpr_spill_count: 0
    .symbol:         _ZN9rocsolver6v33100L18trti2_kernel_smallILi56E19rocblas_complex_numIfEPKPS3_EEv13rocblas_fill_17rocblas_diagonal_T1_iil.kd
    .uniform_work_group_size: 1
    .uses_dynamic_stack: false
    .vgpr_count:     169
    .vgpr_spill_count: 0
    .wavefront_size: 32
  - .args:
      - .offset:         0
        .size:           4
        .value_kind:     by_value
      - .offset:         4
        .size:           4
        .value_kind:     by_value
      - .address_space:  global
        .offset:         8
        .size:           8
        .value_kind:     global_buffer
      - .offset:         16
        .size:           4
        .value_kind:     by_value
      - .offset:         20
        .size:           4
        .value_kind:     by_value
      - .offset:         24
        .size:           8
        .value_kind:     by_value
    .group_segment_fixed_size: 920
    .kernarg_segment_align: 8
    .kernarg_segment_size: 32
    .language:       OpenCL C
    .language_version:
      - 2
      - 0
    .max_flat_workgroup_size: 64
    .name:           _ZN9rocsolver6v33100L18trti2_kernel_smallILi57E19rocblas_complex_numIfEPKPS3_EEv13rocblas_fill_17rocblas_diagonal_T1_iil
    .private_segment_fixed_size: 464
    .sgpr_count:     65
    .sgpr_spill_count: 0
    .symbol:         _ZN9rocsolver6v33100L18trti2_kernel_smallILi57E19rocblas_complex_numIfEPKPS3_EEv13rocblas_fill_17rocblas_diagonal_T1_iil.kd
    .uniform_work_group_size: 1
    .uses_dynamic_stack: false
    .vgpr_count:     171
    .vgpr_spill_count: 0
    .wavefront_size: 32
  - .args:
      - .offset:         0
        .size:           4
        .value_kind:     by_value
      - .offset:         4
        .size:           4
        .value_kind:     by_value
      - .address_space:  global
        .offset:         8
        .size:           8
        .value_kind:     global_buffer
      - .offset:         16
        .size:           4
        .value_kind:     by_value
      - .offset:         20
        .size:           4
        .value_kind:     by_value
      - .offset:         24
        .size:           8
        .value_kind:     by_value
    .group_segment_fixed_size: 928
    .kernarg_segment_align: 8
    .kernarg_segment_size: 32
    .language:       OpenCL C
    .language_version:
      - 2
      - 0
    .max_flat_workgroup_size: 64
    .name:           _ZN9rocsolver6v33100L18trti2_kernel_smallILi58E19rocblas_complex_numIfEPKPS3_EEv13rocblas_fill_17rocblas_diagonal_T1_iil
    .private_segment_fixed_size: 480
    .sgpr_count:     66
    .sgpr_spill_count: 0
    .symbol:         _ZN9rocsolver6v33100L18trti2_kernel_smallILi58E19rocblas_complex_numIfEPKPS3_EEv13rocblas_fill_17rocblas_diagonal_T1_iil.kd
    .uniform_work_group_size: 1
    .uses_dynamic_stack: false
    .vgpr_count:     175
    .vgpr_spill_count: 0
    .wavefront_size: 32
  - .args:
      - .offset:         0
        .size:           4
        .value_kind:     by_value
      - .offset:         4
        .size:           4
        .value_kind:     by_value
      - .address_space:  global
        .offset:         8
        .size:           8
        .value_kind:     global_buffer
      - .offset:         16
        .size:           4
        .value_kind:     by_value
      - .offset:         20
        .size:           4
        .value_kind:     by_value
      - .offset:         24
        .size:           8
        .value_kind:     by_value
    .group_segment_fixed_size: 952
    .kernarg_segment_align: 8
    .kernarg_segment_size: 32
    .language:       OpenCL C
    .language_version:
      - 2
      - 0
    .max_flat_workgroup_size: 64
    .name:           _ZN9rocsolver6v33100L18trti2_kernel_smallILi59E19rocblas_complex_numIfEPKPS3_EEv13rocblas_fill_17rocblas_diagonal_T1_iil
    .private_segment_fixed_size: 480
    .sgpr_count:     67
    .sgpr_spill_count: 0
    .symbol:         _ZN9rocsolver6v33100L18trti2_kernel_smallILi59E19rocblas_complex_numIfEPKPS3_EEv13rocblas_fill_17rocblas_diagonal_T1_iil.kd
    .uniform_work_group_size: 1
    .uses_dynamic_stack: false
    .vgpr_count:     177
    .vgpr_spill_count: 0
    .wavefront_size: 32
  - .args:
      - .offset:         0
        .size:           4
        .value_kind:     by_value
      - .offset:         4
        .size:           4
        .value_kind:     by_value
      - .address_space:  global
        .offset:         8
        .size:           8
        .value_kind:     global_buffer
      - .offset:         16
        .size:           4
        .value_kind:     by_value
      - .offset:         20
        .size:           4
        .value_kind:     by_value
      - .offset:         24
        .size:           8
        .value_kind:     by_value
    .group_segment_fixed_size: 960
    .kernarg_segment_align: 8
    .kernarg_segment_size: 32
    .language:       OpenCL C
    .language_version:
      - 2
      - 0
    .max_flat_workgroup_size: 64
    .name:           _ZN9rocsolver6v33100L18trti2_kernel_smallILi60E19rocblas_complex_numIfEPKPS3_EEv13rocblas_fill_17rocblas_diagonal_T1_iil
    .private_segment_fixed_size: 496
    .sgpr_count:     68
    .sgpr_spill_count: 0
    .symbol:         _ZN9rocsolver6v33100L18trti2_kernel_smallILi60E19rocblas_complex_numIfEPKPS3_EEv13rocblas_fill_17rocblas_diagonal_T1_iil.kd
    .uniform_work_group_size: 1
    .uses_dynamic_stack: false
    .vgpr_count:     181
    .vgpr_spill_count: 0
    .wavefront_size: 32
  - .args:
      - .offset:         0
        .size:           4
        .value_kind:     by_value
      - .offset:         4
        .size:           4
        .value_kind:     by_value
      - .address_space:  global
        .offset:         8
        .size:           8
        .value_kind:     global_buffer
      - .offset:         16
        .size:           4
        .value_kind:     by_value
      - .offset:         20
        .size:           4
        .value_kind:     by_value
      - .offset:         24
        .size:           8
        .value_kind:     by_value
    .group_segment_fixed_size: 984
    .kernarg_segment_align: 8
    .kernarg_segment_size: 32
    .language:       OpenCL C
    .language_version:
      - 2
      - 0
    .max_flat_workgroup_size: 64
    .name:           _ZN9rocsolver6v33100L18trti2_kernel_smallILi61E19rocblas_complex_numIfEPKPS3_EEv13rocblas_fill_17rocblas_diagonal_T1_iil
    .private_segment_fixed_size: 496
    .sgpr_count:     69
    .sgpr_spill_count: 0
    .symbol:         _ZN9rocsolver6v33100L18trti2_kernel_smallILi61E19rocblas_complex_numIfEPKPS3_EEv13rocblas_fill_17rocblas_diagonal_T1_iil.kd
    .uniform_work_group_size: 1
    .uses_dynamic_stack: false
    .vgpr_count:     183
    .vgpr_spill_count: 0
    .wavefront_size: 32
  - .args:
      - .offset:         0
        .size:           4
        .value_kind:     by_value
      - .offset:         4
        .size:           4
        .value_kind:     by_value
      - .address_space:  global
        .offset:         8
        .size:           8
        .value_kind:     global_buffer
      - .offset:         16
        .size:           4
        .value_kind:     by_value
      - .offset:         20
        .size:           4
        .value_kind:     by_value
      - .offset:         24
        .size:           8
        .value_kind:     by_value
    .group_segment_fixed_size: 992
    .kernarg_segment_align: 8
    .kernarg_segment_size: 32
    .language:       OpenCL C
    .language_version:
      - 2
      - 0
    .max_flat_workgroup_size: 64
    .name:           _ZN9rocsolver6v33100L18trti2_kernel_smallILi62E19rocblas_complex_numIfEPKPS3_EEv13rocblas_fill_17rocblas_diagonal_T1_iil
    .private_segment_fixed_size: 512
    .sgpr_count:     70
    .sgpr_spill_count: 0
    .symbol:         _ZN9rocsolver6v33100L18trti2_kernel_smallILi62E19rocblas_complex_numIfEPKPS3_EEv13rocblas_fill_17rocblas_diagonal_T1_iil.kd
    .uniform_work_group_size: 1
    .uses_dynamic_stack: false
    .vgpr_count:     187
    .vgpr_spill_count: 0
    .wavefront_size: 32
  - .args:
      - .offset:         0
        .size:           4
        .value_kind:     by_value
      - .offset:         4
        .size:           4
        .value_kind:     by_value
      - .address_space:  global
        .offset:         8
        .size:           8
        .value_kind:     global_buffer
      - .offset:         16
        .size:           4
        .value_kind:     by_value
      - .offset:         20
        .size:           4
        .value_kind:     by_value
      - .offset:         24
        .size:           8
        .value_kind:     by_value
    .group_segment_fixed_size: 1016
    .kernarg_segment_align: 8
    .kernarg_segment_size: 32
    .language:       OpenCL C
    .language_version:
      - 2
      - 0
    .max_flat_workgroup_size: 64
    .name:           _ZN9rocsolver6v33100L18trti2_kernel_smallILi63E19rocblas_complex_numIfEPKPS3_EEv13rocblas_fill_17rocblas_diagonal_T1_iil
    .private_segment_fixed_size: 512
    .sgpr_count:     71
    .sgpr_spill_count: 0
    .symbol:         _ZN9rocsolver6v33100L18trti2_kernel_smallILi63E19rocblas_complex_numIfEPKPS3_EEv13rocblas_fill_17rocblas_diagonal_T1_iil.kd
    .uniform_work_group_size: 1
    .uses_dynamic_stack: false
    .vgpr_count:     189
    .vgpr_spill_count: 0
    .wavefront_size: 32
  - .args:
      - .offset:         0
        .size:           4
        .value_kind:     by_value
      - .offset:         4
        .size:           4
        .value_kind:     by_value
      - .address_space:  global
        .offset:         8
        .size:           8
        .value_kind:     global_buffer
      - .offset:         16
        .size:           4
        .value_kind:     by_value
      - .offset:         20
        .size:           4
        .value_kind:     by_value
      - .offset:         24
        .size:           8
        .value_kind:     by_value
    .group_segment_fixed_size: 1024
    .kernarg_segment_align: 8
    .kernarg_segment_size: 32
    .language:       OpenCL C
    .language_version:
      - 2
      - 0
    .max_flat_workgroup_size: 64
    .name:           _ZN9rocsolver6v33100L18trti2_kernel_smallILi64E19rocblas_complex_numIfEPKPS3_EEv13rocblas_fill_17rocblas_diagonal_T1_iil
    .private_segment_fixed_size: 528
    .sgpr_count:     72
    .sgpr_spill_count: 0
    .symbol:         _ZN9rocsolver6v33100L18trti2_kernel_smallILi64E19rocblas_complex_numIfEPKPS3_EEv13rocblas_fill_17rocblas_diagonal_T1_iil.kd
    .uniform_work_group_size: 1
    .uses_dynamic_stack: false
    .vgpr_count:     193
    .vgpr_spill_count: 0
    .wavefront_size: 32
amdhsa.target:   amdgcn-amd-amdhsa--gfx1250
amdhsa.version:
  - 1
  - 2
...

	.end_amdgpu_metadata
